;; amdgpu-corpus repo=pytorch/pytorch kind=compiled arch=gfx90a opt=O3
	.text
	.amdgcn_target "amdgcn-amd-amdhsa--gfx90a"
	.amdhsa_code_object_version 6
	.section	.text._ZN2at6native8internal12_GLOBAL__N_114scatter_kernelElPKlS4_Pl,"axG",@progbits,_ZN2at6native8internal12_GLOBAL__N_114scatter_kernelElPKlS4_Pl,comdat
	.globl	_ZN2at6native8internal12_GLOBAL__N_114scatter_kernelElPKlS4_Pl ; -- Begin function _ZN2at6native8internal12_GLOBAL__N_114scatter_kernelElPKlS4_Pl
	.p2align	8
	.type	_ZN2at6native8internal12_GLOBAL__N_114scatter_kernelElPKlS4_Pl,@function
_ZN2at6native8internal12_GLOBAL__N_114scatter_kernelElPKlS4_Pl: ; @_ZN2at6native8internal12_GLOBAL__N_114scatter_kernelElPKlS4_Pl
; %bb.0:
	s_load_dword s2, s[4:5], 0x2c
	s_load_dwordx8 s[8:15], s[4:5], 0x0
	s_add_u32 s0, s4, 32
	s_addc_u32 s1, s5, 0
	v_mov_b32_e32 v1, 0
	s_waitcnt lgkmcnt(0)
	s_and_b32 s2, s2, 0xffff
	v_mov_b32_e32 v2, s6
	v_mad_u64_u32 v[2:3], s[4:5], s2, v2, v[0:1]
	v_cmp_gt_i64_e32 vcc, s[8:9], v[2:3]
	s_and_saveexec_b64 s[4:5], vcc
	s_cbranch_execz .LBB0_3
; %bb.1:
	s_load_dword s3, s[0:1], 0x0
	s_mov_b32 s4, 0
	v_mov_b32_e32 v0, v1
	v_mov_b32_e32 v1, v2
	s_mov_b64 s[0:1], 0
	s_waitcnt lgkmcnt(0)
	s_mul_i32 s2, s3, s2
	v_mov_b32_e32 v4, s11
	v_mov_b32_e32 v5, s13
	;; [unrolled: 1-line block ×5, first 2 shown]
.LBB0_2:                                ; =>This Inner Loop Header: Depth=1
	v_ashrrev_i64 v[10:11], 29, v[0:1]
	v_add_co_u32_e32 v12, vcc, s12, v10
	v_addc_co_u32_e32 v13, vcc, v5, v11, vcc
	global_load_dwordx2 v[12:13], v[12:13], off
	v_add_co_u32_e32 v10, vcc, s10, v10
	v_addc_co_u32_e32 v11, vcc, v4, v11, vcc
	global_load_dwordx2 v[10:11], v[10:11], off
	v_add_co_u32_e32 v2, vcc, s2, v2
	v_addc_co_u32_e32 v3, vcc, v3, v7, vcc
	v_add_co_u32_e32 v0, vcc, 0, v0
	v_addc_co_u32_e32 v1, vcc, v1, v8, vcc
	v_cmp_le_i64_e32 vcc, s[8:9], v[2:3]
	s_or_b64 s[0:1], vcc, s[0:1]
	s_waitcnt vmcnt(1)
	v_lshlrev_b64 v[12:13], 3, v[12:13]
	v_add_co_u32_e32 v12, vcc, s14, v12
	v_addc_co_u32_e32 v13, vcc, v6, v13, vcc
	s_waitcnt vmcnt(0)
	global_store_dwordx2 v[12:13], v[10:11], off
	s_andn2_b64 exec, exec, s[0:1]
	s_cbranch_execnz .LBB0_2
.LBB0_3:
	s_endpgm
	.section	.rodata,"a",@progbits
	.p2align	6, 0x0
	.amdhsa_kernel _ZN2at6native8internal12_GLOBAL__N_114scatter_kernelElPKlS4_Pl
		.amdhsa_group_segment_fixed_size 0
		.amdhsa_private_segment_fixed_size 0
		.amdhsa_kernarg_size 288
		.amdhsa_user_sgpr_count 6
		.amdhsa_user_sgpr_private_segment_buffer 1
		.amdhsa_user_sgpr_dispatch_ptr 0
		.amdhsa_user_sgpr_queue_ptr 0
		.amdhsa_user_sgpr_kernarg_segment_ptr 1
		.amdhsa_user_sgpr_dispatch_id 0
		.amdhsa_user_sgpr_flat_scratch_init 0
		.amdhsa_user_sgpr_kernarg_preload_length 0
		.amdhsa_user_sgpr_kernarg_preload_offset 0
		.amdhsa_user_sgpr_private_segment_size 0
		.amdhsa_uses_dynamic_stack 0
		.amdhsa_system_sgpr_private_segment_wavefront_offset 0
		.amdhsa_system_sgpr_workgroup_id_x 1
		.amdhsa_system_sgpr_workgroup_id_y 0
		.amdhsa_system_sgpr_workgroup_id_z 0
		.amdhsa_system_sgpr_workgroup_info 0
		.amdhsa_system_vgpr_workitem_id 0
		.amdhsa_next_free_vgpr 14
		.amdhsa_next_free_sgpr 16
		.amdhsa_accum_offset 16
		.amdhsa_reserve_vcc 1
		.amdhsa_reserve_flat_scratch 0
		.amdhsa_float_round_mode_32 0
		.amdhsa_float_round_mode_16_64 0
		.amdhsa_float_denorm_mode_32 3
		.amdhsa_float_denorm_mode_16_64 3
		.amdhsa_dx10_clamp 1
		.amdhsa_ieee_mode 1
		.amdhsa_fp16_overflow 0
		.amdhsa_tg_split 0
		.amdhsa_exception_fp_ieee_invalid_op 0
		.amdhsa_exception_fp_denorm_src 0
		.amdhsa_exception_fp_ieee_div_zero 0
		.amdhsa_exception_fp_ieee_overflow 0
		.amdhsa_exception_fp_ieee_underflow 0
		.amdhsa_exception_fp_ieee_inexact 0
		.amdhsa_exception_int_div_zero 0
	.end_amdhsa_kernel
	.section	.text._ZN2at6native8internal12_GLOBAL__N_114scatter_kernelElPKlS4_Pl,"axG",@progbits,_ZN2at6native8internal12_GLOBAL__N_114scatter_kernelElPKlS4_Pl,comdat
.Lfunc_end0:
	.size	_ZN2at6native8internal12_GLOBAL__N_114scatter_kernelElPKlS4_Pl, .Lfunc_end0-_ZN2at6native8internal12_GLOBAL__N_114scatter_kernelElPKlS4_Pl
                                        ; -- End function
	.section	.AMDGPU.csdata,"",@progbits
; Kernel info:
; codeLenInByte = 224
; NumSgprs: 20
; NumVgprs: 14
; NumAgprs: 0
; TotalNumVgprs: 14
; ScratchSize: 0
; MemoryBound: 0
; FloatMode: 240
; IeeeMode: 1
; LDSByteSize: 0 bytes/workgroup (compile time only)
; SGPRBlocks: 2
; VGPRBlocks: 1
; NumSGPRsForWavesPerEU: 20
; NumVGPRsForWavesPerEU: 14
; AccumOffset: 16
; Occupancy: 8
; WaveLimiterHint : 1
; COMPUTE_PGM_RSRC2:SCRATCH_EN: 0
; COMPUTE_PGM_RSRC2:USER_SGPR: 6
; COMPUTE_PGM_RSRC2:TRAP_HANDLER: 0
; COMPUTE_PGM_RSRC2:TGID_X_EN: 1
; COMPUTE_PGM_RSRC2:TGID_Y_EN: 0
; COMPUTE_PGM_RSRC2:TGID_Z_EN: 0
; COMPUTE_PGM_RSRC2:TIDIG_COMP_CNT: 0
; COMPUTE_PGM_RSRC3_GFX90A:ACCUM_OFFSET: 3
; COMPUTE_PGM_RSRC3_GFX90A:TG_SPLIT: 0
	.text
	.protected	_ZN2at6native8internal33unique_bool_write_inverse_indicesEiPKiPKbPl ; -- Begin function _ZN2at6native8internal33unique_bool_write_inverse_indicesEiPKiPKbPl
	.globl	_ZN2at6native8internal33unique_bool_write_inverse_indicesEiPKiPKbPl
	.p2align	8
	.type	_ZN2at6native8internal33unique_bool_write_inverse_indicesEiPKiPKbPl,@function
_ZN2at6native8internal33unique_bool_write_inverse_indicesEiPKiPKbPl: ; @_ZN2at6native8internal33unique_bool_write_inverse_indicesEiPKiPKbPl
; %bb.0:
	s_load_dword s0, s[4:5], 0x2c
	s_load_dword s8, s[4:5], 0x0
	s_add_u32 s10, s4, 32
	s_addc_u32 s11, s5, 0
	v_mov_b32_e32 v1, 0
	s_waitcnt lgkmcnt(0)
	s_and_b32 s13, s0, 0xffff
	v_mov_b32_e32 v2, s6
	v_mad_u64_u32 v[2:3], s[0:1], s13, v2, v[0:1]
	s_ashr_i32 s9, s8, 31
	v_cmp_gt_i64_e32 vcc, s[8:9], v[2:3]
	s_and_saveexec_b64 s[0:1], vcc
	s_cbranch_execz .LBB1_3
; %bb.1:
	s_load_dwordx4 s[0:3], s[4:5], 0x8
	s_load_dwordx2 s[6:7], s[4:5], 0x18
	s_load_dword s14, s[10:11], 0x0
	s_mov_b32 s12, 0
	v_mov_b32_e32 v0, v1
	s_waitcnt lgkmcnt(0)
	s_load_dword s0, s[0:1], 0x0
	v_mov_b32_e32 v1, v2
	s_mul_i32 s13, s14, s13
	s_mov_b64 s[4:5], 0
	v_mov_b32_e32 v4, s3
	s_waitcnt lgkmcnt(0)
	s_cmp_lt_i32 s0, s8
	s_cselect_b64 s[10:11], -1, 0
	v_mov_b32_e32 v5, s7
	v_mov_b32_e32 v6, s12
	v_mov_b32_e32 v7, s13
	s_mov_b32 s1, s13
.LBB1_2:                                ; =>This Inner Loop Header: Depth=1
	v_mov_b32_e32 v8, v1
	v_ashrrev_i32_e32 v9, 31, v1
	v_add_co_u32_e32 v8, vcc, s2, v8
	v_addc_co_u32_e32 v9, vcc, v4, v9, vcc
	global_load_ubyte v8, v[8:9], off
	v_add_co_u32_e32 v2, vcc, s13, v2
	v_addc_co_u32_e32 v3, vcc, v3, v6, vcc
	v_ashrrev_i64 v[10:11], 29, v[0:1]
	v_add_co_u32_e32 v0, vcc, 0, v0
	v_addc_co_u32_e32 v1, vcc, v1, v7, vcc
	v_add_co_u32_e32 v10, vcc, s6, v10
	v_addc_co_u32_e32 v11, vcc, v5, v11, vcc
	v_cmp_le_i64_e32 vcc, s[8:9], v[2:3]
	v_mov_b32_e32 v9, s12
	s_waitcnt vmcnt(0)
	v_cmp_ne_u16_e64 s[0:1], 0, v8
	s_and_b64 s[0:1], s[0:1], s[10:11]
	v_cndmask_b32_e64 v8, 0, 1, s[0:1]
	s_or_b64 s[4:5], vcc, s[4:5]
	global_store_dwordx2 v[10:11], v[8:9], off
	s_andn2_b64 exec, exec, s[4:5]
	s_cbranch_execnz .LBB1_2
.LBB1_3:
	s_endpgm
	.section	.rodata,"a",@progbits
	.p2align	6, 0x0
	.amdhsa_kernel _ZN2at6native8internal33unique_bool_write_inverse_indicesEiPKiPKbPl
		.amdhsa_group_segment_fixed_size 0
		.amdhsa_private_segment_fixed_size 0
		.amdhsa_kernarg_size 288
		.amdhsa_user_sgpr_count 6
		.amdhsa_user_sgpr_private_segment_buffer 1
		.amdhsa_user_sgpr_dispatch_ptr 0
		.amdhsa_user_sgpr_queue_ptr 0
		.amdhsa_user_sgpr_kernarg_segment_ptr 1
		.amdhsa_user_sgpr_dispatch_id 0
		.amdhsa_user_sgpr_flat_scratch_init 0
		.amdhsa_user_sgpr_kernarg_preload_length 0
		.amdhsa_user_sgpr_kernarg_preload_offset 0
		.amdhsa_user_sgpr_private_segment_size 0
		.amdhsa_uses_dynamic_stack 0
		.amdhsa_system_sgpr_private_segment_wavefront_offset 0
		.amdhsa_system_sgpr_workgroup_id_x 1
		.amdhsa_system_sgpr_workgroup_id_y 0
		.amdhsa_system_sgpr_workgroup_id_z 0
		.amdhsa_system_sgpr_workgroup_info 0
		.amdhsa_system_vgpr_workitem_id 0
		.amdhsa_next_free_vgpr 12
		.amdhsa_next_free_sgpr 15
		.amdhsa_accum_offset 12
		.amdhsa_reserve_vcc 1
		.amdhsa_reserve_flat_scratch 0
		.amdhsa_float_round_mode_32 0
		.amdhsa_float_round_mode_16_64 0
		.amdhsa_float_denorm_mode_32 3
		.amdhsa_float_denorm_mode_16_64 3
		.amdhsa_dx10_clamp 1
		.amdhsa_ieee_mode 1
		.amdhsa_fp16_overflow 0
		.amdhsa_tg_split 0
		.amdhsa_exception_fp_ieee_invalid_op 0
		.amdhsa_exception_fp_denorm_src 0
		.amdhsa_exception_fp_ieee_div_zero 0
		.amdhsa_exception_fp_ieee_overflow 0
		.amdhsa_exception_fp_ieee_underflow 0
		.amdhsa_exception_fp_ieee_inexact 0
		.amdhsa_exception_int_div_zero 0
	.end_amdhsa_kernel
	.text
.Lfunc_end1:
	.size	_ZN2at6native8internal33unique_bool_write_inverse_indicesEiPKiPKbPl, .Lfunc_end1-_ZN2at6native8internal33unique_bool_write_inverse_indicesEiPKiPKbPl
                                        ; -- End function
	.section	.AMDGPU.csdata,"",@progbits
; Kernel info:
; codeLenInByte = 268
; NumSgprs: 19
; NumVgprs: 12
; NumAgprs: 0
; TotalNumVgprs: 12
; ScratchSize: 0
; MemoryBound: 0
; FloatMode: 240
; IeeeMode: 1
; LDSByteSize: 0 bytes/workgroup (compile time only)
; SGPRBlocks: 2
; VGPRBlocks: 1
; NumSGPRsForWavesPerEU: 19
; NumVGPRsForWavesPerEU: 12
; AccumOffset: 12
; Occupancy: 8
; WaveLimiterHint : 0
; COMPUTE_PGM_RSRC2:SCRATCH_EN: 0
; COMPUTE_PGM_RSRC2:USER_SGPR: 6
; COMPUTE_PGM_RSRC2:TRAP_HANDLER: 0
; COMPUTE_PGM_RSRC2:TGID_X_EN: 1
; COMPUTE_PGM_RSRC2:TGID_Y_EN: 0
; COMPUTE_PGM_RSRC2:TGID_Z_EN: 0
; COMPUTE_PGM_RSRC2:TIDIG_COMP_CNT: 0
; COMPUTE_PGM_RSRC3_GFX90A:ACCUM_OFFSET: 2
; COMPUTE_PGM_RSRC3_GFX90A:TG_SPLIT: 0
	.text
	.protected	_ZN2at6native8internal24unique_bool_write_outputEiPKiPbPl ; -- Begin function _ZN2at6native8internal24unique_bool_write_outputEiPKiPbPl
	.globl	_ZN2at6native8internal24unique_bool_write_outputEiPKiPbPl
	.p2align	8
	.type	_ZN2at6native8internal24unique_bool_write_outputEiPKiPbPl,@function
_ZN2at6native8internal24unique_bool_write_outputEiPKiPbPl: ; @_ZN2at6native8internal24unique_bool_write_outputEiPKiPbPl
; %bb.0:
	s_cmp_lg_u32 s6, 0
	s_cbranch_scc0 .LBB2_2
.LBB2_1:
	s_endpgm
.LBB2_2:
	s_load_dwordx4 s[0:3], s[4:5], 0x8
	s_load_dword s9, s[4:5], 0x0
	s_waitcnt lgkmcnt(0)
	s_load_dword s8, s[0:1], 0x0
	s_load_dwordx2 s[6:7], s[4:5], 0x18
	s_waitcnt lgkmcnt(0)
	s_sub_i32 s4, s9, s8
	s_cmp_gt_i32 s4, 0
	s_cselect_b64 s[0:1], -1, 0
	s_cmp_lt_i32 s4, 1
	s_cbranch_scc1 .LBB2_4
; %bb.3:
	v_mov_b32_e32 v1, 0
	v_mov_b32_e32 v0, s4
	global_store_byte v1, v1, s[2:3]
	global_store_dwordx2 v1, v[0:1], s[6:7]
.LBB2_4:
	s_cmp_lt_i32 s8, 1
	s_cbranch_scc1 .LBB2_1
; %bb.5:
	v_cndmask_b32_e64 v0, 0, 1, s[0:1]
	v_mov_b32_e32 v1, s3
	v_add_co_u32_e32 v2, vcc, s2, v0
	v_addc_co_u32_e32 v3, vcc, 0, v1, vcc
	v_mov_b32_e32 v1, 1
	global_store_byte v[2:3], v1, off
	v_mov_b32_e32 v2, s8
	v_mov_b32_e32 v3, 0
	v_lshlrev_b32_e32 v0, 3, v0
	global_store_dwordx2 v0, v[2:3], s[6:7]
	s_endpgm
	.section	.rodata,"a",@progbits
	.p2align	6, 0x0
	.amdhsa_kernel _ZN2at6native8internal24unique_bool_write_outputEiPKiPbPl
		.amdhsa_group_segment_fixed_size 0
		.amdhsa_private_segment_fixed_size 0
		.amdhsa_kernarg_size 32
		.amdhsa_user_sgpr_count 6
		.amdhsa_user_sgpr_private_segment_buffer 1
		.amdhsa_user_sgpr_dispatch_ptr 0
		.amdhsa_user_sgpr_queue_ptr 0
		.amdhsa_user_sgpr_kernarg_segment_ptr 1
		.amdhsa_user_sgpr_dispatch_id 0
		.amdhsa_user_sgpr_flat_scratch_init 0
		.amdhsa_user_sgpr_kernarg_preload_length 0
		.amdhsa_user_sgpr_kernarg_preload_offset 0
		.amdhsa_user_sgpr_private_segment_size 0
		.amdhsa_uses_dynamic_stack 0
		.amdhsa_system_sgpr_private_segment_wavefront_offset 0
		.amdhsa_system_sgpr_workgroup_id_x 1
		.amdhsa_system_sgpr_workgroup_id_y 0
		.amdhsa_system_sgpr_workgroup_id_z 0
		.amdhsa_system_sgpr_workgroup_info 0
		.amdhsa_system_vgpr_workitem_id 0
		.amdhsa_next_free_vgpr 4
		.amdhsa_next_free_sgpr 10
		.amdhsa_accum_offset 4
		.amdhsa_reserve_vcc 1
		.amdhsa_reserve_flat_scratch 0
		.amdhsa_float_round_mode_32 0
		.amdhsa_float_round_mode_16_64 0
		.amdhsa_float_denorm_mode_32 3
		.amdhsa_float_denorm_mode_16_64 3
		.amdhsa_dx10_clamp 1
		.amdhsa_ieee_mode 1
		.amdhsa_fp16_overflow 0
		.amdhsa_tg_split 0
		.amdhsa_exception_fp_ieee_invalid_op 0
		.amdhsa_exception_fp_denorm_src 0
		.amdhsa_exception_fp_ieee_div_zero 0
		.amdhsa_exception_fp_ieee_overflow 0
		.amdhsa_exception_fp_ieee_underflow 0
		.amdhsa_exception_fp_ieee_inexact 0
		.amdhsa_exception_int_div_zero 0
	.end_amdhsa_kernel
	.text
.Lfunc_end2:
	.size	_ZN2at6native8internal24unique_bool_write_outputEiPKiPbPl, .Lfunc_end2-_ZN2at6native8internal24unique_bool_write_outputEiPKiPbPl
                                        ; -- End function
	.section	.AMDGPU.csdata,"",@progbits
; Kernel info:
; codeLenInByte = 160
; NumSgprs: 14
; NumVgprs: 4
; NumAgprs: 0
; TotalNumVgprs: 4
; ScratchSize: 0
; MemoryBound: 0
; FloatMode: 240
; IeeeMode: 1
; LDSByteSize: 0 bytes/workgroup (compile time only)
; SGPRBlocks: 1
; VGPRBlocks: 0
; NumSGPRsForWavesPerEU: 14
; NumVGPRsForWavesPerEU: 4
; AccumOffset: 4
; Occupancy: 8
; WaveLimiterHint : 0
; COMPUTE_PGM_RSRC2:SCRATCH_EN: 0
; COMPUTE_PGM_RSRC2:USER_SGPR: 6
; COMPUTE_PGM_RSRC2:TRAP_HANDLER: 0
; COMPUTE_PGM_RSRC2:TGID_X_EN: 1
; COMPUTE_PGM_RSRC2:TGID_Y_EN: 0
; COMPUTE_PGM_RSRC2:TGID_Z_EN: 0
; COMPUTE_PGM_RSRC2:TIDIG_COMP_CNT: 0
; COMPUTE_PGM_RSRC3_GFX90A:ACCUM_OFFSET: 0
; COMPUTE_PGM_RSRC3_GFX90A:TG_SPLIT: 0
	.section	.text._ZN2at6native8internal12_GLOBAL__N_126adjacent_difference_kernelIN6hipcub16HIPCUB_304000_NS22TransformInputIteratorIbNS2_10LoadBoolOpEPKhlEEEEvlT_Pi,"axG",@progbits,_ZN2at6native8internal12_GLOBAL__N_126adjacent_difference_kernelIN6hipcub16HIPCUB_304000_NS22TransformInputIteratorIbNS2_10LoadBoolOpEPKhlEEEEvlT_Pi,comdat
	.globl	_ZN2at6native8internal12_GLOBAL__N_126adjacent_difference_kernelIN6hipcub16HIPCUB_304000_NS22TransformInputIteratorIbNS2_10LoadBoolOpEPKhlEEEEvlT_Pi ; -- Begin function _ZN2at6native8internal12_GLOBAL__N_126adjacent_difference_kernelIN6hipcub16HIPCUB_304000_NS22TransformInputIteratorIbNS2_10LoadBoolOpEPKhlEEEEvlT_Pi
	.p2align	8
	.type	_ZN2at6native8internal12_GLOBAL__N_126adjacent_difference_kernelIN6hipcub16HIPCUB_304000_NS22TransformInputIteratorIbNS2_10LoadBoolOpEPKhlEEEEvlT_Pi,@function
_ZN2at6native8internal12_GLOBAL__N_126adjacent_difference_kernelIN6hipcub16HIPCUB_304000_NS22TransformInputIteratorIbNS2_10LoadBoolOpEPKhlEEEEvlT_Pi: ; @_ZN2at6native8internal12_GLOBAL__N_126adjacent_difference_kernelIN6hipcub16HIPCUB_304000_NS22TransformInputIteratorIbNS2_10LoadBoolOpEPKhlEEEEvlT_Pi
; %bb.0:
	s_load_dword s2, s[4:5], 0x2c
	s_load_dwordx4 s[8:11], s[4:5], 0x0
	s_add_u32 s0, s4, 32
	s_addc_u32 s1, s5, 0
	v_mov_b32_e32 v1, 0
	s_waitcnt lgkmcnt(0)
	s_and_b32 s7, s2, 0xffff
	v_mov_b32_e32 v2, s6
	v_mad_u64_u32 v[4:5], s[2:3], s7, v2, v[0:1]
	v_cmp_gt_i64_e32 vcc, s[8:9], v[4:5]
	s_and_saveexec_b64 s[2:3], vcc
	s_cbranch_execz .LBB3_5
; %bb.1:
	s_load_dword s0, s[0:1], 0x0
	s_mul_hi_u32 s1, s7, s6
	s_load_dwordx2 s[2:3], s[4:5], 0x18
	s_mul_i32 s12, s7, s6
	s_mov_b32 s6, 0
	s_waitcnt lgkmcnt(0)
	s_mul_i32 s13, s0, s7
	v_mov_b32_e32 v2, v1
	v_mov_b32_e32 v3, v4
	s_mov_b64 s[4:5], 0
	v_mov_b32_e32 v4, s3
	v_mov_b32_e32 v5, s6
	;; [unrolled: 1-line block ×4, first 2 shown]
	s_branch .LBB3_3
.LBB3_2:                                ;   in Loop: Header=BB3_3 Depth=1
	s_or_b64 exec, exec, s[6:7]
	v_ashrrev_i64 v[10:11], 30, v[2:3]
	v_add_co_u32_e32 v10, vcc, s2, v10
	v_addc_co_u32_e32 v11, vcc, v4, v11, vcc
	v_add_co_u32_e32 v0, vcc, s13, v0
	v_addc_co_u32_e32 v1, vcc, v1, v5, vcc
	global_store_dword v[10:11], v8, off
	v_add_co_u32_e32 v8, vcc, s12, v0
	v_addc_co_u32_e32 v9, vcc, v6, v1, vcc
	v_cmp_le_i64_e32 vcc, s[8:9], v[8:9]
	s_or_b64 s[4:5], vcc, s[4:5]
	v_add_co_u32_e32 v2, vcc, 0, v2
	v_addc_co_u32_e32 v3, vcc, v3, v7, vcc
	s_andn2_b64 exec, exec, s[4:5]
	s_cbranch_execz .LBB3_5
.LBB3_3:                                ; =>This Inner Loop Header: Depth=1
	v_add_u32_e32 v8, s12, v0
	v_cmp_lt_i32_e32 vcc, 0, v8
	v_mov_b32_e32 v8, 0
	s_and_saveexec_b64 s[6:7], vcc
	s_cbranch_execz .LBB3_2
; %bb.4:                                ;   in Loop: Header=BB3_3 Depth=1
	v_add_u32_e32 v10, s12, v0
	v_and_b32_e32 v8, 0x7fffffff, v10
	v_mov_b32_e32 v9, s11
	v_add_co_u32_e32 v8, vcc, s10, v8
	v_addc_co_u32_e32 v9, vcc, 0, v9, vcc
	v_add_u32_e32 v10, -1, v10
	global_load_ubyte v11, v[8:9], off
	global_load_ubyte v12, v10, s[10:11]
	s_waitcnt vmcnt(1)
	v_cmp_ne_u16_e32 vcc, 0, v11
	s_waitcnt vmcnt(0)
	v_cmp_ne_u16_e64 s[0:1], 0, v12
	s_xor_b64 s[0:1], vcc, s[0:1]
	v_cndmask_b32_e64 v8, 0, 1, s[0:1]
	s_branch .LBB3_2
.LBB3_5:
	s_endpgm
	.section	.rodata,"a",@progbits
	.p2align	6, 0x0
	.amdhsa_kernel _ZN2at6native8internal12_GLOBAL__N_126adjacent_difference_kernelIN6hipcub16HIPCUB_304000_NS22TransformInputIteratorIbNS2_10LoadBoolOpEPKhlEEEEvlT_Pi
		.amdhsa_group_segment_fixed_size 0
		.amdhsa_private_segment_fixed_size 0
		.amdhsa_kernarg_size 288
		.amdhsa_user_sgpr_count 6
		.amdhsa_user_sgpr_private_segment_buffer 1
		.amdhsa_user_sgpr_dispatch_ptr 0
		.amdhsa_user_sgpr_queue_ptr 0
		.amdhsa_user_sgpr_kernarg_segment_ptr 1
		.amdhsa_user_sgpr_dispatch_id 0
		.amdhsa_user_sgpr_flat_scratch_init 0
		.amdhsa_user_sgpr_kernarg_preload_length 0
		.amdhsa_user_sgpr_kernarg_preload_offset 0
		.amdhsa_user_sgpr_private_segment_size 0
		.amdhsa_uses_dynamic_stack 0
		.amdhsa_system_sgpr_private_segment_wavefront_offset 0
		.amdhsa_system_sgpr_workgroup_id_x 1
		.amdhsa_system_sgpr_workgroup_id_y 0
		.amdhsa_system_sgpr_workgroup_id_z 0
		.amdhsa_system_sgpr_workgroup_info 0
		.amdhsa_system_vgpr_workitem_id 0
		.amdhsa_next_free_vgpr 13
		.amdhsa_next_free_sgpr 14
		.amdhsa_accum_offset 16
		.amdhsa_reserve_vcc 1
		.amdhsa_reserve_flat_scratch 0
		.amdhsa_float_round_mode_32 0
		.amdhsa_float_round_mode_16_64 0
		.amdhsa_float_denorm_mode_32 3
		.amdhsa_float_denorm_mode_16_64 3
		.amdhsa_dx10_clamp 1
		.amdhsa_ieee_mode 1
		.amdhsa_fp16_overflow 0
		.amdhsa_tg_split 0
		.amdhsa_exception_fp_ieee_invalid_op 0
		.amdhsa_exception_fp_denorm_src 0
		.amdhsa_exception_fp_ieee_div_zero 0
		.amdhsa_exception_fp_ieee_overflow 0
		.amdhsa_exception_fp_ieee_underflow 0
		.amdhsa_exception_fp_ieee_inexact 0
		.amdhsa_exception_int_div_zero 0
	.end_amdhsa_kernel
	.section	.text._ZN2at6native8internal12_GLOBAL__N_126adjacent_difference_kernelIN6hipcub16HIPCUB_304000_NS22TransformInputIteratorIbNS2_10LoadBoolOpEPKhlEEEEvlT_Pi,"axG",@progbits,_ZN2at6native8internal12_GLOBAL__N_126adjacent_difference_kernelIN6hipcub16HIPCUB_304000_NS22TransformInputIteratorIbNS2_10LoadBoolOpEPKhlEEEEvlT_Pi,comdat
.Lfunc_end3:
	.size	_ZN2at6native8internal12_GLOBAL__N_126adjacent_difference_kernelIN6hipcub16HIPCUB_304000_NS22TransformInputIteratorIbNS2_10LoadBoolOpEPKhlEEEEvlT_Pi, .Lfunc_end3-_ZN2at6native8internal12_GLOBAL__N_126adjacent_difference_kernelIN6hipcub16HIPCUB_304000_NS22TransformInputIteratorIbNS2_10LoadBoolOpEPKhlEEEEvlT_Pi
                                        ; -- End function
	.section	.AMDGPU.csdata,"",@progbits
; Kernel info:
; codeLenInByte = 304
; NumSgprs: 18
; NumVgprs: 13
; NumAgprs: 0
; TotalNumVgprs: 13
; ScratchSize: 0
; MemoryBound: 0
; FloatMode: 240
; IeeeMode: 1
; LDSByteSize: 0 bytes/workgroup (compile time only)
; SGPRBlocks: 2
; VGPRBlocks: 1
; NumSGPRsForWavesPerEU: 18
; NumVGPRsForWavesPerEU: 13
; AccumOffset: 16
; Occupancy: 8
; WaveLimiterHint : 0
; COMPUTE_PGM_RSRC2:SCRATCH_EN: 0
; COMPUTE_PGM_RSRC2:USER_SGPR: 6
; COMPUTE_PGM_RSRC2:TRAP_HANDLER: 0
; COMPUTE_PGM_RSRC2:TGID_X_EN: 1
; COMPUTE_PGM_RSRC2:TGID_Y_EN: 0
; COMPUTE_PGM_RSRC2:TGID_Z_EN: 0
; COMPUTE_PGM_RSRC2:TIDIG_COMP_CNT: 0
; COMPUTE_PGM_RSRC3_GFX90A:ACCUM_OFFSET: 3
; COMPUTE_PGM_RSRC3_GFX90A:TG_SPLIT: 0
	.section	.text._ZN7rocprim17ROCPRIM_400000_NS6detail31init_lookback_scan_state_kernelINS1_19lookback_scan_stateIjLb0ELb1EEENS1_16block_id_wrapperIjLb0EEEEEvT_jT0_jPNS7_10value_typeE,"axG",@progbits,_ZN7rocprim17ROCPRIM_400000_NS6detail31init_lookback_scan_state_kernelINS1_19lookback_scan_stateIjLb0ELb1EEENS1_16block_id_wrapperIjLb0EEEEEvT_jT0_jPNS7_10value_typeE,comdat
	.protected	_ZN7rocprim17ROCPRIM_400000_NS6detail31init_lookback_scan_state_kernelINS1_19lookback_scan_stateIjLb0ELb1EEENS1_16block_id_wrapperIjLb0EEEEEvT_jT0_jPNS7_10value_typeE ; -- Begin function _ZN7rocprim17ROCPRIM_400000_NS6detail31init_lookback_scan_state_kernelINS1_19lookback_scan_stateIjLb0ELb1EEENS1_16block_id_wrapperIjLb0EEEEEvT_jT0_jPNS7_10value_typeE
	.globl	_ZN7rocprim17ROCPRIM_400000_NS6detail31init_lookback_scan_state_kernelINS1_19lookback_scan_stateIjLb0ELb1EEENS1_16block_id_wrapperIjLb0EEEEEvT_jT0_jPNS7_10value_typeE
	.p2align	8
	.type	_ZN7rocprim17ROCPRIM_400000_NS6detail31init_lookback_scan_state_kernelINS1_19lookback_scan_stateIjLb0ELb1EEENS1_16block_id_wrapperIjLb0EEEEEvT_jT0_jPNS7_10value_typeE,@function
_ZN7rocprim17ROCPRIM_400000_NS6detail31init_lookback_scan_state_kernelINS1_19lookback_scan_stateIjLb0ELb1EEENS1_16block_id_wrapperIjLb0EEEEEvT_jT0_jPNS7_10value_typeE: ; @_ZN7rocprim17ROCPRIM_400000_NS6detail31init_lookback_scan_state_kernelINS1_19lookback_scan_stateIjLb0ELb1EEENS1_16block_id_wrapperIjLb0EEEEEvT_jT0_jPNS7_10value_typeE
; %bb.0:
	s_load_dword s7, s[4:5], 0x2c
	s_load_dwordx2 s[2:3], s[4:5], 0x18
	s_load_dwordx2 s[0:1], s[4:5], 0x0
	s_load_dword s8, s[4:5], 0x8
	s_waitcnt lgkmcnt(0)
	s_and_b32 s7, s7, 0xffff
	s_mul_i32 s6, s6, s7
	s_cmp_eq_u64 s[2:3], 0
	v_add_u32_e32 v0, s6, v0
	s_cbranch_scc1 .LBB4_6
; %bb.1:
	s_load_dword s6, s[4:5], 0x10
	s_mov_b32 s7, 0
	s_waitcnt lgkmcnt(0)
	s_cmp_lt_u32 s6, s8
	s_cselect_b32 s4, s6, 0
	v_cmp_eq_u32_e32 vcc, s4, v0
	s_and_saveexec_b64 s[4:5], vcc
	s_cbranch_execz .LBB4_5
; %bb.2:
	s_add_i32 s6, s6, 64
	s_lshl_b64 s[6:7], s[6:7], 3
	s_add_u32 s6, s0, s6
	s_addc_u32 s7, s1, s7
	v_mov_b32_e32 v4, 0
	global_load_dwordx2 v[2:3], v4, s[6:7] glc
	s_waitcnt vmcnt(0)
	v_and_b32_e32 v5, 0xff, v3
	v_cmp_ne_u64_e32 vcc, 0, v[4:5]
	s_cbranch_vccnz .LBB4_4
.LBB4_3:                                ; =>This Inner Loop Header: Depth=1
	global_load_dwordx2 v[2:3], v4, s[6:7] glc
	s_waitcnt vmcnt(0)
	v_and_b32_e32 v5, 0xff, v3
	v_cmp_eq_u64_e32 vcc, 0, v[4:5]
	s_cbranch_vccnz .LBB4_3
.LBB4_4:
	v_mov_b32_e32 v1, 0
	global_store_dword v1, v2, s[2:3]
.LBB4_5:
	s_or_b64 exec, exec, s[4:5]
.LBB4_6:
	v_cmp_gt_u32_e32 vcc, s8, v0
	s_and_saveexec_b64 s[2:3], vcc
	s_cbranch_execnz .LBB4_9
; %bb.7:
	s_or_b64 exec, exec, s[2:3]
	v_cmp_gt_u32_e32 vcc, 64, v0
	s_and_saveexec_b64 s[2:3], vcc
	s_cbranch_execnz .LBB4_10
.LBB4_8:
	s_endpgm
.LBB4_9:
	v_add_u32_e32 v2, 64, v0
	v_mov_b32_e32 v3, 0
	v_lshlrev_b64 v[4:5], 3, v[2:3]
	v_mov_b32_e32 v1, s1
	v_add_co_u32_e32 v4, vcc, s0, v4
	v_addc_co_u32_e32 v5, vcc, v1, v5, vcc
	v_mov_b32_e32 v2, v3
	global_store_dwordx2 v[4:5], v[2:3], off
	s_or_b64 exec, exec, s[2:3]
	v_cmp_gt_u32_e32 vcc, 64, v0
	s_and_saveexec_b64 s[2:3], vcc
	s_cbranch_execz .LBB4_8
.LBB4_10:
	v_mov_b32_e32 v1, 0
	v_lshlrev_b64 v[2:3], 3, v[0:1]
	v_mov_b32_e32 v0, s1
	v_add_co_u32_e32 v2, vcc, s0, v2
	v_addc_co_u32_e32 v3, vcc, v0, v3, vcc
	v_mov_b32_e32 v5, 0xff
	v_mov_b32_e32 v4, v1
	global_store_dwordx2 v[2:3], v[4:5], off
	s_endpgm
	.section	.rodata,"a",@progbits
	.p2align	6, 0x0
	.amdhsa_kernel _ZN7rocprim17ROCPRIM_400000_NS6detail31init_lookback_scan_state_kernelINS1_19lookback_scan_stateIjLb0ELb1EEENS1_16block_id_wrapperIjLb0EEEEEvT_jT0_jPNS7_10value_typeE
		.amdhsa_group_segment_fixed_size 0
		.amdhsa_private_segment_fixed_size 0
		.amdhsa_kernarg_size 288
		.amdhsa_user_sgpr_count 6
		.amdhsa_user_sgpr_private_segment_buffer 1
		.amdhsa_user_sgpr_dispatch_ptr 0
		.amdhsa_user_sgpr_queue_ptr 0
		.amdhsa_user_sgpr_kernarg_segment_ptr 1
		.amdhsa_user_sgpr_dispatch_id 0
		.amdhsa_user_sgpr_flat_scratch_init 0
		.amdhsa_user_sgpr_kernarg_preload_length 0
		.amdhsa_user_sgpr_kernarg_preload_offset 0
		.amdhsa_user_sgpr_private_segment_size 0
		.amdhsa_uses_dynamic_stack 0
		.amdhsa_system_sgpr_private_segment_wavefront_offset 0
		.amdhsa_system_sgpr_workgroup_id_x 1
		.amdhsa_system_sgpr_workgroup_id_y 0
		.amdhsa_system_sgpr_workgroup_id_z 0
		.amdhsa_system_sgpr_workgroup_info 0
		.amdhsa_system_vgpr_workitem_id 0
		.amdhsa_next_free_vgpr 6
		.amdhsa_next_free_sgpr 9
		.amdhsa_accum_offset 8
		.amdhsa_reserve_vcc 1
		.amdhsa_reserve_flat_scratch 0
		.amdhsa_float_round_mode_32 0
		.amdhsa_float_round_mode_16_64 0
		.amdhsa_float_denorm_mode_32 3
		.amdhsa_float_denorm_mode_16_64 3
		.amdhsa_dx10_clamp 1
		.amdhsa_ieee_mode 1
		.amdhsa_fp16_overflow 0
		.amdhsa_tg_split 0
		.amdhsa_exception_fp_ieee_invalid_op 0
		.amdhsa_exception_fp_denorm_src 0
		.amdhsa_exception_fp_ieee_div_zero 0
		.amdhsa_exception_fp_ieee_overflow 0
		.amdhsa_exception_fp_ieee_underflow 0
		.amdhsa_exception_fp_ieee_inexact 0
		.amdhsa_exception_int_div_zero 0
	.end_amdhsa_kernel
	.section	.text._ZN7rocprim17ROCPRIM_400000_NS6detail31init_lookback_scan_state_kernelINS1_19lookback_scan_stateIjLb0ELb1EEENS1_16block_id_wrapperIjLb0EEEEEvT_jT0_jPNS7_10value_typeE,"axG",@progbits,_ZN7rocprim17ROCPRIM_400000_NS6detail31init_lookback_scan_state_kernelINS1_19lookback_scan_stateIjLb0ELb1EEENS1_16block_id_wrapperIjLb0EEEEEvT_jT0_jPNS7_10value_typeE,comdat
.Lfunc_end4:
	.size	_ZN7rocprim17ROCPRIM_400000_NS6detail31init_lookback_scan_state_kernelINS1_19lookback_scan_stateIjLb0ELb1EEENS1_16block_id_wrapperIjLb0EEEEEvT_jT0_jPNS7_10value_typeE, .Lfunc_end4-_ZN7rocprim17ROCPRIM_400000_NS6detail31init_lookback_scan_state_kernelINS1_19lookback_scan_stateIjLb0ELb1EEENS1_16block_id_wrapperIjLb0EEEEEvT_jT0_jPNS7_10value_typeE
                                        ; -- End function
	.section	.AMDGPU.csdata,"",@progbits
; Kernel info:
; codeLenInByte = 324
; NumSgprs: 13
; NumVgprs: 6
; NumAgprs: 0
; TotalNumVgprs: 6
; ScratchSize: 0
; MemoryBound: 0
; FloatMode: 240
; IeeeMode: 1
; LDSByteSize: 0 bytes/workgroup (compile time only)
; SGPRBlocks: 1
; VGPRBlocks: 0
; NumSGPRsForWavesPerEU: 13
; NumVGPRsForWavesPerEU: 6
; AccumOffset: 8
; Occupancy: 8
; WaveLimiterHint : 0
; COMPUTE_PGM_RSRC2:SCRATCH_EN: 0
; COMPUTE_PGM_RSRC2:USER_SGPR: 6
; COMPUTE_PGM_RSRC2:TRAP_HANDLER: 0
; COMPUTE_PGM_RSRC2:TGID_X_EN: 1
; COMPUTE_PGM_RSRC2:TGID_Y_EN: 0
; COMPUTE_PGM_RSRC2:TGID_Z_EN: 0
; COMPUTE_PGM_RSRC2:TIDIG_COMP_CNT: 0
; COMPUTE_PGM_RSRC3_GFX90A:ACCUM_OFFSET: 1
; COMPUTE_PGM_RSRC3_GFX90A:TG_SPLIT: 0
	.section	.text._ZN7rocprim17ROCPRIM_400000_NS6detail17trampoline_kernelINS0_14default_configENS1_25partition_config_selectorILNS1_17partition_subalgoE8EbNS0_10empty_typeEbEEZZNS1_14partition_implILS5_8ELb0ES3_jN6hipcub16HIPCUB_304000_NS22TransformInputIteratorIbN2at6native8internal12_GLOBAL__N_110LoadBoolOpEPKhlEEPS6_PKS6_NS0_5tupleIJPbS6_EEENSN_IJSK_SK_EEENS0_18inequality_wrapperINSA_8EqualityEEEPlJS6_EEE10hipError_tPvRmT3_T4_T5_T6_T7_T9_mT8_P12ihipStream_tbDpT10_ENKUlT_T0_E_clISt17integral_constantIbLb0EES1E_EEDaS19_S1A_EUlS19_E_NS1_11comp_targetILNS1_3genE0ELNS1_11target_archE4294967295ELNS1_3gpuE0ELNS1_3repE0EEENS1_30default_config_static_selectorELNS0_4arch9wavefront6targetE1EEEvT1_,"axG",@progbits,_ZN7rocprim17ROCPRIM_400000_NS6detail17trampoline_kernelINS0_14default_configENS1_25partition_config_selectorILNS1_17partition_subalgoE8EbNS0_10empty_typeEbEEZZNS1_14partition_implILS5_8ELb0ES3_jN6hipcub16HIPCUB_304000_NS22TransformInputIteratorIbN2at6native8internal12_GLOBAL__N_110LoadBoolOpEPKhlEEPS6_PKS6_NS0_5tupleIJPbS6_EEENSN_IJSK_SK_EEENS0_18inequality_wrapperINSA_8EqualityEEEPlJS6_EEE10hipError_tPvRmT3_T4_T5_T6_T7_T9_mT8_P12ihipStream_tbDpT10_ENKUlT_T0_E_clISt17integral_constantIbLb0EES1E_EEDaS19_S1A_EUlS19_E_NS1_11comp_targetILNS1_3genE0ELNS1_11target_archE4294967295ELNS1_3gpuE0ELNS1_3repE0EEENS1_30default_config_static_selectorELNS0_4arch9wavefront6targetE1EEEvT1_,comdat
	.globl	_ZN7rocprim17ROCPRIM_400000_NS6detail17trampoline_kernelINS0_14default_configENS1_25partition_config_selectorILNS1_17partition_subalgoE8EbNS0_10empty_typeEbEEZZNS1_14partition_implILS5_8ELb0ES3_jN6hipcub16HIPCUB_304000_NS22TransformInputIteratorIbN2at6native8internal12_GLOBAL__N_110LoadBoolOpEPKhlEEPS6_PKS6_NS0_5tupleIJPbS6_EEENSN_IJSK_SK_EEENS0_18inequality_wrapperINSA_8EqualityEEEPlJS6_EEE10hipError_tPvRmT3_T4_T5_T6_T7_T9_mT8_P12ihipStream_tbDpT10_ENKUlT_T0_E_clISt17integral_constantIbLb0EES1E_EEDaS19_S1A_EUlS19_E_NS1_11comp_targetILNS1_3genE0ELNS1_11target_archE4294967295ELNS1_3gpuE0ELNS1_3repE0EEENS1_30default_config_static_selectorELNS0_4arch9wavefront6targetE1EEEvT1_ ; -- Begin function _ZN7rocprim17ROCPRIM_400000_NS6detail17trampoline_kernelINS0_14default_configENS1_25partition_config_selectorILNS1_17partition_subalgoE8EbNS0_10empty_typeEbEEZZNS1_14partition_implILS5_8ELb0ES3_jN6hipcub16HIPCUB_304000_NS22TransformInputIteratorIbN2at6native8internal12_GLOBAL__N_110LoadBoolOpEPKhlEEPS6_PKS6_NS0_5tupleIJPbS6_EEENSN_IJSK_SK_EEENS0_18inequality_wrapperINSA_8EqualityEEEPlJS6_EEE10hipError_tPvRmT3_T4_T5_T6_T7_T9_mT8_P12ihipStream_tbDpT10_ENKUlT_T0_E_clISt17integral_constantIbLb0EES1E_EEDaS19_S1A_EUlS19_E_NS1_11comp_targetILNS1_3genE0ELNS1_11target_archE4294967295ELNS1_3gpuE0ELNS1_3repE0EEENS1_30default_config_static_selectorELNS0_4arch9wavefront6targetE1EEEvT1_
	.p2align	8
	.type	_ZN7rocprim17ROCPRIM_400000_NS6detail17trampoline_kernelINS0_14default_configENS1_25partition_config_selectorILNS1_17partition_subalgoE8EbNS0_10empty_typeEbEEZZNS1_14partition_implILS5_8ELb0ES3_jN6hipcub16HIPCUB_304000_NS22TransformInputIteratorIbN2at6native8internal12_GLOBAL__N_110LoadBoolOpEPKhlEEPS6_PKS6_NS0_5tupleIJPbS6_EEENSN_IJSK_SK_EEENS0_18inequality_wrapperINSA_8EqualityEEEPlJS6_EEE10hipError_tPvRmT3_T4_T5_T6_T7_T9_mT8_P12ihipStream_tbDpT10_ENKUlT_T0_E_clISt17integral_constantIbLb0EES1E_EEDaS19_S1A_EUlS19_E_NS1_11comp_targetILNS1_3genE0ELNS1_11target_archE4294967295ELNS1_3gpuE0ELNS1_3repE0EEENS1_30default_config_static_selectorELNS0_4arch9wavefront6targetE1EEEvT1_,@function
_ZN7rocprim17ROCPRIM_400000_NS6detail17trampoline_kernelINS0_14default_configENS1_25partition_config_selectorILNS1_17partition_subalgoE8EbNS0_10empty_typeEbEEZZNS1_14partition_implILS5_8ELb0ES3_jN6hipcub16HIPCUB_304000_NS22TransformInputIteratorIbN2at6native8internal12_GLOBAL__N_110LoadBoolOpEPKhlEEPS6_PKS6_NS0_5tupleIJPbS6_EEENSN_IJSK_SK_EEENS0_18inequality_wrapperINSA_8EqualityEEEPlJS6_EEE10hipError_tPvRmT3_T4_T5_T6_T7_T9_mT8_P12ihipStream_tbDpT10_ENKUlT_T0_E_clISt17integral_constantIbLb0EES1E_EEDaS19_S1A_EUlS19_E_NS1_11comp_targetILNS1_3genE0ELNS1_11target_archE4294967295ELNS1_3gpuE0ELNS1_3repE0EEENS1_30default_config_static_selectorELNS0_4arch9wavefront6targetE1EEEvT1_: ; @_ZN7rocprim17ROCPRIM_400000_NS6detail17trampoline_kernelINS0_14default_configENS1_25partition_config_selectorILNS1_17partition_subalgoE8EbNS0_10empty_typeEbEEZZNS1_14partition_implILS5_8ELb0ES3_jN6hipcub16HIPCUB_304000_NS22TransformInputIteratorIbN2at6native8internal12_GLOBAL__N_110LoadBoolOpEPKhlEEPS6_PKS6_NS0_5tupleIJPbS6_EEENSN_IJSK_SK_EEENS0_18inequality_wrapperINSA_8EqualityEEEPlJS6_EEE10hipError_tPvRmT3_T4_T5_T6_T7_T9_mT8_P12ihipStream_tbDpT10_ENKUlT_T0_E_clISt17integral_constantIbLb0EES1E_EEDaS19_S1A_EUlS19_E_NS1_11comp_targetILNS1_3genE0ELNS1_11target_archE4294967295ELNS1_3gpuE0ELNS1_3repE0EEENS1_30default_config_static_selectorELNS0_4arch9wavefront6targetE1EEEvT1_
; %bb.0:
	.section	.rodata,"a",@progbits
	.p2align	6, 0x0
	.amdhsa_kernel _ZN7rocprim17ROCPRIM_400000_NS6detail17trampoline_kernelINS0_14default_configENS1_25partition_config_selectorILNS1_17partition_subalgoE8EbNS0_10empty_typeEbEEZZNS1_14partition_implILS5_8ELb0ES3_jN6hipcub16HIPCUB_304000_NS22TransformInputIteratorIbN2at6native8internal12_GLOBAL__N_110LoadBoolOpEPKhlEEPS6_PKS6_NS0_5tupleIJPbS6_EEENSN_IJSK_SK_EEENS0_18inequality_wrapperINSA_8EqualityEEEPlJS6_EEE10hipError_tPvRmT3_T4_T5_T6_T7_T9_mT8_P12ihipStream_tbDpT10_ENKUlT_T0_E_clISt17integral_constantIbLb0EES1E_EEDaS19_S1A_EUlS19_E_NS1_11comp_targetILNS1_3genE0ELNS1_11target_archE4294967295ELNS1_3gpuE0ELNS1_3repE0EEENS1_30default_config_static_selectorELNS0_4arch9wavefront6targetE1EEEvT1_
		.amdhsa_group_segment_fixed_size 0
		.amdhsa_private_segment_fixed_size 0
		.amdhsa_kernarg_size 120
		.amdhsa_user_sgpr_count 6
		.amdhsa_user_sgpr_private_segment_buffer 1
		.amdhsa_user_sgpr_dispatch_ptr 0
		.amdhsa_user_sgpr_queue_ptr 0
		.amdhsa_user_sgpr_kernarg_segment_ptr 1
		.amdhsa_user_sgpr_dispatch_id 0
		.amdhsa_user_sgpr_flat_scratch_init 0
		.amdhsa_user_sgpr_kernarg_preload_length 0
		.amdhsa_user_sgpr_kernarg_preload_offset 0
		.amdhsa_user_sgpr_private_segment_size 0
		.amdhsa_uses_dynamic_stack 0
		.amdhsa_system_sgpr_private_segment_wavefront_offset 0
		.amdhsa_system_sgpr_workgroup_id_x 1
		.amdhsa_system_sgpr_workgroup_id_y 0
		.amdhsa_system_sgpr_workgroup_id_z 0
		.amdhsa_system_sgpr_workgroup_info 0
		.amdhsa_system_vgpr_workitem_id 0
		.amdhsa_next_free_vgpr 1
		.amdhsa_next_free_sgpr 0
		.amdhsa_accum_offset 4
		.amdhsa_reserve_vcc 0
		.amdhsa_reserve_flat_scratch 0
		.amdhsa_float_round_mode_32 0
		.amdhsa_float_round_mode_16_64 0
		.amdhsa_float_denorm_mode_32 3
		.amdhsa_float_denorm_mode_16_64 3
		.amdhsa_dx10_clamp 1
		.amdhsa_ieee_mode 1
		.amdhsa_fp16_overflow 0
		.amdhsa_tg_split 0
		.amdhsa_exception_fp_ieee_invalid_op 0
		.amdhsa_exception_fp_denorm_src 0
		.amdhsa_exception_fp_ieee_div_zero 0
		.amdhsa_exception_fp_ieee_overflow 0
		.amdhsa_exception_fp_ieee_underflow 0
		.amdhsa_exception_fp_ieee_inexact 0
		.amdhsa_exception_int_div_zero 0
	.end_amdhsa_kernel
	.section	.text._ZN7rocprim17ROCPRIM_400000_NS6detail17trampoline_kernelINS0_14default_configENS1_25partition_config_selectorILNS1_17partition_subalgoE8EbNS0_10empty_typeEbEEZZNS1_14partition_implILS5_8ELb0ES3_jN6hipcub16HIPCUB_304000_NS22TransformInputIteratorIbN2at6native8internal12_GLOBAL__N_110LoadBoolOpEPKhlEEPS6_PKS6_NS0_5tupleIJPbS6_EEENSN_IJSK_SK_EEENS0_18inequality_wrapperINSA_8EqualityEEEPlJS6_EEE10hipError_tPvRmT3_T4_T5_T6_T7_T9_mT8_P12ihipStream_tbDpT10_ENKUlT_T0_E_clISt17integral_constantIbLb0EES1E_EEDaS19_S1A_EUlS19_E_NS1_11comp_targetILNS1_3genE0ELNS1_11target_archE4294967295ELNS1_3gpuE0ELNS1_3repE0EEENS1_30default_config_static_selectorELNS0_4arch9wavefront6targetE1EEEvT1_,"axG",@progbits,_ZN7rocprim17ROCPRIM_400000_NS6detail17trampoline_kernelINS0_14default_configENS1_25partition_config_selectorILNS1_17partition_subalgoE8EbNS0_10empty_typeEbEEZZNS1_14partition_implILS5_8ELb0ES3_jN6hipcub16HIPCUB_304000_NS22TransformInputIteratorIbN2at6native8internal12_GLOBAL__N_110LoadBoolOpEPKhlEEPS6_PKS6_NS0_5tupleIJPbS6_EEENSN_IJSK_SK_EEENS0_18inequality_wrapperINSA_8EqualityEEEPlJS6_EEE10hipError_tPvRmT3_T4_T5_T6_T7_T9_mT8_P12ihipStream_tbDpT10_ENKUlT_T0_E_clISt17integral_constantIbLb0EES1E_EEDaS19_S1A_EUlS19_E_NS1_11comp_targetILNS1_3genE0ELNS1_11target_archE4294967295ELNS1_3gpuE0ELNS1_3repE0EEENS1_30default_config_static_selectorELNS0_4arch9wavefront6targetE1EEEvT1_,comdat
.Lfunc_end5:
	.size	_ZN7rocprim17ROCPRIM_400000_NS6detail17trampoline_kernelINS0_14default_configENS1_25partition_config_selectorILNS1_17partition_subalgoE8EbNS0_10empty_typeEbEEZZNS1_14partition_implILS5_8ELb0ES3_jN6hipcub16HIPCUB_304000_NS22TransformInputIteratorIbN2at6native8internal12_GLOBAL__N_110LoadBoolOpEPKhlEEPS6_PKS6_NS0_5tupleIJPbS6_EEENSN_IJSK_SK_EEENS0_18inequality_wrapperINSA_8EqualityEEEPlJS6_EEE10hipError_tPvRmT3_T4_T5_T6_T7_T9_mT8_P12ihipStream_tbDpT10_ENKUlT_T0_E_clISt17integral_constantIbLb0EES1E_EEDaS19_S1A_EUlS19_E_NS1_11comp_targetILNS1_3genE0ELNS1_11target_archE4294967295ELNS1_3gpuE0ELNS1_3repE0EEENS1_30default_config_static_selectorELNS0_4arch9wavefront6targetE1EEEvT1_, .Lfunc_end5-_ZN7rocprim17ROCPRIM_400000_NS6detail17trampoline_kernelINS0_14default_configENS1_25partition_config_selectorILNS1_17partition_subalgoE8EbNS0_10empty_typeEbEEZZNS1_14partition_implILS5_8ELb0ES3_jN6hipcub16HIPCUB_304000_NS22TransformInputIteratorIbN2at6native8internal12_GLOBAL__N_110LoadBoolOpEPKhlEEPS6_PKS6_NS0_5tupleIJPbS6_EEENSN_IJSK_SK_EEENS0_18inequality_wrapperINSA_8EqualityEEEPlJS6_EEE10hipError_tPvRmT3_T4_T5_T6_T7_T9_mT8_P12ihipStream_tbDpT10_ENKUlT_T0_E_clISt17integral_constantIbLb0EES1E_EEDaS19_S1A_EUlS19_E_NS1_11comp_targetILNS1_3genE0ELNS1_11target_archE4294967295ELNS1_3gpuE0ELNS1_3repE0EEENS1_30default_config_static_selectorELNS0_4arch9wavefront6targetE1EEEvT1_
                                        ; -- End function
	.section	.AMDGPU.csdata,"",@progbits
; Kernel info:
; codeLenInByte = 0
; NumSgprs: 4
; NumVgprs: 0
; NumAgprs: 0
; TotalNumVgprs: 0
; ScratchSize: 0
; MemoryBound: 0
; FloatMode: 240
; IeeeMode: 1
; LDSByteSize: 0 bytes/workgroup (compile time only)
; SGPRBlocks: 0
; VGPRBlocks: 0
; NumSGPRsForWavesPerEU: 4
; NumVGPRsForWavesPerEU: 1
; AccumOffset: 4
; Occupancy: 8
; WaveLimiterHint : 0
; COMPUTE_PGM_RSRC2:SCRATCH_EN: 0
; COMPUTE_PGM_RSRC2:USER_SGPR: 6
; COMPUTE_PGM_RSRC2:TRAP_HANDLER: 0
; COMPUTE_PGM_RSRC2:TGID_X_EN: 1
; COMPUTE_PGM_RSRC2:TGID_Y_EN: 0
; COMPUTE_PGM_RSRC2:TGID_Z_EN: 0
; COMPUTE_PGM_RSRC2:TIDIG_COMP_CNT: 0
; COMPUTE_PGM_RSRC3_GFX90A:ACCUM_OFFSET: 0
; COMPUTE_PGM_RSRC3_GFX90A:TG_SPLIT: 0
	.section	.text._ZN7rocprim17ROCPRIM_400000_NS6detail17trampoline_kernelINS0_14default_configENS1_25partition_config_selectorILNS1_17partition_subalgoE8EbNS0_10empty_typeEbEEZZNS1_14partition_implILS5_8ELb0ES3_jN6hipcub16HIPCUB_304000_NS22TransformInputIteratorIbN2at6native8internal12_GLOBAL__N_110LoadBoolOpEPKhlEEPS6_PKS6_NS0_5tupleIJPbS6_EEENSN_IJSK_SK_EEENS0_18inequality_wrapperINSA_8EqualityEEEPlJS6_EEE10hipError_tPvRmT3_T4_T5_T6_T7_T9_mT8_P12ihipStream_tbDpT10_ENKUlT_T0_E_clISt17integral_constantIbLb0EES1E_EEDaS19_S1A_EUlS19_E_NS1_11comp_targetILNS1_3genE5ELNS1_11target_archE942ELNS1_3gpuE9ELNS1_3repE0EEENS1_30default_config_static_selectorELNS0_4arch9wavefront6targetE1EEEvT1_,"axG",@progbits,_ZN7rocprim17ROCPRIM_400000_NS6detail17trampoline_kernelINS0_14default_configENS1_25partition_config_selectorILNS1_17partition_subalgoE8EbNS0_10empty_typeEbEEZZNS1_14partition_implILS5_8ELb0ES3_jN6hipcub16HIPCUB_304000_NS22TransformInputIteratorIbN2at6native8internal12_GLOBAL__N_110LoadBoolOpEPKhlEEPS6_PKS6_NS0_5tupleIJPbS6_EEENSN_IJSK_SK_EEENS0_18inequality_wrapperINSA_8EqualityEEEPlJS6_EEE10hipError_tPvRmT3_T4_T5_T6_T7_T9_mT8_P12ihipStream_tbDpT10_ENKUlT_T0_E_clISt17integral_constantIbLb0EES1E_EEDaS19_S1A_EUlS19_E_NS1_11comp_targetILNS1_3genE5ELNS1_11target_archE942ELNS1_3gpuE9ELNS1_3repE0EEENS1_30default_config_static_selectorELNS0_4arch9wavefront6targetE1EEEvT1_,comdat
	.globl	_ZN7rocprim17ROCPRIM_400000_NS6detail17trampoline_kernelINS0_14default_configENS1_25partition_config_selectorILNS1_17partition_subalgoE8EbNS0_10empty_typeEbEEZZNS1_14partition_implILS5_8ELb0ES3_jN6hipcub16HIPCUB_304000_NS22TransformInputIteratorIbN2at6native8internal12_GLOBAL__N_110LoadBoolOpEPKhlEEPS6_PKS6_NS0_5tupleIJPbS6_EEENSN_IJSK_SK_EEENS0_18inequality_wrapperINSA_8EqualityEEEPlJS6_EEE10hipError_tPvRmT3_T4_T5_T6_T7_T9_mT8_P12ihipStream_tbDpT10_ENKUlT_T0_E_clISt17integral_constantIbLb0EES1E_EEDaS19_S1A_EUlS19_E_NS1_11comp_targetILNS1_3genE5ELNS1_11target_archE942ELNS1_3gpuE9ELNS1_3repE0EEENS1_30default_config_static_selectorELNS0_4arch9wavefront6targetE1EEEvT1_ ; -- Begin function _ZN7rocprim17ROCPRIM_400000_NS6detail17trampoline_kernelINS0_14default_configENS1_25partition_config_selectorILNS1_17partition_subalgoE8EbNS0_10empty_typeEbEEZZNS1_14partition_implILS5_8ELb0ES3_jN6hipcub16HIPCUB_304000_NS22TransformInputIteratorIbN2at6native8internal12_GLOBAL__N_110LoadBoolOpEPKhlEEPS6_PKS6_NS0_5tupleIJPbS6_EEENSN_IJSK_SK_EEENS0_18inequality_wrapperINSA_8EqualityEEEPlJS6_EEE10hipError_tPvRmT3_T4_T5_T6_T7_T9_mT8_P12ihipStream_tbDpT10_ENKUlT_T0_E_clISt17integral_constantIbLb0EES1E_EEDaS19_S1A_EUlS19_E_NS1_11comp_targetILNS1_3genE5ELNS1_11target_archE942ELNS1_3gpuE9ELNS1_3repE0EEENS1_30default_config_static_selectorELNS0_4arch9wavefront6targetE1EEEvT1_
	.p2align	8
	.type	_ZN7rocprim17ROCPRIM_400000_NS6detail17trampoline_kernelINS0_14default_configENS1_25partition_config_selectorILNS1_17partition_subalgoE8EbNS0_10empty_typeEbEEZZNS1_14partition_implILS5_8ELb0ES3_jN6hipcub16HIPCUB_304000_NS22TransformInputIteratorIbN2at6native8internal12_GLOBAL__N_110LoadBoolOpEPKhlEEPS6_PKS6_NS0_5tupleIJPbS6_EEENSN_IJSK_SK_EEENS0_18inequality_wrapperINSA_8EqualityEEEPlJS6_EEE10hipError_tPvRmT3_T4_T5_T6_T7_T9_mT8_P12ihipStream_tbDpT10_ENKUlT_T0_E_clISt17integral_constantIbLb0EES1E_EEDaS19_S1A_EUlS19_E_NS1_11comp_targetILNS1_3genE5ELNS1_11target_archE942ELNS1_3gpuE9ELNS1_3repE0EEENS1_30default_config_static_selectorELNS0_4arch9wavefront6targetE1EEEvT1_,@function
_ZN7rocprim17ROCPRIM_400000_NS6detail17trampoline_kernelINS0_14default_configENS1_25partition_config_selectorILNS1_17partition_subalgoE8EbNS0_10empty_typeEbEEZZNS1_14partition_implILS5_8ELb0ES3_jN6hipcub16HIPCUB_304000_NS22TransformInputIteratorIbN2at6native8internal12_GLOBAL__N_110LoadBoolOpEPKhlEEPS6_PKS6_NS0_5tupleIJPbS6_EEENSN_IJSK_SK_EEENS0_18inequality_wrapperINSA_8EqualityEEEPlJS6_EEE10hipError_tPvRmT3_T4_T5_T6_T7_T9_mT8_P12ihipStream_tbDpT10_ENKUlT_T0_E_clISt17integral_constantIbLb0EES1E_EEDaS19_S1A_EUlS19_E_NS1_11comp_targetILNS1_3genE5ELNS1_11target_archE942ELNS1_3gpuE9ELNS1_3repE0EEENS1_30default_config_static_selectorELNS0_4arch9wavefront6targetE1EEEvT1_: ; @_ZN7rocprim17ROCPRIM_400000_NS6detail17trampoline_kernelINS0_14default_configENS1_25partition_config_selectorILNS1_17partition_subalgoE8EbNS0_10empty_typeEbEEZZNS1_14partition_implILS5_8ELb0ES3_jN6hipcub16HIPCUB_304000_NS22TransformInputIteratorIbN2at6native8internal12_GLOBAL__N_110LoadBoolOpEPKhlEEPS6_PKS6_NS0_5tupleIJPbS6_EEENSN_IJSK_SK_EEENS0_18inequality_wrapperINSA_8EqualityEEEPlJS6_EEE10hipError_tPvRmT3_T4_T5_T6_T7_T9_mT8_P12ihipStream_tbDpT10_ENKUlT_T0_E_clISt17integral_constantIbLb0EES1E_EEDaS19_S1A_EUlS19_E_NS1_11comp_targetILNS1_3genE5ELNS1_11target_archE942ELNS1_3gpuE9ELNS1_3repE0EEENS1_30default_config_static_selectorELNS0_4arch9wavefront6targetE1EEEvT1_
; %bb.0:
	.section	.rodata,"a",@progbits
	.p2align	6, 0x0
	.amdhsa_kernel _ZN7rocprim17ROCPRIM_400000_NS6detail17trampoline_kernelINS0_14default_configENS1_25partition_config_selectorILNS1_17partition_subalgoE8EbNS0_10empty_typeEbEEZZNS1_14partition_implILS5_8ELb0ES3_jN6hipcub16HIPCUB_304000_NS22TransformInputIteratorIbN2at6native8internal12_GLOBAL__N_110LoadBoolOpEPKhlEEPS6_PKS6_NS0_5tupleIJPbS6_EEENSN_IJSK_SK_EEENS0_18inequality_wrapperINSA_8EqualityEEEPlJS6_EEE10hipError_tPvRmT3_T4_T5_T6_T7_T9_mT8_P12ihipStream_tbDpT10_ENKUlT_T0_E_clISt17integral_constantIbLb0EES1E_EEDaS19_S1A_EUlS19_E_NS1_11comp_targetILNS1_3genE5ELNS1_11target_archE942ELNS1_3gpuE9ELNS1_3repE0EEENS1_30default_config_static_selectorELNS0_4arch9wavefront6targetE1EEEvT1_
		.amdhsa_group_segment_fixed_size 0
		.amdhsa_private_segment_fixed_size 0
		.amdhsa_kernarg_size 120
		.amdhsa_user_sgpr_count 6
		.amdhsa_user_sgpr_private_segment_buffer 1
		.amdhsa_user_sgpr_dispatch_ptr 0
		.amdhsa_user_sgpr_queue_ptr 0
		.amdhsa_user_sgpr_kernarg_segment_ptr 1
		.amdhsa_user_sgpr_dispatch_id 0
		.amdhsa_user_sgpr_flat_scratch_init 0
		.amdhsa_user_sgpr_kernarg_preload_length 0
		.amdhsa_user_sgpr_kernarg_preload_offset 0
		.amdhsa_user_sgpr_private_segment_size 0
		.amdhsa_uses_dynamic_stack 0
		.amdhsa_system_sgpr_private_segment_wavefront_offset 0
		.amdhsa_system_sgpr_workgroup_id_x 1
		.amdhsa_system_sgpr_workgroup_id_y 0
		.amdhsa_system_sgpr_workgroup_id_z 0
		.amdhsa_system_sgpr_workgroup_info 0
		.amdhsa_system_vgpr_workitem_id 0
		.amdhsa_next_free_vgpr 1
		.amdhsa_next_free_sgpr 0
		.amdhsa_accum_offset 4
		.amdhsa_reserve_vcc 0
		.amdhsa_reserve_flat_scratch 0
		.amdhsa_float_round_mode_32 0
		.amdhsa_float_round_mode_16_64 0
		.amdhsa_float_denorm_mode_32 3
		.amdhsa_float_denorm_mode_16_64 3
		.amdhsa_dx10_clamp 1
		.amdhsa_ieee_mode 1
		.amdhsa_fp16_overflow 0
		.amdhsa_tg_split 0
		.amdhsa_exception_fp_ieee_invalid_op 0
		.amdhsa_exception_fp_denorm_src 0
		.amdhsa_exception_fp_ieee_div_zero 0
		.amdhsa_exception_fp_ieee_overflow 0
		.amdhsa_exception_fp_ieee_underflow 0
		.amdhsa_exception_fp_ieee_inexact 0
		.amdhsa_exception_int_div_zero 0
	.end_amdhsa_kernel
	.section	.text._ZN7rocprim17ROCPRIM_400000_NS6detail17trampoline_kernelINS0_14default_configENS1_25partition_config_selectorILNS1_17partition_subalgoE8EbNS0_10empty_typeEbEEZZNS1_14partition_implILS5_8ELb0ES3_jN6hipcub16HIPCUB_304000_NS22TransformInputIteratorIbN2at6native8internal12_GLOBAL__N_110LoadBoolOpEPKhlEEPS6_PKS6_NS0_5tupleIJPbS6_EEENSN_IJSK_SK_EEENS0_18inequality_wrapperINSA_8EqualityEEEPlJS6_EEE10hipError_tPvRmT3_T4_T5_T6_T7_T9_mT8_P12ihipStream_tbDpT10_ENKUlT_T0_E_clISt17integral_constantIbLb0EES1E_EEDaS19_S1A_EUlS19_E_NS1_11comp_targetILNS1_3genE5ELNS1_11target_archE942ELNS1_3gpuE9ELNS1_3repE0EEENS1_30default_config_static_selectorELNS0_4arch9wavefront6targetE1EEEvT1_,"axG",@progbits,_ZN7rocprim17ROCPRIM_400000_NS6detail17trampoline_kernelINS0_14default_configENS1_25partition_config_selectorILNS1_17partition_subalgoE8EbNS0_10empty_typeEbEEZZNS1_14partition_implILS5_8ELb0ES3_jN6hipcub16HIPCUB_304000_NS22TransformInputIteratorIbN2at6native8internal12_GLOBAL__N_110LoadBoolOpEPKhlEEPS6_PKS6_NS0_5tupleIJPbS6_EEENSN_IJSK_SK_EEENS0_18inequality_wrapperINSA_8EqualityEEEPlJS6_EEE10hipError_tPvRmT3_T4_T5_T6_T7_T9_mT8_P12ihipStream_tbDpT10_ENKUlT_T0_E_clISt17integral_constantIbLb0EES1E_EEDaS19_S1A_EUlS19_E_NS1_11comp_targetILNS1_3genE5ELNS1_11target_archE942ELNS1_3gpuE9ELNS1_3repE0EEENS1_30default_config_static_selectorELNS0_4arch9wavefront6targetE1EEEvT1_,comdat
.Lfunc_end6:
	.size	_ZN7rocprim17ROCPRIM_400000_NS6detail17trampoline_kernelINS0_14default_configENS1_25partition_config_selectorILNS1_17partition_subalgoE8EbNS0_10empty_typeEbEEZZNS1_14partition_implILS5_8ELb0ES3_jN6hipcub16HIPCUB_304000_NS22TransformInputIteratorIbN2at6native8internal12_GLOBAL__N_110LoadBoolOpEPKhlEEPS6_PKS6_NS0_5tupleIJPbS6_EEENSN_IJSK_SK_EEENS0_18inequality_wrapperINSA_8EqualityEEEPlJS6_EEE10hipError_tPvRmT3_T4_T5_T6_T7_T9_mT8_P12ihipStream_tbDpT10_ENKUlT_T0_E_clISt17integral_constantIbLb0EES1E_EEDaS19_S1A_EUlS19_E_NS1_11comp_targetILNS1_3genE5ELNS1_11target_archE942ELNS1_3gpuE9ELNS1_3repE0EEENS1_30default_config_static_selectorELNS0_4arch9wavefront6targetE1EEEvT1_, .Lfunc_end6-_ZN7rocprim17ROCPRIM_400000_NS6detail17trampoline_kernelINS0_14default_configENS1_25partition_config_selectorILNS1_17partition_subalgoE8EbNS0_10empty_typeEbEEZZNS1_14partition_implILS5_8ELb0ES3_jN6hipcub16HIPCUB_304000_NS22TransformInputIteratorIbN2at6native8internal12_GLOBAL__N_110LoadBoolOpEPKhlEEPS6_PKS6_NS0_5tupleIJPbS6_EEENSN_IJSK_SK_EEENS0_18inequality_wrapperINSA_8EqualityEEEPlJS6_EEE10hipError_tPvRmT3_T4_T5_T6_T7_T9_mT8_P12ihipStream_tbDpT10_ENKUlT_T0_E_clISt17integral_constantIbLb0EES1E_EEDaS19_S1A_EUlS19_E_NS1_11comp_targetILNS1_3genE5ELNS1_11target_archE942ELNS1_3gpuE9ELNS1_3repE0EEENS1_30default_config_static_selectorELNS0_4arch9wavefront6targetE1EEEvT1_
                                        ; -- End function
	.section	.AMDGPU.csdata,"",@progbits
; Kernel info:
; codeLenInByte = 0
; NumSgprs: 4
; NumVgprs: 0
; NumAgprs: 0
; TotalNumVgprs: 0
; ScratchSize: 0
; MemoryBound: 0
; FloatMode: 240
; IeeeMode: 1
; LDSByteSize: 0 bytes/workgroup (compile time only)
; SGPRBlocks: 0
; VGPRBlocks: 0
; NumSGPRsForWavesPerEU: 4
; NumVGPRsForWavesPerEU: 1
; AccumOffset: 4
; Occupancy: 8
; WaveLimiterHint : 0
; COMPUTE_PGM_RSRC2:SCRATCH_EN: 0
; COMPUTE_PGM_RSRC2:USER_SGPR: 6
; COMPUTE_PGM_RSRC2:TRAP_HANDLER: 0
; COMPUTE_PGM_RSRC2:TGID_X_EN: 1
; COMPUTE_PGM_RSRC2:TGID_Y_EN: 0
; COMPUTE_PGM_RSRC2:TGID_Z_EN: 0
; COMPUTE_PGM_RSRC2:TIDIG_COMP_CNT: 0
; COMPUTE_PGM_RSRC3_GFX90A:ACCUM_OFFSET: 0
; COMPUTE_PGM_RSRC3_GFX90A:TG_SPLIT: 0
	.section	.text._ZN7rocprim17ROCPRIM_400000_NS6detail17trampoline_kernelINS0_14default_configENS1_25partition_config_selectorILNS1_17partition_subalgoE8EbNS0_10empty_typeEbEEZZNS1_14partition_implILS5_8ELb0ES3_jN6hipcub16HIPCUB_304000_NS22TransformInputIteratorIbN2at6native8internal12_GLOBAL__N_110LoadBoolOpEPKhlEEPS6_PKS6_NS0_5tupleIJPbS6_EEENSN_IJSK_SK_EEENS0_18inequality_wrapperINSA_8EqualityEEEPlJS6_EEE10hipError_tPvRmT3_T4_T5_T6_T7_T9_mT8_P12ihipStream_tbDpT10_ENKUlT_T0_E_clISt17integral_constantIbLb0EES1E_EEDaS19_S1A_EUlS19_E_NS1_11comp_targetILNS1_3genE4ELNS1_11target_archE910ELNS1_3gpuE8ELNS1_3repE0EEENS1_30default_config_static_selectorELNS0_4arch9wavefront6targetE1EEEvT1_,"axG",@progbits,_ZN7rocprim17ROCPRIM_400000_NS6detail17trampoline_kernelINS0_14default_configENS1_25partition_config_selectorILNS1_17partition_subalgoE8EbNS0_10empty_typeEbEEZZNS1_14partition_implILS5_8ELb0ES3_jN6hipcub16HIPCUB_304000_NS22TransformInputIteratorIbN2at6native8internal12_GLOBAL__N_110LoadBoolOpEPKhlEEPS6_PKS6_NS0_5tupleIJPbS6_EEENSN_IJSK_SK_EEENS0_18inequality_wrapperINSA_8EqualityEEEPlJS6_EEE10hipError_tPvRmT3_T4_T5_T6_T7_T9_mT8_P12ihipStream_tbDpT10_ENKUlT_T0_E_clISt17integral_constantIbLb0EES1E_EEDaS19_S1A_EUlS19_E_NS1_11comp_targetILNS1_3genE4ELNS1_11target_archE910ELNS1_3gpuE8ELNS1_3repE0EEENS1_30default_config_static_selectorELNS0_4arch9wavefront6targetE1EEEvT1_,comdat
	.globl	_ZN7rocprim17ROCPRIM_400000_NS6detail17trampoline_kernelINS0_14default_configENS1_25partition_config_selectorILNS1_17partition_subalgoE8EbNS0_10empty_typeEbEEZZNS1_14partition_implILS5_8ELb0ES3_jN6hipcub16HIPCUB_304000_NS22TransformInputIteratorIbN2at6native8internal12_GLOBAL__N_110LoadBoolOpEPKhlEEPS6_PKS6_NS0_5tupleIJPbS6_EEENSN_IJSK_SK_EEENS0_18inequality_wrapperINSA_8EqualityEEEPlJS6_EEE10hipError_tPvRmT3_T4_T5_T6_T7_T9_mT8_P12ihipStream_tbDpT10_ENKUlT_T0_E_clISt17integral_constantIbLb0EES1E_EEDaS19_S1A_EUlS19_E_NS1_11comp_targetILNS1_3genE4ELNS1_11target_archE910ELNS1_3gpuE8ELNS1_3repE0EEENS1_30default_config_static_selectorELNS0_4arch9wavefront6targetE1EEEvT1_ ; -- Begin function _ZN7rocprim17ROCPRIM_400000_NS6detail17trampoline_kernelINS0_14default_configENS1_25partition_config_selectorILNS1_17partition_subalgoE8EbNS0_10empty_typeEbEEZZNS1_14partition_implILS5_8ELb0ES3_jN6hipcub16HIPCUB_304000_NS22TransformInputIteratorIbN2at6native8internal12_GLOBAL__N_110LoadBoolOpEPKhlEEPS6_PKS6_NS0_5tupleIJPbS6_EEENSN_IJSK_SK_EEENS0_18inequality_wrapperINSA_8EqualityEEEPlJS6_EEE10hipError_tPvRmT3_T4_T5_T6_T7_T9_mT8_P12ihipStream_tbDpT10_ENKUlT_T0_E_clISt17integral_constantIbLb0EES1E_EEDaS19_S1A_EUlS19_E_NS1_11comp_targetILNS1_3genE4ELNS1_11target_archE910ELNS1_3gpuE8ELNS1_3repE0EEENS1_30default_config_static_selectorELNS0_4arch9wavefront6targetE1EEEvT1_
	.p2align	8
	.type	_ZN7rocprim17ROCPRIM_400000_NS6detail17trampoline_kernelINS0_14default_configENS1_25partition_config_selectorILNS1_17partition_subalgoE8EbNS0_10empty_typeEbEEZZNS1_14partition_implILS5_8ELb0ES3_jN6hipcub16HIPCUB_304000_NS22TransformInputIteratorIbN2at6native8internal12_GLOBAL__N_110LoadBoolOpEPKhlEEPS6_PKS6_NS0_5tupleIJPbS6_EEENSN_IJSK_SK_EEENS0_18inequality_wrapperINSA_8EqualityEEEPlJS6_EEE10hipError_tPvRmT3_T4_T5_T6_T7_T9_mT8_P12ihipStream_tbDpT10_ENKUlT_T0_E_clISt17integral_constantIbLb0EES1E_EEDaS19_S1A_EUlS19_E_NS1_11comp_targetILNS1_3genE4ELNS1_11target_archE910ELNS1_3gpuE8ELNS1_3repE0EEENS1_30default_config_static_selectorELNS0_4arch9wavefront6targetE1EEEvT1_,@function
_ZN7rocprim17ROCPRIM_400000_NS6detail17trampoline_kernelINS0_14default_configENS1_25partition_config_selectorILNS1_17partition_subalgoE8EbNS0_10empty_typeEbEEZZNS1_14partition_implILS5_8ELb0ES3_jN6hipcub16HIPCUB_304000_NS22TransformInputIteratorIbN2at6native8internal12_GLOBAL__N_110LoadBoolOpEPKhlEEPS6_PKS6_NS0_5tupleIJPbS6_EEENSN_IJSK_SK_EEENS0_18inequality_wrapperINSA_8EqualityEEEPlJS6_EEE10hipError_tPvRmT3_T4_T5_T6_T7_T9_mT8_P12ihipStream_tbDpT10_ENKUlT_T0_E_clISt17integral_constantIbLb0EES1E_EEDaS19_S1A_EUlS19_E_NS1_11comp_targetILNS1_3genE4ELNS1_11target_archE910ELNS1_3gpuE8ELNS1_3repE0EEENS1_30default_config_static_selectorELNS0_4arch9wavefront6targetE1EEEvT1_: ; @_ZN7rocprim17ROCPRIM_400000_NS6detail17trampoline_kernelINS0_14default_configENS1_25partition_config_selectorILNS1_17partition_subalgoE8EbNS0_10empty_typeEbEEZZNS1_14partition_implILS5_8ELb0ES3_jN6hipcub16HIPCUB_304000_NS22TransformInputIteratorIbN2at6native8internal12_GLOBAL__N_110LoadBoolOpEPKhlEEPS6_PKS6_NS0_5tupleIJPbS6_EEENSN_IJSK_SK_EEENS0_18inequality_wrapperINSA_8EqualityEEEPlJS6_EEE10hipError_tPvRmT3_T4_T5_T6_T7_T9_mT8_P12ihipStream_tbDpT10_ENKUlT_T0_E_clISt17integral_constantIbLb0EES1E_EEDaS19_S1A_EUlS19_E_NS1_11comp_targetILNS1_3genE4ELNS1_11target_archE910ELNS1_3gpuE8ELNS1_3repE0EEENS1_30default_config_static_selectorELNS0_4arch9wavefront6targetE1EEEvT1_
; %bb.0:
	s_load_dwordx2 s[8:9], s[4:5], 0x58
	s_load_dwordx2 s[2:3], s[4:5], 0x8
	s_load_dwordx2 s[0:1], s[4:5], 0x18
	s_load_dwordx4 s[20:23], s[4:5], 0x48
	v_mov_b32_e32 v1, v0
	s_waitcnt lgkmcnt(0)
	v_mov_b32_e32 v3, s9
	s_load_dword s9, s[4:5], 0x70
	s_add_u32 s14, s2, s0
	s_addc_u32 s15, s3, s1
	s_lshl_b32 s16, s6, 12
	v_mov_b32_e32 v2, s8
	s_waitcnt lgkmcnt(0)
	s_add_i32 s10, s9, -1
	s_lshl_b32 s2, s10, 12
	s_add_i32 s7, s0, s2
	s_lshl_b32 s2, s9, 12
	s_add_u32 s2, s0, s2
	s_addc_u32 s3, s1, 0
	s_cmp_eq_u32 s6, s10
	s_load_dwordx2 s[22:23], s[22:23], 0x0
	v_cmp_ge_u64_e32 vcc, s[2:3], v[2:3]
	s_cselect_b64 s[24:25], -1, 0
	s_and_b64 s[12:13], s[24:25], vcc
	s_xor_b64 s[26:27], s[12:13], -1
	s_add_u32 s2, s14, s16
	s_mov_b64 s[10:11], -1
	s_addc_u32 s3, s15, 0
	s_and_b64 vcc, exec, s[26:27]
	s_cbranch_vccz .LBB7_2
; %bb.1:
	global_load_ubyte v2, v0, s[2:3]
	global_load_ubyte v3, v0, s[2:3] offset:128
	global_load_ubyte v4, v0, s[2:3] offset:256
	;; [unrolled: 1-line block ×31, first 2 shown]
	s_mov_b64 s[10:11], 0
	s_waitcnt vmcnt(31)
	v_cmp_ne_u16_e32 vcc, 0, v2
	v_cndmask_b32_e64 v2, 0, 1, vcc
	s_waitcnt vmcnt(30)
	v_cmp_ne_u16_e32 vcc, 0, v3
	v_cndmask_b32_e64 v3, 0, 1, vcc
	;; [unrolled: 3-line block ×32, first 2 shown]
	ds_write_b8 v0, v2
	ds_write_b8 v0, v3 offset:132
	ds_write_b8 v0, v4 offset:264
	;; [unrolled: 1-line block ×31, first 2 shown]
	s_waitcnt lgkmcnt(0)
	s_barrier
.LBB7_2:
	s_andn2_b64 vcc, exec, s[10:11]
	s_sub_i32 s7, s8, s7
	s_cbranch_vccnz .LBB7_68
; %bb.3:
	v_cmp_gt_u32_e32 vcc, s7, v0
                                        ; implicit-def: $vgpr2
	s_and_saveexec_b64 s[8:9], vcc
	s_cbranch_execz .LBB7_5
; %bb.4:
	global_load_ubyte v2, v0, s[2:3]
	s_waitcnt vmcnt(0)
	v_cmp_ne_u16_e32 vcc, 0, v2
	v_cndmask_b32_e64 v2, 0, 1, vcc
.LBB7_5:
	s_or_b64 exec, exec, s[8:9]
	v_or_b32_e32 v3, 0x80, v0
	v_cmp_gt_u32_e32 vcc, s7, v3
                                        ; implicit-def: $vgpr4
	s_and_saveexec_b64 s[8:9], vcc
	s_cbranch_execz .LBB7_7
; %bb.6:
	global_load_ubyte v4, v0, s[2:3] offset:128
	s_waitcnt vmcnt(0)
	v_cmp_ne_u16_e32 vcc, 0, v4
	v_cndmask_b32_e64 v4, 0, 1, vcc
.LBB7_7:
	s_or_b64 exec, exec, s[8:9]
	v_or_b32_e32 v5, 0x100, v0
	v_cmp_gt_u32_e32 vcc, s7, v5
                                        ; implicit-def: $vgpr6
	s_and_saveexec_b64 s[8:9], vcc
	s_cbranch_execz .LBB7_9
; %bb.8:
	global_load_ubyte v6, v0, s[2:3] offset:256
	s_waitcnt vmcnt(0)
	v_cmp_ne_u16_e32 vcc, 0, v6
	v_cndmask_b32_e64 v6, 0, 1, vcc
.LBB7_9:
	s_or_b64 exec, exec, s[8:9]
	v_or_b32_e32 v7, 0x180, v0
	v_cmp_gt_u32_e32 vcc, s7, v7
                                        ; implicit-def: $vgpr8
	s_and_saveexec_b64 s[8:9], vcc
	s_cbranch_execz .LBB7_11
; %bb.10:
	global_load_ubyte v8, v0, s[2:3] offset:384
	s_waitcnt vmcnt(0)
	v_cmp_ne_u16_e32 vcc, 0, v8
	v_cndmask_b32_e64 v8, 0, 1, vcc
.LBB7_11:
	s_or_b64 exec, exec, s[8:9]
	v_or_b32_e32 v9, 0x200, v0
	v_cmp_gt_u32_e32 vcc, s7, v9
                                        ; implicit-def: $vgpr10
	s_and_saveexec_b64 s[8:9], vcc
	s_cbranch_execz .LBB7_13
; %bb.12:
	global_load_ubyte v10, v0, s[2:3] offset:512
	s_waitcnt vmcnt(0)
	v_cmp_ne_u16_e32 vcc, 0, v10
	v_cndmask_b32_e64 v10, 0, 1, vcc
.LBB7_13:
	s_or_b64 exec, exec, s[8:9]
	v_or_b32_e32 v11, 0x280, v0
	v_cmp_gt_u32_e32 vcc, s7, v11
                                        ; implicit-def: $vgpr12
	s_and_saveexec_b64 s[8:9], vcc
	s_cbranch_execz .LBB7_15
; %bb.14:
	global_load_ubyte v12, v0, s[2:3] offset:640
	s_waitcnt vmcnt(0)
	v_cmp_ne_u16_e32 vcc, 0, v12
	v_cndmask_b32_e64 v12, 0, 1, vcc
.LBB7_15:
	s_or_b64 exec, exec, s[8:9]
	v_or_b32_e32 v13, 0x300, v0
	v_cmp_gt_u32_e32 vcc, s7, v13
                                        ; implicit-def: $vgpr14
	s_and_saveexec_b64 s[8:9], vcc
	s_cbranch_execz .LBB7_17
; %bb.16:
	global_load_ubyte v14, v0, s[2:3] offset:768
	s_waitcnt vmcnt(0)
	v_cmp_ne_u16_e32 vcc, 0, v14
	v_cndmask_b32_e64 v14, 0, 1, vcc
.LBB7_17:
	s_or_b64 exec, exec, s[8:9]
	v_or_b32_e32 v15, 0x380, v0
	v_cmp_gt_u32_e32 vcc, s7, v15
                                        ; implicit-def: $vgpr16
	s_and_saveexec_b64 s[8:9], vcc
	s_cbranch_execz .LBB7_19
; %bb.18:
	global_load_ubyte v16, v0, s[2:3] offset:896
	s_waitcnt vmcnt(0)
	v_cmp_ne_u16_e32 vcc, 0, v16
	v_cndmask_b32_e64 v16, 0, 1, vcc
.LBB7_19:
	s_or_b64 exec, exec, s[8:9]
	v_or_b32_e32 v17, 0x400, v0
	v_cmp_gt_u32_e32 vcc, s7, v17
                                        ; implicit-def: $vgpr18
	s_and_saveexec_b64 s[8:9], vcc
	s_cbranch_execz .LBB7_21
; %bb.20:
	global_load_ubyte v18, v0, s[2:3] offset:1024
	s_waitcnt vmcnt(0)
	v_cmp_ne_u16_e32 vcc, 0, v18
	v_cndmask_b32_e64 v18, 0, 1, vcc
.LBB7_21:
	s_or_b64 exec, exec, s[8:9]
	v_or_b32_e32 v19, 0x480, v0
	v_cmp_gt_u32_e32 vcc, s7, v19
                                        ; implicit-def: $vgpr20
	s_and_saveexec_b64 s[8:9], vcc
	s_cbranch_execz .LBB7_23
; %bb.22:
	global_load_ubyte v20, v0, s[2:3] offset:1152
	s_waitcnt vmcnt(0)
	v_cmp_ne_u16_e32 vcc, 0, v20
	v_cndmask_b32_e64 v20, 0, 1, vcc
.LBB7_23:
	s_or_b64 exec, exec, s[8:9]
	v_or_b32_e32 v21, 0x500, v0
	v_cmp_gt_u32_e32 vcc, s7, v21
                                        ; implicit-def: $vgpr22
	s_and_saveexec_b64 s[8:9], vcc
	s_cbranch_execz .LBB7_25
; %bb.24:
	global_load_ubyte v22, v0, s[2:3] offset:1280
	s_waitcnt vmcnt(0)
	v_cmp_ne_u16_e32 vcc, 0, v22
	v_cndmask_b32_e64 v22, 0, 1, vcc
.LBB7_25:
	s_or_b64 exec, exec, s[8:9]
	v_or_b32_e32 v23, 0x580, v0
	v_cmp_gt_u32_e32 vcc, s7, v23
                                        ; implicit-def: $vgpr24
	s_and_saveexec_b64 s[8:9], vcc
	s_cbranch_execz .LBB7_27
; %bb.26:
	global_load_ubyte v24, v0, s[2:3] offset:1408
	s_waitcnt vmcnt(0)
	v_cmp_ne_u16_e32 vcc, 0, v24
	v_cndmask_b32_e64 v24, 0, 1, vcc
.LBB7_27:
	s_or_b64 exec, exec, s[8:9]
	v_or_b32_e32 v25, 0x600, v0
	v_cmp_gt_u32_e32 vcc, s7, v25
                                        ; implicit-def: $vgpr26
	s_and_saveexec_b64 s[8:9], vcc
	s_cbranch_execz .LBB7_29
; %bb.28:
	global_load_ubyte v26, v0, s[2:3] offset:1536
	s_waitcnt vmcnt(0)
	v_cmp_ne_u16_e32 vcc, 0, v26
	v_cndmask_b32_e64 v26, 0, 1, vcc
.LBB7_29:
	s_or_b64 exec, exec, s[8:9]
	v_or_b32_e32 v27, 0x680, v0
	v_cmp_gt_u32_e32 vcc, s7, v27
                                        ; implicit-def: $vgpr28
	s_and_saveexec_b64 s[8:9], vcc
	s_cbranch_execz .LBB7_31
; %bb.30:
	global_load_ubyte v28, v0, s[2:3] offset:1664
	s_waitcnt vmcnt(0)
	v_cmp_ne_u16_e32 vcc, 0, v28
	v_cndmask_b32_e64 v28, 0, 1, vcc
.LBB7_31:
	s_or_b64 exec, exec, s[8:9]
	v_or_b32_e32 v29, 0x700, v0
	v_cmp_gt_u32_e32 vcc, s7, v29
                                        ; implicit-def: $vgpr30
	s_and_saveexec_b64 s[8:9], vcc
	s_cbranch_execz .LBB7_33
; %bb.32:
	global_load_ubyte v30, v0, s[2:3] offset:1792
	s_waitcnt vmcnt(0)
	v_cmp_ne_u16_e32 vcc, 0, v30
	v_cndmask_b32_e64 v30, 0, 1, vcc
.LBB7_33:
	s_or_b64 exec, exec, s[8:9]
	v_or_b32_e32 v31, 0x780, v0
	v_cmp_gt_u32_e32 vcc, s7, v31
                                        ; implicit-def: $vgpr32
	s_and_saveexec_b64 s[8:9], vcc
	s_cbranch_execz .LBB7_35
; %bb.34:
	global_load_ubyte v32, v0, s[2:3] offset:1920
	s_waitcnt vmcnt(0)
	v_cmp_ne_u16_e32 vcc, 0, v32
	v_cndmask_b32_e64 v32, 0, 1, vcc
.LBB7_35:
	s_or_b64 exec, exec, s[8:9]
	v_or_b32_e32 v33, 0x800, v0
	v_cmp_gt_u32_e32 vcc, s7, v33
                                        ; implicit-def: $vgpr34
	s_and_saveexec_b64 s[8:9], vcc
	s_cbranch_execz .LBB7_37
; %bb.36:
	global_load_ubyte v34, v0, s[2:3] offset:2048
	s_waitcnt vmcnt(0)
	v_cmp_ne_u16_e32 vcc, 0, v34
	v_cndmask_b32_e64 v34, 0, 1, vcc
.LBB7_37:
	s_or_b64 exec, exec, s[8:9]
	v_or_b32_e32 v35, 0x880, v0
	v_cmp_gt_u32_e32 vcc, s7, v35
                                        ; implicit-def: $vgpr36
	s_and_saveexec_b64 s[8:9], vcc
	s_cbranch_execz .LBB7_39
; %bb.38:
	global_load_ubyte v36, v0, s[2:3] offset:2176
	s_waitcnt vmcnt(0)
	v_cmp_ne_u16_e32 vcc, 0, v36
	v_cndmask_b32_e64 v36, 0, 1, vcc
.LBB7_39:
	s_or_b64 exec, exec, s[8:9]
	v_or_b32_e32 v37, 0x900, v0
	v_cmp_gt_u32_e32 vcc, s7, v37
                                        ; implicit-def: $vgpr38
	s_and_saveexec_b64 s[8:9], vcc
	s_cbranch_execz .LBB7_41
; %bb.40:
	global_load_ubyte v38, v0, s[2:3] offset:2304
	s_waitcnt vmcnt(0)
	v_cmp_ne_u16_e32 vcc, 0, v38
	v_cndmask_b32_e64 v38, 0, 1, vcc
.LBB7_41:
	s_or_b64 exec, exec, s[8:9]
	v_or_b32_e32 v39, 0x980, v0
	v_cmp_gt_u32_e32 vcc, s7, v39
                                        ; implicit-def: $vgpr40
	s_and_saveexec_b64 s[8:9], vcc
	s_cbranch_execz .LBB7_43
; %bb.42:
	global_load_ubyte v40, v0, s[2:3] offset:2432
	s_waitcnt vmcnt(0)
	v_cmp_ne_u16_e32 vcc, 0, v40
	v_cndmask_b32_e64 v40, 0, 1, vcc
.LBB7_43:
	s_or_b64 exec, exec, s[8:9]
	v_or_b32_e32 v41, 0xa00, v0
	v_cmp_gt_u32_e32 vcc, s7, v41
                                        ; implicit-def: $vgpr42
	s_and_saveexec_b64 s[8:9], vcc
	s_cbranch_execz .LBB7_45
; %bb.44:
	global_load_ubyte v42, v0, s[2:3] offset:2560
	s_waitcnt vmcnt(0)
	v_cmp_ne_u16_e32 vcc, 0, v42
	v_cndmask_b32_e64 v42, 0, 1, vcc
.LBB7_45:
	s_or_b64 exec, exec, s[8:9]
	v_or_b32_e32 v43, 0xa80, v0
	v_cmp_gt_u32_e32 vcc, s7, v43
                                        ; implicit-def: $vgpr44
	s_and_saveexec_b64 s[8:9], vcc
	s_cbranch_execz .LBB7_47
; %bb.46:
	global_load_ubyte v44, v0, s[2:3] offset:2688
	s_waitcnt vmcnt(0)
	v_cmp_ne_u16_e32 vcc, 0, v44
	v_cndmask_b32_e64 v44, 0, 1, vcc
.LBB7_47:
	s_or_b64 exec, exec, s[8:9]
	v_or_b32_e32 v45, 0xb00, v0
	v_cmp_gt_u32_e32 vcc, s7, v45
                                        ; implicit-def: $vgpr46
	s_and_saveexec_b64 s[8:9], vcc
	s_cbranch_execz .LBB7_49
; %bb.48:
	global_load_ubyte v46, v0, s[2:3] offset:2816
	s_waitcnt vmcnt(0)
	v_cmp_ne_u16_e32 vcc, 0, v46
	v_cndmask_b32_e64 v46, 0, 1, vcc
.LBB7_49:
	s_or_b64 exec, exec, s[8:9]
	v_or_b32_e32 v47, 0xb80, v0
	v_cmp_gt_u32_e32 vcc, s7, v47
                                        ; implicit-def: $vgpr48
	s_and_saveexec_b64 s[8:9], vcc
	s_cbranch_execz .LBB7_51
; %bb.50:
	global_load_ubyte v48, v0, s[2:3] offset:2944
	s_waitcnt vmcnt(0)
	v_cmp_ne_u16_e32 vcc, 0, v48
	v_cndmask_b32_e64 v48, 0, 1, vcc
.LBB7_51:
	s_or_b64 exec, exec, s[8:9]
	v_or_b32_e32 v49, 0xc00, v0
	v_cmp_gt_u32_e32 vcc, s7, v49
                                        ; implicit-def: $vgpr50
	s_and_saveexec_b64 s[8:9], vcc
	s_cbranch_execz .LBB7_53
; %bb.52:
	global_load_ubyte v50, v0, s[2:3] offset:3072
	s_waitcnt vmcnt(0)
	v_cmp_ne_u16_e32 vcc, 0, v50
	v_cndmask_b32_e64 v50, 0, 1, vcc
.LBB7_53:
	s_or_b64 exec, exec, s[8:9]
	v_or_b32_e32 v51, 0xc80, v0
	v_cmp_gt_u32_e32 vcc, s7, v51
                                        ; implicit-def: $vgpr52
	s_and_saveexec_b64 s[8:9], vcc
	s_cbranch_execz .LBB7_55
; %bb.54:
	global_load_ubyte v52, v0, s[2:3] offset:3200
	s_waitcnt vmcnt(0)
	v_cmp_ne_u16_e32 vcc, 0, v52
	v_cndmask_b32_e64 v52, 0, 1, vcc
.LBB7_55:
	s_or_b64 exec, exec, s[8:9]
	v_or_b32_e32 v53, 0xd00, v0
	v_cmp_gt_u32_e32 vcc, s7, v53
                                        ; implicit-def: $vgpr54
	s_and_saveexec_b64 s[8:9], vcc
	s_cbranch_execz .LBB7_57
; %bb.56:
	global_load_ubyte v54, v0, s[2:3] offset:3328
	s_waitcnt vmcnt(0)
	v_cmp_ne_u16_e32 vcc, 0, v54
	v_cndmask_b32_e64 v54, 0, 1, vcc
.LBB7_57:
	s_or_b64 exec, exec, s[8:9]
	v_or_b32_e32 v55, 0xd80, v0
	v_cmp_gt_u32_e32 vcc, s7, v55
                                        ; implicit-def: $vgpr56
	s_and_saveexec_b64 s[8:9], vcc
	s_cbranch_execz .LBB7_59
; %bb.58:
	global_load_ubyte v56, v0, s[2:3] offset:3456
	s_waitcnt vmcnt(0)
	v_cmp_ne_u16_e32 vcc, 0, v56
	v_cndmask_b32_e64 v56, 0, 1, vcc
.LBB7_59:
	s_or_b64 exec, exec, s[8:9]
	v_or_b32_e32 v57, 0xe00, v0
	v_cmp_gt_u32_e32 vcc, s7, v57
                                        ; implicit-def: $vgpr58
	s_and_saveexec_b64 s[8:9], vcc
	s_cbranch_execz .LBB7_61
; %bb.60:
	global_load_ubyte v58, v0, s[2:3] offset:3584
	s_waitcnt vmcnt(0)
	v_cmp_ne_u16_e32 vcc, 0, v58
	v_cndmask_b32_e64 v58, 0, 1, vcc
.LBB7_61:
	s_or_b64 exec, exec, s[8:9]
	v_or_b32_e32 v59, 0xe80, v0
	v_cmp_gt_u32_e32 vcc, s7, v59
                                        ; implicit-def: $vgpr60
	s_and_saveexec_b64 s[8:9], vcc
	s_cbranch_execz .LBB7_63
; %bb.62:
	global_load_ubyte v60, v0, s[2:3] offset:3712
	s_waitcnt vmcnt(0)
	v_cmp_ne_u16_e32 vcc, 0, v60
	v_cndmask_b32_e64 v60, 0, 1, vcc
.LBB7_63:
	s_or_b64 exec, exec, s[8:9]
	v_or_b32_e32 v61, 0xf00, v0
	v_cmp_gt_u32_e32 vcc, s7, v61
                                        ; implicit-def: $vgpr62
	s_and_saveexec_b64 s[8:9], vcc
	s_cbranch_execz .LBB7_65
; %bb.64:
	global_load_ubyte v62, v0, s[2:3] offset:3840
	s_waitcnt vmcnt(0)
	v_cmp_ne_u16_e32 vcc, 0, v62
	v_cndmask_b32_e64 v62, 0, 1, vcc
.LBB7_65:
	s_or_b64 exec, exec, s[8:9]
	v_or_b32_e32 v63, 0xf80, v0
	v_cmp_gt_u32_e32 vcc, s7, v63
                                        ; implicit-def: $vgpr64
	s_and_saveexec_b64 s[8:9], vcc
	s_cbranch_execz .LBB7_67
; %bb.66:
	global_load_ubyte v64, v0, s[2:3] offset:3968
	s_waitcnt vmcnt(0)
	v_cmp_ne_u16_e32 vcc, 0, v64
	v_cndmask_b32_e64 v64, 0, 1, vcc
.LBB7_67:
	s_or_b64 exec, exec, s[8:9]
	v_lshrrev_b32_e32 v3, 5, v3
	v_and_b32_e32 v3, 4, v3
	v_add_u32_e32 v3, v0, v3
	ds_write_b8 v3, v4 offset:128
	ds_write_b8 v0, v2
	v_lshrrev_b32_e32 v2, 5, v5
	v_and_b32_e32 v2, 12, v2
	v_add_u32_e32 v2, v0, v2
	ds_write_b8 v2, v6 offset:256
	v_lshrrev_b32_e32 v2, 5, v7
	v_and_b32_e32 v2, 12, v2
	v_add_u32_e32 v2, v0, v2
	ds_write_b8 v2, v8 offset:384
	;; [unrolled: 4-line block ×30, first 2 shown]
	s_waitcnt lgkmcnt(0)
	s_barrier
.LBB7_68:
	v_lshlrev_b32_e32 v10, 5, v0
	v_and_b32_e32 v2, 0x7c, v0
	v_add_u32_e32 v8, v2, v10
	s_waitcnt lgkmcnt(0)
	ds_read2_b32 v[2:3], v8 offset0:6 offset1:7
	ds_read2_b32 v[4:5], v8 offset0:4 offset1:5
	;; [unrolled: 1-line block ×3, first 2 shown]
	ds_read2_b32 v[8:9], v8 offset1:1
	s_cmp_lg_u32 s6, 0
	s_cselect_b64 s[16:17], -1, 0
	s_cmp_lg_u64 s[0:1], 0
	s_cselect_b64 s[0:1], -1, 0
	s_or_b64 s[0:1], s[16:17], s[0:1]
	s_waitcnt lgkmcnt(3)
	v_lshrrev_b32_e32 v25, 8, v2
	v_lshrrev_b32_e32 v24, 16, v2
	v_lshrrev_b32_e32 v23, 24, v2
	v_lshrrev_b32_e32 v22, 8, v3
	v_lshrrev_b32_e32 v21, 16, v3
	v_lshrrev_b32_e32 v20, 24, v3
	s_waitcnt lgkmcnt(2)
	v_lshrrev_b32_e32 v31, 8, v4
	v_lshrrev_b32_e32 v30, 16, v4
	v_lshrrev_b32_e32 v29, 24, v4
	v_lshrrev_b32_e32 v28, 8, v5
	v_lshrrev_b32_e32 v27, 16, v5
	v_lshrrev_b32_e32 v26, 24, v5
	s_waitcnt lgkmcnt(1)
	v_lshrrev_b32_e32 v39, 8, v6
	v_lshrrev_b32_e32 v37, 16, v6
	v_lshrrev_b32_e32 v36, 24, v6
	v_lshrrev_b32_e32 v34, 8, v7
	v_lshrrev_b32_e32 v33, 16, v7
	v_lshrrev_b32_e32 v32, 24, v7
	s_waitcnt lgkmcnt(0)
	v_lshrrev_b32_e32 v50, 8, v8
	v_lshrrev_b32_e32 v48, 16, v8
	v_lshrrev_b32_e32 v47, 24, v8
	v_lshrrev_b32_e32 v45, 8, v9
	v_lshrrev_b32_e32 v43, 16, v9
	v_lshrrev_b32_e32 v42, 24, v9
	s_mov_b64 s[14:15], 0
	s_and_b64 vcc, exec, s[0:1]
	s_barrier
	s_cbranch_vccz .LBB7_73
; %bb.69:
	v_mov_b32_e32 v11, 0
	global_load_ubyte v11, v11, s[2:3] offset:-1
	s_and_b64 vcc, exec, s[26:27]
	ds_write_b8 v0, v20
	s_waitcnt vmcnt(0)
	v_cmp_ne_u16_e64 s[0:1], 0, v11
	v_cndmask_b32_e64 v11, 0, 1, s[0:1]
	s_cbranch_vccz .LBB7_75
; %bb.70:
	v_cndmask_b32_e64 v12, 0, 1, s[0:1]
	v_cmp_ne_u32_e32 vcc, 0, v0
	s_waitcnt lgkmcnt(0)
	s_barrier
	s_and_saveexec_b64 s[0:1], vcc
	s_cbranch_execz .LBB7_72
; %bb.71:
	v_add_u32_e32 v12, -1, v0
	ds_read_u8 v12, v12
.LBB7_72:
	s_or_b64 exec, exec, s[0:1]
	v_cmp_ne_u16_sdwa s[0:1], v21, v20 src0_sel:BYTE_0 src1_sel:DWORD
	v_cndmask_b32_e64 v35, 0, 1, s[0:1]
	v_cmp_ne_u16_sdwa s[0:1], v22, v21 src0_sel:BYTE_0 src1_sel:BYTE_0
	v_cndmask_b32_e64 v38, 0, 1, s[0:1]
	v_cmp_ne_u16_sdwa s[0:1], v3, v22 src0_sel:BYTE_0 src1_sel:BYTE_0
	v_cndmask_b32_e64 v40, 0, 1, s[0:1]
	v_cmp_ne_u16_sdwa s[0:1], v23, v3 src0_sel:DWORD src1_sel:BYTE_0
	v_cndmask_b32_e64 v41, 0, 1, s[0:1]
	v_cmp_ne_u16_sdwa s[0:1], v24, v23 src0_sel:BYTE_0 src1_sel:DWORD
	v_cndmask_b32_e64 v44, 0, 1, s[0:1]
	v_cmp_ne_u16_sdwa s[0:1], v25, v24 src0_sel:BYTE_0 src1_sel:BYTE_0
	v_cndmask_b32_e64 v46, 0, 1, s[0:1]
	v_cmp_ne_u16_sdwa s[0:1], v2, v25 src0_sel:BYTE_0 src1_sel:BYTE_0
	v_cndmask_b32_e64 v49, 0, 1, s[0:1]
	v_cmp_ne_u16_sdwa s[0:1], v26, v2 src0_sel:DWORD src1_sel:BYTE_0
	v_cndmask_b32_e64 v51, 0, 1, s[0:1]
	;; [unrolled: 8-line block ×7, first 2 shown]
	v_cmp_ne_u16_sdwa s[0:1], v48, v47 src0_sel:BYTE_0 src1_sel:DWORD
	v_cndmask_b32_e64 v72, 0, 1, s[0:1]
	v_cmp_ne_u16_sdwa s[0:1], v50, v48 src0_sel:BYTE_0 src1_sel:BYTE_0
	v_cndmask_b32_e64 v73, 0, 1, s[0:1]
	v_cmp_ne_u16_sdwa s[0:1], v8, v50 src0_sel:BYTE_0 src1_sel:BYTE_0
	v_cndmask_b32_e64 v74, 0, 1, s[0:1]
	s_waitcnt lgkmcnt(0)
	v_cmp_ne_u16_sdwa s[18:19], v12, v8 src0_sel:BYTE_0 src1_sel:BYTE_0
	s_branch .LBB7_79
.LBB7_73:
                                        ; implicit-def: $sgpr18_sgpr19
                                        ; implicit-def: $vgpr74
                                        ; implicit-def: $vgpr73
                                        ; implicit-def: $vgpr72
                                        ; implicit-def: $vgpr71
                                        ; implicit-def: $vgpr70
                                        ; implicit-def: $vgpr69
                                        ; implicit-def: $vgpr68
                                        ; implicit-def: $vgpr67
                                        ; implicit-def: $vgpr66
                                        ; implicit-def: $vgpr65
                                        ; implicit-def: $vgpr64
                                        ; implicit-def: $vgpr63
                                        ; implicit-def: $vgpr62
                                        ; implicit-def: $vgpr61
                                        ; implicit-def: $vgpr60
                                        ; implicit-def: $vgpr59
                                        ; implicit-def: $vgpr58
                                        ; implicit-def: $vgpr57
                                        ; implicit-def: $vgpr56
                                        ; implicit-def: $vgpr55
                                        ; implicit-def: $vgpr54
                                        ; implicit-def: $vgpr53
                                        ; implicit-def: $vgpr52
                                        ; implicit-def: $vgpr51
                                        ; implicit-def: $vgpr49
                                        ; implicit-def: $vgpr46
                                        ; implicit-def: $vgpr44
                                        ; implicit-def: $vgpr41
                                        ; implicit-def: $vgpr40
                                        ; implicit-def: $vgpr38
                                        ; implicit-def: $vgpr35
	s_branch .LBB7_80
.LBB7_74:
                                        ; implicit-def: $sgpr28
	v_mov_b32_e32 v75, s28
	s_and_saveexec_b64 s[0:1], s[14:15]
	s_cbranch_execnz .LBB7_88
	s_branch .LBB7_89
.LBB7_75:
                                        ; implicit-def: $sgpr18_sgpr19
                                        ; implicit-def: $vgpr74
                                        ; implicit-def: $vgpr73
                                        ; implicit-def: $vgpr72
                                        ; implicit-def: $vgpr71
                                        ; implicit-def: $vgpr70
                                        ; implicit-def: $vgpr69
                                        ; implicit-def: $vgpr68
                                        ; implicit-def: $vgpr67
                                        ; implicit-def: $vgpr66
                                        ; implicit-def: $vgpr65
                                        ; implicit-def: $vgpr64
                                        ; implicit-def: $vgpr63
                                        ; implicit-def: $vgpr62
                                        ; implicit-def: $vgpr61
                                        ; implicit-def: $vgpr60
                                        ; implicit-def: $vgpr59
                                        ; implicit-def: $vgpr58
                                        ; implicit-def: $vgpr57
                                        ; implicit-def: $vgpr56
                                        ; implicit-def: $vgpr55
                                        ; implicit-def: $vgpr54
                                        ; implicit-def: $vgpr53
                                        ; implicit-def: $vgpr52
                                        ; implicit-def: $vgpr51
                                        ; implicit-def: $vgpr49
                                        ; implicit-def: $vgpr46
                                        ; implicit-def: $vgpr44
                                        ; implicit-def: $vgpr41
                                        ; implicit-def: $vgpr40
                                        ; implicit-def: $vgpr38
                                        ; implicit-def: $vgpr35
	s_cbranch_execz .LBB7_79
; %bb.76:
	v_cmp_ne_u32_e32 vcc, 0, v0
	s_waitcnt lgkmcnt(0)
	s_barrier
	s_and_saveexec_b64 s[0:1], vcc
	s_cbranch_execz .LBB7_78
; %bb.77:
	v_add_u32_e32 v11, -1, v0
	ds_read_u8 v11, v11
.LBB7_78:
	s_or_b64 exec, exec, s[0:1]
	v_or_b32_e32 v12, 31, v10
	v_cmp_gt_u32_e32 vcc, s7, v12
	v_cmp_ne_u16_sdwa s[0:1], v21, v20 src0_sel:BYTE_0 src1_sel:DWORD
	s_and_b64 s[0:1], vcc, s[0:1]
	v_or_b32_e32 v12, 30, v10
	v_cndmask_b32_e64 v35, 0, 1, s[0:1]
	v_cmp_gt_u32_e32 vcc, s7, v12
	v_cmp_ne_u16_sdwa s[0:1], v22, v21 src0_sel:BYTE_0 src1_sel:BYTE_0
	s_and_b64 s[0:1], vcc, s[0:1]
	v_or_b32_e32 v12, 29, v10
	v_cndmask_b32_e64 v38, 0, 1, s[0:1]
	v_cmp_gt_u32_e32 vcc, s7, v12
	v_cmp_ne_u16_sdwa s[0:1], v3, v22 src0_sel:BYTE_0 src1_sel:BYTE_0
	s_and_b64 s[0:1], vcc, s[0:1]
	v_or_b32_e32 v12, 28, v10
	v_cndmask_b32_e64 v40, 0, 1, s[0:1]
	v_cmp_gt_u32_e32 vcc, s7, v12
	v_cmp_ne_u16_sdwa s[0:1], v23, v3 src0_sel:DWORD src1_sel:BYTE_0
	s_and_b64 s[0:1], vcc, s[0:1]
	v_or_b32_e32 v12, 27, v10
	v_cndmask_b32_e64 v41, 0, 1, s[0:1]
	v_cmp_gt_u32_e32 vcc, s7, v12
	v_cmp_ne_u16_sdwa s[0:1], v24, v23 src0_sel:BYTE_0 src1_sel:DWORD
	s_and_b64 s[0:1], vcc, s[0:1]
	v_or_b32_e32 v12, 26, v10
	v_cndmask_b32_e64 v44, 0, 1, s[0:1]
	v_cmp_gt_u32_e32 vcc, s7, v12
	v_cmp_ne_u16_sdwa s[0:1], v25, v24 src0_sel:BYTE_0 src1_sel:BYTE_0
	s_and_b64 s[0:1], vcc, s[0:1]
	v_or_b32_e32 v12, 25, v10
	v_cndmask_b32_e64 v46, 0, 1, s[0:1]
	v_cmp_gt_u32_e32 vcc, s7, v12
	v_cmp_ne_u16_sdwa s[0:1], v2, v25 src0_sel:BYTE_0 src1_sel:BYTE_0
	s_and_b64 s[0:1], vcc, s[0:1]
	v_or_b32_e32 v12, 24, v10
	v_cndmask_b32_e64 v49, 0, 1, s[0:1]
	v_cmp_gt_u32_e32 vcc, s7, v12
	v_cmp_ne_u16_sdwa s[0:1], v26, v2 src0_sel:DWORD src1_sel:BYTE_0
	s_and_b64 s[0:1], vcc, s[0:1]
	v_or_b32_e32 v12, 23, v10
	v_cndmask_b32_e64 v51, 0, 1, s[0:1]
	;; [unrolled: 20-line block ×7, first 2 shown]
	v_cmp_gt_u32_e32 vcc, s7, v12
	v_cmp_ne_u16_sdwa s[0:1], v48, v47 src0_sel:BYTE_0 src1_sel:DWORD
	s_and_b64 s[0:1], vcc, s[0:1]
	v_or_b32_e32 v12, 2, v10
	v_cndmask_b32_e64 v72, 0, 1, s[0:1]
	v_cmp_gt_u32_e32 vcc, s7, v12
	v_cmp_ne_u16_sdwa s[0:1], v50, v48 src0_sel:BYTE_0 src1_sel:BYTE_0
	s_and_b64 s[0:1], vcc, s[0:1]
	v_or_b32_e32 v12, 1, v10
	v_cndmask_b32_e64 v73, 0, 1, s[0:1]
	v_cmp_gt_u32_e32 vcc, s7, v12
	v_cmp_ne_u16_sdwa s[0:1], v8, v50 src0_sel:BYTE_0 src1_sel:BYTE_0
	s_and_b64 s[0:1], vcc, s[0:1]
	v_cndmask_b32_e64 v74, 0, 1, s[0:1]
	v_cmp_gt_u32_e32 vcc, s7, v10
	s_waitcnt lgkmcnt(0)
	v_cmp_ne_u16_sdwa s[0:1], v11, v8 src0_sel:BYTE_0 src1_sel:BYTE_0
	s_and_b64 s[18:19], vcc, s[0:1]
.LBB7_79:
	s_mov_b64 s[14:15], -1
	s_cbranch_execnz .LBB7_74
.LBB7_80:
	s_and_b64 vcc, exec, s[26:27]
	v_cmp_ne_u16_sdwa s[0:1], v21, v20 src0_sel:BYTE_0 src1_sel:DWORD
	v_cmp_ne_u16_sdwa s[2:3], v22, v21 src0_sel:BYTE_0 src1_sel:BYTE_0
	v_cmp_ne_u16_sdwa s[8:9], v3, v22 src0_sel:BYTE_0 src1_sel:BYTE_0
	v_cmp_ne_u16_sdwa s[10:11], v23, v3 src0_sel:DWORD src1_sel:BYTE_0
	v_cmp_ne_u16_sdwa s[18:19], v24, v23 src0_sel:BYTE_0 src1_sel:DWORD
	v_cmp_ne_u16_sdwa s[28:29], v25, v24 src0_sel:BYTE_0 src1_sel:BYTE_0
	v_cmp_ne_u16_sdwa s[30:31], v2, v25 src0_sel:BYTE_0 src1_sel:BYTE_0
	v_cmp_ne_u16_sdwa s[34:35], v26, v2 src0_sel:DWORD src1_sel:BYTE_0
	;; [unrolled: 4-line block ×7, first 2 shown]
	v_cmp_ne_u16_sdwa s[76:77], v48, v47 src0_sel:BYTE_0 src1_sel:DWORD
	v_cmp_ne_u16_sdwa s[78:79], v50, v48 src0_sel:BYTE_0 src1_sel:BYTE_0
	v_cmp_ne_u16_sdwa s[80:81], v8, v50 src0_sel:BYTE_0 src1_sel:BYTE_0
	ds_write_b8 v0, v20
	s_cbranch_vccz .LBB7_84
; %bb.81:
	v_cndmask_b32_e64 v35, 0, 1, s[0:1]
	v_cndmask_b32_e64 v38, 0, 1, s[2:3]
	;; [unrolled: 1-line block ×31, first 2 shown]
	v_cmp_ne_u32_e32 vcc, 0, v0
	s_waitcnt lgkmcnt(0)
	s_barrier
	s_waitcnt lgkmcnt(0)
                                        ; implicit-def: $sgpr18_sgpr19
	s_and_saveexec_b64 s[0:1], vcc
	s_xor_b64 s[0:1], exec, s[0:1]
	s_cbranch_execz .LBB7_83
; %bb.82:
	v_add_u32_e32 v11, -1, v0
	ds_read_u8 v11, v11
	s_or_b64 s[14:15], s[14:15], exec
	s_waitcnt lgkmcnt(0)
	v_cmp_ne_u16_sdwa s[2:3], v11, v8 src0_sel:DWORD src1_sel:BYTE_0
	s_and_b64 s[18:19], s[2:3], exec
.LBB7_83:
	s_or_b64 exec, exec, s[0:1]
	s_mov_b32 s28, 1
	s_branch .LBB7_87
.LBB7_84:
                                        ; implicit-def: $sgpr18_sgpr19
                                        ; implicit-def: $vgpr74
                                        ; implicit-def: $vgpr73
                                        ; implicit-def: $vgpr72
                                        ; implicit-def: $vgpr71
                                        ; implicit-def: $vgpr70
                                        ; implicit-def: $vgpr69
                                        ; implicit-def: $vgpr68
                                        ; implicit-def: $vgpr67
                                        ; implicit-def: $vgpr66
                                        ; implicit-def: $vgpr65
                                        ; implicit-def: $vgpr64
                                        ; implicit-def: $vgpr63
                                        ; implicit-def: $vgpr62
                                        ; implicit-def: $vgpr61
                                        ; implicit-def: $vgpr60
                                        ; implicit-def: $vgpr59
                                        ; implicit-def: $vgpr58
                                        ; implicit-def: $vgpr57
                                        ; implicit-def: $vgpr56
                                        ; implicit-def: $vgpr55
                                        ; implicit-def: $vgpr54
                                        ; implicit-def: $vgpr53
                                        ; implicit-def: $vgpr52
                                        ; implicit-def: $vgpr51
                                        ; implicit-def: $vgpr49
                                        ; implicit-def: $vgpr46
                                        ; implicit-def: $vgpr44
                                        ; implicit-def: $vgpr41
                                        ; implicit-def: $vgpr40
                                        ; implicit-def: $vgpr38
                                        ; implicit-def: $vgpr35
                                        ; implicit-def: $sgpr28
	s_cbranch_execz .LBB7_87
; %bb.85:
	v_or_b32_e32 v11, 31, v10
	v_cmp_gt_u32_e32 vcc, s7, v11
	v_cmp_ne_u16_sdwa s[0:1], v21, v20 src0_sel:BYTE_0 src1_sel:DWORD
	s_and_b64 s[0:1], vcc, s[0:1]
	v_or_b32_e32 v11, 30, v10
	v_cndmask_b32_e64 v35, 0, 1, s[0:1]
	v_cmp_gt_u32_e32 vcc, s7, v11
	v_cmp_ne_u16_sdwa s[0:1], v22, v21 src0_sel:BYTE_0 src1_sel:BYTE_0
	s_and_b64 s[0:1], vcc, s[0:1]
	v_or_b32_e32 v11, 29, v10
	v_cndmask_b32_e64 v38, 0, 1, s[0:1]
	v_cmp_gt_u32_e32 vcc, s7, v11
	v_cmp_ne_u16_sdwa s[0:1], v3, v22 src0_sel:BYTE_0 src1_sel:BYTE_0
	s_and_b64 s[0:1], vcc, s[0:1]
	v_or_b32_e32 v11, 28, v10
	v_cndmask_b32_e64 v40, 0, 1, s[0:1]
	v_cmp_gt_u32_e32 vcc, s7, v11
	v_cmp_ne_u16_sdwa s[0:1], v23, v3 src0_sel:DWORD src1_sel:BYTE_0
	s_and_b64 s[0:1], vcc, s[0:1]
	v_or_b32_e32 v11, 27, v10
	v_cndmask_b32_e64 v41, 0, 1, s[0:1]
	v_cmp_gt_u32_e32 vcc, s7, v11
	v_cmp_ne_u16_sdwa s[0:1], v24, v23 src0_sel:BYTE_0 src1_sel:DWORD
	s_and_b64 s[0:1], vcc, s[0:1]
	v_or_b32_e32 v11, 26, v10
	v_cndmask_b32_e64 v44, 0, 1, s[0:1]
	v_cmp_gt_u32_e32 vcc, s7, v11
	v_cmp_ne_u16_sdwa s[0:1], v25, v24 src0_sel:BYTE_0 src1_sel:BYTE_0
	s_and_b64 s[0:1], vcc, s[0:1]
	v_or_b32_e32 v11, 25, v10
	v_cndmask_b32_e64 v46, 0, 1, s[0:1]
	v_cmp_gt_u32_e32 vcc, s7, v11
	v_cmp_ne_u16_sdwa s[0:1], v2, v25 src0_sel:BYTE_0 src1_sel:BYTE_0
	s_and_b64 s[0:1], vcc, s[0:1]
	v_or_b32_e32 v11, 24, v10
	v_cndmask_b32_e64 v49, 0, 1, s[0:1]
	v_cmp_gt_u32_e32 vcc, s7, v11
	v_cmp_ne_u16_sdwa s[0:1], v26, v2 src0_sel:DWORD src1_sel:BYTE_0
	s_and_b64 s[0:1], vcc, s[0:1]
	v_or_b32_e32 v11, 23, v10
	v_cndmask_b32_e64 v51, 0, 1, s[0:1]
	;; [unrolled: 20-line block ×6, first 2 shown]
	v_cmp_gt_u32_e32 vcc, s7, v11
	v_cmp_ne_u16_sdwa s[0:1], v43, v42 src0_sel:BYTE_0 src1_sel:DWORD
	s_and_b64 s[0:1], vcc, s[0:1]
	v_or_b32_e32 v11, 6, v10
	v_cndmask_b32_e64 v68, 0, 1, s[0:1]
	v_cmp_gt_u32_e32 vcc, s7, v11
	v_cmp_ne_u16_sdwa s[0:1], v45, v43 src0_sel:BYTE_0 src1_sel:BYTE_0
	v_or_b32_e32 v11, 5, v10
	s_and_b64 s[0:1], vcc, s[0:1]
	v_cmp_gt_u32_e32 vcc, s7, v11
	v_or_b32_e32 v11, 4, v10
	v_cndmask_b32_e64 v69, 0, 1, s[0:1]
	v_cmp_gt_u32_e64 s[0:1], s7, v11
	v_or_b32_e32 v11, 3, v10
	v_cmp_ne_u16_sdwa s[30:31], v47, v9 src0_sel:DWORD src1_sel:BYTE_0
	v_cmp_gt_u32_e64 s[2:3], s7, v11
	v_or_b32_e32 v11, 2, v10
	v_cmp_ne_u16_sdwa s[34:35], v48, v47 src0_sel:BYTE_0 src1_sel:DWORD
	s_and_b64 s[0:1], s[0:1], s[30:31]
	v_cmp_gt_u32_e64 s[8:9], s7, v11
	v_or_b32_e32 v11, 1, v10
	v_cmp_ne_u16_sdwa s[36:37], v50, v48 src0_sel:BYTE_0 src1_sel:BYTE_0
	v_cndmask_b32_e64 v71, 0, 1, s[0:1]
	s_and_b64 s[0:1], s[2:3], s[34:35]
	v_cmp_ne_u16_sdwa s[18:19], v9, v45 src0_sel:BYTE_0 src1_sel:BYTE_0
	v_cmp_gt_u32_e64 s[10:11], s7, v11
	v_cmp_ne_u16_sdwa s[38:39], v8, v50 src0_sel:BYTE_0 src1_sel:BYTE_0
	v_cndmask_b32_e64 v72, 0, 1, s[0:1]
	s_and_b64 s[0:1], s[8:9], s[36:37]
	s_and_b64 s[18:19], vcc, s[18:19]
	v_cndmask_b32_e64 v73, 0, 1, s[0:1]
	s_and_b64 s[0:1], s[10:11], s[38:39]
	v_cndmask_b32_e64 v70, 0, 1, s[18:19]
	s_mov_b32 s28, 1
	v_cmp_ne_u32_e32 vcc, 0, v0
	v_cndmask_b32_e64 v74, 0, 1, s[0:1]
	s_waitcnt lgkmcnt(0)
	s_barrier
	s_waitcnt lgkmcnt(0)
                                        ; implicit-def: $sgpr18_sgpr19
	s_and_saveexec_b64 s[0:1], vcc
	s_cbranch_execz .LBB7_309
; %bb.86:
	v_add_u32_e32 v11, -1, v0
	ds_read_u8 v11, v11
	v_cmp_gt_u32_e32 vcc, s7, v10
	s_or_b64 s[14:15], s[14:15], exec
	s_waitcnt lgkmcnt(0)
	v_and_b32_e32 v11, 0xff, v11
	v_cmp_ne_u16_sdwa s[2:3], v11, v8 src0_sel:DWORD src1_sel:BYTE_0
	s_and_b64 s[2:3], vcc, s[2:3]
	s_and_b64 s[18:19], s[2:3], exec
	s_or_b64 exec, exec, s[0:1]
.LBB7_87:
	v_mov_b32_e32 v75, s28
	s_and_saveexec_b64 s[0:1], s[14:15]
.LBB7_88:
	v_cndmask_b32_e64 v75, 0, 1, s[18:19]
.LBB7_89:
	s_or_b64 exec, exec, s[0:1]
	s_load_dwordx2 s[28:29], s[4:5], 0x68
	s_andn2_b64 vcc, exec, s[12:13]
	s_cbranch_vccnz .LBB7_91
; %bb.90:
	v_cmp_gt_u32_e32 vcc, s7, v10
	v_or_b32_e32 v11, 1, v10
	v_cndmask_b32_e32 v75, 0, v75, vcc
	v_cmp_gt_u32_e32 vcc, s7, v11
	v_or_b32_e32 v11, 2, v10
	v_cndmask_b32_e32 v74, 0, v74, vcc
	v_cmp_gt_u32_e32 vcc, s7, v11
	v_or_b32_e32 v11, 3, v10
	v_cndmask_b32_e32 v73, 0, v73, vcc
	v_cmp_gt_u32_e32 vcc, s7, v11
	v_or_b32_e32 v11, 4, v10
	v_cndmask_b32_e32 v72, 0, v72, vcc
	v_cmp_gt_u32_e32 vcc, s7, v11
	v_or_b32_e32 v11, 5, v10
	v_cndmask_b32_e32 v71, 0, v71, vcc
	v_cmp_gt_u32_e32 vcc, s7, v11
	v_or_b32_e32 v11, 6, v10
	v_cndmask_b32_e32 v70, 0, v70, vcc
	v_cmp_gt_u32_e32 vcc, s7, v11
	v_or_b32_e32 v11, 7, v10
	v_cndmask_b32_e32 v69, 0, v69, vcc
	v_cmp_gt_u32_e32 vcc, s7, v11
	v_or_b32_e32 v11, 8, v10
	v_cndmask_b32_e32 v68, 0, v68, vcc
	v_cmp_gt_u32_e32 vcc, s7, v11
	v_or_b32_e32 v11, 9, v10
	v_cndmask_b32_e32 v67, 0, v67, vcc
	v_cmp_gt_u32_e32 vcc, s7, v11
	v_or_b32_e32 v11, 10, v10
	v_cndmask_b32_e32 v66, 0, v66, vcc
	v_cmp_gt_u32_e32 vcc, s7, v11
	v_or_b32_e32 v11, 11, v10
	v_cndmask_b32_e32 v65, 0, v65, vcc
	v_cmp_gt_u32_e32 vcc, s7, v11
	v_or_b32_e32 v11, 12, v10
	v_cndmask_b32_e32 v64, 0, v64, vcc
	v_cmp_gt_u32_e32 vcc, s7, v11
	v_or_b32_e32 v11, 13, v10
	v_cndmask_b32_e32 v63, 0, v63, vcc
	v_cmp_gt_u32_e32 vcc, s7, v11
	v_or_b32_e32 v11, 14, v10
	v_cndmask_b32_e32 v62, 0, v62, vcc
	v_cmp_gt_u32_e32 vcc, s7, v11
	v_or_b32_e32 v11, 15, v10
	v_cndmask_b32_e32 v61, 0, v61, vcc
	v_cmp_gt_u32_e32 vcc, s7, v11
	v_or_b32_e32 v11, 16, v10
	v_cndmask_b32_e32 v60, 0, v60, vcc
	v_cmp_gt_u32_e32 vcc, s7, v11
	v_or_b32_e32 v11, 17, v10
	v_cndmask_b32_e32 v59, 0, v59, vcc
	v_cmp_gt_u32_e32 vcc, s7, v11
	v_or_b32_e32 v11, 18, v10
	v_cndmask_b32_e32 v58, 0, v58, vcc
	v_cmp_gt_u32_e32 vcc, s7, v11
	v_or_b32_e32 v11, 19, v10
	v_cndmask_b32_e32 v57, 0, v57, vcc
	v_cmp_gt_u32_e32 vcc, s7, v11
	v_or_b32_e32 v11, 20, v10
	v_cndmask_b32_e32 v56, 0, v56, vcc
	v_cmp_gt_u32_e32 vcc, s7, v11
	v_or_b32_e32 v11, 21, v10
	v_cndmask_b32_e32 v55, 0, v55, vcc
	v_cmp_gt_u32_e32 vcc, s7, v11
	v_or_b32_e32 v11, 22, v10
	v_cndmask_b32_e32 v54, 0, v54, vcc
	v_cmp_gt_u32_e32 vcc, s7, v11
	v_or_b32_e32 v11, 23, v10
	v_cndmask_b32_e32 v53, 0, v53, vcc
	v_cmp_gt_u32_e32 vcc, s7, v11
	v_or_b32_e32 v11, 24, v10
	v_cndmask_b32_e32 v52, 0, v52, vcc
	v_cmp_gt_u32_e32 vcc, s7, v11
	v_or_b32_e32 v11, 25, v10
	v_cndmask_b32_e32 v51, 0, v51, vcc
	v_cmp_gt_u32_e32 vcc, s7, v11
	v_or_b32_e32 v11, 26, v10
	v_cndmask_b32_e32 v49, 0, v49, vcc
	v_cmp_gt_u32_e32 vcc, s7, v11
	v_or_b32_e32 v11, 27, v10
	v_cndmask_b32_e32 v46, 0, v46, vcc
	v_cmp_gt_u32_e32 vcc, s7, v11
	v_or_b32_e32 v11, 28, v10
	v_cndmask_b32_e32 v44, 0, v44, vcc
	v_cmp_gt_u32_e32 vcc, s7, v11
	v_or_b32_e32 v11, 29, v10
	v_cndmask_b32_e32 v41, 0, v41, vcc
	v_cmp_gt_u32_e32 vcc, s7, v11
	v_or_b32_e32 v11, 30, v10
	v_cndmask_b32_e32 v40, 0, v40, vcc
	v_cmp_gt_u32_e32 vcc, s7, v11
	v_or_b32_e32 v10, 31, v10
	v_cndmask_b32_e32 v38, 0, v38, vcc
	v_cmp_gt_u32_e32 vcc, s7, v10
	v_cndmask_b32_e32 v35, 0, v35, vcc
.LBB7_91:
	v_mbcnt_lo_u32_b32 v10, -1, 0
	v_mbcnt_hi_u32_b32 v86, -1, v10
	v_and_b32_e32 v10, 15, v86
	v_cmp_eq_u32_e64 s[12:13], 0, v10
	v_cmp_lt_u32_e64 s[10:11], 1, v10
	v_cmp_lt_u32_e64 s[8:9], 3, v10
	;; [unrolled: 1-line block ×3, first 2 shown]
	v_and_b32_e32 v10, 16, v86
	v_cmp_eq_u32_e64 s[2:3], 0, v10
	v_or_b32_e32 v10, 63, v0
	v_and_b32_e32 v114, 0xff, v41
	v_and_b32_e32 v115, 0xff, v40
	v_cmp_eq_u32_e64 s[0:1], v10, v0
	v_add_u32_sdwa v10, v38, v35 dst_sel:DWORD dst_unused:UNUSED_PAD src0_sel:BYTE_0 src1_sel:BYTE_0
	v_and_b32_e32 v112, 0xff, v46
	v_and_b32_e32 v113, 0xff, v44
	v_add3_u32 v10, v10, v115, v114
	v_and_b32_e32 v110, 0xff, v51
	v_and_b32_e32 v111, 0xff, v49
	v_add3_u32 v10, v10, v113, v112
	;; [unrolled: 3-line block ×12, first 2 shown]
	v_add3_u32 v10, v10, v77, v76
	v_and_b32_e32 v87, 0xff, v73
	v_and_b32_e32 v88, 0xff, v72
	v_add3_u32 v10, v10, v88, v87
	v_and_b32_e32 v89, 0xff, v75
	v_and_b32_e32 v90, 0xff, v74
	v_add3_u32 v92, v10, v90, v89
	v_cmp_lt_u32_e64 s[14:15], 31, v86
	s_and_b64 vcc, exec, s[16:17]
	v_lshrrev_b32_e32 v91, 6, v0
	s_waitcnt lgkmcnt(0)
	s_barrier
	s_cbranch_vccz .LBB7_118
; %bb.92:
	v_mov_b32_dpp v10, v92 row_shr:1 row_mask:0xf bank_mask:0xf
	v_cndmask_b32_e64 v10, v10, 0, s[12:13]
	v_add_u32_e32 v10, v10, v92
	s_nop 1
	v_mov_b32_dpp v11, v10 row_shr:2 row_mask:0xf bank_mask:0xf
	v_cndmask_b32_e64 v11, 0, v11, s[10:11]
	v_add_u32_e32 v10, v10, v11
	s_nop 1
	;; [unrolled: 4-line block ×4, first 2 shown]
	v_mov_b32_dpp v11, v10 row_bcast:15 row_mask:0xf bank_mask:0xf
	v_cndmask_b32_e64 v11, v11, 0, s[2:3]
	v_add_u32_e32 v10, v10, v11
	s_nop 1
	v_mov_b32_dpp v11, v10 row_bcast:31 row_mask:0xf bank_mask:0xf
	v_cndmask_b32_e64 v11, 0, v11, s[14:15]
	v_add_u32_e32 v10, v10, v11
	s_and_saveexec_b64 s[16:17], s[0:1]
	s_cbranch_execz .LBB7_94
; %bb.93:
	v_lshlrev_b32_e32 v11, 2, v91
	ds_write_b32 v11, v10
.LBB7_94:
	s_or_b64 exec, exec, s[16:17]
	v_cmp_gt_u32_e32 vcc, 2, v0
	s_waitcnt lgkmcnt(0)
	s_barrier
	s_and_saveexec_b64 s[16:17], vcc
	s_cbranch_execz .LBB7_96
; %bb.95:
	v_lshlrev_b32_e32 v11, 2, v0
	ds_read_b32 v12, v11
	v_bfe_i32 v13, v86, 0, 1
	s_waitcnt lgkmcnt(0)
	v_mov_b32_dpp v14, v12 row_shr:1 row_mask:0xf bank_mask:0xf
	v_and_b32_e32 v13, v13, v14
	v_add_u32_e32 v12, v13, v12
	ds_write_b32 v11, v12
.LBB7_96:
	s_or_b64 exec, exec, s[16:17]
	v_cmp_gt_u32_e32 vcc, 64, v0
	v_cmp_lt_u32_e64 s[16:17], 63, v0
	s_waitcnt lgkmcnt(0)
	s_barrier
	s_waitcnt lgkmcnt(0)
                                        ; implicit-def: $vgpr93
	s_and_saveexec_b64 s[30:31], s[16:17]
	s_cbranch_execz .LBB7_98
; %bb.97:
	v_lshl_add_u32 v11, v91, 2, -4
	ds_read_b32 v93, v11
	s_waitcnt lgkmcnt(0)
	v_add_u32_e32 v10, v93, v10
.LBB7_98:
	s_or_b64 exec, exec, s[30:31]
	v_add_u32_e32 v11, -1, v86
	v_and_b32_e32 v12, 64, v86
	v_cmp_lt_i32_e64 s[16:17], v11, v12
	v_cndmask_b32_e64 v11, v11, v86, s[16:17]
	v_lshlrev_b32_e32 v11, 2, v11
	ds_bpermute_b32 v94, v11, v10
	v_cmp_eq_u32_e64 s[16:17], 0, v86
	s_and_saveexec_b64 s[30:31], vcc
	s_cbranch_execz .LBB7_117
; %bb.99:
	v_mov_b32_e32 v17, 0
	ds_read_b32 v10, v17 offset:4
	s_and_saveexec_b64 s[34:35], s[16:17]
	s_cbranch_execz .LBB7_101
; %bb.100:
	s_add_i32 s36, s6, 64
	s_mov_b32 s37, 0
	s_lshl_b64 s[36:37], s[36:37], 3
	s_add_u32 s36, s28, s36
	v_mov_b32_e32 v11, 1
	s_addc_u32 s37, s29, s37
	s_waitcnt lgkmcnt(0)
	global_store_dwordx2 v17, v[10:11], s[36:37]
.LBB7_101:
	s_or_b64 exec, exec, s[34:35]
	v_xad_u32 v12, v86, -1, s6
	v_add_u32_e32 v16, 64, v12
	v_lshlrev_b64 v[14:15], 3, v[16:17]
	v_mov_b32_e32 v11, s29
	v_add_co_u32_e32 v18, vcc, s28, v14
	v_addc_co_u32_e32 v19, vcc, v11, v15, vcc
	global_load_dwordx2 v[14:15], v[18:19], off glc
	s_waitcnt vmcnt(0)
	v_cmp_eq_u16_sdwa s[36:37], v15, v17 src0_sel:BYTE_0 src1_sel:DWORD
	s_and_saveexec_b64 s[34:35], s[36:37]
	s_cbranch_execz .LBB7_105
; %bb.102:
	s_mov_b64 s[36:37], 0
	v_mov_b32_e32 v11, 0
.LBB7_103:                              ; =>This Inner Loop Header: Depth=1
	global_load_dwordx2 v[14:15], v[18:19], off glc
	s_waitcnt vmcnt(0)
	v_cmp_ne_u16_sdwa s[38:39], v15, v11 src0_sel:BYTE_0 src1_sel:DWORD
	s_or_b64 s[36:37], s[38:39], s[36:37]
	s_andn2_b64 exec, exec, s[36:37]
	s_cbranch_execnz .LBB7_103
; %bb.104:
	s_or_b64 exec, exec, s[36:37]
.LBB7_105:
	s_or_b64 exec, exec, s[34:35]
	v_and_b32_e32 v95, 63, v86
	v_mov_b32_e32 v11, 2
	v_cmp_ne_u32_e32 vcc, 63, v95
	v_cmp_eq_u16_sdwa s[34:35], v15, v11 src0_sel:BYTE_0 src1_sel:DWORD
	v_lshlrev_b64 v[16:17], v86, -1
	v_addc_co_u32_e32 v19, vcc, 0, v86, vcc
	v_and_b32_e32 v13, s35, v17
	v_lshlrev_b32_e32 v96, 2, v19
	v_or_b32_e32 v13, 0x80000000, v13
	ds_bpermute_b32 v19, v96, v14
	v_and_b32_e32 v18, s34, v16
	v_ffbl_b32_e32 v13, v13
	v_add_u32_e32 v13, 32, v13
	v_ffbl_b32_e32 v18, v18
	v_min_u32_e32 v13, v18, v13
	v_cmp_lt_u32_e32 vcc, v95, v13
	s_waitcnt lgkmcnt(0)
	v_cndmask_b32_e32 v18, 0, v19, vcc
	v_cmp_gt_u32_e32 vcc, 62, v95
	v_add_u32_e32 v14, v18, v14
	v_cndmask_b32_e64 v18, 0, 1, vcc
	v_lshlrev_b32_e32 v18, 1, v18
	v_add_lshl_u32 v97, v18, v86, 2
	ds_bpermute_b32 v18, v97, v14
	v_add_u32_e32 v98, 2, v95
	v_cmp_le_u32_e32 vcc, v98, v13
	v_add_u32_e32 v116, 4, v95
	v_add_u32_e32 v118, 8, v95
	s_waitcnt lgkmcnt(0)
	v_cndmask_b32_e32 v18, 0, v18, vcc
	v_cmp_gt_u32_e32 vcc, 60, v95
	v_add_u32_e32 v14, v14, v18
	v_cndmask_b32_e64 v18, 0, 1, vcc
	v_lshlrev_b32_e32 v18, 2, v18
	v_add_lshl_u32 v99, v18, v86, 2
	ds_bpermute_b32 v18, v99, v14
	v_cmp_le_u32_e32 vcc, v116, v13
	v_add_u32_e32 v121, 16, v95
	v_add_u32_e32 v123, 32, v95
	s_waitcnt lgkmcnt(0)
	v_cndmask_b32_e32 v18, 0, v18, vcc
	v_cmp_gt_u32_e32 vcc, 56, v95
	v_add_u32_e32 v14, v14, v18
	v_cndmask_b32_e64 v18, 0, 1, vcc
	v_lshlrev_b32_e32 v18, 3, v18
	v_add_lshl_u32 v117, v18, v86, 2
	ds_bpermute_b32 v18, v117, v14
	v_cmp_le_u32_e32 vcc, v118, v13
	s_waitcnt lgkmcnt(0)
	v_cndmask_b32_e32 v18, 0, v18, vcc
	v_cmp_gt_u32_e32 vcc, 48, v95
	v_add_u32_e32 v14, v14, v18
	v_cndmask_b32_e64 v18, 0, 1, vcc
	v_lshlrev_b32_e32 v18, 4, v18
	v_add_lshl_u32 v120, v18, v86, 2
	ds_bpermute_b32 v18, v120, v14
	v_cmp_le_u32_e32 vcc, v121, v13
	;; [unrolled: 9-line block ×3, first 2 shown]
	s_waitcnt lgkmcnt(0)
	v_cndmask_b32_e32 v13, 0, v18, vcc
	v_add_u32_e32 v14, v14, v13
	v_mov_b32_e32 v13, 0
	s_branch .LBB7_107
.LBB7_106:                              ;   in Loop: Header=BB7_107 Depth=1
	s_or_b64 exec, exec, s[34:35]
	v_cmp_eq_u16_sdwa s[34:35], v15, v11 src0_sel:BYTE_0 src1_sel:DWORD
	v_and_b32_e32 v18, s35, v17
	v_or_b32_e32 v18, 0x80000000, v18
	ds_bpermute_b32 v124, v96, v14
	v_and_b32_e32 v19, s34, v16
	v_ffbl_b32_e32 v18, v18
	v_add_u32_e32 v18, 32, v18
	v_ffbl_b32_e32 v19, v19
	v_min_u32_e32 v18, v19, v18
	v_cmp_lt_u32_e32 vcc, v95, v18
	s_waitcnt lgkmcnt(0)
	v_cndmask_b32_e32 v19, 0, v124, vcc
	v_add_u32_e32 v14, v19, v14
	ds_bpermute_b32 v19, v97, v14
	v_cmp_le_u32_e32 vcc, v98, v18
	v_subrev_u32_e32 v12, 64, v12
	s_waitcnt lgkmcnt(0)
	v_cndmask_b32_e32 v19, 0, v19, vcc
	v_add_u32_e32 v14, v14, v19
	ds_bpermute_b32 v19, v99, v14
	v_cmp_le_u32_e32 vcc, v116, v18
	s_waitcnt lgkmcnt(0)
	v_cndmask_b32_e32 v19, 0, v19, vcc
	v_add_u32_e32 v14, v14, v19
	ds_bpermute_b32 v19, v117, v14
	v_cmp_le_u32_e32 vcc, v118, v18
	;; [unrolled: 5-line block ×4, first 2 shown]
	s_waitcnt lgkmcnt(0)
	v_cndmask_b32_e32 v18, 0, v19, vcc
	v_add3_u32 v14, v18, v119, v14
.LBB7_107:                              ; =>This Loop Header: Depth=1
                                        ;     Child Loop BB7_110 Depth 2
	v_cmp_ne_u16_sdwa s[34:35], v15, v11 src0_sel:BYTE_0 src1_sel:DWORD
	v_cndmask_b32_e64 v15, 0, 1, s[34:35]
	;;#ASMSTART
	;;#ASMEND
	v_cmp_ne_u32_e32 vcc, 0, v15
	s_cmp_lg_u64 vcc, exec
	v_mov_b32_e32 v119, v14
	s_cbranch_scc1 .LBB7_112
; %bb.108:                              ;   in Loop: Header=BB7_107 Depth=1
	v_lshlrev_b64 v[14:15], 3, v[12:13]
	v_mov_b32_e32 v19, s29
	v_add_co_u32_e32 v18, vcc, s28, v14
	v_addc_co_u32_e32 v19, vcc, v19, v15, vcc
	global_load_dwordx2 v[14:15], v[18:19], off glc
	s_waitcnt vmcnt(0)
	v_cmp_eq_u16_sdwa s[36:37], v15, v13 src0_sel:BYTE_0 src1_sel:DWORD
	s_and_saveexec_b64 s[34:35], s[36:37]
	s_cbranch_execz .LBB7_106
; %bb.109:                              ;   in Loop: Header=BB7_107 Depth=1
	s_mov_b64 s[36:37], 0
.LBB7_110:                              ;   Parent Loop BB7_107 Depth=1
                                        ; =>  This Inner Loop Header: Depth=2
	global_load_dwordx2 v[14:15], v[18:19], off glc
	s_waitcnt vmcnt(0)
	v_cmp_ne_u16_sdwa s[38:39], v15, v13 src0_sel:BYTE_0 src1_sel:DWORD
	s_or_b64 s[36:37], s[38:39], s[36:37]
	s_andn2_b64 exec, exec, s[36:37]
	s_cbranch_execnz .LBB7_110
; %bb.111:                              ;   in Loop: Header=BB7_107 Depth=1
	s_or_b64 exec, exec, s[36:37]
	s_branch .LBB7_106
.LBB7_112:                              ;   in Loop: Header=BB7_107 Depth=1
                                        ; implicit-def: $vgpr14
                                        ; implicit-def: $vgpr15
	s_cbranch_execz .LBB7_107
; %bb.113:
	s_and_saveexec_b64 s[34:35], s[16:17]
	s_cbranch_execz .LBB7_115
; %bb.114:
	s_add_i32 s6, s6, 64
	s_mov_b32 s7, 0
	s_lshl_b64 s[6:7], s[6:7], 3
	s_add_u32 s6, s28, s6
	v_add_u32_e32 v12, v119, v10
	v_mov_b32_e32 v13, 2
	s_addc_u32 s7, s29, s7
	v_mov_b32_e32 v11, 0
	global_store_dwordx2 v11, v[12:13], s[6:7]
	s_movk_i32 s6, 0x1000
	v_add_u32_e64 v11, s6, 0
	ds_write2_b32 v11, v10, v119 offset0:32 offset1:34
.LBB7_115:
	s_or_b64 exec, exec, s[34:35]
	v_cmp_eq_u32_e32 vcc, 0, v0
	s_and_b64 exec, exec, vcc
	s_cbranch_execz .LBB7_117
; %bb.116:
	v_mov_b32_e32 v10, 0
	ds_write_b32 v10, v119 offset:4
.LBB7_117:
	s_or_b64 exec, exec, s[30:31]
	v_mov_b32_e32 v11, 0
	s_movk_i32 s6, 0x1000
	s_waitcnt lgkmcnt(0)
	s_barrier
	ds_read_b32 v11, v11 offset:4
	v_add_u32_e64 v12, s6, 0
	s_waitcnt lgkmcnt(0)
	s_barrier
	ds_read2_b32 v[16:17], v12 offset0:32 offset1:34
	v_cndmask_b32_e64 v10, v94, v93, s[16:17]
	v_cmp_ne_u32_e32 vcc, 0, v0
	v_cndmask_b32_e32 v10, 0, v10, vcc
	v_add_u32_e32 v96, v11, v10
	s_load_dwordx2 s[4:5], s[4:5], 0x30
	s_branch .LBB7_128
.LBB7_118:
                                        ; implicit-def: $vgpr17
                                        ; implicit-def: $vgpr96
	s_load_dwordx2 s[4:5], s[4:5], 0x30
	s_cbranch_execz .LBB7_128
; %bb.119:
	v_mov_b32_dpp v10, v92 row_shr:1 row_mask:0xf bank_mask:0xf
	v_cndmask_b32_e64 v10, v10, 0, s[12:13]
	v_add_u32_e32 v10, v10, v92
	s_nop 1
	v_mov_b32_dpp v11, v10 row_shr:2 row_mask:0xf bank_mask:0xf
	v_cndmask_b32_e64 v11, 0, v11, s[10:11]
	v_add_u32_e32 v10, v10, v11
	s_nop 1
	;; [unrolled: 4-line block ×4, first 2 shown]
	v_mov_b32_dpp v11, v10 row_bcast:15 row_mask:0xf bank_mask:0xf
	v_cndmask_b32_e64 v11, v11, 0, s[2:3]
	v_add_u32_e32 v10, v10, v11
	s_nop 1
	v_mov_b32_dpp v11, v10 row_bcast:31 row_mask:0xf bank_mask:0xf
	v_cndmask_b32_e64 v11, 0, v11, s[14:15]
	v_add_u32_e32 v10, v10, v11
	s_and_saveexec_b64 s[2:3], s[0:1]
	s_cbranch_execz .LBB7_121
; %bb.120:
	v_lshlrev_b32_e32 v11, 2, v91
	ds_write_b32 v11, v10
.LBB7_121:
	s_or_b64 exec, exec, s[2:3]
	v_cmp_gt_u32_e32 vcc, 2, v0
	s_waitcnt lgkmcnt(0)
	s_barrier
	s_and_saveexec_b64 s[0:1], vcc
	s_cbranch_execz .LBB7_123
; %bb.122:
	v_lshlrev_b32_e32 v11, 2, v0
	ds_read_b32 v12, v11
	v_bfe_i32 v13, v86, 0, 1
	s_waitcnt lgkmcnt(0)
	v_mov_b32_dpp v14, v12 row_shr:1 row_mask:0xf bank_mask:0xf
	v_and_b32_e32 v13, v13, v14
	v_add_u32_e32 v12, v13, v12
	ds_write_b32 v11, v12
.LBB7_123:
	s_or_b64 exec, exec, s[0:1]
	v_cmp_lt_u32_e32 vcc, 63, v0
	v_mov_b32_e32 v12, 0
	v_mov_b32_e32 v11, 0
	s_waitcnt lgkmcnt(0)
	s_barrier
	s_and_saveexec_b64 s[0:1], vcc
	s_cbranch_execz .LBB7_125
; %bb.124:
	v_lshl_add_u32 v11, v91, 2, -4
	ds_read_b32 v11, v11
.LBB7_125:
	s_or_b64 exec, exec, s[0:1]
	v_add_u32_e32 v13, -1, v86
	v_and_b32_e32 v14, 64, v86
	v_cmp_lt_i32_e32 vcc, v13, v14
	v_cndmask_b32_e32 v13, v13, v86, vcc
	s_waitcnt lgkmcnt(0)
	v_add_u32_e32 v10, v11, v10
	v_lshlrev_b32_e32 v13, 2, v13
	ds_bpermute_b32 v10, v13, v10
	ds_read_b32 v16, v12 offset:4
	v_cmp_eq_u32_e32 vcc, 0, v0
	s_and_saveexec_b64 s[0:1], vcc
	s_cbranch_execz .LBB7_127
; %bb.126:
	v_mov_b32_e32 v12, 0
	v_mov_b32_e32 v17, 2
	s_waitcnt lgkmcnt(0)
	global_store_dwordx2 v12, v[16:17], s[28:29] offset:512
.LBB7_127:
	s_or_b64 exec, exec, s[0:1]
	v_cmp_eq_u32_e64 s[0:1], 0, v86
	s_waitcnt lgkmcnt(1)
	v_cndmask_b32_e64 v10, v10, v11, s[0:1]
	v_mov_b32_e32 v17, 0
	v_cndmask_b32_e64 v96, v10, 0, vcc
	s_waitcnt lgkmcnt(0)
	s_barrier
.LBB7_128:
	v_add_u32_e32 v99, v96, v89
	v_add_u32_e32 v98, v99, v90
	;; [unrolled: 1-line block ×29, first 2 shown]
	s_movk_i32 s0, 0x81
	v_add_u32_e32 v11, v12, v115
	s_waitcnt lgkmcnt(0)
	v_cmp_gt_u32_e32 vcc, s0, v16
	v_add_u32_sdwa v10, v11, v38 dst_sel:DWORD dst_unused:UNUSED_PAD src0_sel:DWORD src1_sel:BYTE_0
	s_mov_b64 s[0:1], -1
	s_cbranch_vccnz .LBB7_132
; %bb.129:
	s_and_b64 vcc, exec, s[0:1]
	s_cbranch_vccnz .LBB7_229
.LBB7_130:
	v_cmp_eq_u32_e32 vcc, 0, v0
	s_and_b64 s[0:1], vcc, s[24:25]
	s_and_saveexec_b64 s[2:3], s[0:1]
	s_cbranch_execnz .LBB7_308
.LBB7_131:
	s_endpgm
.LBB7_132:
	v_add_u32_e32 v100, v17, v16
	s_add_u32 s0, s4, s22
	v_cmp_lt_u32_e32 vcc, v96, v100
	s_addc_u32 s1, s5, s23
	s_or_b64 s[6:7], s[26:27], vcc
	s_and_saveexec_b64 s[2:3], s[6:7]
	s_cbranch_execz .LBB7_135
; %bb.133:
	v_and_b32_e32 v101, 1, v75
	v_cmp_eq_u32_e32 vcc, 1, v101
	s_and_b64 exec, exec, vcc
	s_cbranch_execz .LBB7_135
; %bb.134:
	global_store_byte v96, v8, s[0:1]
.LBB7_135:
	s_or_b64 exec, exec, s[2:3]
	v_cmp_lt_u32_e32 vcc, v99, v100
	s_or_b64 s[6:7], s[26:27], vcc
	s_and_saveexec_b64 s[2:3], s[6:7]
	s_cbranch_execz .LBB7_138
; %bb.136:
	v_and_b32_e32 v101, 1, v74
	v_cmp_eq_u32_e32 vcc, 1, v101
	s_and_b64 exec, exec, vcc
	s_cbranch_execz .LBB7_138
; %bb.137:
	global_store_byte v99, v50, s[0:1]
.LBB7_138:
	s_or_b64 exec, exec, s[2:3]
	v_cmp_lt_u32_e32 vcc, v98, v100
	;; [unrolled: 13-line block ×31, first 2 shown]
	s_or_b64 s[6:7], s[26:27], vcc
	s_and_saveexec_b64 s[2:3], s[6:7]
	s_cbranch_execz .LBB7_228
; %bb.226:
	v_and_b32_e32 v100, 1, v35
	v_cmp_eq_u32_e32 vcc, 1, v100
	s_and_b64 exec, exec, vcc
	s_cbranch_execz .LBB7_228
; %bb.227:
	global_store_byte v10, v20, s[0:1]
.LBB7_228:
	s_or_b64 exec, exec, s[2:3]
	s_branch .LBB7_130
.LBB7_229:
	v_and_b32_e32 v75, 1, v75
	v_cmp_eq_u32_e32 vcc, 1, v75
	s_and_saveexec_b64 s[0:1], vcc
	s_cbranch_execz .LBB7_231
; %bb.230:
	v_sub_u32_e32 v75, v96, v17
	ds_write_b8 v75, v8
.LBB7_231:
	s_or_b64 exec, exec, s[0:1]
	v_and_b32_e32 v8, 1, v74
	v_cmp_eq_u32_e32 vcc, 1, v8
	s_and_saveexec_b64 s[0:1], vcc
	s_cbranch_execz .LBB7_233
; %bb.232:
	v_sub_u32_e32 v8, v99, v17
	ds_write_b8 v8, v50
.LBB7_233:
	s_or_b64 exec, exec, s[0:1]
	;; [unrolled: 9-line block ×32, first 2 shown]
	v_cmp_lt_u32_e32 vcc, v0, v16
	s_waitcnt lgkmcnt(0)
	s_barrier
	s_and_saveexec_b64 s[2:3], vcc
	s_cbranch_execz .LBB7_307
; %bb.294:
	s_add_u32 s0, s4, s22
	s_addc_u32 s1, s5, s23
	v_mov_b32_e32 v2, s1
	v_add_co_u32_e32 v18, vcc, s0, v17
	v_addc_co_u32_e32 v19, vcc, 0, v2, vcc
	v_xad_u32 v2, v0, -1, v16
	s_movk_i32 s0, 0xb80
	v_cmp_gt_u32_e32 vcc, s0, v2
	s_movk_i32 s0, 0xb7f
	v_cmp_lt_u32_e64 s[0:1], s0, v2
	s_and_saveexec_b64 s[4:5], s[0:1]
	s_cbranch_execz .LBB7_304
; %bb.295:
	v_sub_u32_e32 v3, v0, v16
	v_or_b32_e32 v3, 0x7f, v3
	v_cmp_ge_u32_e64 s[0:1], v3, v0
	s_mov_b64 s[8:9], -1
	s_and_saveexec_b64 s[6:7], s[0:1]
	s_cbranch_execz .LBB7_303
; %bb.296:
	v_lshrrev_b32_e32 v20, 7, v2
	v_or_b32_e32 v7, 0x380, v0
	v_or_b32_e32 v6, 0x300, v0
	;; [unrolled: 1-line block ×7, first 2 shown]
	v_add_u32_e32 v21, -7, v20
	v_pk_mov_b32 v[14:15], v[6:7], v[6:7] op_sel:[0,1]
	v_cmp_lt_u32_e64 s[0:1], 7, v21
	v_mov_b32_e32 v22, 0
	v_pk_mov_b32 v[12:13], v[4:5], v[4:5] op_sel:[0,1]
	v_pk_mov_b32 v[10:11], v[2:3], v[2:3] op_sel:[0,1]
	v_pk_mov_b32 v[8:9], v[0:1], v[0:1] op_sel:[0,1]
	s_and_saveexec_b64 s[8:9], s[0:1]
	s_cbranch_execz .LBB7_300
; %bb.297:
	v_lshrrev_b32_e32 v8, 3, v21
	v_add_u32_e32 v8, 1, v8
	v_and_b32_e32 v22, 0x3ffffffe, v8
	v_pk_mov_b32 v[14:15], v[6:7], v[6:7] op_sel:[0,1]
	s_mov_b32 s12, 0
	s_mov_b64 s[10:11], 0
	v_mov_b32_e32 v23, v0
	v_pk_mov_b32 v[12:13], v[4:5], v[4:5] op_sel:[0,1]
	v_pk_mov_b32 v[10:11], v[2:3], v[2:3] op_sel:[0,1]
	;; [unrolled: 1-line block ×3, first 2 shown]
.LBB7_298:                              ; =>This Inner Loop Header: Depth=1
	v_add_co_u32_e64 v2, s[0:1], v18, v8
	v_addc_co_u32_e64 v3, s[0:1], 0, v19, s[0:1]
	v_add_co_u32_e64 v4, s[0:1], v18, v9
	v_addc_co_u32_e64 v5, s[0:1], 0, v19, s[0:1]
	;; [unrolled: 2-line block ×8, first 2 shown]
	v_add_u32_e32 v34, 0x400, v8
	v_add_co_u32_e64 v34, s[0:1], v18, v34
	v_add_u32_e32 v36, 0x400, v9
	v_addc_co_u32_e64 v35, s[0:1], 0, v19, s[0:1]
	v_add_co_u32_e64 v36, s[0:1], v18, v36
	v_add_u32_e32 v38, 0x400, v10
	v_addc_co_u32_e64 v37, s[0:1], 0, v19, s[0:1]
	;; [unrolled: 3-line block ×6, first 2 shown]
	v_add_co_u32_e64 v46, s[0:1], v18, v46
	ds_read_u8 v50, v23
	ds_read_u8 v51, v23 offset:128
	ds_read_u8 v52, v23 offset:256
	;; [unrolled: 1-line block ×7, first 2 shown]
	v_add_u32_e32 v1, 0x400, v15
	ds_read_u8 v58, v23 offset:1024
	ds_read_u8 v59, v23 offset:1152
	;; [unrolled: 1-line block ×8, first 2 shown]
	v_addc_co_u32_e64 v47, s[0:1], 0, v19, s[0:1]
	v_add_co_u32_e64 v48, s[0:1], v18, v1
	v_add_u32_e32 v22, -2, v22
	v_addc_co_u32_e64 v49, s[0:1], 0, v19, s[0:1]
	s_add_i32 s12, s12, 16
	v_cmp_eq_u32_e64 s[0:1], 0, v22
	v_add_u32_e32 v15, 0x800, v15
	v_add_u32_e32 v14, 0x800, v14
	;; [unrolled: 1-line block ×9, first 2 shown]
	v_mov_b32_e32 v1, s12
	s_or_b64 s[10:11], s[0:1], s[10:11]
	s_waitcnt lgkmcnt(14)
	global_store_byte v[2:3], v50, off
	global_store_byte v[4:5], v51, off
	s_waitcnt lgkmcnt(13)
	global_store_byte v[6:7], v52, off
	s_waitcnt lgkmcnt(12)
	;; [unrolled: 2-line block ×14, first 2 shown]
	global_store_byte v[48:49], v65, off
	s_andn2_b64 exec, exec, s[10:11]
	s_cbranch_execnz .LBB7_298
; %bb.299:
	s_or_b64 exec, exec, s[10:11]
	v_lshlrev_b32_e32 v22, 7, v1
.LBB7_300:
	s_or_b64 exec, exec, s[8:9]
	v_and_b32_e32 v1, 8, v21
	v_cmp_eq_u32_e64 s[0:1], 0, v1
	s_and_saveexec_b64 s[8:9], s[0:1]
	s_cbranch_execz .LBB7_302
; %bb.301:
	v_add_co_u32_e64 v2, s[0:1], v18, v8
	v_addc_co_u32_e64 v3, s[0:1], 0, v19, s[0:1]
	v_add_co_u32_e64 v4, s[0:1], v18, v9
	v_addc_co_u32_e64 v5, s[0:1], 0, v19, s[0:1]
	;; [unrolled: 2-line block ×4, first 2 shown]
	v_add_co_u32_e64 v10, s[0:1], v18, v12
	v_or_b32_e32 v1, v0, v22
	v_addc_co_u32_e64 v11, s[0:1], 0, v19, s[0:1]
	ds_read_u8 v21, v1
	ds_read_u8 v24, v1 offset:128
	ds_read_u8 v25, v1 offset:256
	;; [unrolled: 1-line block ×7, first 2 shown]
	v_add_co_u32_e64 v12, s[0:1], v18, v13
	v_addc_co_u32_e64 v13, s[0:1], 0, v19, s[0:1]
	v_add_co_u32_e64 v22, s[0:1], v18, v14
	v_addc_co_u32_e64 v23, s[0:1], 0, v19, s[0:1]
	;; [unrolled: 2-line block ×3, first 2 shown]
	s_waitcnt lgkmcnt(7)
	global_store_byte v[2:3], v21, off
	s_waitcnt lgkmcnt(6)
	global_store_byte v[4:5], v24, off
	;; [unrolled: 2-line block ×8, first 2 shown]
.LBB7_302:
	s_or_b64 exec, exec, s[8:9]
	v_add_u32_e32 v2, 1, v20
	v_and_b32_e32 v3, 0x3fffff8, v2
	v_cmp_ne_u32_e64 s[0:1], v2, v3
	v_lshl_or_b32 v1, v3, 7, v0
	s_orn2_b64 s[8:9], s[0:1], exec
.LBB7_303:
	s_or_b64 exec, exec, s[6:7]
	s_andn2_b64 s[0:1], vcc, exec
	s_and_b64 s[6:7], s[8:9], exec
	s_or_b64 vcc, s[0:1], s[6:7]
.LBB7_304:
	s_or_b64 exec, exec, s[4:5]
	s_and_b64 exec, exec, vcc
	s_cbranch_execz .LBB7_307
; %bb.305:
	s_mov_b64 s[0:1], 0
.LBB7_306:                              ; =>This Inner Loop Header: Depth=1
	ds_read_u8 v2, v1
	v_readfirstlane_b32 s4, v18
	v_readfirstlane_b32 s5, v19
	s_waitcnt lgkmcnt(0)
	s_nop 3
	global_store_byte v1, v2, s[4:5]
	v_add_u32_e32 v1, 0x80, v1
	v_cmp_ge_u32_e32 vcc, v1, v16
	s_or_b64 s[0:1], vcc, s[0:1]
	s_andn2_b64 exec, exec, s[0:1]
	s_cbranch_execnz .LBB7_306
.LBB7_307:
	s_or_b64 exec, exec, s[2:3]
	v_cmp_eq_u32_e32 vcc, 0, v0
	s_and_b64 s[0:1], vcc, s[24:25]
	s_and_saveexec_b64 s[2:3], s[0:1]
	s_cbranch_execz .LBB7_131
.LBB7_308:
	v_mov_b32_e32 v0, s23
	v_add_co_u32_e32 v1, vcc, s22, v16
	v_addc_co_u32_e32 v3, vcc, 0, v0, vcc
	v_add_co_u32_e32 v0, vcc, v1, v17
	v_mov_b32_e32 v2, 0
	v_addc_co_u32_e32 v1, vcc, 0, v3, vcc
	global_store_dwordx2 v2, v[0:1], s[20:21]
	s_endpgm
.LBB7_309:
	s_or_b64 exec, exec, s[0:1]
	v_mov_b32_e32 v75, s28
	s_and_saveexec_b64 s[0:1], s[14:15]
	s_cbranch_execnz .LBB7_88
	s_branch .LBB7_89
	.section	.rodata,"a",@progbits
	.p2align	6, 0x0
	.amdhsa_kernel _ZN7rocprim17ROCPRIM_400000_NS6detail17trampoline_kernelINS0_14default_configENS1_25partition_config_selectorILNS1_17partition_subalgoE8EbNS0_10empty_typeEbEEZZNS1_14partition_implILS5_8ELb0ES3_jN6hipcub16HIPCUB_304000_NS22TransformInputIteratorIbN2at6native8internal12_GLOBAL__N_110LoadBoolOpEPKhlEEPS6_PKS6_NS0_5tupleIJPbS6_EEENSN_IJSK_SK_EEENS0_18inequality_wrapperINSA_8EqualityEEEPlJS6_EEE10hipError_tPvRmT3_T4_T5_T6_T7_T9_mT8_P12ihipStream_tbDpT10_ENKUlT_T0_E_clISt17integral_constantIbLb0EES1E_EEDaS19_S1A_EUlS19_E_NS1_11comp_targetILNS1_3genE4ELNS1_11target_archE910ELNS1_3gpuE8ELNS1_3repE0EEENS1_30default_config_static_selectorELNS0_4arch9wavefront6targetE1EEEvT1_
		.amdhsa_group_segment_fixed_size 4236
		.amdhsa_private_segment_fixed_size 0
		.amdhsa_kernarg_size 120
		.amdhsa_user_sgpr_count 6
		.amdhsa_user_sgpr_private_segment_buffer 1
		.amdhsa_user_sgpr_dispatch_ptr 0
		.amdhsa_user_sgpr_queue_ptr 0
		.amdhsa_user_sgpr_kernarg_segment_ptr 1
		.amdhsa_user_sgpr_dispatch_id 0
		.amdhsa_user_sgpr_flat_scratch_init 0
		.amdhsa_user_sgpr_kernarg_preload_length 0
		.amdhsa_user_sgpr_kernarg_preload_offset 0
		.amdhsa_user_sgpr_private_segment_size 0
		.amdhsa_uses_dynamic_stack 0
		.amdhsa_system_sgpr_private_segment_wavefront_offset 0
		.amdhsa_system_sgpr_workgroup_id_x 1
		.amdhsa_system_sgpr_workgroup_id_y 0
		.amdhsa_system_sgpr_workgroup_id_z 0
		.amdhsa_system_sgpr_workgroup_info 0
		.amdhsa_system_vgpr_workitem_id 0
		.amdhsa_next_free_vgpr 125
		.amdhsa_next_free_sgpr 82
		.amdhsa_accum_offset 128
		.amdhsa_reserve_vcc 1
		.amdhsa_reserve_flat_scratch 0
		.amdhsa_float_round_mode_32 0
		.amdhsa_float_round_mode_16_64 0
		.amdhsa_float_denorm_mode_32 3
		.amdhsa_float_denorm_mode_16_64 3
		.amdhsa_dx10_clamp 1
		.amdhsa_ieee_mode 1
		.amdhsa_fp16_overflow 0
		.amdhsa_tg_split 0
		.amdhsa_exception_fp_ieee_invalid_op 0
		.amdhsa_exception_fp_denorm_src 0
		.amdhsa_exception_fp_ieee_div_zero 0
		.amdhsa_exception_fp_ieee_overflow 0
		.amdhsa_exception_fp_ieee_underflow 0
		.amdhsa_exception_fp_ieee_inexact 0
		.amdhsa_exception_int_div_zero 0
	.end_amdhsa_kernel
	.section	.text._ZN7rocprim17ROCPRIM_400000_NS6detail17trampoline_kernelINS0_14default_configENS1_25partition_config_selectorILNS1_17partition_subalgoE8EbNS0_10empty_typeEbEEZZNS1_14partition_implILS5_8ELb0ES3_jN6hipcub16HIPCUB_304000_NS22TransformInputIteratorIbN2at6native8internal12_GLOBAL__N_110LoadBoolOpEPKhlEEPS6_PKS6_NS0_5tupleIJPbS6_EEENSN_IJSK_SK_EEENS0_18inequality_wrapperINSA_8EqualityEEEPlJS6_EEE10hipError_tPvRmT3_T4_T5_T6_T7_T9_mT8_P12ihipStream_tbDpT10_ENKUlT_T0_E_clISt17integral_constantIbLb0EES1E_EEDaS19_S1A_EUlS19_E_NS1_11comp_targetILNS1_3genE4ELNS1_11target_archE910ELNS1_3gpuE8ELNS1_3repE0EEENS1_30default_config_static_selectorELNS0_4arch9wavefront6targetE1EEEvT1_,"axG",@progbits,_ZN7rocprim17ROCPRIM_400000_NS6detail17trampoline_kernelINS0_14default_configENS1_25partition_config_selectorILNS1_17partition_subalgoE8EbNS0_10empty_typeEbEEZZNS1_14partition_implILS5_8ELb0ES3_jN6hipcub16HIPCUB_304000_NS22TransformInputIteratorIbN2at6native8internal12_GLOBAL__N_110LoadBoolOpEPKhlEEPS6_PKS6_NS0_5tupleIJPbS6_EEENSN_IJSK_SK_EEENS0_18inequality_wrapperINSA_8EqualityEEEPlJS6_EEE10hipError_tPvRmT3_T4_T5_T6_T7_T9_mT8_P12ihipStream_tbDpT10_ENKUlT_T0_E_clISt17integral_constantIbLb0EES1E_EEDaS19_S1A_EUlS19_E_NS1_11comp_targetILNS1_3genE4ELNS1_11target_archE910ELNS1_3gpuE8ELNS1_3repE0EEENS1_30default_config_static_selectorELNS0_4arch9wavefront6targetE1EEEvT1_,comdat
.Lfunc_end7:
	.size	_ZN7rocprim17ROCPRIM_400000_NS6detail17trampoline_kernelINS0_14default_configENS1_25partition_config_selectorILNS1_17partition_subalgoE8EbNS0_10empty_typeEbEEZZNS1_14partition_implILS5_8ELb0ES3_jN6hipcub16HIPCUB_304000_NS22TransformInputIteratorIbN2at6native8internal12_GLOBAL__N_110LoadBoolOpEPKhlEEPS6_PKS6_NS0_5tupleIJPbS6_EEENSN_IJSK_SK_EEENS0_18inequality_wrapperINSA_8EqualityEEEPlJS6_EEE10hipError_tPvRmT3_T4_T5_T6_T7_T9_mT8_P12ihipStream_tbDpT10_ENKUlT_T0_E_clISt17integral_constantIbLb0EES1E_EEDaS19_S1A_EUlS19_E_NS1_11comp_targetILNS1_3genE4ELNS1_11target_archE910ELNS1_3gpuE8ELNS1_3repE0EEENS1_30default_config_static_selectorELNS0_4arch9wavefront6targetE1EEEvT1_, .Lfunc_end7-_ZN7rocprim17ROCPRIM_400000_NS6detail17trampoline_kernelINS0_14default_configENS1_25partition_config_selectorILNS1_17partition_subalgoE8EbNS0_10empty_typeEbEEZZNS1_14partition_implILS5_8ELb0ES3_jN6hipcub16HIPCUB_304000_NS22TransformInputIteratorIbN2at6native8internal12_GLOBAL__N_110LoadBoolOpEPKhlEEPS6_PKS6_NS0_5tupleIJPbS6_EEENSN_IJSK_SK_EEENS0_18inequality_wrapperINSA_8EqualityEEEPlJS6_EEE10hipError_tPvRmT3_T4_T5_T6_T7_T9_mT8_P12ihipStream_tbDpT10_ENKUlT_T0_E_clISt17integral_constantIbLb0EES1E_EEDaS19_S1A_EUlS19_E_NS1_11comp_targetILNS1_3genE4ELNS1_11target_archE910ELNS1_3gpuE8ELNS1_3repE0EEENS1_30default_config_static_selectorELNS0_4arch9wavefront6targetE1EEEvT1_
                                        ; -- End function
	.section	.AMDGPU.csdata,"",@progbits
; Kernel info:
; codeLenInByte = 13588
; NumSgprs: 86
; NumVgprs: 125
; NumAgprs: 0
; TotalNumVgprs: 125
; ScratchSize: 0
; MemoryBound: 0
; FloatMode: 240
; IeeeMode: 1
; LDSByteSize: 4236 bytes/workgroup (compile time only)
; SGPRBlocks: 10
; VGPRBlocks: 15
; NumSGPRsForWavesPerEU: 86
; NumVGPRsForWavesPerEU: 125
; AccumOffset: 128
; Occupancy: 4
; WaveLimiterHint : 1
; COMPUTE_PGM_RSRC2:SCRATCH_EN: 0
; COMPUTE_PGM_RSRC2:USER_SGPR: 6
; COMPUTE_PGM_RSRC2:TRAP_HANDLER: 0
; COMPUTE_PGM_RSRC2:TGID_X_EN: 1
; COMPUTE_PGM_RSRC2:TGID_Y_EN: 0
; COMPUTE_PGM_RSRC2:TGID_Z_EN: 0
; COMPUTE_PGM_RSRC2:TIDIG_COMP_CNT: 0
; COMPUTE_PGM_RSRC3_GFX90A:ACCUM_OFFSET: 31
; COMPUTE_PGM_RSRC3_GFX90A:TG_SPLIT: 0
	.section	.text._ZN7rocprim17ROCPRIM_400000_NS6detail17trampoline_kernelINS0_14default_configENS1_25partition_config_selectorILNS1_17partition_subalgoE8EbNS0_10empty_typeEbEEZZNS1_14partition_implILS5_8ELb0ES3_jN6hipcub16HIPCUB_304000_NS22TransformInputIteratorIbN2at6native8internal12_GLOBAL__N_110LoadBoolOpEPKhlEEPS6_PKS6_NS0_5tupleIJPbS6_EEENSN_IJSK_SK_EEENS0_18inequality_wrapperINSA_8EqualityEEEPlJS6_EEE10hipError_tPvRmT3_T4_T5_T6_T7_T9_mT8_P12ihipStream_tbDpT10_ENKUlT_T0_E_clISt17integral_constantIbLb0EES1E_EEDaS19_S1A_EUlS19_E_NS1_11comp_targetILNS1_3genE3ELNS1_11target_archE908ELNS1_3gpuE7ELNS1_3repE0EEENS1_30default_config_static_selectorELNS0_4arch9wavefront6targetE1EEEvT1_,"axG",@progbits,_ZN7rocprim17ROCPRIM_400000_NS6detail17trampoline_kernelINS0_14default_configENS1_25partition_config_selectorILNS1_17partition_subalgoE8EbNS0_10empty_typeEbEEZZNS1_14partition_implILS5_8ELb0ES3_jN6hipcub16HIPCUB_304000_NS22TransformInputIteratorIbN2at6native8internal12_GLOBAL__N_110LoadBoolOpEPKhlEEPS6_PKS6_NS0_5tupleIJPbS6_EEENSN_IJSK_SK_EEENS0_18inequality_wrapperINSA_8EqualityEEEPlJS6_EEE10hipError_tPvRmT3_T4_T5_T6_T7_T9_mT8_P12ihipStream_tbDpT10_ENKUlT_T0_E_clISt17integral_constantIbLb0EES1E_EEDaS19_S1A_EUlS19_E_NS1_11comp_targetILNS1_3genE3ELNS1_11target_archE908ELNS1_3gpuE7ELNS1_3repE0EEENS1_30default_config_static_selectorELNS0_4arch9wavefront6targetE1EEEvT1_,comdat
	.globl	_ZN7rocprim17ROCPRIM_400000_NS6detail17trampoline_kernelINS0_14default_configENS1_25partition_config_selectorILNS1_17partition_subalgoE8EbNS0_10empty_typeEbEEZZNS1_14partition_implILS5_8ELb0ES3_jN6hipcub16HIPCUB_304000_NS22TransformInputIteratorIbN2at6native8internal12_GLOBAL__N_110LoadBoolOpEPKhlEEPS6_PKS6_NS0_5tupleIJPbS6_EEENSN_IJSK_SK_EEENS0_18inequality_wrapperINSA_8EqualityEEEPlJS6_EEE10hipError_tPvRmT3_T4_T5_T6_T7_T9_mT8_P12ihipStream_tbDpT10_ENKUlT_T0_E_clISt17integral_constantIbLb0EES1E_EEDaS19_S1A_EUlS19_E_NS1_11comp_targetILNS1_3genE3ELNS1_11target_archE908ELNS1_3gpuE7ELNS1_3repE0EEENS1_30default_config_static_selectorELNS0_4arch9wavefront6targetE1EEEvT1_ ; -- Begin function _ZN7rocprim17ROCPRIM_400000_NS6detail17trampoline_kernelINS0_14default_configENS1_25partition_config_selectorILNS1_17partition_subalgoE8EbNS0_10empty_typeEbEEZZNS1_14partition_implILS5_8ELb0ES3_jN6hipcub16HIPCUB_304000_NS22TransformInputIteratorIbN2at6native8internal12_GLOBAL__N_110LoadBoolOpEPKhlEEPS6_PKS6_NS0_5tupleIJPbS6_EEENSN_IJSK_SK_EEENS0_18inequality_wrapperINSA_8EqualityEEEPlJS6_EEE10hipError_tPvRmT3_T4_T5_T6_T7_T9_mT8_P12ihipStream_tbDpT10_ENKUlT_T0_E_clISt17integral_constantIbLb0EES1E_EEDaS19_S1A_EUlS19_E_NS1_11comp_targetILNS1_3genE3ELNS1_11target_archE908ELNS1_3gpuE7ELNS1_3repE0EEENS1_30default_config_static_selectorELNS0_4arch9wavefront6targetE1EEEvT1_
	.p2align	8
	.type	_ZN7rocprim17ROCPRIM_400000_NS6detail17trampoline_kernelINS0_14default_configENS1_25partition_config_selectorILNS1_17partition_subalgoE8EbNS0_10empty_typeEbEEZZNS1_14partition_implILS5_8ELb0ES3_jN6hipcub16HIPCUB_304000_NS22TransformInputIteratorIbN2at6native8internal12_GLOBAL__N_110LoadBoolOpEPKhlEEPS6_PKS6_NS0_5tupleIJPbS6_EEENSN_IJSK_SK_EEENS0_18inequality_wrapperINSA_8EqualityEEEPlJS6_EEE10hipError_tPvRmT3_T4_T5_T6_T7_T9_mT8_P12ihipStream_tbDpT10_ENKUlT_T0_E_clISt17integral_constantIbLb0EES1E_EEDaS19_S1A_EUlS19_E_NS1_11comp_targetILNS1_3genE3ELNS1_11target_archE908ELNS1_3gpuE7ELNS1_3repE0EEENS1_30default_config_static_selectorELNS0_4arch9wavefront6targetE1EEEvT1_,@function
_ZN7rocprim17ROCPRIM_400000_NS6detail17trampoline_kernelINS0_14default_configENS1_25partition_config_selectorILNS1_17partition_subalgoE8EbNS0_10empty_typeEbEEZZNS1_14partition_implILS5_8ELb0ES3_jN6hipcub16HIPCUB_304000_NS22TransformInputIteratorIbN2at6native8internal12_GLOBAL__N_110LoadBoolOpEPKhlEEPS6_PKS6_NS0_5tupleIJPbS6_EEENSN_IJSK_SK_EEENS0_18inequality_wrapperINSA_8EqualityEEEPlJS6_EEE10hipError_tPvRmT3_T4_T5_T6_T7_T9_mT8_P12ihipStream_tbDpT10_ENKUlT_T0_E_clISt17integral_constantIbLb0EES1E_EEDaS19_S1A_EUlS19_E_NS1_11comp_targetILNS1_3genE3ELNS1_11target_archE908ELNS1_3gpuE7ELNS1_3repE0EEENS1_30default_config_static_selectorELNS0_4arch9wavefront6targetE1EEEvT1_: ; @_ZN7rocprim17ROCPRIM_400000_NS6detail17trampoline_kernelINS0_14default_configENS1_25partition_config_selectorILNS1_17partition_subalgoE8EbNS0_10empty_typeEbEEZZNS1_14partition_implILS5_8ELb0ES3_jN6hipcub16HIPCUB_304000_NS22TransformInputIteratorIbN2at6native8internal12_GLOBAL__N_110LoadBoolOpEPKhlEEPS6_PKS6_NS0_5tupleIJPbS6_EEENSN_IJSK_SK_EEENS0_18inequality_wrapperINSA_8EqualityEEEPlJS6_EEE10hipError_tPvRmT3_T4_T5_T6_T7_T9_mT8_P12ihipStream_tbDpT10_ENKUlT_T0_E_clISt17integral_constantIbLb0EES1E_EEDaS19_S1A_EUlS19_E_NS1_11comp_targetILNS1_3genE3ELNS1_11target_archE908ELNS1_3gpuE7ELNS1_3repE0EEENS1_30default_config_static_selectorELNS0_4arch9wavefront6targetE1EEEvT1_
; %bb.0:
	.section	.rodata,"a",@progbits
	.p2align	6, 0x0
	.amdhsa_kernel _ZN7rocprim17ROCPRIM_400000_NS6detail17trampoline_kernelINS0_14default_configENS1_25partition_config_selectorILNS1_17partition_subalgoE8EbNS0_10empty_typeEbEEZZNS1_14partition_implILS5_8ELb0ES3_jN6hipcub16HIPCUB_304000_NS22TransformInputIteratorIbN2at6native8internal12_GLOBAL__N_110LoadBoolOpEPKhlEEPS6_PKS6_NS0_5tupleIJPbS6_EEENSN_IJSK_SK_EEENS0_18inequality_wrapperINSA_8EqualityEEEPlJS6_EEE10hipError_tPvRmT3_T4_T5_T6_T7_T9_mT8_P12ihipStream_tbDpT10_ENKUlT_T0_E_clISt17integral_constantIbLb0EES1E_EEDaS19_S1A_EUlS19_E_NS1_11comp_targetILNS1_3genE3ELNS1_11target_archE908ELNS1_3gpuE7ELNS1_3repE0EEENS1_30default_config_static_selectorELNS0_4arch9wavefront6targetE1EEEvT1_
		.amdhsa_group_segment_fixed_size 0
		.amdhsa_private_segment_fixed_size 0
		.amdhsa_kernarg_size 120
		.amdhsa_user_sgpr_count 6
		.amdhsa_user_sgpr_private_segment_buffer 1
		.amdhsa_user_sgpr_dispatch_ptr 0
		.amdhsa_user_sgpr_queue_ptr 0
		.amdhsa_user_sgpr_kernarg_segment_ptr 1
		.amdhsa_user_sgpr_dispatch_id 0
		.amdhsa_user_sgpr_flat_scratch_init 0
		.amdhsa_user_sgpr_kernarg_preload_length 0
		.amdhsa_user_sgpr_kernarg_preload_offset 0
		.amdhsa_user_sgpr_private_segment_size 0
		.amdhsa_uses_dynamic_stack 0
		.amdhsa_system_sgpr_private_segment_wavefront_offset 0
		.amdhsa_system_sgpr_workgroup_id_x 1
		.amdhsa_system_sgpr_workgroup_id_y 0
		.amdhsa_system_sgpr_workgroup_id_z 0
		.amdhsa_system_sgpr_workgroup_info 0
		.amdhsa_system_vgpr_workitem_id 0
		.amdhsa_next_free_vgpr 1
		.amdhsa_next_free_sgpr 0
		.amdhsa_accum_offset 4
		.amdhsa_reserve_vcc 0
		.amdhsa_reserve_flat_scratch 0
		.amdhsa_float_round_mode_32 0
		.amdhsa_float_round_mode_16_64 0
		.amdhsa_float_denorm_mode_32 3
		.amdhsa_float_denorm_mode_16_64 3
		.amdhsa_dx10_clamp 1
		.amdhsa_ieee_mode 1
		.amdhsa_fp16_overflow 0
		.amdhsa_tg_split 0
		.amdhsa_exception_fp_ieee_invalid_op 0
		.amdhsa_exception_fp_denorm_src 0
		.amdhsa_exception_fp_ieee_div_zero 0
		.amdhsa_exception_fp_ieee_overflow 0
		.amdhsa_exception_fp_ieee_underflow 0
		.amdhsa_exception_fp_ieee_inexact 0
		.amdhsa_exception_int_div_zero 0
	.end_amdhsa_kernel
	.section	.text._ZN7rocprim17ROCPRIM_400000_NS6detail17trampoline_kernelINS0_14default_configENS1_25partition_config_selectorILNS1_17partition_subalgoE8EbNS0_10empty_typeEbEEZZNS1_14partition_implILS5_8ELb0ES3_jN6hipcub16HIPCUB_304000_NS22TransformInputIteratorIbN2at6native8internal12_GLOBAL__N_110LoadBoolOpEPKhlEEPS6_PKS6_NS0_5tupleIJPbS6_EEENSN_IJSK_SK_EEENS0_18inequality_wrapperINSA_8EqualityEEEPlJS6_EEE10hipError_tPvRmT3_T4_T5_T6_T7_T9_mT8_P12ihipStream_tbDpT10_ENKUlT_T0_E_clISt17integral_constantIbLb0EES1E_EEDaS19_S1A_EUlS19_E_NS1_11comp_targetILNS1_3genE3ELNS1_11target_archE908ELNS1_3gpuE7ELNS1_3repE0EEENS1_30default_config_static_selectorELNS0_4arch9wavefront6targetE1EEEvT1_,"axG",@progbits,_ZN7rocprim17ROCPRIM_400000_NS6detail17trampoline_kernelINS0_14default_configENS1_25partition_config_selectorILNS1_17partition_subalgoE8EbNS0_10empty_typeEbEEZZNS1_14partition_implILS5_8ELb0ES3_jN6hipcub16HIPCUB_304000_NS22TransformInputIteratorIbN2at6native8internal12_GLOBAL__N_110LoadBoolOpEPKhlEEPS6_PKS6_NS0_5tupleIJPbS6_EEENSN_IJSK_SK_EEENS0_18inequality_wrapperINSA_8EqualityEEEPlJS6_EEE10hipError_tPvRmT3_T4_T5_T6_T7_T9_mT8_P12ihipStream_tbDpT10_ENKUlT_T0_E_clISt17integral_constantIbLb0EES1E_EEDaS19_S1A_EUlS19_E_NS1_11comp_targetILNS1_3genE3ELNS1_11target_archE908ELNS1_3gpuE7ELNS1_3repE0EEENS1_30default_config_static_selectorELNS0_4arch9wavefront6targetE1EEEvT1_,comdat
.Lfunc_end8:
	.size	_ZN7rocprim17ROCPRIM_400000_NS6detail17trampoline_kernelINS0_14default_configENS1_25partition_config_selectorILNS1_17partition_subalgoE8EbNS0_10empty_typeEbEEZZNS1_14partition_implILS5_8ELb0ES3_jN6hipcub16HIPCUB_304000_NS22TransformInputIteratorIbN2at6native8internal12_GLOBAL__N_110LoadBoolOpEPKhlEEPS6_PKS6_NS0_5tupleIJPbS6_EEENSN_IJSK_SK_EEENS0_18inequality_wrapperINSA_8EqualityEEEPlJS6_EEE10hipError_tPvRmT3_T4_T5_T6_T7_T9_mT8_P12ihipStream_tbDpT10_ENKUlT_T0_E_clISt17integral_constantIbLb0EES1E_EEDaS19_S1A_EUlS19_E_NS1_11comp_targetILNS1_3genE3ELNS1_11target_archE908ELNS1_3gpuE7ELNS1_3repE0EEENS1_30default_config_static_selectorELNS0_4arch9wavefront6targetE1EEEvT1_, .Lfunc_end8-_ZN7rocprim17ROCPRIM_400000_NS6detail17trampoline_kernelINS0_14default_configENS1_25partition_config_selectorILNS1_17partition_subalgoE8EbNS0_10empty_typeEbEEZZNS1_14partition_implILS5_8ELb0ES3_jN6hipcub16HIPCUB_304000_NS22TransformInputIteratorIbN2at6native8internal12_GLOBAL__N_110LoadBoolOpEPKhlEEPS6_PKS6_NS0_5tupleIJPbS6_EEENSN_IJSK_SK_EEENS0_18inequality_wrapperINSA_8EqualityEEEPlJS6_EEE10hipError_tPvRmT3_T4_T5_T6_T7_T9_mT8_P12ihipStream_tbDpT10_ENKUlT_T0_E_clISt17integral_constantIbLb0EES1E_EEDaS19_S1A_EUlS19_E_NS1_11comp_targetILNS1_3genE3ELNS1_11target_archE908ELNS1_3gpuE7ELNS1_3repE0EEENS1_30default_config_static_selectorELNS0_4arch9wavefront6targetE1EEEvT1_
                                        ; -- End function
	.section	.AMDGPU.csdata,"",@progbits
; Kernel info:
; codeLenInByte = 0
; NumSgprs: 4
; NumVgprs: 0
; NumAgprs: 0
; TotalNumVgprs: 0
; ScratchSize: 0
; MemoryBound: 0
; FloatMode: 240
; IeeeMode: 1
; LDSByteSize: 0 bytes/workgroup (compile time only)
; SGPRBlocks: 0
; VGPRBlocks: 0
; NumSGPRsForWavesPerEU: 4
; NumVGPRsForWavesPerEU: 1
; AccumOffset: 4
; Occupancy: 8
; WaveLimiterHint : 0
; COMPUTE_PGM_RSRC2:SCRATCH_EN: 0
; COMPUTE_PGM_RSRC2:USER_SGPR: 6
; COMPUTE_PGM_RSRC2:TRAP_HANDLER: 0
; COMPUTE_PGM_RSRC2:TGID_X_EN: 1
; COMPUTE_PGM_RSRC2:TGID_Y_EN: 0
; COMPUTE_PGM_RSRC2:TGID_Z_EN: 0
; COMPUTE_PGM_RSRC2:TIDIG_COMP_CNT: 0
; COMPUTE_PGM_RSRC3_GFX90A:ACCUM_OFFSET: 0
; COMPUTE_PGM_RSRC3_GFX90A:TG_SPLIT: 0
	.section	.text._ZN7rocprim17ROCPRIM_400000_NS6detail17trampoline_kernelINS0_14default_configENS1_25partition_config_selectorILNS1_17partition_subalgoE8EbNS0_10empty_typeEbEEZZNS1_14partition_implILS5_8ELb0ES3_jN6hipcub16HIPCUB_304000_NS22TransformInputIteratorIbN2at6native8internal12_GLOBAL__N_110LoadBoolOpEPKhlEEPS6_PKS6_NS0_5tupleIJPbS6_EEENSN_IJSK_SK_EEENS0_18inequality_wrapperINSA_8EqualityEEEPlJS6_EEE10hipError_tPvRmT3_T4_T5_T6_T7_T9_mT8_P12ihipStream_tbDpT10_ENKUlT_T0_E_clISt17integral_constantIbLb0EES1E_EEDaS19_S1A_EUlS19_E_NS1_11comp_targetILNS1_3genE2ELNS1_11target_archE906ELNS1_3gpuE6ELNS1_3repE0EEENS1_30default_config_static_selectorELNS0_4arch9wavefront6targetE1EEEvT1_,"axG",@progbits,_ZN7rocprim17ROCPRIM_400000_NS6detail17trampoline_kernelINS0_14default_configENS1_25partition_config_selectorILNS1_17partition_subalgoE8EbNS0_10empty_typeEbEEZZNS1_14partition_implILS5_8ELb0ES3_jN6hipcub16HIPCUB_304000_NS22TransformInputIteratorIbN2at6native8internal12_GLOBAL__N_110LoadBoolOpEPKhlEEPS6_PKS6_NS0_5tupleIJPbS6_EEENSN_IJSK_SK_EEENS0_18inequality_wrapperINSA_8EqualityEEEPlJS6_EEE10hipError_tPvRmT3_T4_T5_T6_T7_T9_mT8_P12ihipStream_tbDpT10_ENKUlT_T0_E_clISt17integral_constantIbLb0EES1E_EEDaS19_S1A_EUlS19_E_NS1_11comp_targetILNS1_3genE2ELNS1_11target_archE906ELNS1_3gpuE6ELNS1_3repE0EEENS1_30default_config_static_selectorELNS0_4arch9wavefront6targetE1EEEvT1_,comdat
	.globl	_ZN7rocprim17ROCPRIM_400000_NS6detail17trampoline_kernelINS0_14default_configENS1_25partition_config_selectorILNS1_17partition_subalgoE8EbNS0_10empty_typeEbEEZZNS1_14partition_implILS5_8ELb0ES3_jN6hipcub16HIPCUB_304000_NS22TransformInputIteratorIbN2at6native8internal12_GLOBAL__N_110LoadBoolOpEPKhlEEPS6_PKS6_NS0_5tupleIJPbS6_EEENSN_IJSK_SK_EEENS0_18inequality_wrapperINSA_8EqualityEEEPlJS6_EEE10hipError_tPvRmT3_T4_T5_T6_T7_T9_mT8_P12ihipStream_tbDpT10_ENKUlT_T0_E_clISt17integral_constantIbLb0EES1E_EEDaS19_S1A_EUlS19_E_NS1_11comp_targetILNS1_3genE2ELNS1_11target_archE906ELNS1_3gpuE6ELNS1_3repE0EEENS1_30default_config_static_selectorELNS0_4arch9wavefront6targetE1EEEvT1_ ; -- Begin function _ZN7rocprim17ROCPRIM_400000_NS6detail17trampoline_kernelINS0_14default_configENS1_25partition_config_selectorILNS1_17partition_subalgoE8EbNS0_10empty_typeEbEEZZNS1_14partition_implILS5_8ELb0ES3_jN6hipcub16HIPCUB_304000_NS22TransformInputIteratorIbN2at6native8internal12_GLOBAL__N_110LoadBoolOpEPKhlEEPS6_PKS6_NS0_5tupleIJPbS6_EEENSN_IJSK_SK_EEENS0_18inequality_wrapperINSA_8EqualityEEEPlJS6_EEE10hipError_tPvRmT3_T4_T5_T6_T7_T9_mT8_P12ihipStream_tbDpT10_ENKUlT_T0_E_clISt17integral_constantIbLb0EES1E_EEDaS19_S1A_EUlS19_E_NS1_11comp_targetILNS1_3genE2ELNS1_11target_archE906ELNS1_3gpuE6ELNS1_3repE0EEENS1_30default_config_static_selectorELNS0_4arch9wavefront6targetE1EEEvT1_
	.p2align	8
	.type	_ZN7rocprim17ROCPRIM_400000_NS6detail17trampoline_kernelINS0_14default_configENS1_25partition_config_selectorILNS1_17partition_subalgoE8EbNS0_10empty_typeEbEEZZNS1_14partition_implILS5_8ELb0ES3_jN6hipcub16HIPCUB_304000_NS22TransformInputIteratorIbN2at6native8internal12_GLOBAL__N_110LoadBoolOpEPKhlEEPS6_PKS6_NS0_5tupleIJPbS6_EEENSN_IJSK_SK_EEENS0_18inequality_wrapperINSA_8EqualityEEEPlJS6_EEE10hipError_tPvRmT3_T4_T5_T6_T7_T9_mT8_P12ihipStream_tbDpT10_ENKUlT_T0_E_clISt17integral_constantIbLb0EES1E_EEDaS19_S1A_EUlS19_E_NS1_11comp_targetILNS1_3genE2ELNS1_11target_archE906ELNS1_3gpuE6ELNS1_3repE0EEENS1_30default_config_static_selectorELNS0_4arch9wavefront6targetE1EEEvT1_,@function
_ZN7rocprim17ROCPRIM_400000_NS6detail17trampoline_kernelINS0_14default_configENS1_25partition_config_selectorILNS1_17partition_subalgoE8EbNS0_10empty_typeEbEEZZNS1_14partition_implILS5_8ELb0ES3_jN6hipcub16HIPCUB_304000_NS22TransformInputIteratorIbN2at6native8internal12_GLOBAL__N_110LoadBoolOpEPKhlEEPS6_PKS6_NS0_5tupleIJPbS6_EEENSN_IJSK_SK_EEENS0_18inequality_wrapperINSA_8EqualityEEEPlJS6_EEE10hipError_tPvRmT3_T4_T5_T6_T7_T9_mT8_P12ihipStream_tbDpT10_ENKUlT_T0_E_clISt17integral_constantIbLb0EES1E_EEDaS19_S1A_EUlS19_E_NS1_11comp_targetILNS1_3genE2ELNS1_11target_archE906ELNS1_3gpuE6ELNS1_3repE0EEENS1_30default_config_static_selectorELNS0_4arch9wavefront6targetE1EEEvT1_: ; @_ZN7rocprim17ROCPRIM_400000_NS6detail17trampoline_kernelINS0_14default_configENS1_25partition_config_selectorILNS1_17partition_subalgoE8EbNS0_10empty_typeEbEEZZNS1_14partition_implILS5_8ELb0ES3_jN6hipcub16HIPCUB_304000_NS22TransformInputIteratorIbN2at6native8internal12_GLOBAL__N_110LoadBoolOpEPKhlEEPS6_PKS6_NS0_5tupleIJPbS6_EEENSN_IJSK_SK_EEENS0_18inequality_wrapperINSA_8EqualityEEEPlJS6_EEE10hipError_tPvRmT3_T4_T5_T6_T7_T9_mT8_P12ihipStream_tbDpT10_ENKUlT_T0_E_clISt17integral_constantIbLb0EES1E_EEDaS19_S1A_EUlS19_E_NS1_11comp_targetILNS1_3genE2ELNS1_11target_archE906ELNS1_3gpuE6ELNS1_3repE0EEENS1_30default_config_static_selectorELNS0_4arch9wavefront6targetE1EEEvT1_
; %bb.0:
	.section	.rodata,"a",@progbits
	.p2align	6, 0x0
	.amdhsa_kernel _ZN7rocprim17ROCPRIM_400000_NS6detail17trampoline_kernelINS0_14default_configENS1_25partition_config_selectorILNS1_17partition_subalgoE8EbNS0_10empty_typeEbEEZZNS1_14partition_implILS5_8ELb0ES3_jN6hipcub16HIPCUB_304000_NS22TransformInputIteratorIbN2at6native8internal12_GLOBAL__N_110LoadBoolOpEPKhlEEPS6_PKS6_NS0_5tupleIJPbS6_EEENSN_IJSK_SK_EEENS0_18inequality_wrapperINSA_8EqualityEEEPlJS6_EEE10hipError_tPvRmT3_T4_T5_T6_T7_T9_mT8_P12ihipStream_tbDpT10_ENKUlT_T0_E_clISt17integral_constantIbLb0EES1E_EEDaS19_S1A_EUlS19_E_NS1_11comp_targetILNS1_3genE2ELNS1_11target_archE906ELNS1_3gpuE6ELNS1_3repE0EEENS1_30default_config_static_selectorELNS0_4arch9wavefront6targetE1EEEvT1_
		.amdhsa_group_segment_fixed_size 0
		.amdhsa_private_segment_fixed_size 0
		.amdhsa_kernarg_size 120
		.amdhsa_user_sgpr_count 6
		.amdhsa_user_sgpr_private_segment_buffer 1
		.amdhsa_user_sgpr_dispatch_ptr 0
		.amdhsa_user_sgpr_queue_ptr 0
		.amdhsa_user_sgpr_kernarg_segment_ptr 1
		.amdhsa_user_sgpr_dispatch_id 0
		.amdhsa_user_sgpr_flat_scratch_init 0
		.amdhsa_user_sgpr_kernarg_preload_length 0
		.amdhsa_user_sgpr_kernarg_preload_offset 0
		.amdhsa_user_sgpr_private_segment_size 0
		.amdhsa_uses_dynamic_stack 0
		.amdhsa_system_sgpr_private_segment_wavefront_offset 0
		.amdhsa_system_sgpr_workgroup_id_x 1
		.amdhsa_system_sgpr_workgroup_id_y 0
		.amdhsa_system_sgpr_workgroup_id_z 0
		.amdhsa_system_sgpr_workgroup_info 0
		.amdhsa_system_vgpr_workitem_id 0
		.amdhsa_next_free_vgpr 1
		.amdhsa_next_free_sgpr 0
		.amdhsa_accum_offset 4
		.amdhsa_reserve_vcc 0
		.amdhsa_reserve_flat_scratch 0
		.amdhsa_float_round_mode_32 0
		.amdhsa_float_round_mode_16_64 0
		.amdhsa_float_denorm_mode_32 3
		.amdhsa_float_denorm_mode_16_64 3
		.amdhsa_dx10_clamp 1
		.amdhsa_ieee_mode 1
		.amdhsa_fp16_overflow 0
		.amdhsa_tg_split 0
		.amdhsa_exception_fp_ieee_invalid_op 0
		.amdhsa_exception_fp_denorm_src 0
		.amdhsa_exception_fp_ieee_div_zero 0
		.amdhsa_exception_fp_ieee_overflow 0
		.amdhsa_exception_fp_ieee_underflow 0
		.amdhsa_exception_fp_ieee_inexact 0
		.amdhsa_exception_int_div_zero 0
	.end_amdhsa_kernel
	.section	.text._ZN7rocprim17ROCPRIM_400000_NS6detail17trampoline_kernelINS0_14default_configENS1_25partition_config_selectorILNS1_17partition_subalgoE8EbNS0_10empty_typeEbEEZZNS1_14partition_implILS5_8ELb0ES3_jN6hipcub16HIPCUB_304000_NS22TransformInputIteratorIbN2at6native8internal12_GLOBAL__N_110LoadBoolOpEPKhlEEPS6_PKS6_NS0_5tupleIJPbS6_EEENSN_IJSK_SK_EEENS0_18inequality_wrapperINSA_8EqualityEEEPlJS6_EEE10hipError_tPvRmT3_T4_T5_T6_T7_T9_mT8_P12ihipStream_tbDpT10_ENKUlT_T0_E_clISt17integral_constantIbLb0EES1E_EEDaS19_S1A_EUlS19_E_NS1_11comp_targetILNS1_3genE2ELNS1_11target_archE906ELNS1_3gpuE6ELNS1_3repE0EEENS1_30default_config_static_selectorELNS0_4arch9wavefront6targetE1EEEvT1_,"axG",@progbits,_ZN7rocprim17ROCPRIM_400000_NS6detail17trampoline_kernelINS0_14default_configENS1_25partition_config_selectorILNS1_17partition_subalgoE8EbNS0_10empty_typeEbEEZZNS1_14partition_implILS5_8ELb0ES3_jN6hipcub16HIPCUB_304000_NS22TransformInputIteratorIbN2at6native8internal12_GLOBAL__N_110LoadBoolOpEPKhlEEPS6_PKS6_NS0_5tupleIJPbS6_EEENSN_IJSK_SK_EEENS0_18inequality_wrapperINSA_8EqualityEEEPlJS6_EEE10hipError_tPvRmT3_T4_T5_T6_T7_T9_mT8_P12ihipStream_tbDpT10_ENKUlT_T0_E_clISt17integral_constantIbLb0EES1E_EEDaS19_S1A_EUlS19_E_NS1_11comp_targetILNS1_3genE2ELNS1_11target_archE906ELNS1_3gpuE6ELNS1_3repE0EEENS1_30default_config_static_selectorELNS0_4arch9wavefront6targetE1EEEvT1_,comdat
.Lfunc_end9:
	.size	_ZN7rocprim17ROCPRIM_400000_NS6detail17trampoline_kernelINS0_14default_configENS1_25partition_config_selectorILNS1_17partition_subalgoE8EbNS0_10empty_typeEbEEZZNS1_14partition_implILS5_8ELb0ES3_jN6hipcub16HIPCUB_304000_NS22TransformInputIteratorIbN2at6native8internal12_GLOBAL__N_110LoadBoolOpEPKhlEEPS6_PKS6_NS0_5tupleIJPbS6_EEENSN_IJSK_SK_EEENS0_18inequality_wrapperINSA_8EqualityEEEPlJS6_EEE10hipError_tPvRmT3_T4_T5_T6_T7_T9_mT8_P12ihipStream_tbDpT10_ENKUlT_T0_E_clISt17integral_constantIbLb0EES1E_EEDaS19_S1A_EUlS19_E_NS1_11comp_targetILNS1_3genE2ELNS1_11target_archE906ELNS1_3gpuE6ELNS1_3repE0EEENS1_30default_config_static_selectorELNS0_4arch9wavefront6targetE1EEEvT1_, .Lfunc_end9-_ZN7rocprim17ROCPRIM_400000_NS6detail17trampoline_kernelINS0_14default_configENS1_25partition_config_selectorILNS1_17partition_subalgoE8EbNS0_10empty_typeEbEEZZNS1_14partition_implILS5_8ELb0ES3_jN6hipcub16HIPCUB_304000_NS22TransformInputIteratorIbN2at6native8internal12_GLOBAL__N_110LoadBoolOpEPKhlEEPS6_PKS6_NS0_5tupleIJPbS6_EEENSN_IJSK_SK_EEENS0_18inequality_wrapperINSA_8EqualityEEEPlJS6_EEE10hipError_tPvRmT3_T4_T5_T6_T7_T9_mT8_P12ihipStream_tbDpT10_ENKUlT_T0_E_clISt17integral_constantIbLb0EES1E_EEDaS19_S1A_EUlS19_E_NS1_11comp_targetILNS1_3genE2ELNS1_11target_archE906ELNS1_3gpuE6ELNS1_3repE0EEENS1_30default_config_static_selectorELNS0_4arch9wavefront6targetE1EEEvT1_
                                        ; -- End function
	.section	.AMDGPU.csdata,"",@progbits
; Kernel info:
; codeLenInByte = 0
; NumSgprs: 4
; NumVgprs: 0
; NumAgprs: 0
; TotalNumVgprs: 0
; ScratchSize: 0
; MemoryBound: 0
; FloatMode: 240
; IeeeMode: 1
; LDSByteSize: 0 bytes/workgroup (compile time only)
; SGPRBlocks: 0
; VGPRBlocks: 0
; NumSGPRsForWavesPerEU: 4
; NumVGPRsForWavesPerEU: 1
; AccumOffset: 4
; Occupancy: 8
; WaveLimiterHint : 0
; COMPUTE_PGM_RSRC2:SCRATCH_EN: 0
; COMPUTE_PGM_RSRC2:USER_SGPR: 6
; COMPUTE_PGM_RSRC2:TRAP_HANDLER: 0
; COMPUTE_PGM_RSRC2:TGID_X_EN: 1
; COMPUTE_PGM_RSRC2:TGID_Y_EN: 0
; COMPUTE_PGM_RSRC2:TGID_Z_EN: 0
; COMPUTE_PGM_RSRC2:TIDIG_COMP_CNT: 0
; COMPUTE_PGM_RSRC3_GFX90A:ACCUM_OFFSET: 0
; COMPUTE_PGM_RSRC3_GFX90A:TG_SPLIT: 0
	.section	.text._ZN7rocprim17ROCPRIM_400000_NS6detail17trampoline_kernelINS0_14default_configENS1_25partition_config_selectorILNS1_17partition_subalgoE8EbNS0_10empty_typeEbEEZZNS1_14partition_implILS5_8ELb0ES3_jN6hipcub16HIPCUB_304000_NS22TransformInputIteratorIbN2at6native8internal12_GLOBAL__N_110LoadBoolOpEPKhlEEPS6_PKS6_NS0_5tupleIJPbS6_EEENSN_IJSK_SK_EEENS0_18inequality_wrapperINSA_8EqualityEEEPlJS6_EEE10hipError_tPvRmT3_T4_T5_T6_T7_T9_mT8_P12ihipStream_tbDpT10_ENKUlT_T0_E_clISt17integral_constantIbLb0EES1E_EEDaS19_S1A_EUlS19_E_NS1_11comp_targetILNS1_3genE10ELNS1_11target_archE1200ELNS1_3gpuE4ELNS1_3repE0EEENS1_30default_config_static_selectorELNS0_4arch9wavefront6targetE1EEEvT1_,"axG",@progbits,_ZN7rocprim17ROCPRIM_400000_NS6detail17trampoline_kernelINS0_14default_configENS1_25partition_config_selectorILNS1_17partition_subalgoE8EbNS0_10empty_typeEbEEZZNS1_14partition_implILS5_8ELb0ES3_jN6hipcub16HIPCUB_304000_NS22TransformInputIteratorIbN2at6native8internal12_GLOBAL__N_110LoadBoolOpEPKhlEEPS6_PKS6_NS0_5tupleIJPbS6_EEENSN_IJSK_SK_EEENS0_18inequality_wrapperINSA_8EqualityEEEPlJS6_EEE10hipError_tPvRmT3_T4_T5_T6_T7_T9_mT8_P12ihipStream_tbDpT10_ENKUlT_T0_E_clISt17integral_constantIbLb0EES1E_EEDaS19_S1A_EUlS19_E_NS1_11comp_targetILNS1_3genE10ELNS1_11target_archE1200ELNS1_3gpuE4ELNS1_3repE0EEENS1_30default_config_static_selectorELNS0_4arch9wavefront6targetE1EEEvT1_,comdat
	.globl	_ZN7rocprim17ROCPRIM_400000_NS6detail17trampoline_kernelINS0_14default_configENS1_25partition_config_selectorILNS1_17partition_subalgoE8EbNS0_10empty_typeEbEEZZNS1_14partition_implILS5_8ELb0ES3_jN6hipcub16HIPCUB_304000_NS22TransformInputIteratorIbN2at6native8internal12_GLOBAL__N_110LoadBoolOpEPKhlEEPS6_PKS6_NS0_5tupleIJPbS6_EEENSN_IJSK_SK_EEENS0_18inequality_wrapperINSA_8EqualityEEEPlJS6_EEE10hipError_tPvRmT3_T4_T5_T6_T7_T9_mT8_P12ihipStream_tbDpT10_ENKUlT_T0_E_clISt17integral_constantIbLb0EES1E_EEDaS19_S1A_EUlS19_E_NS1_11comp_targetILNS1_3genE10ELNS1_11target_archE1200ELNS1_3gpuE4ELNS1_3repE0EEENS1_30default_config_static_selectorELNS0_4arch9wavefront6targetE1EEEvT1_ ; -- Begin function _ZN7rocprim17ROCPRIM_400000_NS6detail17trampoline_kernelINS0_14default_configENS1_25partition_config_selectorILNS1_17partition_subalgoE8EbNS0_10empty_typeEbEEZZNS1_14partition_implILS5_8ELb0ES3_jN6hipcub16HIPCUB_304000_NS22TransformInputIteratorIbN2at6native8internal12_GLOBAL__N_110LoadBoolOpEPKhlEEPS6_PKS6_NS0_5tupleIJPbS6_EEENSN_IJSK_SK_EEENS0_18inequality_wrapperINSA_8EqualityEEEPlJS6_EEE10hipError_tPvRmT3_T4_T5_T6_T7_T9_mT8_P12ihipStream_tbDpT10_ENKUlT_T0_E_clISt17integral_constantIbLb0EES1E_EEDaS19_S1A_EUlS19_E_NS1_11comp_targetILNS1_3genE10ELNS1_11target_archE1200ELNS1_3gpuE4ELNS1_3repE0EEENS1_30default_config_static_selectorELNS0_4arch9wavefront6targetE1EEEvT1_
	.p2align	8
	.type	_ZN7rocprim17ROCPRIM_400000_NS6detail17trampoline_kernelINS0_14default_configENS1_25partition_config_selectorILNS1_17partition_subalgoE8EbNS0_10empty_typeEbEEZZNS1_14partition_implILS5_8ELb0ES3_jN6hipcub16HIPCUB_304000_NS22TransformInputIteratorIbN2at6native8internal12_GLOBAL__N_110LoadBoolOpEPKhlEEPS6_PKS6_NS0_5tupleIJPbS6_EEENSN_IJSK_SK_EEENS0_18inequality_wrapperINSA_8EqualityEEEPlJS6_EEE10hipError_tPvRmT3_T4_T5_T6_T7_T9_mT8_P12ihipStream_tbDpT10_ENKUlT_T0_E_clISt17integral_constantIbLb0EES1E_EEDaS19_S1A_EUlS19_E_NS1_11comp_targetILNS1_3genE10ELNS1_11target_archE1200ELNS1_3gpuE4ELNS1_3repE0EEENS1_30default_config_static_selectorELNS0_4arch9wavefront6targetE1EEEvT1_,@function
_ZN7rocprim17ROCPRIM_400000_NS6detail17trampoline_kernelINS0_14default_configENS1_25partition_config_selectorILNS1_17partition_subalgoE8EbNS0_10empty_typeEbEEZZNS1_14partition_implILS5_8ELb0ES3_jN6hipcub16HIPCUB_304000_NS22TransformInputIteratorIbN2at6native8internal12_GLOBAL__N_110LoadBoolOpEPKhlEEPS6_PKS6_NS0_5tupleIJPbS6_EEENSN_IJSK_SK_EEENS0_18inequality_wrapperINSA_8EqualityEEEPlJS6_EEE10hipError_tPvRmT3_T4_T5_T6_T7_T9_mT8_P12ihipStream_tbDpT10_ENKUlT_T0_E_clISt17integral_constantIbLb0EES1E_EEDaS19_S1A_EUlS19_E_NS1_11comp_targetILNS1_3genE10ELNS1_11target_archE1200ELNS1_3gpuE4ELNS1_3repE0EEENS1_30default_config_static_selectorELNS0_4arch9wavefront6targetE1EEEvT1_: ; @_ZN7rocprim17ROCPRIM_400000_NS6detail17trampoline_kernelINS0_14default_configENS1_25partition_config_selectorILNS1_17partition_subalgoE8EbNS0_10empty_typeEbEEZZNS1_14partition_implILS5_8ELb0ES3_jN6hipcub16HIPCUB_304000_NS22TransformInputIteratorIbN2at6native8internal12_GLOBAL__N_110LoadBoolOpEPKhlEEPS6_PKS6_NS0_5tupleIJPbS6_EEENSN_IJSK_SK_EEENS0_18inequality_wrapperINSA_8EqualityEEEPlJS6_EEE10hipError_tPvRmT3_T4_T5_T6_T7_T9_mT8_P12ihipStream_tbDpT10_ENKUlT_T0_E_clISt17integral_constantIbLb0EES1E_EEDaS19_S1A_EUlS19_E_NS1_11comp_targetILNS1_3genE10ELNS1_11target_archE1200ELNS1_3gpuE4ELNS1_3repE0EEENS1_30default_config_static_selectorELNS0_4arch9wavefront6targetE1EEEvT1_
; %bb.0:
	.section	.rodata,"a",@progbits
	.p2align	6, 0x0
	.amdhsa_kernel _ZN7rocprim17ROCPRIM_400000_NS6detail17trampoline_kernelINS0_14default_configENS1_25partition_config_selectorILNS1_17partition_subalgoE8EbNS0_10empty_typeEbEEZZNS1_14partition_implILS5_8ELb0ES3_jN6hipcub16HIPCUB_304000_NS22TransformInputIteratorIbN2at6native8internal12_GLOBAL__N_110LoadBoolOpEPKhlEEPS6_PKS6_NS0_5tupleIJPbS6_EEENSN_IJSK_SK_EEENS0_18inequality_wrapperINSA_8EqualityEEEPlJS6_EEE10hipError_tPvRmT3_T4_T5_T6_T7_T9_mT8_P12ihipStream_tbDpT10_ENKUlT_T0_E_clISt17integral_constantIbLb0EES1E_EEDaS19_S1A_EUlS19_E_NS1_11comp_targetILNS1_3genE10ELNS1_11target_archE1200ELNS1_3gpuE4ELNS1_3repE0EEENS1_30default_config_static_selectorELNS0_4arch9wavefront6targetE1EEEvT1_
		.amdhsa_group_segment_fixed_size 0
		.amdhsa_private_segment_fixed_size 0
		.amdhsa_kernarg_size 120
		.amdhsa_user_sgpr_count 6
		.amdhsa_user_sgpr_private_segment_buffer 1
		.amdhsa_user_sgpr_dispatch_ptr 0
		.amdhsa_user_sgpr_queue_ptr 0
		.amdhsa_user_sgpr_kernarg_segment_ptr 1
		.amdhsa_user_sgpr_dispatch_id 0
		.amdhsa_user_sgpr_flat_scratch_init 0
		.amdhsa_user_sgpr_kernarg_preload_length 0
		.amdhsa_user_sgpr_kernarg_preload_offset 0
		.amdhsa_user_sgpr_private_segment_size 0
		.amdhsa_uses_dynamic_stack 0
		.amdhsa_system_sgpr_private_segment_wavefront_offset 0
		.amdhsa_system_sgpr_workgroup_id_x 1
		.amdhsa_system_sgpr_workgroup_id_y 0
		.amdhsa_system_sgpr_workgroup_id_z 0
		.amdhsa_system_sgpr_workgroup_info 0
		.amdhsa_system_vgpr_workitem_id 0
		.amdhsa_next_free_vgpr 1
		.amdhsa_next_free_sgpr 0
		.amdhsa_accum_offset 4
		.amdhsa_reserve_vcc 0
		.amdhsa_reserve_flat_scratch 0
		.amdhsa_float_round_mode_32 0
		.amdhsa_float_round_mode_16_64 0
		.amdhsa_float_denorm_mode_32 3
		.amdhsa_float_denorm_mode_16_64 3
		.amdhsa_dx10_clamp 1
		.amdhsa_ieee_mode 1
		.amdhsa_fp16_overflow 0
		.amdhsa_tg_split 0
		.amdhsa_exception_fp_ieee_invalid_op 0
		.amdhsa_exception_fp_denorm_src 0
		.amdhsa_exception_fp_ieee_div_zero 0
		.amdhsa_exception_fp_ieee_overflow 0
		.amdhsa_exception_fp_ieee_underflow 0
		.amdhsa_exception_fp_ieee_inexact 0
		.amdhsa_exception_int_div_zero 0
	.end_amdhsa_kernel
	.section	.text._ZN7rocprim17ROCPRIM_400000_NS6detail17trampoline_kernelINS0_14default_configENS1_25partition_config_selectorILNS1_17partition_subalgoE8EbNS0_10empty_typeEbEEZZNS1_14partition_implILS5_8ELb0ES3_jN6hipcub16HIPCUB_304000_NS22TransformInputIteratorIbN2at6native8internal12_GLOBAL__N_110LoadBoolOpEPKhlEEPS6_PKS6_NS0_5tupleIJPbS6_EEENSN_IJSK_SK_EEENS0_18inequality_wrapperINSA_8EqualityEEEPlJS6_EEE10hipError_tPvRmT3_T4_T5_T6_T7_T9_mT8_P12ihipStream_tbDpT10_ENKUlT_T0_E_clISt17integral_constantIbLb0EES1E_EEDaS19_S1A_EUlS19_E_NS1_11comp_targetILNS1_3genE10ELNS1_11target_archE1200ELNS1_3gpuE4ELNS1_3repE0EEENS1_30default_config_static_selectorELNS0_4arch9wavefront6targetE1EEEvT1_,"axG",@progbits,_ZN7rocprim17ROCPRIM_400000_NS6detail17trampoline_kernelINS0_14default_configENS1_25partition_config_selectorILNS1_17partition_subalgoE8EbNS0_10empty_typeEbEEZZNS1_14partition_implILS5_8ELb0ES3_jN6hipcub16HIPCUB_304000_NS22TransformInputIteratorIbN2at6native8internal12_GLOBAL__N_110LoadBoolOpEPKhlEEPS6_PKS6_NS0_5tupleIJPbS6_EEENSN_IJSK_SK_EEENS0_18inequality_wrapperINSA_8EqualityEEEPlJS6_EEE10hipError_tPvRmT3_T4_T5_T6_T7_T9_mT8_P12ihipStream_tbDpT10_ENKUlT_T0_E_clISt17integral_constantIbLb0EES1E_EEDaS19_S1A_EUlS19_E_NS1_11comp_targetILNS1_3genE10ELNS1_11target_archE1200ELNS1_3gpuE4ELNS1_3repE0EEENS1_30default_config_static_selectorELNS0_4arch9wavefront6targetE1EEEvT1_,comdat
.Lfunc_end10:
	.size	_ZN7rocprim17ROCPRIM_400000_NS6detail17trampoline_kernelINS0_14default_configENS1_25partition_config_selectorILNS1_17partition_subalgoE8EbNS0_10empty_typeEbEEZZNS1_14partition_implILS5_8ELb0ES3_jN6hipcub16HIPCUB_304000_NS22TransformInputIteratorIbN2at6native8internal12_GLOBAL__N_110LoadBoolOpEPKhlEEPS6_PKS6_NS0_5tupleIJPbS6_EEENSN_IJSK_SK_EEENS0_18inequality_wrapperINSA_8EqualityEEEPlJS6_EEE10hipError_tPvRmT3_T4_T5_T6_T7_T9_mT8_P12ihipStream_tbDpT10_ENKUlT_T0_E_clISt17integral_constantIbLb0EES1E_EEDaS19_S1A_EUlS19_E_NS1_11comp_targetILNS1_3genE10ELNS1_11target_archE1200ELNS1_3gpuE4ELNS1_3repE0EEENS1_30default_config_static_selectorELNS0_4arch9wavefront6targetE1EEEvT1_, .Lfunc_end10-_ZN7rocprim17ROCPRIM_400000_NS6detail17trampoline_kernelINS0_14default_configENS1_25partition_config_selectorILNS1_17partition_subalgoE8EbNS0_10empty_typeEbEEZZNS1_14partition_implILS5_8ELb0ES3_jN6hipcub16HIPCUB_304000_NS22TransformInputIteratorIbN2at6native8internal12_GLOBAL__N_110LoadBoolOpEPKhlEEPS6_PKS6_NS0_5tupleIJPbS6_EEENSN_IJSK_SK_EEENS0_18inequality_wrapperINSA_8EqualityEEEPlJS6_EEE10hipError_tPvRmT3_T4_T5_T6_T7_T9_mT8_P12ihipStream_tbDpT10_ENKUlT_T0_E_clISt17integral_constantIbLb0EES1E_EEDaS19_S1A_EUlS19_E_NS1_11comp_targetILNS1_3genE10ELNS1_11target_archE1200ELNS1_3gpuE4ELNS1_3repE0EEENS1_30default_config_static_selectorELNS0_4arch9wavefront6targetE1EEEvT1_
                                        ; -- End function
	.section	.AMDGPU.csdata,"",@progbits
; Kernel info:
; codeLenInByte = 0
; NumSgprs: 4
; NumVgprs: 0
; NumAgprs: 0
; TotalNumVgprs: 0
; ScratchSize: 0
; MemoryBound: 0
; FloatMode: 240
; IeeeMode: 1
; LDSByteSize: 0 bytes/workgroup (compile time only)
; SGPRBlocks: 0
; VGPRBlocks: 0
; NumSGPRsForWavesPerEU: 4
; NumVGPRsForWavesPerEU: 1
; AccumOffset: 4
; Occupancy: 8
; WaveLimiterHint : 0
; COMPUTE_PGM_RSRC2:SCRATCH_EN: 0
; COMPUTE_PGM_RSRC2:USER_SGPR: 6
; COMPUTE_PGM_RSRC2:TRAP_HANDLER: 0
; COMPUTE_PGM_RSRC2:TGID_X_EN: 1
; COMPUTE_PGM_RSRC2:TGID_Y_EN: 0
; COMPUTE_PGM_RSRC2:TGID_Z_EN: 0
; COMPUTE_PGM_RSRC2:TIDIG_COMP_CNT: 0
; COMPUTE_PGM_RSRC3_GFX90A:ACCUM_OFFSET: 0
; COMPUTE_PGM_RSRC3_GFX90A:TG_SPLIT: 0
	.section	.text._ZN7rocprim17ROCPRIM_400000_NS6detail17trampoline_kernelINS0_14default_configENS1_25partition_config_selectorILNS1_17partition_subalgoE8EbNS0_10empty_typeEbEEZZNS1_14partition_implILS5_8ELb0ES3_jN6hipcub16HIPCUB_304000_NS22TransformInputIteratorIbN2at6native8internal12_GLOBAL__N_110LoadBoolOpEPKhlEEPS6_PKS6_NS0_5tupleIJPbS6_EEENSN_IJSK_SK_EEENS0_18inequality_wrapperINSA_8EqualityEEEPlJS6_EEE10hipError_tPvRmT3_T4_T5_T6_T7_T9_mT8_P12ihipStream_tbDpT10_ENKUlT_T0_E_clISt17integral_constantIbLb0EES1E_EEDaS19_S1A_EUlS19_E_NS1_11comp_targetILNS1_3genE9ELNS1_11target_archE1100ELNS1_3gpuE3ELNS1_3repE0EEENS1_30default_config_static_selectorELNS0_4arch9wavefront6targetE1EEEvT1_,"axG",@progbits,_ZN7rocprim17ROCPRIM_400000_NS6detail17trampoline_kernelINS0_14default_configENS1_25partition_config_selectorILNS1_17partition_subalgoE8EbNS0_10empty_typeEbEEZZNS1_14partition_implILS5_8ELb0ES3_jN6hipcub16HIPCUB_304000_NS22TransformInputIteratorIbN2at6native8internal12_GLOBAL__N_110LoadBoolOpEPKhlEEPS6_PKS6_NS0_5tupleIJPbS6_EEENSN_IJSK_SK_EEENS0_18inequality_wrapperINSA_8EqualityEEEPlJS6_EEE10hipError_tPvRmT3_T4_T5_T6_T7_T9_mT8_P12ihipStream_tbDpT10_ENKUlT_T0_E_clISt17integral_constantIbLb0EES1E_EEDaS19_S1A_EUlS19_E_NS1_11comp_targetILNS1_3genE9ELNS1_11target_archE1100ELNS1_3gpuE3ELNS1_3repE0EEENS1_30default_config_static_selectorELNS0_4arch9wavefront6targetE1EEEvT1_,comdat
	.globl	_ZN7rocprim17ROCPRIM_400000_NS6detail17trampoline_kernelINS0_14default_configENS1_25partition_config_selectorILNS1_17partition_subalgoE8EbNS0_10empty_typeEbEEZZNS1_14partition_implILS5_8ELb0ES3_jN6hipcub16HIPCUB_304000_NS22TransformInputIteratorIbN2at6native8internal12_GLOBAL__N_110LoadBoolOpEPKhlEEPS6_PKS6_NS0_5tupleIJPbS6_EEENSN_IJSK_SK_EEENS0_18inequality_wrapperINSA_8EqualityEEEPlJS6_EEE10hipError_tPvRmT3_T4_T5_T6_T7_T9_mT8_P12ihipStream_tbDpT10_ENKUlT_T0_E_clISt17integral_constantIbLb0EES1E_EEDaS19_S1A_EUlS19_E_NS1_11comp_targetILNS1_3genE9ELNS1_11target_archE1100ELNS1_3gpuE3ELNS1_3repE0EEENS1_30default_config_static_selectorELNS0_4arch9wavefront6targetE1EEEvT1_ ; -- Begin function _ZN7rocprim17ROCPRIM_400000_NS6detail17trampoline_kernelINS0_14default_configENS1_25partition_config_selectorILNS1_17partition_subalgoE8EbNS0_10empty_typeEbEEZZNS1_14partition_implILS5_8ELb0ES3_jN6hipcub16HIPCUB_304000_NS22TransformInputIteratorIbN2at6native8internal12_GLOBAL__N_110LoadBoolOpEPKhlEEPS6_PKS6_NS0_5tupleIJPbS6_EEENSN_IJSK_SK_EEENS0_18inequality_wrapperINSA_8EqualityEEEPlJS6_EEE10hipError_tPvRmT3_T4_T5_T6_T7_T9_mT8_P12ihipStream_tbDpT10_ENKUlT_T0_E_clISt17integral_constantIbLb0EES1E_EEDaS19_S1A_EUlS19_E_NS1_11comp_targetILNS1_3genE9ELNS1_11target_archE1100ELNS1_3gpuE3ELNS1_3repE0EEENS1_30default_config_static_selectorELNS0_4arch9wavefront6targetE1EEEvT1_
	.p2align	8
	.type	_ZN7rocprim17ROCPRIM_400000_NS6detail17trampoline_kernelINS0_14default_configENS1_25partition_config_selectorILNS1_17partition_subalgoE8EbNS0_10empty_typeEbEEZZNS1_14partition_implILS5_8ELb0ES3_jN6hipcub16HIPCUB_304000_NS22TransformInputIteratorIbN2at6native8internal12_GLOBAL__N_110LoadBoolOpEPKhlEEPS6_PKS6_NS0_5tupleIJPbS6_EEENSN_IJSK_SK_EEENS0_18inequality_wrapperINSA_8EqualityEEEPlJS6_EEE10hipError_tPvRmT3_T4_T5_T6_T7_T9_mT8_P12ihipStream_tbDpT10_ENKUlT_T0_E_clISt17integral_constantIbLb0EES1E_EEDaS19_S1A_EUlS19_E_NS1_11comp_targetILNS1_3genE9ELNS1_11target_archE1100ELNS1_3gpuE3ELNS1_3repE0EEENS1_30default_config_static_selectorELNS0_4arch9wavefront6targetE1EEEvT1_,@function
_ZN7rocprim17ROCPRIM_400000_NS6detail17trampoline_kernelINS0_14default_configENS1_25partition_config_selectorILNS1_17partition_subalgoE8EbNS0_10empty_typeEbEEZZNS1_14partition_implILS5_8ELb0ES3_jN6hipcub16HIPCUB_304000_NS22TransformInputIteratorIbN2at6native8internal12_GLOBAL__N_110LoadBoolOpEPKhlEEPS6_PKS6_NS0_5tupleIJPbS6_EEENSN_IJSK_SK_EEENS0_18inequality_wrapperINSA_8EqualityEEEPlJS6_EEE10hipError_tPvRmT3_T4_T5_T6_T7_T9_mT8_P12ihipStream_tbDpT10_ENKUlT_T0_E_clISt17integral_constantIbLb0EES1E_EEDaS19_S1A_EUlS19_E_NS1_11comp_targetILNS1_3genE9ELNS1_11target_archE1100ELNS1_3gpuE3ELNS1_3repE0EEENS1_30default_config_static_selectorELNS0_4arch9wavefront6targetE1EEEvT1_: ; @_ZN7rocprim17ROCPRIM_400000_NS6detail17trampoline_kernelINS0_14default_configENS1_25partition_config_selectorILNS1_17partition_subalgoE8EbNS0_10empty_typeEbEEZZNS1_14partition_implILS5_8ELb0ES3_jN6hipcub16HIPCUB_304000_NS22TransformInputIteratorIbN2at6native8internal12_GLOBAL__N_110LoadBoolOpEPKhlEEPS6_PKS6_NS0_5tupleIJPbS6_EEENSN_IJSK_SK_EEENS0_18inequality_wrapperINSA_8EqualityEEEPlJS6_EEE10hipError_tPvRmT3_T4_T5_T6_T7_T9_mT8_P12ihipStream_tbDpT10_ENKUlT_T0_E_clISt17integral_constantIbLb0EES1E_EEDaS19_S1A_EUlS19_E_NS1_11comp_targetILNS1_3genE9ELNS1_11target_archE1100ELNS1_3gpuE3ELNS1_3repE0EEENS1_30default_config_static_selectorELNS0_4arch9wavefront6targetE1EEEvT1_
; %bb.0:
	.section	.rodata,"a",@progbits
	.p2align	6, 0x0
	.amdhsa_kernel _ZN7rocprim17ROCPRIM_400000_NS6detail17trampoline_kernelINS0_14default_configENS1_25partition_config_selectorILNS1_17partition_subalgoE8EbNS0_10empty_typeEbEEZZNS1_14partition_implILS5_8ELb0ES3_jN6hipcub16HIPCUB_304000_NS22TransformInputIteratorIbN2at6native8internal12_GLOBAL__N_110LoadBoolOpEPKhlEEPS6_PKS6_NS0_5tupleIJPbS6_EEENSN_IJSK_SK_EEENS0_18inequality_wrapperINSA_8EqualityEEEPlJS6_EEE10hipError_tPvRmT3_T4_T5_T6_T7_T9_mT8_P12ihipStream_tbDpT10_ENKUlT_T0_E_clISt17integral_constantIbLb0EES1E_EEDaS19_S1A_EUlS19_E_NS1_11comp_targetILNS1_3genE9ELNS1_11target_archE1100ELNS1_3gpuE3ELNS1_3repE0EEENS1_30default_config_static_selectorELNS0_4arch9wavefront6targetE1EEEvT1_
		.amdhsa_group_segment_fixed_size 0
		.amdhsa_private_segment_fixed_size 0
		.amdhsa_kernarg_size 120
		.amdhsa_user_sgpr_count 6
		.amdhsa_user_sgpr_private_segment_buffer 1
		.amdhsa_user_sgpr_dispatch_ptr 0
		.amdhsa_user_sgpr_queue_ptr 0
		.amdhsa_user_sgpr_kernarg_segment_ptr 1
		.amdhsa_user_sgpr_dispatch_id 0
		.amdhsa_user_sgpr_flat_scratch_init 0
		.amdhsa_user_sgpr_kernarg_preload_length 0
		.amdhsa_user_sgpr_kernarg_preload_offset 0
		.amdhsa_user_sgpr_private_segment_size 0
		.amdhsa_uses_dynamic_stack 0
		.amdhsa_system_sgpr_private_segment_wavefront_offset 0
		.amdhsa_system_sgpr_workgroup_id_x 1
		.amdhsa_system_sgpr_workgroup_id_y 0
		.amdhsa_system_sgpr_workgroup_id_z 0
		.amdhsa_system_sgpr_workgroup_info 0
		.amdhsa_system_vgpr_workitem_id 0
		.amdhsa_next_free_vgpr 1
		.amdhsa_next_free_sgpr 0
		.amdhsa_accum_offset 4
		.amdhsa_reserve_vcc 0
		.amdhsa_reserve_flat_scratch 0
		.amdhsa_float_round_mode_32 0
		.amdhsa_float_round_mode_16_64 0
		.amdhsa_float_denorm_mode_32 3
		.amdhsa_float_denorm_mode_16_64 3
		.amdhsa_dx10_clamp 1
		.amdhsa_ieee_mode 1
		.amdhsa_fp16_overflow 0
		.amdhsa_tg_split 0
		.amdhsa_exception_fp_ieee_invalid_op 0
		.amdhsa_exception_fp_denorm_src 0
		.amdhsa_exception_fp_ieee_div_zero 0
		.amdhsa_exception_fp_ieee_overflow 0
		.amdhsa_exception_fp_ieee_underflow 0
		.amdhsa_exception_fp_ieee_inexact 0
		.amdhsa_exception_int_div_zero 0
	.end_amdhsa_kernel
	.section	.text._ZN7rocprim17ROCPRIM_400000_NS6detail17trampoline_kernelINS0_14default_configENS1_25partition_config_selectorILNS1_17partition_subalgoE8EbNS0_10empty_typeEbEEZZNS1_14partition_implILS5_8ELb0ES3_jN6hipcub16HIPCUB_304000_NS22TransformInputIteratorIbN2at6native8internal12_GLOBAL__N_110LoadBoolOpEPKhlEEPS6_PKS6_NS0_5tupleIJPbS6_EEENSN_IJSK_SK_EEENS0_18inequality_wrapperINSA_8EqualityEEEPlJS6_EEE10hipError_tPvRmT3_T4_T5_T6_T7_T9_mT8_P12ihipStream_tbDpT10_ENKUlT_T0_E_clISt17integral_constantIbLb0EES1E_EEDaS19_S1A_EUlS19_E_NS1_11comp_targetILNS1_3genE9ELNS1_11target_archE1100ELNS1_3gpuE3ELNS1_3repE0EEENS1_30default_config_static_selectorELNS0_4arch9wavefront6targetE1EEEvT1_,"axG",@progbits,_ZN7rocprim17ROCPRIM_400000_NS6detail17trampoline_kernelINS0_14default_configENS1_25partition_config_selectorILNS1_17partition_subalgoE8EbNS0_10empty_typeEbEEZZNS1_14partition_implILS5_8ELb0ES3_jN6hipcub16HIPCUB_304000_NS22TransformInputIteratorIbN2at6native8internal12_GLOBAL__N_110LoadBoolOpEPKhlEEPS6_PKS6_NS0_5tupleIJPbS6_EEENSN_IJSK_SK_EEENS0_18inequality_wrapperINSA_8EqualityEEEPlJS6_EEE10hipError_tPvRmT3_T4_T5_T6_T7_T9_mT8_P12ihipStream_tbDpT10_ENKUlT_T0_E_clISt17integral_constantIbLb0EES1E_EEDaS19_S1A_EUlS19_E_NS1_11comp_targetILNS1_3genE9ELNS1_11target_archE1100ELNS1_3gpuE3ELNS1_3repE0EEENS1_30default_config_static_selectorELNS0_4arch9wavefront6targetE1EEEvT1_,comdat
.Lfunc_end11:
	.size	_ZN7rocprim17ROCPRIM_400000_NS6detail17trampoline_kernelINS0_14default_configENS1_25partition_config_selectorILNS1_17partition_subalgoE8EbNS0_10empty_typeEbEEZZNS1_14partition_implILS5_8ELb0ES3_jN6hipcub16HIPCUB_304000_NS22TransformInputIteratorIbN2at6native8internal12_GLOBAL__N_110LoadBoolOpEPKhlEEPS6_PKS6_NS0_5tupleIJPbS6_EEENSN_IJSK_SK_EEENS0_18inequality_wrapperINSA_8EqualityEEEPlJS6_EEE10hipError_tPvRmT3_T4_T5_T6_T7_T9_mT8_P12ihipStream_tbDpT10_ENKUlT_T0_E_clISt17integral_constantIbLb0EES1E_EEDaS19_S1A_EUlS19_E_NS1_11comp_targetILNS1_3genE9ELNS1_11target_archE1100ELNS1_3gpuE3ELNS1_3repE0EEENS1_30default_config_static_selectorELNS0_4arch9wavefront6targetE1EEEvT1_, .Lfunc_end11-_ZN7rocprim17ROCPRIM_400000_NS6detail17trampoline_kernelINS0_14default_configENS1_25partition_config_selectorILNS1_17partition_subalgoE8EbNS0_10empty_typeEbEEZZNS1_14partition_implILS5_8ELb0ES3_jN6hipcub16HIPCUB_304000_NS22TransformInputIteratorIbN2at6native8internal12_GLOBAL__N_110LoadBoolOpEPKhlEEPS6_PKS6_NS0_5tupleIJPbS6_EEENSN_IJSK_SK_EEENS0_18inequality_wrapperINSA_8EqualityEEEPlJS6_EEE10hipError_tPvRmT3_T4_T5_T6_T7_T9_mT8_P12ihipStream_tbDpT10_ENKUlT_T0_E_clISt17integral_constantIbLb0EES1E_EEDaS19_S1A_EUlS19_E_NS1_11comp_targetILNS1_3genE9ELNS1_11target_archE1100ELNS1_3gpuE3ELNS1_3repE0EEENS1_30default_config_static_selectorELNS0_4arch9wavefront6targetE1EEEvT1_
                                        ; -- End function
	.section	.AMDGPU.csdata,"",@progbits
; Kernel info:
; codeLenInByte = 0
; NumSgprs: 4
; NumVgprs: 0
; NumAgprs: 0
; TotalNumVgprs: 0
; ScratchSize: 0
; MemoryBound: 0
; FloatMode: 240
; IeeeMode: 1
; LDSByteSize: 0 bytes/workgroup (compile time only)
; SGPRBlocks: 0
; VGPRBlocks: 0
; NumSGPRsForWavesPerEU: 4
; NumVGPRsForWavesPerEU: 1
; AccumOffset: 4
; Occupancy: 8
; WaveLimiterHint : 0
; COMPUTE_PGM_RSRC2:SCRATCH_EN: 0
; COMPUTE_PGM_RSRC2:USER_SGPR: 6
; COMPUTE_PGM_RSRC2:TRAP_HANDLER: 0
; COMPUTE_PGM_RSRC2:TGID_X_EN: 1
; COMPUTE_PGM_RSRC2:TGID_Y_EN: 0
; COMPUTE_PGM_RSRC2:TGID_Z_EN: 0
; COMPUTE_PGM_RSRC2:TIDIG_COMP_CNT: 0
; COMPUTE_PGM_RSRC3_GFX90A:ACCUM_OFFSET: 0
; COMPUTE_PGM_RSRC3_GFX90A:TG_SPLIT: 0
	.section	.text._ZN7rocprim17ROCPRIM_400000_NS6detail17trampoline_kernelINS0_14default_configENS1_25partition_config_selectorILNS1_17partition_subalgoE8EbNS0_10empty_typeEbEEZZNS1_14partition_implILS5_8ELb0ES3_jN6hipcub16HIPCUB_304000_NS22TransformInputIteratorIbN2at6native8internal12_GLOBAL__N_110LoadBoolOpEPKhlEEPS6_PKS6_NS0_5tupleIJPbS6_EEENSN_IJSK_SK_EEENS0_18inequality_wrapperINSA_8EqualityEEEPlJS6_EEE10hipError_tPvRmT3_T4_T5_T6_T7_T9_mT8_P12ihipStream_tbDpT10_ENKUlT_T0_E_clISt17integral_constantIbLb0EES1E_EEDaS19_S1A_EUlS19_E_NS1_11comp_targetILNS1_3genE8ELNS1_11target_archE1030ELNS1_3gpuE2ELNS1_3repE0EEENS1_30default_config_static_selectorELNS0_4arch9wavefront6targetE1EEEvT1_,"axG",@progbits,_ZN7rocprim17ROCPRIM_400000_NS6detail17trampoline_kernelINS0_14default_configENS1_25partition_config_selectorILNS1_17partition_subalgoE8EbNS0_10empty_typeEbEEZZNS1_14partition_implILS5_8ELb0ES3_jN6hipcub16HIPCUB_304000_NS22TransformInputIteratorIbN2at6native8internal12_GLOBAL__N_110LoadBoolOpEPKhlEEPS6_PKS6_NS0_5tupleIJPbS6_EEENSN_IJSK_SK_EEENS0_18inequality_wrapperINSA_8EqualityEEEPlJS6_EEE10hipError_tPvRmT3_T4_T5_T6_T7_T9_mT8_P12ihipStream_tbDpT10_ENKUlT_T0_E_clISt17integral_constantIbLb0EES1E_EEDaS19_S1A_EUlS19_E_NS1_11comp_targetILNS1_3genE8ELNS1_11target_archE1030ELNS1_3gpuE2ELNS1_3repE0EEENS1_30default_config_static_selectorELNS0_4arch9wavefront6targetE1EEEvT1_,comdat
	.globl	_ZN7rocprim17ROCPRIM_400000_NS6detail17trampoline_kernelINS0_14default_configENS1_25partition_config_selectorILNS1_17partition_subalgoE8EbNS0_10empty_typeEbEEZZNS1_14partition_implILS5_8ELb0ES3_jN6hipcub16HIPCUB_304000_NS22TransformInputIteratorIbN2at6native8internal12_GLOBAL__N_110LoadBoolOpEPKhlEEPS6_PKS6_NS0_5tupleIJPbS6_EEENSN_IJSK_SK_EEENS0_18inequality_wrapperINSA_8EqualityEEEPlJS6_EEE10hipError_tPvRmT3_T4_T5_T6_T7_T9_mT8_P12ihipStream_tbDpT10_ENKUlT_T0_E_clISt17integral_constantIbLb0EES1E_EEDaS19_S1A_EUlS19_E_NS1_11comp_targetILNS1_3genE8ELNS1_11target_archE1030ELNS1_3gpuE2ELNS1_3repE0EEENS1_30default_config_static_selectorELNS0_4arch9wavefront6targetE1EEEvT1_ ; -- Begin function _ZN7rocprim17ROCPRIM_400000_NS6detail17trampoline_kernelINS0_14default_configENS1_25partition_config_selectorILNS1_17partition_subalgoE8EbNS0_10empty_typeEbEEZZNS1_14partition_implILS5_8ELb0ES3_jN6hipcub16HIPCUB_304000_NS22TransformInputIteratorIbN2at6native8internal12_GLOBAL__N_110LoadBoolOpEPKhlEEPS6_PKS6_NS0_5tupleIJPbS6_EEENSN_IJSK_SK_EEENS0_18inequality_wrapperINSA_8EqualityEEEPlJS6_EEE10hipError_tPvRmT3_T4_T5_T6_T7_T9_mT8_P12ihipStream_tbDpT10_ENKUlT_T0_E_clISt17integral_constantIbLb0EES1E_EEDaS19_S1A_EUlS19_E_NS1_11comp_targetILNS1_3genE8ELNS1_11target_archE1030ELNS1_3gpuE2ELNS1_3repE0EEENS1_30default_config_static_selectorELNS0_4arch9wavefront6targetE1EEEvT1_
	.p2align	8
	.type	_ZN7rocprim17ROCPRIM_400000_NS6detail17trampoline_kernelINS0_14default_configENS1_25partition_config_selectorILNS1_17partition_subalgoE8EbNS0_10empty_typeEbEEZZNS1_14partition_implILS5_8ELb0ES3_jN6hipcub16HIPCUB_304000_NS22TransformInputIteratorIbN2at6native8internal12_GLOBAL__N_110LoadBoolOpEPKhlEEPS6_PKS6_NS0_5tupleIJPbS6_EEENSN_IJSK_SK_EEENS0_18inequality_wrapperINSA_8EqualityEEEPlJS6_EEE10hipError_tPvRmT3_T4_T5_T6_T7_T9_mT8_P12ihipStream_tbDpT10_ENKUlT_T0_E_clISt17integral_constantIbLb0EES1E_EEDaS19_S1A_EUlS19_E_NS1_11comp_targetILNS1_3genE8ELNS1_11target_archE1030ELNS1_3gpuE2ELNS1_3repE0EEENS1_30default_config_static_selectorELNS0_4arch9wavefront6targetE1EEEvT1_,@function
_ZN7rocprim17ROCPRIM_400000_NS6detail17trampoline_kernelINS0_14default_configENS1_25partition_config_selectorILNS1_17partition_subalgoE8EbNS0_10empty_typeEbEEZZNS1_14partition_implILS5_8ELb0ES3_jN6hipcub16HIPCUB_304000_NS22TransformInputIteratorIbN2at6native8internal12_GLOBAL__N_110LoadBoolOpEPKhlEEPS6_PKS6_NS0_5tupleIJPbS6_EEENSN_IJSK_SK_EEENS0_18inequality_wrapperINSA_8EqualityEEEPlJS6_EEE10hipError_tPvRmT3_T4_T5_T6_T7_T9_mT8_P12ihipStream_tbDpT10_ENKUlT_T0_E_clISt17integral_constantIbLb0EES1E_EEDaS19_S1A_EUlS19_E_NS1_11comp_targetILNS1_3genE8ELNS1_11target_archE1030ELNS1_3gpuE2ELNS1_3repE0EEENS1_30default_config_static_selectorELNS0_4arch9wavefront6targetE1EEEvT1_: ; @_ZN7rocprim17ROCPRIM_400000_NS6detail17trampoline_kernelINS0_14default_configENS1_25partition_config_selectorILNS1_17partition_subalgoE8EbNS0_10empty_typeEbEEZZNS1_14partition_implILS5_8ELb0ES3_jN6hipcub16HIPCUB_304000_NS22TransformInputIteratorIbN2at6native8internal12_GLOBAL__N_110LoadBoolOpEPKhlEEPS6_PKS6_NS0_5tupleIJPbS6_EEENSN_IJSK_SK_EEENS0_18inequality_wrapperINSA_8EqualityEEEPlJS6_EEE10hipError_tPvRmT3_T4_T5_T6_T7_T9_mT8_P12ihipStream_tbDpT10_ENKUlT_T0_E_clISt17integral_constantIbLb0EES1E_EEDaS19_S1A_EUlS19_E_NS1_11comp_targetILNS1_3genE8ELNS1_11target_archE1030ELNS1_3gpuE2ELNS1_3repE0EEENS1_30default_config_static_selectorELNS0_4arch9wavefront6targetE1EEEvT1_
; %bb.0:
	.section	.rodata,"a",@progbits
	.p2align	6, 0x0
	.amdhsa_kernel _ZN7rocprim17ROCPRIM_400000_NS6detail17trampoline_kernelINS0_14default_configENS1_25partition_config_selectorILNS1_17partition_subalgoE8EbNS0_10empty_typeEbEEZZNS1_14partition_implILS5_8ELb0ES3_jN6hipcub16HIPCUB_304000_NS22TransformInputIteratorIbN2at6native8internal12_GLOBAL__N_110LoadBoolOpEPKhlEEPS6_PKS6_NS0_5tupleIJPbS6_EEENSN_IJSK_SK_EEENS0_18inequality_wrapperINSA_8EqualityEEEPlJS6_EEE10hipError_tPvRmT3_T4_T5_T6_T7_T9_mT8_P12ihipStream_tbDpT10_ENKUlT_T0_E_clISt17integral_constantIbLb0EES1E_EEDaS19_S1A_EUlS19_E_NS1_11comp_targetILNS1_3genE8ELNS1_11target_archE1030ELNS1_3gpuE2ELNS1_3repE0EEENS1_30default_config_static_selectorELNS0_4arch9wavefront6targetE1EEEvT1_
		.amdhsa_group_segment_fixed_size 0
		.amdhsa_private_segment_fixed_size 0
		.amdhsa_kernarg_size 120
		.amdhsa_user_sgpr_count 6
		.amdhsa_user_sgpr_private_segment_buffer 1
		.amdhsa_user_sgpr_dispatch_ptr 0
		.amdhsa_user_sgpr_queue_ptr 0
		.amdhsa_user_sgpr_kernarg_segment_ptr 1
		.amdhsa_user_sgpr_dispatch_id 0
		.amdhsa_user_sgpr_flat_scratch_init 0
		.amdhsa_user_sgpr_kernarg_preload_length 0
		.amdhsa_user_sgpr_kernarg_preload_offset 0
		.amdhsa_user_sgpr_private_segment_size 0
		.amdhsa_uses_dynamic_stack 0
		.amdhsa_system_sgpr_private_segment_wavefront_offset 0
		.amdhsa_system_sgpr_workgroup_id_x 1
		.amdhsa_system_sgpr_workgroup_id_y 0
		.amdhsa_system_sgpr_workgroup_id_z 0
		.amdhsa_system_sgpr_workgroup_info 0
		.amdhsa_system_vgpr_workitem_id 0
		.amdhsa_next_free_vgpr 1
		.amdhsa_next_free_sgpr 0
		.amdhsa_accum_offset 4
		.amdhsa_reserve_vcc 0
		.amdhsa_reserve_flat_scratch 0
		.amdhsa_float_round_mode_32 0
		.amdhsa_float_round_mode_16_64 0
		.amdhsa_float_denorm_mode_32 3
		.amdhsa_float_denorm_mode_16_64 3
		.amdhsa_dx10_clamp 1
		.amdhsa_ieee_mode 1
		.amdhsa_fp16_overflow 0
		.amdhsa_tg_split 0
		.amdhsa_exception_fp_ieee_invalid_op 0
		.amdhsa_exception_fp_denorm_src 0
		.amdhsa_exception_fp_ieee_div_zero 0
		.amdhsa_exception_fp_ieee_overflow 0
		.amdhsa_exception_fp_ieee_underflow 0
		.amdhsa_exception_fp_ieee_inexact 0
		.amdhsa_exception_int_div_zero 0
	.end_amdhsa_kernel
	.section	.text._ZN7rocprim17ROCPRIM_400000_NS6detail17trampoline_kernelINS0_14default_configENS1_25partition_config_selectorILNS1_17partition_subalgoE8EbNS0_10empty_typeEbEEZZNS1_14partition_implILS5_8ELb0ES3_jN6hipcub16HIPCUB_304000_NS22TransformInputIteratorIbN2at6native8internal12_GLOBAL__N_110LoadBoolOpEPKhlEEPS6_PKS6_NS0_5tupleIJPbS6_EEENSN_IJSK_SK_EEENS0_18inequality_wrapperINSA_8EqualityEEEPlJS6_EEE10hipError_tPvRmT3_T4_T5_T6_T7_T9_mT8_P12ihipStream_tbDpT10_ENKUlT_T0_E_clISt17integral_constantIbLb0EES1E_EEDaS19_S1A_EUlS19_E_NS1_11comp_targetILNS1_3genE8ELNS1_11target_archE1030ELNS1_3gpuE2ELNS1_3repE0EEENS1_30default_config_static_selectorELNS0_4arch9wavefront6targetE1EEEvT1_,"axG",@progbits,_ZN7rocprim17ROCPRIM_400000_NS6detail17trampoline_kernelINS0_14default_configENS1_25partition_config_selectorILNS1_17partition_subalgoE8EbNS0_10empty_typeEbEEZZNS1_14partition_implILS5_8ELb0ES3_jN6hipcub16HIPCUB_304000_NS22TransformInputIteratorIbN2at6native8internal12_GLOBAL__N_110LoadBoolOpEPKhlEEPS6_PKS6_NS0_5tupleIJPbS6_EEENSN_IJSK_SK_EEENS0_18inequality_wrapperINSA_8EqualityEEEPlJS6_EEE10hipError_tPvRmT3_T4_T5_T6_T7_T9_mT8_P12ihipStream_tbDpT10_ENKUlT_T0_E_clISt17integral_constantIbLb0EES1E_EEDaS19_S1A_EUlS19_E_NS1_11comp_targetILNS1_3genE8ELNS1_11target_archE1030ELNS1_3gpuE2ELNS1_3repE0EEENS1_30default_config_static_selectorELNS0_4arch9wavefront6targetE1EEEvT1_,comdat
.Lfunc_end12:
	.size	_ZN7rocprim17ROCPRIM_400000_NS6detail17trampoline_kernelINS0_14default_configENS1_25partition_config_selectorILNS1_17partition_subalgoE8EbNS0_10empty_typeEbEEZZNS1_14partition_implILS5_8ELb0ES3_jN6hipcub16HIPCUB_304000_NS22TransformInputIteratorIbN2at6native8internal12_GLOBAL__N_110LoadBoolOpEPKhlEEPS6_PKS6_NS0_5tupleIJPbS6_EEENSN_IJSK_SK_EEENS0_18inequality_wrapperINSA_8EqualityEEEPlJS6_EEE10hipError_tPvRmT3_T4_T5_T6_T7_T9_mT8_P12ihipStream_tbDpT10_ENKUlT_T0_E_clISt17integral_constantIbLb0EES1E_EEDaS19_S1A_EUlS19_E_NS1_11comp_targetILNS1_3genE8ELNS1_11target_archE1030ELNS1_3gpuE2ELNS1_3repE0EEENS1_30default_config_static_selectorELNS0_4arch9wavefront6targetE1EEEvT1_, .Lfunc_end12-_ZN7rocprim17ROCPRIM_400000_NS6detail17trampoline_kernelINS0_14default_configENS1_25partition_config_selectorILNS1_17partition_subalgoE8EbNS0_10empty_typeEbEEZZNS1_14partition_implILS5_8ELb0ES3_jN6hipcub16HIPCUB_304000_NS22TransformInputIteratorIbN2at6native8internal12_GLOBAL__N_110LoadBoolOpEPKhlEEPS6_PKS6_NS0_5tupleIJPbS6_EEENSN_IJSK_SK_EEENS0_18inequality_wrapperINSA_8EqualityEEEPlJS6_EEE10hipError_tPvRmT3_T4_T5_T6_T7_T9_mT8_P12ihipStream_tbDpT10_ENKUlT_T0_E_clISt17integral_constantIbLb0EES1E_EEDaS19_S1A_EUlS19_E_NS1_11comp_targetILNS1_3genE8ELNS1_11target_archE1030ELNS1_3gpuE2ELNS1_3repE0EEENS1_30default_config_static_selectorELNS0_4arch9wavefront6targetE1EEEvT1_
                                        ; -- End function
	.section	.AMDGPU.csdata,"",@progbits
; Kernel info:
; codeLenInByte = 0
; NumSgprs: 4
; NumVgprs: 0
; NumAgprs: 0
; TotalNumVgprs: 0
; ScratchSize: 0
; MemoryBound: 0
; FloatMode: 240
; IeeeMode: 1
; LDSByteSize: 0 bytes/workgroup (compile time only)
; SGPRBlocks: 0
; VGPRBlocks: 0
; NumSGPRsForWavesPerEU: 4
; NumVGPRsForWavesPerEU: 1
; AccumOffset: 4
; Occupancy: 8
; WaveLimiterHint : 0
; COMPUTE_PGM_RSRC2:SCRATCH_EN: 0
; COMPUTE_PGM_RSRC2:USER_SGPR: 6
; COMPUTE_PGM_RSRC2:TRAP_HANDLER: 0
; COMPUTE_PGM_RSRC2:TGID_X_EN: 1
; COMPUTE_PGM_RSRC2:TGID_Y_EN: 0
; COMPUTE_PGM_RSRC2:TGID_Z_EN: 0
; COMPUTE_PGM_RSRC2:TIDIG_COMP_CNT: 0
; COMPUTE_PGM_RSRC3_GFX90A:ACCUM_OFFSET: 0
; COMPUTE_PGM_RSRC3_GFX90A:TG_SPLIT: 0
	.section	.text._ZN7rocprim17ROCPRIM_400000_NS6detail17trampoline_kernelINS0_14default_configENS1_25transform_config_selectorImLb1EEEZNS1_14transform_implILb1ES3_S5_PmPlNS0_8identityIvEEEE10hipError_tT2_T3_mT4_P12ihipStream_tbEUlT_E_NS1_11comp_targetILNS1_3genE0ELNS1_11target_archE4294967295ELNS1_3gpuE0ELNS1_3repE0EEENS1_30default_config_static_selectorELNS0_4arch9wavefront6targetE1EEEvT1_,"axG",@progbits,_ZN7rocprim17ROCPRIM_400000_NS6detail17trampoline_kernelINS0_14default_configENS1_25transform_config_selectorImLb1EEEZNS1_14transform_implILb1ES3_S5_PmPlNS0_8identityIvEEEE10hipError_tT2_T3_mT4_P12ihipStream_tbEUlT_E_NS1_11comp_targetILNS1_3genE0ELNS1_11target_archE4294967295ELNS1_3gpuE0ELNS1_3repE0EEENS1_30default_config_static_selectorELNS0_4arch9wavefront6targetE1EEEvT1_,comdat
	.protected	_ZN7rocprim17ROCPRIM_400000_NS6detail17trampoline_kernelINS0_14default_configENS1_25transform_config_selectorImLb1EEEZNS1_14transform_implILb1ES3_S5_PmPlNS0_8identityIvEEEE10hipError_tT2_T3_mT4_P12ihipStream_tbEUlT_E_NS1_11comp_targetILNS1_3genE0ELNS1_11target_archE4294967295ELNS1_3gpuE0ELNS1_3repE0EEENS1_30default_config_static_selectorELNS0_4arch9wavefront6targetE1EEEvT1_ ; -- Begin function _ZN7rocprim17ROCPRIM_400000_NS6detail17trampoline_kernelINS0_14default_configENS1_25transform_config_selectorImLb1EEEZNS1_14transform_implILb1ES3_S5_PmPlNS0_8identityIvEEEE10hipError_tT2_T3_mT4_P12ihipStream_tbEUlT_E_NS1_11comp_targetILNS1_3genE0ELNS1_11target_archE4294967295ELNS1_3gpuE0ELNS1_3repE0EEENS1_30default_config_static_selectorELNS0_4arch9wavefront6targetE1EEEvT1_
	.globl	_ZN7rocprim17ROCPRIM_400000_NS6detail17trampoline_kernelINS0_14default_configENS1_25transform_config_selectorImLb1EEEZNS1_14transform_implILb1ES3_S5_PmPlNS0_8identityIvEEEE10hipError_tT2_T3_mT4_P12ihipStream_tbEUlT_E_NS1_11comp_targetILNS1_3genE0ELNS1_11target_archE4294967295ELNS1_3gpuE0ELNS1_3repE0EEENS1_30default_config_static_selectorELNS0_4arch9wavefront6targetE1EEEvT1_
	.p2align	8
	.type	_ZN7rocprim17ROCPRIM_400000_NS6detail17trampoline_kernelINS0_14default_configENS1_25transform_config_selectorImLb1EEEZNS1_14transform_implILb1ES3_S5_PmPlNS0_8identityIvEEEE10hipError_tT2_T3_mT4_P12ihipStream_tbEUlT_E_NS1_11comp_targetILNS1_3genE0ELNS1_11target_archE4294967295ELNS1_3gpuE0ELNS1_3repE0EEENS1_30default_config_static_selectorELNS0_4arch9wavefront6targetE1EEEvT1_,@function
_ZN7rocprim17ROCPRIM_400000_NS6detail17trampoline_kernelINS0_14default_configENS1_25transform_config_selectorImLb1EEEZNS1_14transform_implILb1ES3_S5_PmPlNS0_8identityIvEEEE10hipError_tT2_T3_mT4_P12ihipStream_tbEUlT_E_NS1_11comp_targetILNS1_3genE0ELNS1_11target_archE4294967295ELNS1_3gpuE0ELNS1_3repE0EEENS1_30default_config_static_selectorELNS0_4arch9wavefront6targetE1EEEvT1_: ; @_ZN7rocprim17ROCPRIM_400000_NS6detail17trampoline_kernelINS0_14default_configENS1_25transform_config_selectorImLb1EEEZNS1_14transform_implILb1ES3_S5_PmPlNS0_8identityIvEEEE10hipError_tT2_T3_mT4_P12ihipStream_tbEUlT_E_NS1_11comp_targetILNS1_3genE0ELNS1_11target_archE4294967295ELNS1_3gpuE0ELNS1_3repE0EEENS1_30default_config_static_selectorELNS0_4arch9wavefront6targetE1EEEvT1_
; %bb.0:
	.section	.rodata,"a",@progbits
	.p2align	6, 0x0
	.amdhsa_kernel _ZN7rocprim17ROCPRIM_400000_NS6detail17trampoline_kernelINS0_14default_configENS1_25transform_config_selectorImLb1EEEZNS1_14transform_implILb1ES3_S5_PmPlNS0_8identityIvEEEE10hipError_tT2_T3_mT4_P12ihipStream_tbEUlT_E_NS1_11comp_targetILNS1_3genE0ELNS1_11target_archE4294967295ELNS1_3gpuE0ELNS1_3repE0EEENS1_30default_config_static_selectorELNS0_4arch9wavefront6targetE1EEEvT1_
		.amdhsa_group_segment_fixed_size 0
		.amdhsa_private_segment_fixed_size 0
		.amdhsa_kernarg_size 40
		.amdhsa_user_sgpr_count 6
		.amdhsa_user_sgpr_private_segment_buffer 1
		.amdhsa_user_sgpr_dispatch_ptr 0
		.amdhsa_user_sgpr_queue_ptr 0
		.amdhsa_user_sgpr_kernarg_segment_ptr 1
		.amdhsa_user_sgpr_dispatch_id 0
		.amdhsa_user_sgpr_flat_scratch_init 0
		.amdhsa_user_sgpr_kernarg_preload_length 0
		.amdhsa_user_sgpr_kernarg_preload_offset 0
		.amdhsa_user_sgpr_private_segment_size 0
		.amdhsa_uses_dynamic_stack 0
		.amdhsa_system_sgpr_private_segment_wavefront_offset 0
		.amdhsa_system_sgpr_workgroup_id_x 1
		.amdhsa_system_sgpr_workgroup_id_y 0
		.amdhsa_system_sgpr_workgroup_id_z 0
		.amdhsa_system_sgpr_workgroup_info 0
		.amdhsa_system_vgpr_workitem_id 0
		.amdhsa_next_free_vgpr 1
		.amdhsa_next_free_sgpr 0
		.amdhsa_accum_offset 4
		.amdhsa_reserve_vcc 0
		.amdhsa_reserve_flat_scratch 0
		.amdhsa_float_round_mode_32 0
		.amdhsa_float_round_mode_16_64 0
		.amdhsa_float_denorm_mode_32 3
		.amdhsa_float_denorm_mode_16_64 3
		.amdhsa_dx10_clamp 1
		.amdhsa_ieee_mode 1
		.amdhsa_fp16_overflow 0
		.amdhsa_tg_split 0
		.amdhsa_exception_fp_ieee_invalid_op 0
		.amdhsa_exception_fp_denorm_src 0
		.amdhsa_exception_fp_ieee_div_zero 0
		.amdhsa_exception_fp_ieee_overflow 0
		.amdhsa_exception_fp_ieee_underflow 0
		.amdhsa_exception_fp_ieee_inexact 0
		.amdhsa_exception_int_div_zero 0
	.end_amdhsa_kernel
	.section	.text._ZN7rocprim17ROCPRIM_400000_NS6detail17trampoline_kernelINS0_14default_configENS1_25transform_config_selectorImLb1EEEZNS1_14transform_implILb1ES3_S5_PmPlNS0_8identityIvEEEE10hipError_tT2_T3_mT4_P12ihipStream_tbEUlT_E_NS1_11comp_targetILNS1_3genE0ELNS1_11target_archE4294967295ELNS1_3gpuE0ELNS1_3repE0EEENS1_30default_config_static_selectorELNS0_4arch9wavefront6targetE1EEEvT1_,"axG",@progbits,_ZN7rocprim17ROCPRIM_400000_NS6detail17trampoline_kernelINS0_14default_configENS1_25transform_config_selectorImLb1EEEZNS1_14transform_implILb1ES3_S5_PmPlNS0_8identityIvEEEE10hipError_tT2_T3_mT4_P12ihipStream_tbEUlT_E_NS1_11comp_targetILNS1_3genE0ELNS1_11target_archE4294967295ELNS1_3gpuE0ELNS1_3repE0EEENS1_30default_config_static_selectorELNS0_4arch9wavefront6targetE1EEEvT1_,comdat
.Lfunc_end13:
	.size	_ZN7rocprim17ROCPRIM_400000_NS6detail17trampoline_kernelINS0_14default_configENS1_25transform_config_selectorImLb1EEEZNS1_14transform_implILb1ES3_S5_PmPlNS0_8identityIvEEEE10hipError_tT2_T3_mT4_P12ihipStream_tbEUlT_E_NS1_11comp_targetILNS1_3genE0ELNS1_11target_archE4294967295ELNS1_3gpuE0ELNS1_3repE0EEENS1_30default_config_static_selectorELNS0_4arch9wavefront6targetE1EEEvT1_, .Lfunc_end13-_ZN7rocprim17ROCPRIM_400000_NS6detail17trampoline_kernelINS0_14default_configENS1_25transform_config_selectorImLb1EEEZNS1_14transform_implILb1ES3_S5_PmPlNS0_8identityIvEEEE10hipError_tT2_T3_mT4_P12ihipStream_tbEUlT_E_NS1_11comp_targetILNS1_3genE0ELNS1_11target_archE4294967295ELNS1_3gpuE0ELNS1_3repE0EEENS1_30default_config_static_selectorELNS0_4arch9wavefront6targetE1EEEvT1_
                                        ; -- End function
	.section	.AMDGPU.csdata,"",@progbits
; Kernel info:
; codeLenInByte = 0
; NumSgprs: 4
; NumVgprs: 0
; NumAgprs: 0
; TotalNumVgprs: 0
; ScratchSize: 0
; MemoryBound: 0
; FloatMode: 240
; IeeeMode: 1
; LDSByteSize: 0 bytes/workgroup (compile time only)
; SGPRBlocks: 0
; VGPRBlocks: 0
; NumSGPRsForWavesPerEU: 4
; NumVGPRsForWavesPerEU: 1
; AccumOffset: 4
; Occupancy: 8
; WaveLimiterHint : 0
; COMPUTE_PGM_RSRC2:SCRATCH_EN: 0
; COMPUTE_PGM_RSRC2:USER_SGPR: 6
; COMPUTE_PGM_RSRC2:TRAP_HANDLER: 0
; COMPUTE_PGM_RSRC2:TGID_X_EN: 1
; COMPUTE_PGM_RSRC2:TGID_Y_EN: 0
; COMPUTE_PGM_RSRC2:TGID_Z_EN: 0
; COMPUTE_PGM_RSRC2:TIDIG_COMP_CNT: 0
; COMPUTE_PGM_RSRC3_GFX90A:ACCUM_OFFSET: 0
; COMPUTE_PGM_RSRC3_GFX90A:TG_SPLIT: 0
	.section	.text._ZN7rocprim17ROCPRIM_400000_NS6detail17trampoline_kernelINS0_14default_configENS1_25transform_config_selectorImLb1EEEZNS1_14transform_implILb1ES3_S5_PmPlNS0_8identityIvEEEE10hipError_tT2_T3_mT4_P12ihipStream_tbEUlT_E_NS1_11comp_targetILNS1_3genE10ELNS1_11target_archE1201ELNS1_3gpuE5ELNS1_3repE0EEENS1_30default_config_static_selectorELNS0_4arch9wavefront6targetE1EEEvT1_,"axG",@progbits,_ZN7rocprim17ROCPRIM_400000_NS6detail17trampoline_kernelINS0_14default_configENS1_25transform_config_selectorImLb1EEEZNS1_14transform_implILb1ES3_S5_PmPlNS0_8identityIvEEEE10hipError_tT2_T3_mT4_P12ihipStream_tbEUlT_E_NS1_11comp_targetILNS1_3genE10ELNS1_11target_archE1201ELNS1_3gpuE5ELNS1_3repE0EEENS1_30default_config_static_selectorELNS0_4arch9wavefront6targetE1EEEvT1_,comdat
	.protected	_ZN7rocprim17ROCPRIM_400000_NS6detail17trampoline_kernelINS0_14default_configENS1_25transform_config_selectorImLb1EEEZNS1_14transform_implILb1ES3_S5_PmPlNS0_8identityIvEEEE10hipError_tT2_T3_mT4_P12ihipStream_tbEUlT_E_NS1_11comp_targetILNS1_3genE10ELNS1_11target_archE1201ELNS1_3gpuE5ELNS1_3repE0EEENS1_30default_config_static_selectorELNS0_4arch9wavefront6targetE1EEEvT1_ ; -- Begin function _ZN7rocprim17ROCPRIM_400000_NS6detail17trampoline_kernelINS0_14default_configENS1_25transform_config_selectorImLb1EEEZNS1_14transform_implILb1ES3_S5_PmPlNS0_8identityIvEEEE10hipError_tT2_T3_mT4_P12ihipStream_tbEUlT_E_NS1_11comp_targetILNS1_3genE10ELNS1_11target_archE1201ELNS1_3gpuE5ELNS1_3repE0EEENS1_30default_config_static_selectorELNS0_4arch9wavefront6targetE1EEEvT1_
	.globl	_ZN7rocprim17ROCPRIM_400000_NS6detail17trampoline_kernelINS0_14default_configENS1_25transform_config_selectorImLb1EEEZNS1_14transform_implILb1ES3_S5_PmPlNS0_8identityIvEEEE10hipError_tT2_T3_mT4_P12ihipStream_tbEUlT_E_NS1_11comp_targetILNS1_3genE10ELNS1_11target_archE1201ELNS1_3gpuE5ELNS1_3repE0EEENS1_30default_config_static_selectorELNS0_4arch9wavefront6targetE1EEEvT1_
	.p2align	8
	.type	_ZN7rocprim17ROCPRIM_400000_NS6detail17trampoline_kernelINS0_14default_configENS1_25transform_config_selectorImLb1EEEZNS1_14transform_implILb1ES3_S5_PmPlNS0_8identityIvEEEE10hipError_tT2_T3_mT4_P12ihipStream_tbEUlT_E_NS1_11comp_targetILNS1_3genE10ELNS1_11target_archE1201ELNS1_3gpuE5ELNS1_3repE0EEENS1_30default_config_static_selectorELNS0_4arch9wavefront6targetE1EEEvT1_,@function
_ZN7rocprim17ROCPRIM_400000_NS6detail17trampoline_kernelINS0_14default_configENS1_25transform_config_selectorImLb1EEEZNS1_14transform_implILb1ES3_S5_PmPlNS0_8identityIvEEEE10hipError_tT2_T3_mT4_P12ihipStream_tbEUlT_E_NS1_11comp_targetILNS1_3genE10ELNS1_11target_archE1201ELNS1_3gpuE5ELNS1_3repE0EEENS1_30default_config_static_selectorELNS0_4arch9wavefront6targetE1EEEvT1_: ; @_ZN7rocprim17ROCPRIM_400000_NS6detail17trampoline_kernelINS0_14default_configENS1_25transform_config_selectorImLb1EEEZNS1_14transform_implILb1ES3_S5_PmPlNS0_8identityIvEEEE10hipError_tT2_T3_mT4_P12ihipStream_tbEUlT_E_NS1_11comp_targetILNS1_3genE10ELNS1_11target_archE1201ELNS1_3gpuE5ELNS1_3repE0EEENS1_30default_config_static_selectorELNS0_4arch9wavefront6targetE1EEEvT1_
; %bb.0:
	.section	.rodata,"a",@progbits
	.p2align	6, 0x0
	.amdhsa_kernel _ZN7rocprim17ROCPRIM_400000_NS6detail17trampoline_kernelINS0_14default_configENS1_25transform_config_selectorImLb1EEEZNS1_14transform_implILb1ES3_S5_PmPlNS0_8identityIvEEEE10hipError_tT2_T3_mT4_P12ihipStream_tbEUlT_E_NS1_11comp_targetILNS1_3genE10ELNS1_11target_archE1201ELNS1_3gpuE5ELNS1_3repE0EEENS1_30default_config_static_selectorELNS0_4arch9wavefront6targetE1EEEvT1_
		.amdhsa_group_segment_fixed_size 0
		.amdhsa_private_segment_fixed_size 0
		.amdhsa_kernarg_size 40
		.amdhsa_user_sgpr_count 6
		.amdhsa_user_sgpr_private_segment_buffer 1
		.amdhsa_user_sgpr_dispatch_ptr 0
		.amdhsa_user_sgpr_queue_ptr 0
		.amdhsa_user_sgpr_kernarg_segment_ptr 1
		.amdhsa_user_sgpr_dispatch_id 0
		.amdhsa_user_sgpr_flat_scratch_init 0
		.amdhsa_user_sgpr_kernarg_preload_length 0
		.amdhsa_user_sgpr_kernarg_preload_offset 0
		.amdhsa_user_sgpr_private_segment_size 0
		.amdhsa_uses_dynamic_stack 0
		.amdhsa_system_sgpr_private_segment_wavefront_offset 0
		.amdhsa_system_sgpr_workgroup_id_x 1
		.amdhsa_system_sgpr_workgroup_id_y 0
		.amdhsa_system_sgpr_workgroup_id_z 0
		.amdhsa_system_sgpr_workgroup_info 0
		.amdhsa_system_vgpr_workitem_id 0
		.amdhsa_next_free_vgpr 1
		.amdhsa_next_free_sgpr 0
		.amdhsa_accum_offset 4
		.amdhsa_reserve_vcc 0
		.amdhsa_reserve_flat_scratch 0
		.amdhsa_float_round_mode_32 0
		.amdhsa_float_round_mode_16_64 0
		.amdhsa_float_denorm_mode_32 3
		.amdhsa_float_denorm_mode_16_64 3
		.amdhsa_dx10_clamp 1
		.amdhsa_ieee_mode 1
		.amdhsa_fp16_overflow 0
		.amdhsa_tg_split 0
		.amdhsa_exception_fp_ieee_invalid_op 0
		.amdhsa_exception_fp_denorm_src 0
		.amdhsa_exception_fp_ieee_div_zero 0
		.amdhsa_exception_fp_ieee_overflow 0
		.amdhsa_exception_fp_ieee_underflow 0
		.amdhsa_exception_fp_ieee_inexact 0
		.amdhsa_exception_int_div_zero 0
	.end_amdhsa_kernel
	.section	.text._ZN7rocprim17ROCPRIM_400000_NS6detail17trampoline_kernelINS0_14default_configENS1_25transform_config_selectorImLb1EEEZNS1_14transform_implILb1ES3_S5_PmPlNS0_8identityIvEEEE10hipError_tT2_T3_mT4_P12ihipStream_tbEUlT_E_NS1_11comp_targetILNS1_3genE10ELNS1_11target_archE1201ELNS1_3gpuE5ELNS1_3repE0EEENS1_30default_config_static_selectorELNS0_4arch9wavefront6targetE1EEEvT1_,"axG",@progbits,_ZN7rocprim17ROCPRIM_400000_NS6detail17trampoline_kernelINS0_14default_configENS1_25transform_config_selectorImLb1EEEZNS1_14transform_implILb1ES3_S5_PmPlNS0_8identityIvEEEE10hipError_tT2_T3_mT4_P12ihipStream_tbEUlT_E_NS1_11comp_targetILNS1_3genE10ELNS1_11target_archE1201ELNS1_3gpuE5ELNS1_3repE0EEENS1_30default_config_static_selectorELNS0_4arch9wavefront6targetE1EEEvT1_,comdat
.Lfunc_end14:
	.size	_ZN7rocprim17ROCPRIM_400000_NS6detail17trampoline_kernelINS0_14default_configENS1_25transform_config_selectorImLb1EEEZNS1_14transform_implILb1ES3_S5_PmPlNS0_8identityIvEEEE10hipError_tT2_T3_mT4_P12ihipStream_tbEUlT_E_NS1_11comp_targetILNS1_3genE10ELNS1_11target_archE1201ELNS1_3gpuE5ELNS1_3repE0EEENS1_30default_config_static_selectorELNS0_4arch9wavefront6targetE1EEEvT1_, .Lfunc_end14-_ZN7rocprim17ROCPRIM_400000_NS6detail17trampoline_kernelINS0_14default_configENS1_25transform_config_selectorImLb1EEEZNS1_14transform_implILb1ES3_S5_PmPlNS0_8identityIvEEEE10hipError_tT2_T3_mT4_P12ihipStream_tbEUlT_E_NS1_11comp_targetILNS1_3genE10ELNS1_11target_archE1201ELNS1_3gpuE5ELNS1_3repE0EEENS1_30default_config_static_selectorELNS0_4arch9wavefront6targetE1EEEvT1_
                                        ; -- End function
	.section	.AMDGPU.csdata,"",@progbits
; Kernel info:
; codeLenInByte = 0
; NumSgprs: 4
; NumVgprs: 0
; NumAgprs: 0
; TotalNumVgprs: 0
; ScratchSize: 0
; MemoryBound: 0
; FloatMode: 240
; IeeeMode: 1
; LDSByteSize: 0 bytes/workgroup (compile time only)
; SGPRBlocks: 0
; VGPRBlocks: 0
; NumSGPRsForWavesPerEU: 4
; NumVGPRsForWavesPerEU: 1
; AccumOffset: 4
; Occupancy: 8
; WaveLimiterHint : 0
; COMPUTE_PGM_RSRC2:SCRATCH_EN: 0
; COMPUTE_PGM_RSRC2:USER_SGPR: 6
; COMPUTE_PGM_RSRC2:TRAP_HANDLER: 0
; COMPUTE_PGM_RSRC2:TGID_X_EN: 1
; COMPUTE_PGM_RSRC2:TGID_Y_EN: 0
; COMPUTE_PGM_RSRC2:TGID_Z_EN: 0
; COMPUTE_PGM_RSRC2:TIDIG_COMP_CNT: 0
; COMPUTE_PGM_RSRC3_GFX90A:ACCUM_OFFSET: 0
; COMPUTE_PGM_RSRC3_GFX90A:TG_SPLIT: 0
	.section	.text._ZN7rocprim17ROCPRIM_400000_NS6detail17trampoline_kernelINS0_14default_configENS1_25transform_config_selectorImLb1EEEZNS1_14transform_implILb1ES3_S5_PmPlNS0_8identityIvEEEE10hipError_tT2_T3_mT4_P12ihipStream_tbEUlT_E_NS1_11comp_targetILNS1_3genE5ELNS1_11target_archE942ELNS1_3gpuE9ELNS1_3repE0EEENS1_30default_config_static_selectorELNS0_4arch9wavefront6targetE1EEEvT1_,"axG",@progbits,_ZN7rocprim17ROCPRIM_400000_NS6detail17trampoline_kernelINS0_14default_configENS1_25transform_config_selectorImLb1EEEZNS1_14transform_implILb1ES3_S5_PmPlNS0_8identityIvEEEE10hipError_tT2_T3_mT4_P12ihipStream_tbEUlT_E_NS1_11comp_targetILNS1_3genE5ELNS1_11target_archE942ELNS1_3gpuE9ELNS1_3repE0EEENS1_30default_config_static_selectorELNS0_4arch9wavefront6targetE1EEEvT1_,comdat
	.protected	_ZN7rocprim17ROCPRIM_400000_NS6detail17trampoline_kernelINS0_14default_configENS1_25transform_config_selectorImLb1EEEZNS1_14transform_implILb1ES3_S5_PmPlNS0_8identityIvEEEE10hipError_tT2_T3_mT4_P12ihipStream_tbEUlT_E_NS1_11comp_targetILNS1_3genE5ELNS1_11target_archE942ELNS1_3gpuE9ELNS1_3repE0EEENS1_30default_config_static_selectorELNS0_4arch9wavefront6targetE1EEEvT1_ ; -- Begin function _ZN7rocprim17ROCPRIM_400000_NS6detail17trampoline_kernelINS0_14default_configENS1_25transform_config_selectorImLb1EEEZNS1_14transform_implILb1ES3_S5_PmPlNS0_8identityIvEEEE10hipError_tT2_T3_mT4_P12ihipStream_tbEUlT_E_NS1_11comp_targetILNS1_3genE5ELNS1_11target_archE942ELNS1_3gpuE9ELNS1_3repE0EEENS1_30default_config_static_selectorELNS0_4arch9wavefront6targetE1EEEvT1_
	.globl	_ZN7rocprim17ROCPRIM_400000_NS6detail17trampoline_kernelINS0_14default_configENS1_25transform_config_selectorImLb1EEEZNS1_14transform_implILb1ES3_S5_PmPlNS0_8identityIvEEEE10hipError_tT2_T3_mT4_P12ihipStream_tbEUlT_E_NS1_11comp_targetILNS1_3genE5ELNS1_11target_archE942ELNS1_3gpuE9ELNS1_3repE0EEENS1_30default_config_static_selectorELNS0_4arch9wavefront6targetE1EEEvT1_
	.p2align	8
	.type	_ZN7rocprim17ROCPRIM_400000_NS6detail17trampoline_kernelINS0_14default_configENS1_25transform_config_selectorImLb1EEEZNS1_14transform_implILb1ES3_S5_PmPlNS0_8identityIvEEEE10hipError_tT2_T3_mT4_P12ihipStream_tbEUlT_E_NS1_11comp_targetILNS1_3genE5ELNS1_11target_archE942ELNS1_3gpuE9ELNS1_3repE0EEENS1_30default_config_static_selectorELNS0_4arch9wavefront6targetE1EEEvT1_,@function
_ZN7rocprim17ROCPRIM_400000_NS6detail17trampoline_kernelINS0_14default_configENS1_25transform_config_selectorImLb1EEEZNS1_14transform_implILb1ES3_S5_PmPlNS0_8identityIvEEEE10hipError_tT2_T3_mT4_P12ihipStream_tbEUlT_E_NS1_11comp_targetILNS1_3genE5ELNS1_11target_archE942ELNS1_3gpuE9ELNS1_3repE0EEENS1_30default_config_static_selectorELNS0_4arch9wavefront6targetE1EEEvT1_: ; @_ZN7rocprim17ROCPRIM_400000_NS6detail17trampoline_kernelINS0_14default_configENS1_25transform_config_selectorImLb1EEEZNS1_14transform_implILb1ES3_S5_PmPlNS0_8identityIvEEEE10hipError_tT2_T3_mT4_P12ihipStream_tbEUlT_E_NS1_11comp_targetILNS1_3genE5ELNS1_11target_archE942ELNS1_3gpuE9ELNS1_3repE0EEENS1_30default_config_static_selectorELNS0_4arch9wavefront6targetE1EEEvT1_
; %bb.0:
	.section	.rodata,"a",@progbits
	.p2align	6, 0x0
	.amdhsa_kernel _ZN7rocprim17ROCPRIM_400000_NS6detail17trampoline_kernelINS0_14default_configENS1_25transform_config_selectorImLb1EEEZNS1_14transform_implILb1ES3_S5_PmPlNS0_8identityIvEEEE10hipError_tT2_T3_mT4_P12ihipStream_tbEUlT_E_NS1_11comp_targetILNS1_3genE5ELNS1_11target_archE942ELNS1_3gpuE9ELNS1_3repE0EEENS1_30default_config_static_selectorELNS0_4arch9wavefront6targetE1EEEvT1_
		.amdhsa_group_segment_fixed_size 0
		.amdhsa_private_segment_fixed_size 0
		.amdhsa_kernarg_size 40
		.amdhsa_user_sgpr_count 6
		.amdhsa_user_sgpr_private_segment_buffer 1
		.amdhsa_user_sgpr_dispatch_ptr 0
		.amdhsa_user_sgpr_queue_ptr 0
		.amdhsa_user_sgpr_kernarg_segment_ptr 1
		.amdhsa_user_sgpr_dispatch_id 0
		.amdhsa_user_sgpr_flat_scratch_init 0
		.amdhsa_user_sgpr_kernarg_preload_length 0
		.amdhsa_user_sgpr_kernarg_preload_offset 0
		.amdhsa_user_sgpr_private_segment_size 0
		.amdhsa_uses_dynamic_stack 0
		.amdhsa_system_sgpr_private_segment_wavefront_offset 0
		.amdhsa_system_sgpr_workgroup_id_x 1
		.amdhsa_system_sgpr_workgroup_id_y 0
		.amdhsa_system_sgpr_workgroup_id_z 0
		.amdhsa_system_sgpr_workgroup_info 0
		.amdhsa_system_vgpr_workitem_id 0
		.amdhsa_next_free_vgpr 1
		.amdhsa_next_free_sgpr 0
		.amdhsa_accum_offset 4
		.amdhsa_reserve_vcc 0
		.amdhsa_reserve_flat_scratch 0
		.amdhsa_float_round_mode_32 0
		.amdhsa_float_round_mode_16_64 0
		.amdhsa_float_denorm_mode_32 3
		.amdhsa_float_denorm_mode_16_64 3
		.amdhsa_dx10_clamp 1
		.amdhsa_ieee_mode 1
		.amdhsa_fp16_overflow 0
		.amdhsa_tg_split 0
		.amdhsa_exception_fp_ieee_invalid_op 0
		.amdhsa_exception_fp_denorm_src 0
		.amdhsa_exception_fp_ieee_div_zero 0
		.amdhsa_exception_fp_ieee_overflow 0
		.amdhsa_exception_fp_ieee_underflow 0
		.amdhsa_exception_fp_ieee_inexact 0
		.amdhsa_exception_int_div_zero 0
	.end_amdhsa_kernel
	.section	.text._ZN7rocprim17ROCPRIM_400000_NS6detail17trampoline_kernelINS0_14default_configENS1_25transform_config_selectorImLb1EEEZNS1_14transform_implILb1ES3_S5_PmPlNS0_8identityIvEEEE10hipError_tT2_T3_mT4_P12ihipStream_tbEUlT_E_NS1_11comp_targetILNS1_3genE5ELNS1_11target_archE942ELNS1_3gpuE9ELNS1_3repE0EEENS1_30default_config_static_selectorELNS0_4arch9wavefront6targetE1EEEvT1_,"axG",@progbits,_ZN7rocprim17ROCPRIM_400000_NS6detail17trampoline_kernelINS0_14default_configENS1_25transform_config_selectorImLb1EEEZNS1_14transform_implILb1ES3_S5_PmPlNS0_8identityIvEEEE10hipError_tT2_T3_mT4_P12ihipStream_tbEUlT_E_NS1_11comp_targetILNS1_3genE5ELNS1_11target_archE942ELNS1_3gpuE9ELNS1_3repE0EEENS1_30default_config_static_selectorELNS0_4arch9wavefront6targetE1EEEvT1_,comdat
.Lfunc_end15:
	.size	_ZN7rocprim17ROCPRIM_400000_NS6detail17trampoline_kernelINS0_14default_configENS1_25transform_config_selectorImLb1EEEZNS1_14transform_implILb1ES3_S5_PmPlNS0_8identityIvEEEE10hipError_tT2_T3_mT4_P12ihipStream_tbEUlT_E_NS1_11comp_targetILNS1_3genE5ELNS1_11target_archE942ELNS1_3gpuE9ELNS1_3repE0EEENS1_30default_config_static_selectorELNS0_4arch9wavefront6targetE1EEEvT1_, .Lfunc_end15-_ZN7rocprim17ROCPRIM_400000_NS6detail17trampoline_kernelINS0_14default_configENS1_25transform_config_selectorImLb1EEEZNS1_14transform_implILb1ES3_S5_PmPlNS0_8identityIvEEEE10hipError_tT2_T3_mT4_P12ihipStream_tbEUlT_E_NS1_11comp_targetILNS1_3genE5ELNS1_11target_archE942ELNS1_3gpuE9ELNS1_3repE0EEENS1_30default_config_static_selectorELNS0_4arch9wavefront6targetE1EEEvT1_
                                        ; -- End function
	.section	.AMDGPU.csdata,"",@progbits
; Kernel info:
; codeLenInByte = 0
; NumSgprs: 4
; NumVgprs: 0
; NumAgprs: 0
; TotalNumVgprs: 0
; ScratchSize: 0
; MemoryBound: 0
; FloatMode: 240
; IeeeMode: 1
; LDSByteSize: 0 bytes/workgroup (compile time only)
; SGPRBlocks: 0
; VGPRBlocks: 0
; NumSGPRsForWavesPerEU: 4
; NumVGPRsForWavesPerEU: 1
; AccumOffset: 4
; Occupancy: 8
; WaveLimiterHint : 0
; COMPUTE_PGM_RSRC2:SCRATCH_EN: 0
; COMPUTE_PGM_RSRC2:USER_SGPR: 6
; COMPUTE_PGM_RSRC2:TRAP_HANDLER: 0
; COMPUTE_PGM_RSRC2:TGID_X_EN: 1
; COMPUTE_PGM_RSRC2:TGID_Y_EN: 0
; COMPUTE_PGM_RSRC2:TGID_Z_EN: 0
; COMPUTE_PGM_RSRC2:TIDIG_COMP_CNT: 0
; COMPUTE_PGM_RSRC3_GFX90A:ACCUM_OFFSET: 0
; COMPUTE_PGM_RSRC3_GFX90A:TG_SPLIT: 0
	.section	.text._ZN7rocprim17ROCPRIM_400000_NS6detail17trampoline_kernelINS0_14default_configENS1_25transform_config_selectorImLb1EEEZNS1_14transform_implILb1ES3_S5_PmPlNS0_8identityIvEEEE10hipError_tT2_T3_mT4_P12ihipStream_tbEUlT_E_NS1_11comp_targetILNS1_3genE4ELNS1_11target_archE910ELNS1_3gpuE8ELNS1_3repE0EEENS1_30default_config_static_selectorELNS0_4arch9wavefront6targetE1EEEvT1_,"axG",@progbits,_ZN7rocprim17ROCPRIM_400000_NS6detail17trampoline_kernelINS0_14default_configENS1_25transform_config_selectorImLb1EEEZNS1_14transform_implILb1ES3_S5_PmPlNS0_8identityIvEEEE10hipError_tT2_T3_mT4_P12ihipStream_tbEUlT_E_NS1_11comp_targetILNS1_3genE4ELNS1_11target_archE910ELNS1_3gpuE8ELNS1_3repE0EEENS1_30default_config_static_selectorELNS0_4arch9wavefront6targetE1EEEvT1_,comdat
	.protected	_ZN7rocprim17ROCPRIM_400000_NS6detail17trampoline_kernelINS0_14default_configENS1_25transform_config_selectorImLb1EEEZNS1_14transform_implILb1ES3_S5_PmPlNS0_8identityIvEEEE10hipError_tT2_T3_mT4_P12ihipStream_tbEUlT_E_NS1_11comp_targetILNS1_3genE4ELNS1_11target_archE910ELNS1_3gpuE8ELNS1_3repE0EEENS1_30default_config_static_selectorELNS0_4arch9wavefront6targetE1EEEvT1_ ; -- Begin function _ZN7rocprim17ROCPRIM_400000_NS6detail17trampoline_kernelINS0_14default_configENS1_25transform_config_selectorImLb1EEEZNS1_14transform_implILb1ES3_S5_PmPlNS0_8identityIvEEEE10hipError_tT2_T3_mT4_P12ihipStream_tbEUlT_E_NS1_11comp_targetILNS1_3genE4ELNS1_11target_archE910ELNS1_3gpuE8ELNS1_3repE0EEENS1_30default_config_static_selectorELNS0_4arch9wavefront6targetE1EEEvT1_
	.globl	_ZN7rocprim17ROCPRIM_400000_NS6detail17trampoline_kernelINS0_14default_configENS1_25transform_config_selectorImLb1EEEZNS1_14transform_implILb1ES3_S5_PmPlNS0_8identityIvEEEE10hipError_tT2_T3_mT4_P12ihipStream_tbEUlT_E_NS1_11comp_targetILNS1_3genE4ELNS1_11target_archE910ELNS1_3gpuE8ELNS1_3repE0EEENS1_30default_config_static_selectorELNS0_4arch9wavefront6targetE1EEEvT1_
	.p2align	8
	.type	_ZN7rocprim17ROCPRIM_400000_NS6detail17trampoline_kernelINS0_14default_configENS1_25transform_config_selectorImLb1EEEZNS1_14transform_implILb1ES3_S5_PmPlNS0_8identityIvEEEE10hipError_tT2_T3_mT4_P12ihipStream_tbEUlT_E_NS1_11comp_targetILNS1_3genE4ELNS1_11target_archE910ELNS1_3gpuE8ELNS1_3repE0EEENS1_30default_config_static_selectorELNS0_4arch9wavefront6targetE1EEEvT1_,@function
_ZN7rocprim17ROCPRIM_400000_NS6detail17trampoline_kernelINS0_14default_configENS1_25transform_config_selectorImLb1EEEZNS1_14transform_implILb1ES3_S5_PmPlNS0_8identityIvEEEE10hipError_tT2_T3_mT4_P12ihipStream_tbEUlT_E_NS1_11comp_targetILNS1_3genE4ELNS1_11target_archE910ELNS1_3gpuE8ELNS1_3repE0EEENS1_30default_config_static_selectorELNS0_4arch9wavefront6targetE1EEEvT1_: ; @_ZN7rocprim17ROCPRIM_400000_NS6detail17trampoline_kernelINS0_14default_configENS1_25transform_config_selectorImLb1EEEZNS1_14transform_implILb1ES3_S5_PmPlNS0_8identityIvEEEE10hipError_tT2_T3_mT4_P12ihipStream_tbEUlT_E_NS1_11comp_targetILNS1_3genE4ELNS1_11target_archE910ELNS1_3gpuE8ELNS1_3repE0EEENS1_30default_config_static_selectorELNS0_4arch9wavefront6targetE1EEEvT1_
; %bb.0:
	s_load_dwordx8 s[8:15], s[4:5], 0x0
	s_load_dword s2, s[4:5], 0x28
	s_waitcnt lgkmcnt(0)
	s_lshl_b64 s[0:1], s[10:11], 3
	s_add_u32 s4, s8, s0
	s_addc_u32 s5, s9, s1
	s_add_u32 s8, s14, s0
	s_addc_u32 s9, s15, s1
	s_lshl_b32 s0, s6, 11
	s_mov_b32 s1, 0
	s_add_i32 s7, s2, -1
	s_lshl_b64 s[2:3], s[0:1], 3
	s_add_u32 s4, s4, s2
	s_addc_u32 s5, s5, s3
	s_cmp_lg_u32 s6, s7
	s_mov_b64 s[6:7], -1
	s_cbranch_scc0 .LBB16_2
; %bb.1:
	v_lshlrev_b32_e32 v1, 4, v0
	global_load_dwordx4 v[2:5], v1, s[4:5]
	s_add_u32 s6, s8, s2
	s_addc_u32 s7, s9, s3
	s_waitcnt vmcnt(0)
	global_store_dwordx4 v1, v[2:5], s[6:7]
	s_mov_b64 s[6:7], 0
.LBB16_2:
	s_andn2_b64 vcc, exec, s[6:7]
	s_cbranch_vccnz .LBB16_11
; %bb.3:
	s_sub_i32 s6, s12, s0
	v_cmp_gt_u32_e32 vcc, s6, v0
	v_lshlrev_b32_e32 v1, 3, v0
                                        ; implicit-def: $vgpr2_vgpr3_vgpr4_vgpr5
	s_and_saveexec_b64 s[0:1], vcc
	s_cbranch_execz .LBB16_5
; %bb.4:
	global_load_dwordx2 v[2:3], v1, s[4:5]
.LBB16_5:
	s_or_b64 exec, exec, s[0:1]
	v_or_b32_e32 v0, 0x400, v0
	v_cmp_gt_u32_e64 s[0:1], s6, v0
	s_and_saveexec_b64 s[6:7], s[0:1]
	s_cbranch_execz .LBB16_7
; %bb.6:
	v_lshlrev_b32_e32 v0, 3, v0
	global_load_dwordx2 v[4:5], v0, s[4:5]
.LBB16_7:
	s_or_b64 exec, exec, s[6:7]
	s_add_u32 s2, s8, s2
	s_addc_u32 s3, s9, s3
	v_mov_b32_e32 v6, s3
	v_add_co_u32_e64 v0, s[2:3], s2, v1
	v_addc_co_u32_e64 v1, s[2:3], 0, v6, s[2:3]
	s_and_saveexec_b64 s[2:3], vcc
	s_cbranch_execz .LBB16_9
; %bb.8:
	s_waitcnt vmcnt(0)
	global_store_dwordx2 v[0:1], v[2:3], off
.LBB16_9:
	s_or_b64 exec, exec, s[2:3]
	s_and_saveexec_b64 s[2:3], s[0:1]
	s_cbranch_execz .LBB16_11
; %bb.10:
	v_add_co_u32_e32 v0, vcc, 0x2000, v0
	v_addc_co_u32_e32 v1, vcc, 0, v1, vcc
	s_waitcnt vmcnt(0)
	global_store_dwordx2 v[0:1], v[4:5], off
.LBB16_11:
	s_endpgm
	.section	.rodata,"a",@progbits
	.p2align	6, 0x0
	.amdhsa_kernel _ZN7rocprim17ROCPRIM_400000_NS6detail17trampoline_kernelINS0_14default_configENS1_25transform_config_selectorImLb1EEEZNS1_14transform_implILb1ES3_S5_PmPlNS0_8identityIvEEEE10hipError_tT2_T3_mT4_P12ihipStream_tbEUlT_E_NS1_11comp_targetILNS1_3genE4ELNS1_11target_archE910ELNS1_3gpuE8ELNS1_3repE0EEENS1_30default_config_static_selectorELNS0_4arch9wavefront6targetE1EEEvT1_
		.amdhsa_group_segment_fixed_size 0
		.amdhsa_private_segment_fixed_size 0
		.amdhsa_kernarg_size 296
		.amdhsa_user_sgpr_count 6
		.amdhsa_user_sgpr_private_segment_buffer 1
		.amdhsa_user_sgpr_dispatch_ptr 0
		.amdhsa_user_sgpr_queue_ptr 0
		.amdhsa_user_sgpr_kernarg_segment_ptr 1
		.amdhsa_user_sgpr_dispatch_id 0
		.amdhsa_user_sgpr_flat_scratch_init 0
		.amdhsa_user_sgpr_kernarg_preload_length 0
		.amdhsa_user_sgpr_kernarg_preload_offset 0
		.amdhsa_user_sgpr_private_segment_size 0
		.amdhsa_uses_dynamic_stack 0
		.amdhsa_system_sgpr_private_segment_wavefront_offset 0
		.amdhsa_system_sgpr_workgroup_id_x 1
		.amdhsa_system_sgpr_workgroup_id_y 0
		.amdhsa_system_sgpr_workgroup_id_z 0
		.amdhsa_system_sgpr_workgroup_info 0
		.amdhsa_system_vgpr_workitem_id 0
		.amdhsa_next_free_vgpr 7
		.amdhsa_next_free_sgpr 16
		.amdhsa_accum_offset 8
		.amdhsa_reserve_vcc 1
		.amdhsa_reserve_flat_scratch 0
		.amdhsa_float_round_mode_32 0
		.amdhsa_float_round_mode_16_64 0
		.amdhsa_float_denorm_mode_32 3
		.amdhsa_float_denorm_mode_16_64 3
		.amdhsa_dx10_clamp 1
		.amdhsa_ieee_mode 1
		.amdhsa_fp16_overflow 0
		.amdhsa_tg_split 0
		.amdhsa_exception_fp_ieee_invalid_op 0
		.amdhsa_exception_fp_denorm_src 0
		.amdhsa_exception_fp_ieee_div_zero 0
		.amdhsa_exception_fp_ieee_overflow 0
		.amdhsa_exception_fp_ieee_underflow 0
		.amdhsa_exception_fp_ieee_inexact 0
		.amdhsa_exception_int_div_zero 0
	.end_amdhsa_kernel
	.section	.text._ZN7rocprim17ROCPRIM_400000_NS6detail17trampoline_kernelINS0_14default_configENS1_25transform_config_selectorImLb1EEEZNS1_14transform_implILb1ES3_S5_PmPlNS0_8identityIvEEEE10hipError_tT2_T3_mT4_P12ihipStream_tbEUlT_E_NS1_11comp_targetILNS1_3genE4ELNS1_11target_archE910ELNS1_3gpuE8ELNS1_3repE0EEENS1_30default_config_static_selectorELNS0_4arch9wavefront6targetE1EEEvT1_,"axG",@progbits,_ZN7rocprim17ROCPRIM_400000_NS6detail17trampoline_kernelINS0_14default_configENS1_25transform_config_selectorImLb1EEEZNS1_14transform_implILb1ES3_S5_PmPlNS0_8identityIvEEEE10hipError_tT2_T3_mT4_P12ihipStream_tbEUlT_E_NS1_11comp_targetILNS1_3genE4ELNS1_11target_archE910ELNS1_3gpuE8ELNS1_3repE0EEENS1_30default_config_static_selectorELNS0_4arch9wavefront6targetE1EEEvT1_,comdat
.Lfunc_end16:
	.size	_ZN7rocprim17ROCPRIM_400000_NS6detail17trampoline_kernelINS0_14default_configENS1_25transform_config_selectorImLb1EEEZNS1_14transform_implILb1ES3_S5_PmPlNS0_8identityIvEEEE10hipError_tT2_T3_mT4_P12ihipStream_tbEUlT_E_NS1_11comp_targetILNS1_3genE4ELNS1_11target_archE910ELNS1_3gpuE8ELNS1_3repE0EEENS1_30default_config_static_selectorELNS0_4arch9wavefront6targetE1EEEvT1_, .Lfunc_end16-_ZN7rocprim17ROCPRIM_400000_NS6detail17trampoline_kernelINS0_14default_configENS1_25transform_config_selectorImLb1EEEZNS1_14transform_implILb1ES3_S5_PmPlNS0_8identityIvEEEE10hipError_tT2_T3_mT4_P12ihipStream_tbEUlT_E_NS1_11comp_targetILNS1_3genE4ELNS1_11target_archE910ELNS1_3gpuE8ELNS1_3repE0EEENS1_30default_config_static_selectorELNS0_4arch9wavefront6targetE1EEEvT1_
                                        ; -- End function
	.section	.AMDGPU.csdata,"",@progbits
; Kernel info:
; codeLenInByte = 280
; NumSgprs: 20
; NumVgprs: 7
; NumAgprs: 0
; TotalNumVgprs: 7
; ScratchSize: 0
; MemoryBound: 1
; FloatMode: 240
; IeeeMode: 1
; LDSByteSize: 0 bytes/workgroup (compile time only)
; SGPRBlocks: 2
; VGPRBlocks: 0
; NumSGPRsForWavesPerEU: 20
; NumVGPRsForWavesPerEU: 7
; AccumOffset: 8
; Occupancy: 8
; WaveLimiterHint : 0
; COMPUTE_PGM_RSRC2:SCRATCH_EN: 0
; COMPUTE_PGM_RSRC2:USER_SGPR: 6
; COMPUTE_PGM_RSRC2:TRAP_HANDLER: 0
; COMPUTE_PGM_RSRC2:TGID_X_EN: 1
; COMPUTE_PGM_RSRC2:TGID_Y_EN: 0
; COMPUTE_PGM_RSRC2:TGID_Z_EN: 0
; COMPUTE_PGM_RSRC2:TIDIG_COMP_CNT: 0
; COMPUTE_PGM_RSRC3_GFX90A:ACCUM_OFFSET: 1
; COMPUTE_PGM_RSRC3_GFX90A:TG_SPLIT: 0
	.section	.text._ZN7rocprim17ROCPRIM_400000_NS6detail17trampoline_kernelINS0_14default_configENS1_25transform_config_selectorImLb1EEEZNS1_14transform_implILb1ES3_S5_PmPlNS0_8identityIvEEEE10hipError_tT2_T3_mT4_P12ihipStream_tbEUlT_E_NS1_11comp_targetILNS1_3genE3ELNS1_11target_archE908ELNS1_3gpuE7ELNS1_3repE0EEENS1_30default_config_static_selectorELNS0_4arch9wavefront6targetE1EEEvT1_,"axG",@progbits,_ZN7rocprim17ROCPRIM_400000_NS6detail17trampoline_kernelINS0_14default_configENS1_25transform_config_selectorImLb1EEEZNS1_14transform_implILb1ES3_S5_PmPlNS0_8identityIvEEEE10hipError_tT2_T3_mT4_P12ihipStream_tbEUlT_E_NS1_11comp_targetILNS1_3genE3ELNS1_11target_archE908ELNS1_3gpuE7ELNS1_3repE0EEENS1_30default_config_static_selectorELNS0_4arch9wavefront6targetE1EEEvT1_,comdat
	.protected	_ZN7rocprim17ROCPRIM_400000_NS6detail17trampoline_kernelINS0_14default_configENS1_25transform_config_selectorImLb1EEEZNS1_14transform_implILb1ES3_S5_PmPlNS0_8identityIvEEEE10hipError_tT2_T3_mT4_P12ihipStream_tbEUlT_E_NS1_11comp_targetILNS1_3genE3ELNS1_11target_archE908ELNS1_3gpuE7ELNS1_3repE0EEENS1_30default_config_static_selectorELNS0_4arch9wavefront6targetE1EEEvT1_ ; -- Begin function _ZN7rocprim17ROCPRIM_400000_NS6detail17trampoline_kernelINS0_14default_configENS1_25transform_config_selectorImLb1EEEZNS1_14transform_implILb1ES3_S5_PmPlNS0_8identityIvEEEE10hipError_tT2_T3_mT4_P12ihipStream_tbEUlT_E_NS1_11comp_targetILNS1_3genE3ELNS1_11target_archE908ELNS1_3gpuE7ELNS1_3repE0EEENS1_30default_config_static_selectorELNS0_4arch9wavefront6targetE1EEEvT1_
	.globl	_ZN7rocprim17ROCPRIM_400000_NS6detail17trampoline_kernelINS0_14default_configENS1_25transform_config_selectorImLb1EEEZNS1_14transform_implILb1ES3_S5_PmPlNS0_8identityIvEEEE10hipError_tT2_T3_mT4_P12ihipStream_tbEUlT_E_NS1_11comp_targetILNS1_3genE3ELNS1_11target_archE908ELNS1_3gpuE7ELNS1_3repE0EEENS1_30default_config_static_selectorELNS0_4arch9wavefront6targetE1EEEvT1_
	.p2align	8
	.type	_ZN7rocprim17ROCPRIM_400000_NS6detail17trampoline_kernelINS0_14default_configENS1_25transform_config_selectorImLb1EEEZNS1_14transform_implILb1ES3_S5_PmPlNS0_8identityIvEEEE10hipError_tT2_T3_mT4_P12ihipStream_tbEUlT_E_NS1_11comp_targetILNS1_3genE3ELNS1_11target_archE908ELNS1_3gpuE7ELNS1_3repE0EEENS1_30default_config_static_selectorELNS0_4arch9wavefront6targetE1EEEvT1_,@function
_ZN7rocprim17ROCPRIM_400000_NS6detail17trampoline_kernelINS0_14default_configENS1_25transform_config_selectorImLb1EEEZNS1_14transform_implILb1ES3_S5_PmPlNS0_8identityIvEEEE10hipError_tT2_T3_mT4_P12ihipStream_tbEUlT_E_NS1_11comp_targetILNS1_3genE3ELNS1_11target_archE908ELNS1_3gpuE7ELNS1_3repE0EEENS1_30default_config_static_selectorELNS0_4arch9wavefront6targetE1EEEvT1_: ; @_ZN7rocprim17ROCPRIM_400000_NS6detail17trampoline_kernelINS0_14default_configENS1_25transform_config_selectorImLb1EEEZNS1_14transform_implILb1ES3_S5_PmPlNS0_8identityIvEEEE10hipError_tT2_T3_mT4_P12ihipStream_tbEUlT_E_NS1_11comp_targetILNS1_3genE3ELNS1_11target_archE908ELNS1_3gpuE7ELNS1_3repE0EEENS1_30default_config_static_selectorELNS0_4arch9wavefront6targetE1EEEvT1_
; %bb.0:
	.section	.rodata,"a",@progbits
	.p2align	6, 0x0
	.amdhsa_kernel _ZN7rocprim17ROCPRIM_400000_NS6detail17trampoline_kernelINS0_14default_configENS1_25transform_config_selectorImLb1EEEZNS1_14transform_implILb1ES3_S5_PmPlNS0_8identityIvEEEE10hipError_tT2_T3_mT4_P12ihipStream_tbEUlT_E_NS1_11comp_targetILNS1_3genE3ELNS1_11target_archE908ELNS1_3gpuE7ELNS1_3repE0EEENS1_30default_config_static_selectorELNS0_4arch9wavefront6targetE1EEEvT1_
		.amdhsa_group_segment_fixed_size 0
		.amdhsa_private_segment_fixed_size 0
		.amdhsa_kernarg_size 40
		.amdhsa_user_sgpr_count 6
		.amdhsa_user_sgpr_private_segment_buffer 1
		.amdhsa_user_sgpr_dispatch_ptr 0
		.amdhsa_user_sgpr_queue_ptr 0
		.amdhsa_user_sgpr_kernarg_segment_ptr 1
		.amdhsa_user_sgpr_dispatch_id 0
		.amdhsa_user_sgpr_flat_scratch_init 0
		.amdhsa_user_sgpr_kernarg_preload_length 0
		.amdhsa_user_sgpr_kernarg_preload_offset 0
		.amdhsa_user_sgpr_private_segment_size 0
		.amdhsa_uses_dynamic_stack 0
		.amdhsa_system_sgpr_private_segment_wavefront_offset 0
		.amdhsa_system_sgpr_workgroup_id_x 1
		.amdhsa_system_sgpr_workgroup_id_y 0
		.amdhsa_system_sgpr_workgroup_id_z 0
		.amdhsa_system_sgpr_workgroup_info 0
		.amdhsa_system_vgpr_workitem_id 0
		.amdhsa_next_free_vgpr 1
		.amdhsa_next_free_sgpr 0
		.amdhsa_accum_offset 4
		.amdhsa_reserve_vcc 0
		.amdhsa_reserve_flat_scratch 0
		.amdhsa_float_round_mode_32 0
		.amdhsa_float_round_mode_16_64 0
		.amdhsa_float_denorm_mode_32 3
		.amdhsa_float_denorm_mode_16_64 3
		.amdhsa_dx10_clamp 1
		.amdhsa_ieee_mode 1
		.amdhsa_fp16_overflow 0
		.amdhsa_tg_split 0
		.amdhsa_exception_fp_ieee_invalid_op 0
		.amdhsa_exception_fp_denorm_src 0
		.amdhsa_exception_fp_ieee_div_zero 0
		.amdhsa_exception_fp_ieee_overflow 0
		.amdhsa_exception_fp_ieee_underflow 0
		.amdhsa_exception_fp_ieee_inexact 0
		.amdhsa_exception_int_div_zero 0
	.end_amdhsa_kernel
	.section	.text._ZN7rocprim17ROCPRIM_400000_NS6detail17trampoline_kernelINS0_14default_configENS1_25transform_config_selectorImLb1EEEZNS1_14transform_implILb1ES3_S5_PmPlNS0_8identityIvEEEE10hipError_tT2_T3_mT4_P12ihipStream_tbEUlT_E_NS1_11comp_targetILNS1_3genE3ELNS1_11target_archE908ELNS1_3gpuE7ELNS1_3repE0EEENS1_30default_config_static_selectorELNS0_4arch9wavefront6targetE1EEEvT1_,"axG",@progbits,_ZN7rocprim17ROCPRIM_400000_NS6detail17trampoline_kernelINS0_14default_configENS1_25transform_config_selectorImLb1EEEZNS1_14transform_implILb1ES3_S5_PmPlNS0_8identityIvEEEE10hipError_tT2_T3_mT4_P12ihipStream_tbEUlT_E_NS1_11comp_targetILNS1_3genE3ELNS1_11target_archE908ELNS1_3gpuE7ELNS1_3repE0EEENS1_30default_config_static_selectorELNS0_4arch9wavefront6targetE1EEEvT1_,comdat
.Lfunc_end17:
	.size	_ZN7rocprim17ROCPRIM_400000_NS6detail17trampoline_kernelINS0_14default_configENS1_25transform_config_selectorImLb1EEEZNS1_14transform_implILb1ES3_S5_PmPlNS0_8identityIvEEEE10hipError_tT2_T3_mT4_P12ihipStream_tbEUlT_E_NS1_11comp_targetILNS1_3genE3ELNS1_11target_archE908ELNS1_3gpuE7ELNS1_3repE0EEENS1_30default_config_static_selectorELNS0_4arch9wavefront6targetE1EEEvT1_, .Lfunc_end17-_ZN7rocprim17ROCPRIM_400000_NS6detail17trampoline_kernelINS0_14default_configENS1_25transform_config_selectorImLb1EEEZNS1_14transform_implILb1ES3_S5_PmPlNS0_8identityIvEEEE10hipError_tT2_T3_mT4_P12ihipStream_tbEUlT_E_NS1_11comp_targetILNS1_3genE3ELNS1_11target_archE908ELNS1_3gpuE7ELNS1_3repE0EEENS1_30default_config_static_selectorELNS0_4arch9wavefront6targetE1EEEvT1_
                                        ; -- End function
	.section	.AMDGPU.csdata,"",@progbits
; Kernel info:
; codeLenInByte = 0
; NumSgprs: 4
; NumVgprs: 0
; NumAgprs: 0
; TotalNumVgprs: 0
; ScratchSize: 0
; MemoryBound: 0
; FloatMode: 240
; IeeeMode: 1
; LDSByteSize: 0 bytes/workgroup (compile time only)
; SGPRBlocks: 0
; VGPRBlocks: 0
; NumSGPRsForWavesPerEU: 4
; NumVGPRsForWavesPerEU: 1
; AccumOffset: 4
; Occupancy: 8
; WaveLimiterHint : 0
; COMPUTE_PGM_RSRC2:SCRATCH_EN: 0
; COMPUTE_PGM_RSRC2:USER_SGPR: 6
; COMPUTE_PGM_RSRC2:TRAP_HANDLER: 0
; COMPUTE_PGM_RSRC2:TGID_X_EN: 1
; COMPUTE_PGM_RSRC2:TGID_Y_EN: 0
; COMPUTE_PGM_RSRC2:TGID_Z_EN: 0
; COMPUTE_PGM_RSRC2:TIDIG_COMP_CNT: 0
; COMPUTE_PGM_RSRC3_GFX90A:ACCUM_OFFSET: 0
; COMPUTE_PGM_RSRC3_GFX90A:TG_SPLIT: 0
	.section	.text._ZN7rocprim17ROCPRIM_400000_NS6detail17trampoline_kernelINS0_14default_configENS1_25transform_config_selectorImLb1EEEZNS1_14transform_implILb1ES3_S5_PmPlNS0_8identityIvEEEE10hipError_tT2_T3_mT4_P12ihipStream_tbEUlT_E_NS1_11comp_targetILNS1_3genE2ELNS1_11target_archE906ELNS1_3gpuE6ELNS1_3repE0EEENS1_30default_config_static_selectorELNS0_4arch9wavefront6targetE1EEEvT1_,"axG",@progbits,_ZN7rocprim17ROCPRIM_400000_NS6detail17trampoline_kernelINS0_14default_configENS1_25transform_config_selectorImLb1EEEZNS1_14transform_implILb1ES3_S5_PmPlNS0_8identityIvEEEE10hipError_tT2_T3_mT4_P12ihipStream_tbEUlT_E_NS1_11comp_targetILNS1_3genE2ELNS1_11target_archE906ELNS1_3gpuE6ELNS1_3repE0EEENS1_30default_config_static_selectorELNS0_4arch9wavefront6targetE1EEEvT1_,comdat
	.protected	_ZN7rocprim17ROCPRIM_400000_NS6detail17trampoline_kernelINS0_14default_configENS1_25transform_config_selectorImLb1EEEZNS1_14transform_implILb1ES3_S5_PmPlNS0_8identityIvEEEE10hipError_tT2_T3_mT4_P12ihipStream_tbEUlT_E_NS1_11comp_targetILNS1_3genE2ELNS1_11target_archE906ELNS1_3gpuE6ELNS1_3repE0EEENS1_30default_config_static_selectorELNS0_4arch9wavefront6targetE1EEEvT1_ ; -- Begin function _ZN7rocprim17ROCPRIM_400000_NS6detail17trampoline_kernelINS0_14default_configENS1_25transform_config_selectorImLb1EEEZNS1_14transform_implILb1ES3_S5_PmPlNS0_8identityIvEEEE10hipError_tT2_T3_mT4_P12ihipStream_tbEUlT_E_NS1_11comp_targetILNS1_3genE2ELNS1_11target_archE906ELNS1_3gpuE6ELNS1_3repE0EEENS1_30default_config_static_selectorELNS0_4arch9wavefront6targetE1EEEvT1_
	.globl	_ZN7rocprim17ROCPRIM_400000_NS6detail17trampoline_kernelINS0_14default_configENS1_25transform_config_selectorImLb1EEEZNS1_14transform_implILb1ES3_S5_PmPlNS0_8identityIvEEEE10hipError_tT2_T3_mT4_P12ihipStream_tbEUlT_E_NS1_11comp_targetILNS1_3genE2ELNS1_11target_archE906ELNS1_3gpuE6ELNS1_3repE0EEENS1_30default_config_static_selectorELNS0_4arch9wavefront6targetE1EEEvT1_
	.p2align	8
	.type	_ZN7rocprim17ROCPRIM_400000_NS6detail17trampoline_kernelINS0_14default_configENS1_25transform_config_selectorImLb1EEEZNS1_14transform_implILb1ES3_S5_PmPlNS0_8identityIvEEEE10hipError_tT2_T3_mT4_P12ihipStream_tbEUlT_E_NS1_11comp_targetILNS1_3genE2ELNS1_11target_archE906ELNS1_3gpuE6ELNS1_3repE0EEENS1_30default_config_static_selectorELNS0_4arch9wavefront6targetE1EEEvT1_,@function
_ZN7rocprim17ROCPRIM_400000_NS6detail17trampoline_kernelINS0_14default_configENS1_25transform_config_selectorImLb1EEEZNS1_14transform_implILb1ES3_S5_PmPlNS0_8identityIvEEEE10hipError_tT2_T3_mT4_P12ihipStream_tbEUlT_E_NS1_11comp_targetILNS1_3genE2ELNS1_11target_archE906ELNS1_3gpuE6ELNS1_3repE0EEENS1_30default_config_static_selectorELNS0_4arch9wavefront6targetE1EEEvT1_: ; @_ZN7rocprim17ROCPRIM_400000_NS6detail17trampoline_kernelINS0_14default_configENS1_25transform_config_selectorImLb1EEEZNS1_14transform_implILb1ES3_S5_PmPlNS0_8identityIvEEEE10hipError_tT2_T3_mT4_P12ihipStream_tbEUlT_E_NS1_11comp_targetILNS1_3genE2ELNS1_11target_archE906ELNS1_3gpuE6ELNS1_3repE0EEENS1_30default_config_static_selectorELNS0_4arch9wavefront6targetE1EEEvT1_
; %bb.0:
	.section	.rodata,"a",@progbits
	.p2align	6, 0x0
	.amdhsa_kernel _ZN7rocprim17ROCPRIM_400000_NS6detail17trampoline_kernelINS0_14default_configENS1_25transform_config_selectorImLb1EEEZNS1_14transform_implILb1ES3_S5_PmPlNS0_8identityIvEEEE10hipError_tT2_T3_mT4_P12ihipStream_tbEUlT_E_NS1_11comp_targetILNS1_3genE2ELNS1_11target_archE906ELNS1_3gpuE6ELNS1_3repE0EEENS1_30default_config_static_selectorELNS0_4arch9wavefront6targetE1EEEvT1_
		.amdhsa_group_segment_fixed_size 0
		.amdhsa_private_segment_fixed_size 0
		.amdhsa_kernarg_size 40
		.amdhsa_user_sgpr_count 6
		.amdhsa_user_sgpr_private_segment_buffer 1
		.amdhsa_user_sgpr_dispatch_ptr 0
		.amdhsa_user_sgpr_queue_ptr 0
		.amdhsa_user_sgpr_kernarg_segment_ptr 1
		.amdhsa_user_sgpr_dispatch_id 0
		.amdhsa_user_sgpr_flat_scratch_init 0
		.amdhsa_user_sgpr_kernarg_preload_length 0
		.amdhsa_user_sgpr_kernarg_preload_offset 0
		.amdhsa_user_sgpr_private_segment_size 0
		.amdhsa_uses_dynamic_stack 0
		.amdhsa_system_sgpr_private_segment_wavefront_offset 0
		.amdhsa_system_sgpr_workgroup_id_x 1
		.amdhsa_system_sgpr_workgroup_id_y 0
		.amdhsa_system_sgpr_workgroup_id_z 0
		.amdhsa_system_sgpr_workgroup_info 0
		.amdhsa_system_vgpr_workitem_id 0
		.amdhsa_next_free_vgpr 1
		.amdhsa_next_free_sgpr 0
		.amdhsa_accum_offset 4
		.amdhsa_reserve_vcc 0
		.amdhsa_reserve_flat_scratch 0
		.amdhsa_float_round_mode_32 0
		.amdhsa_float_round_mode_16_64 0
		.amdhsa_float_denorm_mode_32 3
		.amdhsa_float_denorm_mode_16_64 3
		.amdhsa_dx10_clamp 1
		.amdhsa_ieee_mode 1
		.amdhsa_fp16_overflow 0
		.amdhsa_tg_split 0
		.amdhsa_exception_fp_ieee_invalid_op 0
		.amdhsa_exception_fp_denorm_src 0
		.amdhsa_exception_fp_ieee_div_zero 0
		.amdhsa_exception_fp_ieee_overflow 0
		.amdhsa_exception_fp_ieee_underflow 0
		.amdhsa_exception_fp_ieee_inexact 0
		.amdhsa_exception_int_div_zero 0
	.end_amdhsa_kernel
	.section	.text._ZN7rocprim17ROCPRIM_400000_NS6detail17trampoline_kernelINS0_14default_configENS1_25transform_config_selectorImLb1EEEZNS1_14transform_implILb1ES3_S5_PmPlNS0_8identityIvEEEE10hipError_tT2_T3_mT4_P12ihipStream_tbEUlT_E_NS1_11comp_targetILNS1_3genE2ELNS1_11target_archE906ELNS1_3gpuE6ELNS1_3repE0EEENS1_30default_config_static_selectorELNS0_4arch9wavefront6targetE1EEEvT1_,"axG",@progbits,_ZN7rocprim17ROCPRIM_400000_NS6detail17trampoline_kernelINS0_14default_configENS1_25transform_config_selectorImLb1EEEZNS1_14transform_implILb1ES3_S5_PmPlNS0_8identityIvEEEE10hipError_tT2_T3_mT4_P12ihipStream_tbEUlT_E_NS1_11comp_targetILNS1_3genE2ELNS1_11target_archE906ELNS1_3gpuE6ELNS1_3repE0EEENS1_30default_config_static_selectorELNS0_4arch9wavefront6targetE1EEEvT1_,comdat
.Lfunc_end18:
	.size	_ZN7rocprim17ROCPRIM_400000_NS6detail17trampoline_kernelINS0_14default_configENS1_25transform_config_selectorImLb1EEEZNS1_14transform_implILb1ES3_S5_PmPlNS0_8identityIvEEEE10hipError_tT2_T3_mT4_P12ihipStream_tbEUlT_E_NS1_11comp_targetILNS1_3genE2ELNS1_11target_archE906ELNS1_3gpuE6ELNS1_3repE0EEENS1_30default_config_static_selectorELNS0_4arch9wavefront6targetE1EEEvT1_, .Lfunc_end18-_ZN7rocprim17ROCPRIM_400000_NS6detail17trampoline_kernelINS0_14default_configENS1_25transform_config_selectorImLb1EEEZNS1_14transform_implILb1ES3_S5_PmPlNS0_8identityIvEEEE10hipError_tT2_T3_mT4_P12ihipStream_tbEUlT_E_NS1_11comp_targetILNS1_3genE2ELNS1_11target_archE906ELNS1_3gpuE6ELNS1_3repE0EEENS1_30default_config_static_selectorELNS0_4arch9wavefront6targetE1EEEvT1_
                                        ; -- End function
	.section	.AMDGPU.csdata,"",@progbits
; Kernel info:
; codeLenInByte = 0
; NumSgprs: 4
; NumVgprs: 0
; NumAgprs: 0
; TotalNumVgprs: 0
; ScratchSize: 0
; MemoryBound: 0
; FloatMode: 240
; IeeeMode: 1
; LDSByteSize: 0 bytes/workgroup (compile time only)
; SGPRBlocks: 0
; VGPRBlocks: 0
; NumSGPRsForWavesPerEU: 4
; NumVGPRsForWavesPerEU: 1
; AccumOffset: 4
; Occupancy: 8
; WaveLimiterHint : 0
; COMPUTE_PGM_RSRC2:SCRATCH_EN: 0
; COMPUTE_PGM_RSRC2:USER_SGPR: 6
; COMPUTE_PGM_RSRC2:TRAP_HANDLER: 0
; COMPUTE_PGM_RSRC2:TGID_X_EN: 1
; COMPUTE_PGM_RSRC2:TGID_Y_EN: 0
; COMPUTE_PGM_RSRC2:TGID_Z_EN: 0
; COMPUTE_PGM_RSRC2:TIDIG_COMP_CNT: 0
; COMPUTE_PGM_RSRC3_GFX90A:ACCUM_OFFSET: 0
; COMPUTE_PGM_RSRC3_GFX90A:TG_SPLIT: 0
	.section	.text._ZN7rocprim17ROCPRIM_400000_NS6detail17trampoline_kernelINS0_14default_configENS1_25transform_config_selectorImLb1EEEZNS1_14transform_implILb1ES3_S5_PmPlNS0_8identityIvEEEE10hipError_tT2_T3_mT4_P12ihipStream_tbEUlT_E_NS1_11comp_targetILNS1_3genE9ELNS1_11target_archE1100ELNS1_3gpuE3ELNS1_3repE0EEENS1_30default_config_static_selectorELNS0_4arch9wavefront6targetE1EEEvT1_,"axG",@progbits,_ZN7rocprim17ROCPRIM_400000_NS6detail17trampoline_kernelINS0_14default_configENS1_25transform_config_selectorImLb1EEEZNS1_14transform_implILb1ES3_S5_PmPlNS0_8identityIvEEEE10hipError_tT2_T3_mT4_P12ihipStream_tbEUlT_E_NS1_11comp_targetILNS1_3genE9ELNS1_11target_archE1100ELNS1_3gpuE3ELNS1_3repE0EEENS1_30default_config_static_selectorELNS0_4arch9wavefront6targetE1EEEvT1_,comdat
	.protected	_ZN7rocprim17ROCPRIM_400000_NS6detail17trampoline_kernelINS0_14default_configENS1_25transform_config_selectorImLb1EEEZNS1_14transform_implILb1ES3_S5_PmPlNS0_8identityIvEEEE10hipError_tT2_T3_mT4_P12ihipStream_tbEUlT_E_NS1_11comp_targetILNS1_3genE9ELNS1_11target_archE1100ELNS1_3gpuE3ELNS1_3repE0EEENS1_30default_config_static_selectorELNS0_4arch9wavefront6targetE1EEEvT1_ ; -- Begin function _ZN7rocprim17ROCPRIM_400000_NS6detail17trampoline_kernelINS0_14default_configENS1_25transform_config_selectorImLb1EEEZNS1_14transform_implILb1ES3_S5_PmPlNS0_8identityIvEEEE10hipError_tT2_T3_mT4_P12ihipStream_tbEUlT_E_NS1_11comp_targetILNS1_3genE9ELNS1_11target_archE1100ELNS1_3gpuE3ELNS1_3repE0EEENS1_30default_config_static_selectorELNS0_4arch9wavefront6targetE1EEEvT1_
	.globl	_ZN7rocprim17ROCPRIM_400000_NS6detail17trampoline_kernelINS0_14default_configENS1_25transform_config_selectorImLb1EEEZNS1_14transform_implILb1ES3_S5_PmPlNS0_8identityIvEEEE10hipError_tT2_T3_mT4_P12ihipStream_tbEUlT_E_NS1_11comp_targetILNS1_3genE9ELNS1_11target_archE1100ELNS1_3gpuE3ELNS1_3repE0EEENS1_30default_config_static_selectorELNS0_4arch9wavefront6targetE1EEEvT1_
	.p2align	8
	.type	_ZN7rocprim17ROCPRIM_400000_NS6detail17trampoline_kernelINS0_14default_configENS1_25transform_config_selectorImLb1EEEZNS1_14transform_implILb1ES3_S5_PmPlNS0_8identityIvEEEE10hipError_tT2_T3_mT4_P12ihipStream_tbEUlT_E_NS1_11comp_targetILNS1_3genE9ELNS1_11target_archE1100ELNS1_3gpuE3ELNS1_3repE0EEENS1_30default_config_static_selectorELNS0_4arch9wavefront6targetE1EEEvT1_,@function
_ZN7rocprim17ROCPRIM_400000_NS6detail17trampoline_kernelINS0_14default_configENS1_25transform_config_selectorImLb1EEEZNS1_14transform_implILb1ES3_S5_PmPlNS0_8identityIvEEEE10hipError_tT2_T3_mT4_P12ihipStream_tbEUlT_E_NS1_11comp_targetILNS1_3genE9ELNS1_11target_archE1100ELNS1_3gpuE3ELNS1_3repE0EEENS1_30default_config_static_selectorELNS0_4arch9wavefront6targetE1EEEvT1_: ; @_ZN7rocprim17ROCPRIM_400000_NS6detail17trampoline_kernelINS0_14default_configENS1_25transform_config_selectorImLb1EEEZNS1_14transform_implILb1ES3_S5_PmPlNS0_8identityIvEEEE10hipError_tT2_T3_mT4_P12ihipStream_tbEUlT_E_NS1_11comp_targetILNS1_3genE9ELNS1_11target_archE1100ELNS1_3gpuE3ELNS1_3repE0EEENS1_30default_config_static_selectorELNS0_4arch9wavefront6targetE1EEEvT1_
; %bb.0:
	.section	.rodata,"a",@progbits
	.p2align	6, 0x0
	.amdhsa_kernel _ZN7rocprim17ROCPRIM_400000_NS6detail17trampoline_kernelINS0_14default_configENS1_25transform_config_selectorImLb1EEEZNS1_14transform_implILb1ES3_S5_PmPlNS0_8identityIvEEEE10hipError_tT2_T3_mT4_P12ihipStream_tbEUlT_E_NS1_11comp_targetILNS1_3genE9ELNS1_11target_archE1100ELNS1_3gpuE3ELNS1_3repE0EEENS1_30default_config_static_selectorELNS0_4arch9wavefront6targetE1EEEvT1_
		.amdhsa_group_segment_fixed_size 0
		.amdhsa_private_segment_fixed_size 0
		.amdhsa_kernarg_size 40
		.amdhsa_user_sgpr_count 6
		.amdhsa_user_sgpr_private_segment_buffer 1
		.amdhsa_user_sgpr_dispatch_ptr 0
		.amdhsa_user_sgpr_queue_ptr 0
		.amdhsa_user_sgpr_kernarg_segment_ptr 1
		.amdhsa_user_sgpr_dispatch_id 0
		.amdhsa_user_sgpr_flat_scratch_init 0
		.amdhsa_user_sgpr_kernarg_preload_length 0
		.amdhsa_user_sgpr_kernarg_preload_offset 0
		.amdhsa_user_sgpr_private_segment_size 0
		.amdhsa_uses_dynamic_stack 0
		.amdhsa_system_sgpr_private_segment_wavefront_offset 0
		.amdhsa_system_sgpr_workgroup_id_x 1
		.amdhsa_system_sgpr_workgroup_id_y 0
		.amdhsa_system_sgpr_workgroup_id_z 0
		.amdhsa_system_sgpr_workgroup_info 0
		.amdhsa_system_vgpr_workitem_id 0
		.amdhsa_next_free_vgpr 1
		.amdhsa_next_free_sgpr 0
		.amdhsa_accum_offset 4
		.amdhsa_reserve_vcc 0
		.amdhsa_reserve_flat_scratch 0
		.amdhsa_float_round_mode_32 0
		.amdhsa_float_round_mode_16_64 0
		.amdhsa_float_denorm_mode_32 3
		.amdhsa_float_denorm_mode_16_64 3
		.amdhsa_dx10_clamp 1
		.amdhsa_ieee_mode 1
		.amdhsa_fp16_overflow 0
		.amdhsa_tg_split 0
		.amdhsa_exception_fp_ieee_invalid_op 0
		.amdhsa_exception_fp_denorm_src 0
		.amdhsa_exception_fp_ieee_div_zero 0
		.amdhsa_exception_fp_ieee_overflow 0
		.amdhsa_exception_fp_ieee_underflow 0
		.amdhsa_exception_fp_ieee_inexact 0
		.amdhsa_exception_int_div_zero 0
	.end_amdhsa_kernel
	.section	.text._ZN7rocprim17ROCPRIM_400000_NS6detail17trampoline_kernelINS0_14default_configENS1_25transform_config_selectorImLb1EEEZNS1_14transform_implILb1ES3_S5_PmPlNS0_8identityIvEEEE10hipError_tT2_T3_mT4_P12ihipStream_tbEUlT_E_NS1_11comp_targetILNS1_3genE9ELNS1_11target_archE1100ELNS1_3gpuE3ELNS1_3repE0EEENS1_30default_config_static_selectorELNS0_4arch9wavefront6targetE1EEEvT1_,"axG",@progbits,_ZN7rocprim17ROCPRIM_400000_NS6detail17trampoline_kernelINS0_14default_configENS1_25transform_config_selectorImLb1EEEZNS1_14transform_implILb1ES3_S5_PmPlNS0_8identityIvEEEE10hipError_tT2_T3_mT4_P12ihipStream_tbEUlT_E_NS1_11comp_targetILNS1_3genE9ELNS1_11target_archE1100ELNS1_3gpuE3ELNS1_3repE0EEENS1_30default_config_static_selectorELNS0_4arch9wavefront6targetE1EEEvT1_,comdat
.Lfunc_end19:
	.size	_ZN7rocprim17ROCPRIM_400000_NS6detail17trampoline_kernelINS0_14default_configENS1_25transform_config_selectorImLb1EEEZNS1_14transform_implILb1ES3_S5_PmPlNS0_8identityIvEEEE10hipError_tT2_T3_mT4_P12ihipStream_tbEUlT_E_NS1_11comp_targetILNS1_3genE9ELNS1_11target_archE1100ELNS1_3gpuE3ELNS1_3repE0EEENS1_30default_config_static_selectorELNS0_4arch9wavefront6targetE1EEEvT1_, .Lfunc_end19-_ZN7rocprim17ROCPRIM_400000_NS6detail17trampoline_kernelINS0_14default_configENS1_25transform_config_selectorImLb1EEEZNS1_14transform_implILb1ES3_S5_PmPlNS0_8identityIvEEEE10hipError_tT2_T3_mT4_P12ihipStream_tbEUlT_E_NS1_11comp_targetILNS1_3genE9ELNS1_11target_archE1100ELNS1_3gpuE3ELNS1_3repE0EEENS1_30default_config_static_selectorELNS0_4arch9wavefront6targetE1EEEvT1_
                                        ; -- End function
	.section	.AMDGPU.csdata,"",@progbits
; Kernel info:
; codeLenInByte = 0
; NumSgprs: 4
; NumVgprs: 0
; NumAgprs: 0
; TotalNumVgprs: 0
; ScratchSize: 0
; MemoryBound: 0
; FloatMode: 240
; IeeeMode: 1
; LDSByteSize: 0 bytes/workgroup (compile time only)
; SGPRBlocks: 0
; VGPRBlocks: 0
; NumSGPRsForWavesPerEU: 4
; NumVGPRsForWavesPerEU: 1
; AccumOffset: 4
; Occupancy: 8
; WaveLimiterHint : 0
; COMPUTE_PGM_RSRC2:SCRATCH_EN: 0
; COMPUTE_PGM_RSRC2:USER_SGPR: 6
; COMPUTE_PGM_RSRC2:TRAP_HANDLER: 0
; COMPUTE_PGM_RSRC2:TGID_X_EN: 1
; COMPUTE_PGM_RSRC2:TGID_Y_EN: 0
; COMPUTE_PGM_RSRC2:TGID_Z_EN: 0
; COMPUTE_PGM_RSRC2:TIDIG_COMP_CNT: 0
; COMPUTE_PGM_RSRC3_GFX90A:ACCUM_OFFSET: 0
; COMPUTE_PGM_RSRC3_GFX90A:TG_SPLIT: 0
	.section	.text._ZN7rocprim17ROCPRIM_400000_NS6detail17trampoline_kernelINS0_14default_configENS1_25transform_config_selectorImLb1EEEZNS1_14transform_implILb1ES3_S5_PmPlNS0_8identityIvEEEE10hipError_tT2_T3_mT4_P12ihipStream_tbEUlT_E_NS1_11comp_targetILNS1_3genE8ELNS1_11target_archE1030ELNS1_3gpuE2ELNS1_3repE0EEENS1_30default_config_static_selectorELNS0_4arch9wavefront6targetE1EEEvT1_,"axG",@progbits,_ZN7rocprim17ROCPRIM_400000_NS6detail17trampoline_kernelINS0_14default_configENS1_25transform_config_selectorImLb1EEEZNS1_14transform_implILb1ES3_S5_PmPlNS0_8identityIvEEEE10hipError_tT2_T3_mT4_P12ihipStream_tbEUlT_E_NS1_11comp_targetILNS1_3genE8ELNS1_11target_archE1030ELNS1_3gpuE2ELNS1_3repE0EEENS1_30default_config_static_selectorELNS0_4arch9wavefront6targetE1EEEvT1_,comdat
	.protected	_ZN7rocprim17ROCPRIM_400000_NS6detail17trampoline_kernelINS0_14default_configENS1_25transform_config_selectorImLb1EEEZNS1_14transform_implILb1ES3_S5_PmPlNS0_8identityIvEEEE10hipError_tT2_T3_mT4_P12ihipStream_tbEUlT_E_NS1_11comp_targetILNS1_3genE8ELNS1_11target_archE1030ELNS1_3gpuE2ELNS1_3repE0EEENS1_30default_config_static_selectorELNS0_4arch9wavefront6targetE1EEEvT1_ ; -- Begin function _ZN7rocprim17ROCPRIM_400000_NS6detail17trampoline_kernelINS0_14default_configENS1_25transform_config_selectorImLb1EEEZNS1_14transform_implILb1ES3_S5_PmPlNS0_8identityIvEEEE10hipError_tT2_T3_mT4_P12ihipStream_tbEUlT_E_NS1_11comp_targetILNS1_3genE8ELNS1_11target_archE1030ELNS1_3gpuE2ELNS1_3repE0EEENS1_30default_config_static_selectorELNS0_4arch9wavefront6targetE1EEEvT1_
	.globl	_ZN7rocprim17ROCPRIM_400000_NS6detail17trampoline_kernelINS0_14default_configENS1_25transform_config_selectorImLb1EEEZNS1_14transform_implILb1ES3_S5_PmPlNS0_8identityIvEEEE10hipError_tT2_T3_mT4_P12ihipStream_tbEUlT_E_NS1_11comp_targetILNS1_3genE8ELNS1_11target_archE1030ELNS1_3gpuE2ELNS1_3repE0EEENS1_30default_config_static_selectorELNS0_4arch9wavefront6targetE1EEEvT1_
	.p2align	8
	.type	_ZN7rocprim17ROCPRIM_400000_NS6detail17trampoline_kernelINS0_14default_configENS1_25transform_config_selectorImLb1EEEZNS1_14transform_implILb1ES3_S5_PmPlNS0_8identityIvEEEE10hipError_tT2_T3_mT4_P12ihipStream_tbEUlT_E_NS1_11comp_targetILNS1_3genE8ELNS1_11target_archE1030ELNS1_3gpuE2ELNS1_3repE0EEENS1_30default_config_static_selectorELNS0_4arch9wavefront6targetE1EEEvT1_,@function
_ZN7rocprim17ROCPRIM_400000_NS6detail17trampoline_kernelINS0_14default_configENS1_25transform_config_selectorImLb1EEEZNS1_14transform_implILb1ES3_S5_PmPlNS0_8identityIvEEEE10hipError_tT2_T3_mT4_P12ihipStream_tbEUlT_E_NS1_11comp_targetILNS1_3genE8ELNS1_11target_archE1030ELNS1_3gpuE2ELNS1_3repE0EEENS1_30default_config_static_selectorELNS0_4arch9wavefront6targetE1EEEvT1_: ; @_ZN7rocprim17ROCPRIM_400000_NS6detail17trampoline_kernelINS0_14default_configENS1_25transform_config_selectorImLb1EEEZNS1_14transform_implILb1ES3_S5_PmPlNS0_8identityIvEEEE10hipError_tT2_T3_mT4_P12ihipStream_tbEUlT_E_NS1_11comp_targetILNS1_3genE8ELNS1_11target_archE1030ELNS1_3gpuE2ELNS1_3repE0EEENS1_30default_config_static_selectorELNS0_4arch9wavefront6targetE1EEEvT1_
; %bb.0:
	.section	.rodata,"a",@progbits
	.p2align	6, 0x0
	.amdhsa_kernel _ZN7rocprim17ROCPRIM_400000_NS6detail17trampoline_kernelINS0_14default_configENS1_25transform_config_selectorImLb1EEEZNS1_14transform_implILb1ES3_S5_PmPlNS0_8identityIvEEEE10hipError_tT2_T3_mT4_P12ihipStream_tbEUlT_E_NS1_11comp_targetILNS1_3genE8ELNS1_11target_archE1030ELNS1_3gpuE2ELNS1_3repE0EEENS1_30default_config_static_selectorELNS0_4arch9wavefront6targetE1EEEvT1_
		.amdhsa_group_segment_fixed_size 0
		.amdhsa_private_segment_fixed_size 0
		.amdhsa_kernarg_size 40
		.amdhsa_user_sgpr_count 6
		.amdhsa_user_sgpr_private_segment_buffer 1
		.amdhsa_user_sgpr_dispatch_ptr 0
		.amdhsa_user_sgpr_queue_ptr 0
		.amdhsa_user_sgpr_kernarg_segment_ptr 1
		.amdhsa_user_sgpr_dispatch_id 0
		.amdhsa_user_sgpr_flat_scratch_init 0
		.amdhsa_user_sgpr_kernarg_preload_length 0
		.amdhsa_user_sgpr_kernarg_preload_offset 0
		.amdhsa_user_sgpr_private_segment_size 0
		.amdhsa_uses_dynamic_stack 0
		.amdhsa_system_sgpr_private_segment_wavefront_offset 0
		.amdhsa_system_sgpr_workgroup_id_x 1
		.amdhsa_system_sgpr_workgroup_id_y 0
		.amdhsa_system_sgpr_workgroup_id_z 0
		.amdhsa_system_sgpr_workgroup_info 0
		.amdhsa_system_vgpr_workitem_id 0
		.amdhsa_next_free_vgpr 1
		.amdhsa_next_free_sgpr 0
		.amdhsa_accum_offset 4
		.amdhsa_reserve_vcc 0
		.amdhsa_reserve_flat_scratch 0
		.amdhsa_float_round_mode_32 0
		.amdhsa_float_round_mode_16_64 0
		.amdhsa_float_denorm_mode_32 3
		.amdhsa_float_denorm_mode_16_64 3
		.amdhsa_dx10_clamp 1
		.amdhsa_ieee_mode 1
		.amdhsa_fp16_overflow 0
		.amdhsa_tg_split 0
		.amdhsa_exception_fp_ieee_invalid_op 0
		.amdhsa_exception_fp_denorm_src 0
		.amdhsa_exception_fp_ieee_div_zero 0
		.amdhsa_exception_fp_ieee_overflow 0
		.amdhsa_exception_fp_ieee_underflow 0
		.amdhsa_exception_fp_ieee_inexact 0
		.amdhsa_exception_int_div_zero 0
	.end_amdhsa_kernel
	.section	.text._ZN7rocprim17ROCPRIM_400000_NS6detail17trampoline_kernelINS0_14default_configENS1_25transform_config_selectorImLb1EEEZNS1_14transform_implILb1ES3_S5_PmPlNS0_8identityIvEEEE10hipError_tT2_T3_mT4_P12ihipStream_tbEUlT_E_NS1_11comp_targetILNS1_3genE8ELNS1_11target_archE1030ELNS1_3gpuE2ELNS1_3repE0EEENS1_30default_config_static_selectorELNS0_4arch9wavefront6targetE1EEEvT1_,"axG",@progbits,_ZN7rocprim17ROCPRIM_400000_NS6detail17trampoline_kernelINS0_14default_configENS1_25transform_config_selectorImLb1EEEZNS1_14transform_implILb1ES3_S5_PmPlNS0_8identityIvEEEE10hipError_tT2_T3_mT4_P12ihipStream_tbEUlT_E_NS1_11comp_targetILNS1_3genE8ELNS1_11target_archE1030ELNS1_3gpuE2ELNS1_3repE0EEENS1_30default_config_static_selectorELNS0_4arch9wavefront6targetE1EEEvT1_,comdat
.Lfunc_end20:
	.size	_ZN7rocprim17ROCPRIM_400000_NS6detail17trampoline_kernelINS0_14default_configENS1_25transform_config_selectorImLb1EEEZNS1_14transform_implILb1ES3_S5_PmPlNS0_8identityIvEEEE10hipError_tT2_T3_mT4_P12ihipStream_tbEUlT_E_NS1_11comp_targetILNS1_3genE8ELNS1_11target_archE1030ELNS1_3gpuE2ELNS1_3repE0EEENS1_30default_config_static_selectorELNS0_4arch9wavefront6targetE1EEEvT1_, .Lfunc_end20-_ZN7rocprim17ROCPRIM_400000_NS6detail17trampoline_kernelINS0_14default_configENS1_25transform_config_selectorImLb1EEEZNS1_14transform_implILb1ES3_S5_PmPlNS0_8identityIvEEEE10hipError_tT2_T3_mT4_P12ihipStream_tbEUlT_E_NS1_11comp_targetILNS1_3genE8ELNS1_11target_archE1030ELNS1_3gpuE2ELNS1_3repE0EEENS1_30default_config_static_selectorELNS0_4arch9wavefront6targetE1EEEvT1_
                                        ; -- End function
	.section	.AMDGPU.csdata,"",@progbits
; Kernel info:
; codeLenInByte = 0
; NumSgprs: 4
; NumVgprs: 0
; NumAgprs: 0
; TotalNumVgprs: 0
; ScratchSize: 0
; MemoryBound: 0
; FloatMode: 240
; IeeeMode: 1
; LDSByteSize: 0 bytes/workgroup (compile time only)
; SGPRBlocks: 0
; VGPRBlocks: 0
; NumSGPRsForWavesPerEU: 4
; NumVGPRsForWavesPerEU: 1
; AccumOffset: 4
; Occupancy: 8
; WaveLimiterHint : 0
; COMPUTE_PGM_RSRC2:SCRATCH_EN: 0
; COMPUTE_PGM_RSRC2:USER_SGPR: 6
; COMPUTE_PGM_RSRC2:TRAP_HANDLER: 0
; COMPUTE_PGM_RSRC2:TGID_X_EN: 1
; COMPUTE_PGM_RSRC2:TGID_Y_EN: 0
; COMPUTE_PGM_RSRC2:TGID_Z_EN: 0
; COMPUTE_PGM_RSRC2:TIDIG_COMP_CNT: 0
; COMPUTE_PGM_RSRC3_GFX90A:ACCUM_OFFSET: 0
; COMPUTE_PGM_RSRC3_GFX90A:TG_SPLIT: 0
	.section	.text._ZN7rocprim17ROCPRIM_400000_NS6detail31init_lookback_scan_state_kernelINS1_19lookback_scan_stateIjLb1ELb1EEENS1_16block_id_wrapperIjLb1EEEEEvT_jT0_jPNS7_10value_typeE,"axG",@progbits,_ZN7rocprim17ROCPRIM_400000_NS6detail31init_lookback_scan_state_kernelINS1_19lookback_scan_stateIjLb1ELb1EEENS1_16block_id_wrapperIjLb1EEEEEvT_jT0_jPNS7_10value_typeE,comdat
	.protected	_ZN7rocprim17ROCPRIM_400000_NS6detail31init_lookback_scan_state_kernelINS1_19lookback_scan_stateIjLb1ELb1EEENS1_16block_id_wrapperIjLb1EEEEEvT_jT0_jPNS7_10value_typeE ; -- Begin function _ZN7rocprim17ROCPRIM_400000_NS6detail31init_lookback_scan_state_kernelINS1_19lookback_scan_stateIjLb1ELb1EEENS1_16block_id_wrapperIjLb1EEEEEvT_jT0_jPNS7_10value_typeE
	.globl	_ZN7rocprim17ROCPRIM_400000_NS6detail31init_lookback_scan_state_kernelINS1_19lookback_scan_stateIjLb1ELb1EEENS1_16block_id_wrapperIjLb1EEEEEvT_jT0_jPNS7_10value_typeE
	.p2align	8
	.type	_ZN7rocprim17ROCPRIM_400000_NS6detail31init_lookback_scan_state_kernelINS1_19lookback_scan_stateIjLb1ELb1EEENS1_16block_id_wrapperIjLb1EEEEEvT_jT0_jPNS7_10value_typeE,@function
_ZN7rocprim17ROCPRIM_400000_NS6detail31init_lookback_scan_state_kernelINS1_19lookback_scan_stateIjLb1ELb1EEENS1_16block_id_wrapperIjLb1EEEEEvT_jT0_jPNS7_10value_typeE: ; @_ZN7rocprim17ROCPRIM_400000_NS6detail31init_lookback_scan_state_kernelINS1_19lookback_scan_stateIjLb1ELb1EEENS1_16block_id_wrapperIjLb1EEEEEvT_jT0_jPNS7_10value_typeE
; %bb.0:
	s_load_dword s7, s[4:5], 0x34
	s_load_dwordx2 s[2:3], s[4:5], 0x20
	s_load_dwordx2 s[0:1], s[4:5], 0x0
	s_load_dword s10, s[4:5], 0x8
	s_waitcnt lgkmcnt(0)
	s_and_b32 s7, s7, 0xffff
	s_mul_i32 s6, s6, s7
	s_cmp_eq_u64 s[2:3], 0
	v_add_u32_e32 v0, s6, v0
	s_cbranch_scc1 .LBB21_9
; %bb.1:
	s_load_dword s8, s[4:5], 0x18
	s_mov_b32 s9, 0
	s_waitcnt lgkmcnt(0)
	s_cmp_lt_u32 s8, s10
	s_cselect_b32 s6, s8, 0
	v_cmp_eq_u32_e32 vcc, s6, v0
	s_and_saveexec_b64 s[6:7], vcc
	s_cbranch_execz .LBB21_8
; %bb.2:
	s_add_i32 s8, s8, 64
	s_lshl_b64 s[8:9], s[8:9], 3
	s_add_u32 s8, s0, s8
	s_addc_u32 s9, s1, s9
	v_mov_b32_e32 v2, 0
	global_load_dwordx2 v[4:5], v2, s[8:9] glc
	s_waitcnt vmcnt(0)
	v_and_b32_e32 v3, 0xff, v5
	v_cmp_ne_u64_e32 vcc, 0, v[2:3]
	s_cbranch_vccnz .LBB21_7
; %bb.3:
	s_mov_b32 s11, 1
.LBB21_4:                               ; =>This Loop Header: Depth=1
                                        ;     Child Loop BB21_5 Depth 2
	s_max_u32 s12, s11, 1
.LBB21_5:                               ;   Parent Loop BB21_4 Depth=1
                                        ; =>  This Inner Loop Header: Depth=2
	s_add_i32 s12, s12, -1
	s_cmp_eq_u32 s12, 0
	s_sleep 1
	s_cbranch_scc0 .LBB21_5
; %bb.6:                                ;   in Loop: Header=BB21_4 Depth=1
	global_load_dwordx2 v[4:5], v2, s[8:9] glc
	s_cmp_lt_u32 s11, 32
	s_cselect_b64 s[12:13], -1, 0
	s_cmp_lg_u64 s[12:13], 0
	s_addc_u32 s11, s11, 0
	s_waitcnt vmcnt(0)
	v_and_b32_e32 v3, 0xff, v5
	v_cmp_ne_u64_e32 vcc, 0, v[2:3]
	s_cbranch_vccz .LBB21_4
.LBB21_7:
	v_mov_b32_e32 v1, 0
	global_store_dword v1, v4, s[2:3]
.LBB21_8:
	s_or_b64 exec, exec, s[6:7]
.LBB21_9:
	v_cmp_eq_u32_e32 vcc, 0, v0
	s_and_saveexec_b64 s[2:3], vcc
	s_cbranch_execnz .LBB21_13
; %bb.10:
	s_or_b64 exec, exec, s[2:3]
	v_cmp_gt_u32_e32 vcc, s10, v0
	s_and_saveexec_b64 s[2:3], vcc
	s_cbranch_execnz .LBB21_14
.LBB21_11:
	s_or_b64 exec, exec, s[2:3]
	v_cmp_gt_u32_e32 vcc, 64, v0
	s_and_saveexec_b64 s[2:3], vcc
	s_cbranch_execnz .LBB21_15
.LBB21_12:
	s_endpgm
.LBB21_13:
	s_load_dwordx2 s[4:5], s[4:5], 0x10
	v_mov_b32_e32 v1, 0
	s_waitcnt lgkmcnt(0)
	global_store_dword v1, v1, s[4:5]
	s_or_b64 exec, exec, s[2:3]
	v_cmp_gt_u32_e32 vcc, s10, v0
	s_and_saveexec_b64 s[2:3], vcc
	s_cbranch_execz .LBB21_11
.LBB21_14:
	v_add_u32_e32 v2, 64, v0
	v_mov_b32_e32 v3, 0
	v_lshlrev_b64 v[4:5], 3, v[2:3]
	v_mov_b32_e32 v1, s1
	v_add_co_u32_e32 v4, vcc, s0, v4
	v_addc_co_u32_e32 v5, vcc, v1, v5, vcc
	v_mov_b32_e32 v2, v3
	global_store_dwordx2 v[4:5], v[2:3], off
	s_or_b64 exec, exec, s[2:3]
	v_cmp_gt_u32_e32 vcc, 64, v0
	s_and_saveexec_b64 s[2:3], vcc
	s_cbranch_execz .LBB21_12
.LBB21_15:
	v_mov_b32_e32 v1, 0
	v_lshlrev_b64 v[2:3], 3, v[0:1]
	v_mov_b32_e32 v0, s1
	v_add_co_u32_e32 v2, vcc, s0, v2
	v_addc_co_u32_e32 v3, vcc, v0, v3, vcc
	v_mov_b32_e32 v5, 0xff
	v_mov_b32_e32 v4, v1
	global_store_dwordx2 v[2:3], v[4:5], off
	s_endpgm
	.section	.rodata,"a",@progbits
	.p2align	6, 0x0
	.amdhsa_kernel _ZN7rocprim17ROCPRIM_400000_NS6detail31init_lookback_scan_state_kernelINS1_19lookback_scan_stateIjLb1ELb1EEENS1_16block_id_wrapperIjLb1EEEEEvT_jT0_jPNS7_10value_typeE
		.amdhsa_group_segment_fixed_size 0
		.amdhsa_private_segment_fixed_size 0
		.amdhsa_kernarg_size 296
		.amdhsa_user_sgpr_count 6
		.amdhsa_user_sgpr_private_segment_buffer 1
		.amdhsa_user_sgpr_dispatch_ptr 0
		.amdhsa_user_sgpr_queue_ptr 0
		.amdhsa_user_sgpr_kernarg_segment_ptr 1
		.amdhsa_user_sgpr_dispatch_id 0
		.amdhsa_user_sgpr_flat_scratch_init 0
		.amdhsa_user_sgpr_kernarg_preload_length 0
		.amdhsa_user_sgpr_kernarg_preload_offset 0
		.amdhsa_user_sgpr_private_segment_size 0
		.amdhsa_uses_dynamic_stack 0
		.amdhsa_system_sgpr_private_segment_wavefront_offset 0
		.amdhsa_system_sgpr_workgroup_id_x 1
		.amdhsa_system_sgpr_workgroup_id_y 0
		.amdhsa_system_sgpr_workgroup_id_z 0
		.amdhsa_system_sgpr_workgroup_info 0
		.amdhsa_system_vgpr_workitem_id 0
		.amdhsa_next_free_vgpr 6
		.amdhsa_next_free_sgpr 14
		.amdhsa_accum_offset 8
		.amdhsa_reserve_vcc 1
		.amdhsa_reserve_flat_scratch 0
		.amdhsa_float_round_mode_32 0
		.amdhsa_float_round_mode_16_64 0
		.amdhsa_float_denorm_mode_32 3
		.amdhsa_float_denorm_mode_16_64 3
		.amdhsa_dx10_clamp 1
		.amdhsa_ieee_mode 1
		.amdhsa_fp16_overflow 0
		.amdhsa_tg_split 0
		.amdhsa_exception_fp_ieee_invalid_op 0
		.amdhsa_exception_fp_denorm_src 0
		.amdhsa_exception_fp_ieee_div_zero 0
		.amdhsa_exception_fp_ieee_overflow 0
		.amdhsa_exception_fp_ieee_underflow 0
		.amdhsa_exception_fp_ieee_inexact 0
		.amdhsa_exception_int_div_zero 0
	.end_amdhsa_kernel
	.section	.text._ZN7rocprim17ROCPRIM_400000_NS6detail31init_lookback_scan_state_kernelINS1_19lookback_scan_stateIjLb1ELb1EEENS1_16block_id_wrapperIjLb1EEEEEvT_jT0_jPNS7_10value_typeE,"axG",@progbits,_ZN7rocprim17ROCPRIM_400000_NS6detail31init_lookback_scan_state_kernelINS1_19lookback_scan_stateIjLb1ELb1EEENS1_16block_id_wrapperIjLb1EEEEEvT_jT0_jPNS7_10value_typeE,comdat
.Lfunc_end21:
	.size	_ZN7rocprim17ROCPRIM_400000_NS6detail31init_lookback_scan_state_kernelINS1_19lookback_scan_stateIjLb1ELb1EEENS1_16block_id_wrapperIjLb1EEEEEvT_jT0_jPNS7_10value_typeE, .Lfunc_end21-_ZN7rocprim17ROCPRIM_400000_NS6detail31init_lookback_scan_state_kernelINS1_19lookback_scan_stateIjLb1ELb1EEENS1_16block_id_wrapperIjLb1EEEEEvT_jT0_jPNS7_10value_typeE
                                        ; -- End function
	.section	.AMDGPU.csdata,"",@progbits
; Kernel info:
; codeLenInByte = 420
; NumSgprs: 18
; NumVgprs: 6
; NumAgprs: 0
; TotalNumVgprs: 6
; ScratchSize: 0
; MemoryBound: 0
; FloatMode: 240
; IeeeMode: 1
; LDSByteSize: 0 bytes/workgroup (compile time only)
; SGPRBlocks: 2
; VGPRBlocks: 0
; NumSGPRsForWavesPerEU: 18
; NumVGPRsForWavesPerEU: 6
; AccumOffset: 8
; Occupancy: 8
; WaveLimiterHint : 0
; COMPUTE_PGM_RSRC2:SCRATCH_EN: 0
; COMPUTE_PGM_RSRC2:USER_SGPR: 6
; COMPUTE_PGM_RSRC2:TRAP_HANDLER: 0
; COMPUTE_PGM_RSRC2:TGID_X_EN: 1
; COMPUTE_PGM_RSRC2:TGID_Y_EN: 0
; COMPUTE_PGM_RSRC2:TGID_Z_EN: 0
; COMPUTE_PGM_RSRC2:TIDIG_COMP_CNT: 0
; COMPUTE_PGM_RSRC3_GFX90A:ACCUM_OFFSET: 1
; COMPUTE_PGM_RSRC3_GFX90A:TG_SPLIT: 0
	.section	.text._ZN7rocprim17ROCPRIM_400000_NS6detail17trampoline_kernelINS0_14default_configENS1_25partition_config_selectorILNS1_17partition_subalgoE8EbNS0_10empty_typeEbEEZZNS1_14partition_implILS5_8ELb0ES3_jN6hipcub16HIPCUB_304000_NS22TransformInputIteratorIbN2at6native8internal12_GLOBAL__N_110LoadBoolOpEPKhlEEPS6_PKS6_NS0_5tupleIJPbS6_EEENSN_IJSK_SK_EEENS0_18inequality_wrapperINSA_8EqualityEEEPlJS6_EEE10hipError_tPvRmT3_T4_T5_T6_T7_T9_mT8_P12ihipStream_tbDpT10_ENKUlT_T0_E_clISt17integral_constantIbLb1EES1E_EEDaS19_S1A_EUlS19_E_NS1_11comp_targetILNS1_3genE0ELNS1_11target_archE4294967295ELNS1_3gpuE0ELNS1_3repE0EEENS1_30default_config_static_selectorELNS0_4arch9wavefront6targetE1EEEvT1_,"axG",@progbits,_ZN7rocprim17ROCPRIM_400000_NS6detail17trampoline_kernelINS0_14default_configENS1_25partition_config_selectorILNS1_17partition_subalgoE8EbNS0_10empty_typeEbEEZZNS1_14partition_implILS5_8ELb0ES3_jN6hipcub16HIPCUB_304000_NS22TransformInputIteratorIbN2at6native8internal12_GLOBAL__N_110LoadBoolOpEPKhlEEPS6_PKS6_NS0_5tupleIJPbS6_EEENSN_IJSK_SK_EEENS0_18inequality_wrapperINSA_8EqualityEEEPlJS6_EEE10hipError_tPvRmT3_T4_T5_T6_T7_T9_mT8_P12ihipStream_tbDpT10_ENKUlT_T0_E_clISt17integral_constantIbLb1EES1E_EEDaS19_S1A_EUlS19_E_NS1_11comp_targetILNS1_3genE0ELNS1_11target_archE4294967295ELNS1_3gpuE0ELNS1_3repE0EEENS1_30default_config_static_selectorELNS0_4arch9wavefront6targetE1EEEvT1_,comdat
	.globl	_ZN7rocprim17ROCPRIM_400000_NS6detail17trampoline_kernelINS0_14default_configENS1_25partition_config_selectorILNS1_17partition_subalgoE8EbNS0_10empty_typeEbEEZZNS1_14partition_implILS5_8ELb0ES3_jN6hipcub16HIPCUB_304000_NS22TransformInputIteratorIbN2at6native8internal12_GLOBAL__N_110LoadBoolOpEPKhlEEPS6_PKS6_NS0_5tupleIJPbS6_EEENSN_IJSK_SK_EEENS0_18inequality_wrapperINSA_8EqualityEEEPlJS6_EEE10hipError_tPvRmT3_T4_T5_T6_T7_T9_mT8_P12ihipStream_tbDpT10_ENKUlT_T0_E_clISt17integral_constantIbLb1EES1E_EEDaS19_S1A_EUlS19_E_NS1_11comp_targetILNS1_3genE0ELNS1_11target_archE4294967295ELNS1_3gpuE0ELNS1_3repE0EEENS1_30default_config_static_selectorELNS0_4arch9wavefront6targetE1EEEvT1_ ; -- Begin function _ZN7rocprim17ROCPRIM_400000_NS6detail17trampoline_kernelINS0_14default_configENS1_25partition_config_selectorILNS1_17partition_subalgoE8EbNS0_10empty_typeEbEEZZNS1_14partition_implILS5_8ELb0ES3_jN6hipcub16HIPCUB_304000_NS22TransformInputIteratorIbN2at6native8internal12_GLOBAL__N_110LoadBoolOpEPKhlEEPS6_PKS6_NS0_5tupleIJPbS6_EEENSN_IJSK_SK_EEENS0_18inequality_wrapperINSA_8EqualityEEEPlJS6_EEE10hipError_tPvRmT3_T4_T5_T6_T7_T9_mT8_P12ihipStream_tbDpT10_ENKUlT_T0_E_clISt17integral_constantIbLb1EES1E_EEDaS19_S1A_EUlS19_E_NS1_11comp_targetILNS1_3genE0ELNS1_11target_archE4294967295ELNS1_3gpuE0ELNS1_3repE0EEENS1_30default_config_static_selectorELNS0_4arch9wavefront6targetE1EEEvT1_
	.p2align	8
	.type	_ZN7rocprim17ROCPRIM_400000_NS6detail17trampoline_kernelINS0_14default_configENS1_25partition_config_selectorILNS1_17partition_subalgoE8EbNS0_10empty_typeEbEEZZNS1_14partition_implILS5_8ELb0ES3_jN6hipcub16HIPCUB_304000_NS22TransformInputIteratorIbN2at6native8internal12_GLOBAL__N_110LoadBoolOpEPKhlEEPS6_PKS6_NS0_5tupleIJPbS6_EEENSN_IJSK_SK_EEENS0_18inequality_wrapperINSA_8EqualityEEEPlJS6_EEE10hipError_tPvRmT3_T4_T5_T6_T7_T9_mT8_P12ihipStream_tbDpT10_ENKUlT_T0_E_clISt17integral_constantIbLb1EES1E_EEDaS19_S1A_EUlS19_E_NS1_11comp_targetILNS1_3genE0ELNS1_11target_archE4294967295ELNS1_3gpuE0ELNS1_3repE0EEENS1_30default_config_static_selectorELNS0_4arch9wavefront6targetE1EEEvT1_,@function
_ZN7rocprim17ROCPRIM_400000_NS6detail17trampoline_kernelINS0_14default_configENS1_25partition_config_selectorILNS1_17partition_subalgoE8EbNS0_10empty_typeEbEEZZNS1_14partition_implILS5_8ELb0ES3_jN6hipcub16HIPCUB_304000_NS22TransformInputIteratorIbN2at6native8internal12_GLOBAL__N_110LoadBoolOpEPKhlEEPS6_PKS6_NS0_5tupleIJPbS6_EEENSN_IJSK_SK_EEENS0_18inequality_wrapperINSA_8EqualityEEEPlJS6_EEE10hipError_tPvRmT3_T4_T5_T6_T7_T9_mT8_P12ihipStream_tbDpT10_ENKUlT_T0_E_clISt17integral_constantIbLb1EES1E_EEDaS19_S1A_EUlS19_E_NS1_11comp_targetILNS1_3genE0ELNS1_11target_archE4294967295ELNS1_3gpuE0ELNS1_3repE0EEENS1_30default_config_static_selectorELNS0_4arch9wavefront6targetE1EEEvT1_: ; @_ZN7rocprim17ROCPRIM_400000_NS6detail17trampoline_kernelINS0_14default_configENS1_25partition_config_selectorILNS1_17partition_subalgoE8EbNS0_10empty_typeEbEEZZNS1_14partition_implILS5_8ELb0ES3_jN6hipcub16HIPCUB_304000_NS22TransformInputIteratorIbN2at6native8internal12_GLOBAL__N_110LoadBoolOpEPKhlEEPS6_PKS6_NS0_5tupleIJPbS6_EEENSN_IJSK_SK_EEENS0_18inequality_wrapperINSA_8EqualityEEEPlJS6_EEE10hipError_tPvRmT3_T4_T5_T6_T7_T9_mT8_P12ihipStream_tbDpT10_ENKUlT_T0_E_clISt17integral_constantIbLb1EES1E_EEDaS19_S1A_EUlS19_E_NS1_11comp_targetILNS1_3genE0ELNS1_11target_archE4294967295ELNS1_3gpuE0ELNS1_3repE0EEENS1_30default_config_static_selectorELNS0_4arch9wavefront6targetE1EEEvT1_
; %bb.0:
	.section	.rodata,"a",@progbits
	.p2align	6, 0x0
	.amdhsa_kernel _ZN7rocprim17ROCPRIM_400000_NS6detail17trampoline_kernelINS0_14default_configENS1_25partition_config_selectorILNS1_17partition_subalgoE8EbNS0_10empty_typeEbEEZZNS1_14partition_implILS5_8ELb0ES3_jN6hipcub16HIPCUB_304000_NS22TransformInputIteratorIbN2at6native8internal12_GLOBAL__N_110LoadBoolOpEPKhlEEPS6_PKS6_NS0_5tupleIJPbS6_EEENSN_IJSK_SK_EEENS0_18inequality_wrapperINSA_8EqualityEEEPlJS6_EEE10hipError_tPvRmT3_T4_T5_T6_T7_T9_mT8_P12ihipStream_tbDpT10_ENKUlT_T0_E_clISt17integral_constantIbLb1EES1E_EEDaS19_S1A_EUlS19_E_NS1_11comp_targetILNS1_3genE0ELNS1_11target_archE4294967295ELNS1_3gpuE0ELNS1_3repE0EEENS1_30default_config_static_selectorELNS0_4arch9wavefront6targetE1EEEvT1_
		.amdhsa_group_segment_fixed_size 0
		.amdhsa_private_segment_fixed_size 0
		.amdhsa_kernarg_size 136
		.amdhsa_user_sgpr_count 6
		.amdhsa_user_sgpr_private_segment_buffer 1
		.amdhsa_user_sgpr_dispatch_ptr 0
		.amdhsa_user_sgpr_queue_ptr 0
		.amdhsa_user_sgpr_kernarg_segment_ptr 1
		.amdhsa_user_sgpr_dispatch_id 0
		.amdhsa_user_sgpr_flat_scratch_init 0
		.amdhsa_user_sgpr_kernarg_preload_length 0
		.amdhsa_user_sgpr_kernarg_preload_offset 0
		.amdhsa_user_sgpr_private_segment_size 0
		.amdhsa_uses_dynamic_stack 0
		.amdhsa_system_sgpr_private_segment_wavefront_offset 0
		.amdhsa_system_sgpr_workgroup_id_x 1
		.amdhsa_system_sgpr_workgroup_id_y 0
		.amdhsa_system_sgpr_workgroup_id_z 0
		.amdhsa_system_sgpr_workgroup_info 0
		.amdhsa_system_vgpr_workitem_id 0
		.amdhsa_next_free_vgpr 1
		.amdhsa_next_free_sgpr 0
		.amdhsa_accum_offset 4
		.amdhsa_reserve_vcc 0
		.amdhsa_reserve_flat_scratch 0
		.amdhsa_float_round_mode_32 0
		.amdhsa_float_round_mode_16_64 0
		.amdhsa_float_denorm_mode_32 3
		.amdhsa_float_denorm_mode_16_64 3
		.amdhsa_dx10_clamp 1
		.amdhsa_ieee_mode 1
		.amdhsa_fp16_overflow 0
		.amdhsa_tg_split 0
		.amdhsa_exception_fp_ieee_invalid_op 0
		.amdhsa_exception_fp_denorm_src 0
		.amdhsa_exception_fp_ieee_div_zero 0
		.amdhsa_exception_fp_ieee_overflow 0
		.amdhsa_exception_fp_ieee_underflow 0
		.amdhsa_exception_fp_ieee_inexact 0
		.amdhsa_exception_int_div_zero 0
	.end_amdhsa_kernel
	.section	.text._ZN7rocprim17ROCPRIM_400000_NS6detail17trampoline_kernelINS0_14default_configENS1_25partition_config_selectorILNS1_17partition_subalgoE8EbNS0_10empty_typeEbEEZZNS1_14partition_implILS5_8ELb0ES3_jN6hipcub16HIPCUB_304000_NS22TransformInputIteratorIbN2at6native8internal12_GLOBAL__N_110LoadBoolOpEPKhlEEPS6_PKS6_NS0_5tupleIJPbS6_EEENSN_IJSK_SK_EEENS0_18inequality_wrapperINSA_8EqualityEEEPlJS6_EEE10hipError_tPvRmT3_T4_T5_T6_T7_T9_mT8_P12ihipStream_tbDpT10_ENKUlT_T0_E_clISt17integral_constantIbLb1EES1E_EEDaS19_S1A_EUlS19_E_NS1_11comp_targetILNS1_3genE0ELNS1_11target_archE4294967295ELNS1_3gpuE0ELNS1_3repE0EEENS1_30default_config_static_selectorELNS0_4arch9wavefront6targetE1EEEvT1_,"axG",@progbits,_ZN7rocprim17ROCPRIM_400000_NS6detail17trampoline_kernelINS0_14default_configENS1_25partition_config_selectorILNS1_17partition_subalgoE8EbNS0_10empty_typeEbEEZZNS1_14partition_implILS5_8ELb0ES3_jN6hipcub16HIPCUB_304000_NS22TransformInputIteratorIbN2at6native8internal12_GLOBAL__N_110LoadBoolOpEPKhlEEPS6_PKS6_NS0_5tupleIJPbS6_EEENSN_IJSK_SK_EEENS0_18inequality_wrapperINSA_8EqualityEEEPlJS6_EEE10hipError_tPvRmT3_T4_T5_T6_T7_T9_mT8_P12ihipStream_tbDpT10_ENKUlT_T0_E_clISt17integral_constantIbLb1EES1E_EEDaS19_S1A_EUlS19_E_NS1_11comp_targetILNS1_3genE0ELNS1_11target_archE4294967295ELNS1_3gpuE0ELNS1_3repE0EEENS1_30default_config_static_selectorELNS0_4arch9wavefront6targetE1EEEvT1_,comdat
.Lfunc_end22:
	.size	_ZN7rocprim17ROCPRIM_400000_NS6detail17trampoline_kernelINS0_14default_configENS1_25partition_config_selectorILNS1_17partition_subalgoE8EbNS0_10empty_typeEbEEZZNS1_14partition_implILS5_8ELb0ES3_jN6hipcub16HIPCUB_304000_NS22TransformInputIteratorIbN2at6native8internal12_GLOBAL__N_110LoadBoolOpEPKhlEEPS6_PKS6_NS0_5tupleIJPbS6_EEENSN_IJSK_SK_EEENS0_18inequality_wrapperINSA_8EqualityEEEPlJS6_EEE10hipError_tPvRmT3_T4_T5_T6_T7_T9_mT8_P12ihipStream_tbDpT10_ENKUlT_T0_E_clISt17integral_constantIbLb1EES1E_EEDaS19_S1A_EUlS19_E_NS1_11comp_targetILNS1_3genE0ELNS1_11target_archE4294967295ELNS1_3gpuE0ELNS1_3repE0EEENS1_30default_config_static_selectorELNS0_4arch9wavefront6targetE1EEEvT1_, .Lfunc_end22-_ZN7rocprim17ROCPRIM_400000_NS6detail17trampoline_kernelINS0_14default_configENS1_25partition_config_selectorILNS1_17partition_subalgoE8EbNS0_10empty_typeEbEEZZNS1_14partition_implILS5_8ELb0ES3_jN6hipcub16HIPCUB_304000_NS22TransformInputIteratorIbN2at6native8internal12_GLOBAL__N_110LoadBoolOpEPKhlEEPS6_PKS6_NS0_5tupleIJPbS6_EEENSN_IJSK_SK_EEENS0_18inequality_wrapperINSA_8EqualityEEEPlJS6_EEE10hipError_tPvRmT3_T4_T5_T6_T7_T9_mT8_P12ihipStream_tbDpT10_ENKUlT_T0_E_clISt17integral_constantIbLb1EES1E_EEDaS19_S1A_EUlS19_E_NS1_11comp_targetILNS1_3genE0ELNS1_11target_archE4294967295ELNS1_3gpuE0ELNS1_3repE0EEENS1_30default_config_static_selectorELNS0_4arch9wavefront6targetE1EEEvT1_
                                        ; -- End function
	.section	.AMDGPU.csdata,"",@progbits
; Kernel info:
; codeLenInByte = 0
; NumSgprs: 4
; NumVgprs: 0
; NumAgprs: 0
; TotalNumVgprs: 0
; ScratchSize: 0
; MemoryBound: 0
; FloatMode: 240
; IeeeMode: 1
; LDSByteSize: 0 bytes/workgroup (compile time only)
; SGPRBlocks: 0
; VGPRBlocks: 0
; NumSGPRsForWavesPerEU: 4
; NumVGPRsForWavesPerEU: 1
; AccumOffset: 4
; Occupancy: 8
; WaveLimiterHint : 0
; COMPUTE_PGM_RSRC2:SCRATCH_EN: 0
; COMPUTE_PGM_RSRC2:USER_SGPR: 6
; COMPUTE_PGM_RSRC2:TRAP_HANDLER: 0
; COMPUTE_PGM_RSRC2:TGID_X_EN: 1
; COMPUTE_PGM_RSRC2:TGID_Y_EN: 0
; COMPUTE_PGM_RSRC2:TGID_Z_EN: 0
; COMPUTE_PGM_RSRC2:TIDIG_COMP_CNT: 0
; COMPUTE_PGM_RSRC3_GFX90A:ACCUM_OFFSET: 0
; COMPUTE_PGM_RSRC3_GFX90A:TG_SPLIT: 0
	.section	.text._ZN7rocprim17ROCPRIM_400000_NS6detail17trampoline_kernelINS0_14default_configENS1_25partition_config_selectorILNS1_17partition_subalgoE8EbNS0_10empty_typeEbEEZZNS1_14partition_implILS5_8ELb0ES3_jN6hipcub16HIPCUB_304000_NS22TransformInputIteratorIbN2at6native8internal12_GLOBAL__N_110LoadBoolOpEPKhlEEPS6_PKS6_NS0_5tupleIJPbS6_EEENSN_IJSK_SK_EEENS0_18inequality_wrapperINSA_8EqualityEEEPlJS6_EEE10hipError_tPvRmT3_T4_T5_T6_T7_T9_mT8_P12ihipStream_tbDpT10_ENKUlT_T0_E_clISt17integral_constantIbLb1EES1E_EEDaS19_S1A_EUlS19_E_NS1_11comp_targetILNS1_3genE5ELNS1_11target_archE942ELNS1_3gpuE9ELNS1_3repE0EEENS1_30default_config_static_selectorELNS0_4arch9wavefront6targetE1EEEvT1_,"axG",@progbits,_ZN7rocprim17ROCPRIM_400000_NS6detail17trampoline_kernelINS0_14default_configENS1_25partition_config_selectorILNS1_17partition_subalgoE8EbNS0_10empty_typeEbEEZZNS1_14partition_implILS5_8ELb0ES3_jN6hipcub16HIPCUB_304000_NS22TransformInputIteratorIbN2at6native8internal12_GLOBAL__N_110LoadBoolOpEPKhlEEPS6_PKS6_NS0_5tupleIJPbS6_EEENSN_IJSK_SK_EEENS0_18inequality_wrapperINSA_8EqualityEEEPlJS6_EEE10hipError_tPvRmT3_T4_T5_T6_T7_T9_mT8_P12ihipStream_tbDpT10_ENKUlT_T0_E_clISt17integral_constantIbLb1EES1E_EEDaS19_S1A_EUlS19_E_NS1_11comp_targetILNS1_3genE5ELNS1_11target_archE942ELNS1_3gpuE9ELNS1_3repE0EEENS1_30default_config_static_selectorELNS0_4arch9wavefront6targetE1EEEvT1_,comdat
	.globl	_ZN7rocprim17ROCPRIM_400000_NS6detail17trampoline_kernelINS0_14default_configENS1_25partition_config_selectorILNS1_17partition_subalgoE8EbNS0_10empty_typeEbEEZZNS1_14partition_implILS5_8ELb0ES3_jN6hipcub16HIPCUB_304000_NS22TransformInputIteratorIbN2at6native8internal12_GLOBAL__N_110LoadBoolOpEPKhlEEPS6_PKS6_NS0_5tupleIJPbS6_EEENSN_IJSK_SK_EEENS0_18inequality_wrapperINSA_8EqualityEEEPlJS6_EEE10hipError_tPvRmT3_T4_T5_T6_T7_T9_mT8_P12ihipStream_tbDpT10_ENKUlT_T0_E_clISt17integral_constantIbLb1EES1E_EEDaS19_S1A_EUlS19_E_NS1_11comp_targetILNS1_3genE5ELNS1_11target_archE942ELNS1_3gpuE9ELNS1_3repE0EEENS1_30default_config_static_selectorELNS0_4arch9wavefront6targetE1EEEvT1_ ; -- Begin function _ZN7rocprim17ROCPRIM_400000_NS6detail17trampoline_kernelINS0_14default_configENS1_25partition_config_selectorILNS1_17partition_subalgoE8EbNS0_10empty_typeEbEEZZNS1_14partition_implILS5_8ELb0ES3_jN6hipcub16HIPCUB_304000_NS22TransformInputIteratorIbN2at6native8internal12_GLOBAL__N_110LoadBoolOpEPKhlEEPS6_PKS6_NS0_5tupleIJPbS6_EEENSN_IJSK_SK_EEENS0_18inequality_wrapperINSA_8EqualityEEEPlJS6_EEE10hipError_tPvRmT3_T4_T5_T6_T7_T9_mT8_P12ihipStream_tbDpT10_ENKUlT_T0_E_clISt17integral_constantIbLb1EES1E_EEDaS19_S1A_EUlS19_E_NS1_11comp_targetILNS1_3genE5ELNS1_11target_archE942ELNS1_3gpuE9ELNS1_3repE0EEENS1_30default_config_static_selectorELNS0_4arch9wavefront6targetE1EEEvT1_
	.p2align	8
	.type	_ZN7rocprim17ROCPRIM_400000_NS6detail17trampoline_kernelINS0_14default_configENS1_25partition_config_selectorILNS1_17partition_subalgoE8EbNS0_10empty_typeEbEEZZNS1_14partition_implILS5_8ELb0ES3_jN6hipcub16HIPCUB_304000_NS22TransformInputIteratorIbN2at6native8internal12_GLOBAL__N_110LoadBoolOpEPKhlEEPS6_PKS6_NS0_5tupleIJPbS6_EEENSN_IJSK_SK_EEENS0_18inequality_wrapperINSA_8EqualityEEEPlJS6_EEE10hipError_tPvRmT3_T4_T5_T6_T7_T9_mT8_P12ihipStream_tbDpT10_ENKUlT_T0_E_clISt17integral_constantIbLb1EES1E_EEDaS19_S1A_EUlS19_E_NS1_11comp_targetILNS1_3genE5ELNS1_11target_archE942ELNS1_3gpuE9ELNS1_3repE0EEENS1_30default_config_static_selectorELNS0_4arch9wavefront6targetE1EEEvT1_,@function
_ZN7rocprim17ROCPRIM_400000_NS6detail17trampoline_kernelINS0_14default_configENS1_25partition_config_selectorILNS1_17partition_subalgoE8EbNS0_10empty_typeEbEEZZNS1_14partition_implILS5_8ELb0ES3_jN6hipcub16HIPCUB_304000_NS22TransformInputIteratorIbN2at6native8internal12_GLOBAL__N_110LoadBoolOpEPKhlEEPS6_PKS6_NS0_5tupleIJPbS6_EEENSN_IJSK_SK_EEENS0_18inequality_wrapperINSA_8EqualityEEEPlJS6_EEE10hipError_tPvRmT3_T4_T5_T6_T7_T9_mT8_P12ihipStream_tbDpT10_ENKUlT_T0_E_clISt17integral_constantIbLb1EES1E_EEDaS19_S1A_EUlS19_E_NS1_11comp_targetILNS1_3genE5ELNS1_11target_archE942ELNS1_3gpuE9ELNS1_3repE0EEENS1_30default_config_static_selectorELNS0_4arch9wavefront6targetE1EEEvT1_: ; @_ZN7rocprim17ROCPRIM_400000_NS6detail17trampoline_kernelINS0_14default_configENS1_25partition_config_selectorILNS1_17partition_subalgoE8EbNS0_10empty_typeEbEEZZNS1_14partition_implILS5_8ELb0ES3_jN6hipcub16HIPCUB_304000_NS22TransformInputIteratorIbN2at6native8internal12_GLOBAL__N_110LoadBoolOpEPKhlEEPS6_PKS6_NS0_5tupleIJPbS6_EEENSN_IJSK_SK_EEENS0_18inequality_wrapperINSA_8EqualityEEEPlJS6_EEE10hipError_tPvRmT3_T4_T5_T6_T7_T9_mT8_P12ihipStream_tbDpT10_ENKUlT_T0_E_clISt17integral_constantIbLb1EES1E_EEDaS19_S1A_EUlS19_E_NS1_11comp_targetILNS1_3genE5ELNS1_11target_archE942ELNS1_3gpuE9ELNS1_3repE0EEENS1_30default_config_static_selectorELNS0_4arch9wavefront6targetE1EEEvT1_
; %bb.0:
	.section	.rodata,"a",@progbits
	.p2align	6, 0x0
	.amdhsa_kernel _ZN7rocprim17ROCPRIM_400000_NS6detail17trampoline_kernelINS0_14default_configENS1_25partition_config_selectorILNS1_17partition_subalgoE8EbNS0_10empty_typeEbEEZZNS1_14partition_implILS5_8ELb0ES3_jN6hipcub16HIPCUB_304000_NS22TransformInputIteratorIbN2at6native8internal12_GLOBAL__N_110LoadBoolOpEPKhlEEPS6_PKS6_NS0_5tupleIJPbS6_EEENSN_IJSK_SK_EEENS0_18inequality_wrapperINSA_8EqualityEEEPlJS6_EEE10hipError_tPvRmT3_T4_T5_T6_T7_T9_mT8_P12ihipStream_tbDpT10_ENKUlT_T0_E_clISt17integral_constantIbLb1EES1E_EEDaS19_S1A_EUlS19_E_NS1_11comp_targetILNS1_3genE5ELNS1_11target_archE942ELNS1_3gpuE9ELNS1_3repE0EEENS1_30default_config_static_selectorELNS0_4arch9wavefront6targetE1EEEvT1_
		.amdhsa_group_segment_fixed_size 0
		.amdhsa_private_segment_fixed_size 0
		.amdhsa_kernarg_size 136
		.amdhsa_user_sgpr_count 6
		.amdhsa_user_sgpr_private_segment_buffer 1
		.amdhsa_user_sgpr_dispatch_ptr 0
		.amdhsa_user_sgpr_queue_ptr 0
		.amdhsa_user_sgpr_kernarg_segment_ptr 1
		.amdhsa_user_sgpr_dispatch_id 0
		.amdhsa_user_sgpr_flat_scratch_init 0
		.amdhsa_user_sgpr_kernarg_preload_length 0
		.amdhsa_user_sgpr_kernarg_preload_offset 0
		.amdhsa_user_sgpr_private_segment_size 0
		.amdhsa_uses_dynamic_stack 0
		.amdhsa_system_sgpr_private_segment_wavefront_offset 0
		.amdhsa_system_sgpr_workgroup_id_x 1
		.amdhsa_system_sgpr_workgroup_id_y 0
		.amdhsa_system_sgpr_workgroup_id_z 0
		.amdhsa_system_sgpr_workgroup_info 0
		.amdhsa_system_vgpr_workitem_id 0
		.amdhsa_next_free_vgpr 1
		.amdhsa_next_free_sgpr 0
		.amdhsa_accum_offset 4
		.amdhsa_reserve_vcc 0
		.amdhsa_reserve_flat_scratch 0
		.amdhsa_float_round_mode_32 0
		.amdhsa_float_round_mode_16_64 0
		.amdhsa_float_denorm_mode_32 3
		.amdhsa_float_denorm_mode_16_64 3
		.amdhsa_dx10_clamp 1
		.amdhsa_ieee_mode 1
		.amdhsa_fp16_overflow 0
		.amdhsa_tg_split 0
		.amdhsa_exception_fp_ieee_invalid_op 0
		.amdhsa_exception_fp_denorm_src 0
		.amdhsa_exception_fp_ieee_div_zero 0
		.amdhsa_exception_fp_ieee_overflow 0
		.amdhsa_exception_fp_ieee_underflow 0
		.amdhsa_exception_fp_ieee_inexact 0
		.amdhsa_exception_int_div_zero 0
	.end_amdhsa_kernel
	.section	.text._ZN7rocprim17ROCPRIM_400000_NS6detail17trampoline_kernelINS0_14default_configENS1_25partition_config_selectorILNS1_17partition_subalgoE8EbNS0_10empty_typeEbEEZZNS1_14partition_implILS5_8ELb0ES3_jN6hipcub16HIPCUB_304000_NS22TransformInputIteratorIbN2at6native8internal12_GLOBAL__N_110LoadBoolOpEPKhlEEPS6_PKS6_NS0_5tupleIJPbS6_EEENSN_IJSK_SK_EEENS0_18inequality_wrapperINSA_8EqualityEEEPlJS6_EEE10hipError_tPvRmT3_T4_T5_T6_T7_T9_mT8_P12ihipStream_tbDpT10_ENKUlT_T0_E_clISt17integral_constantIbLb1EES1E_EEDaS19_S1A_EUlS19_E_NS1_11comp_targetILNS1_3genE5ELNS1_11target_archE942ELNS1_3gpuE9ELNS1_3repE0EEENS1_30default_config_static_selectorELNS0_4arch9wavefront6targetE1EEEvT1_,"axG",@progbits,_ZN7rocprim17ROCPRIM_400000_NS6detail17trampoline_kernelINS0_14default_configENS1_25partition_config_selectorILNS1_17partition_subalgoE8EbNS0_10empty_typeEbEEZZNS1_14partition_implILS5_8ELb0ES3_jN6hipcub16HIPCUB_304000_NS22TransformInputIteratorIbN2at6native8internal12_GLOBAL__N_110LoadBoolOpEPKhlEEPS6_PKS6_NS0_5tupleIJPbS6_EEENSN_IJSK_SK_EEENS0_18inequality_wrapperINSA_8EqualityEEEPlJS6_EEE10hipError_tPvRmT3_T4_T5_T6_T7_T9_mT8_P12ihipStream_tbDpT10_ENKUlT_T0_E_clISt17integral_constantIbLb1EES1E_EEDaS19_S1A_EUlS19_E_NS1_11comp_targetILNS1_3genE5ELNS1_11target_archE942ELNS1_3gpuE9ELNS1_3repE0EEENS1_30default_config_static_selectorELNS0_4arch9wavefront6targetE1EEEvT1_,comdat
.Lfunc_end23:
	.size	_ZN7rocprim17ROCPRIM_400000_NS6detail17trampoline_kernelINS0_14default_configENS1_25partition_config_selectorILNS1_17partition_subalgoE8EbNS0_10empty_typeEbEEZZNS1_14partition_implILS5_8ELb0ES3_jN6hipcub16HIPCUB_304000_NS22TransformInputIteratorIbN2at6native8internal12_GLOBAL__N_110LoadBoolOpEPKhlEEPS6_PKS6_NS0_5tupleIJPbS6_EEENSN_IJSK_SK_EEENS0_18inequality_wrapperINSA_8EqualityEEEPlJS6_EEE10hipError_tPvRmT3_T4_T5_T6_T7_T9_mT8_P12ihipStream_tbDpT10_ENKUlT_T0_E_clISt17integral_constantIbLb1EES1E_EEDaS19_S1A_EUlS19_E_NS1_11comp_targetILNS1_3genE5ELNS1_11target_archE942ELNS1_3gpuE9ELNS1_3repE0EEENS1_30default_config_static_selectorELNS0_4arch9wavefront6targetE1EEEvT1_, .Lfunc_end23-_ZN7rocprim17ROCPRIM_400000_NS6detail17trampoline_kernelINS0_14default_configENS1_25partition_config_selectorILNS1_17partition_subalgoE8EbNS0_10empty_typeEbEEZZNS1_14partition_implILS5_8ELb0ES3_jN6hipcub16HIPCUB_304000_NS22TransformInputIteratorIbN2at6native8internal12_GLOBAL__N_110LoadBoolOpEPKhlEEPS6_PKS6_NS0_5tupleIJPbS6_EEENSN_IJSK_SK_EEENS0_18inequality_wrapperINSA_8EqualityEEEPlJS6_EEE10hipError_tPvRmT3_T4_T5_T6_T7_T9_mT8_P12ihipStream_tbDpT10_ENKUlT_T0_E_clISt17integral_constantIbLb1EES1E_EEDaS19_S1A_EUlS19_E_NS1_11comp_targetILNS1_3genE5ELNS1_11target_archE942ELNS1_3gpuE9ELNS1_3repE0EEENS1_30default_config_static_selectorELNS0_4arch9wavefront6targetE1EEEvT1_
                                        ; -- End function
	.section	.AMDGPU.csdata,"",@progbits
; Kernel info:
; codeLenInByte = 0
; NumSgprs: 4
; NumVgprs: 0
; NumAgprs: 0
; TotalNumVgprs: 0
; ScratchSize: 0
; MemoryBound: 0
; FloatMode: 240
; IeeeMode: 1
; LDSByteSize: 0 bytes/workgroup (compile time only)
; SGPRBlocks: 0
; VGPRBlocks: 0
; NumSGPRsForWavesPerEU: 4
; NumVGPRsForWavesPerEU: 1
; AccumOffset: 4
; Occupancy: 8
; WaveLimiterHint : 0
; COMPUTE_PGM_RSRC2:SCRATCH_EN: 0
; COMPUTE_PGM_RSRC2:USER_SGPR: 6
; COMPUTE_PGM_RSRC2:TRAP_HANDLER: 0
; COMPUTE_PGM_RSRC2:TGID_X_EN: 1
; COMPUTE_PGM_RSRC2:TGID_Y_EN: 0
; COMPUTE_PGM_RSRC2:TGID_Z_EN: 0
; COMPUTE_PGM_RSRC2:TIDIG_COMP_CNT: 0
; COMPUTE_PGM_RSRC3_GFX90A:ACCUM_OFFSET: 0
; COMPUTE_PGM_RSRC3_GFX90A:TG_SPLIT: 0
	.section	.text._ZN7rocprim17ROCPRIM_400000_NS6detail17trampoline_kernelINS0_14default_configENS1_25partition_config_selectorILNS1_17partition_subalgoE8EbNS0_10empty_typeEbEEZZNS1_14partition_implILS5_8ELb0ES3_jN6hipcub16HIPCUB_304000_NS22TransformInputIteratorIbN2at6native8internal12_GLOBAL__N_110LoadBoolOpEPKhlEEPS6_PKS6_NS0_5tupleIJPbS6_EEENSN_IJSK_SK_EEENS0_18inequality_wrapperINSA_8EqualityEEEPlJS6_EEE10hipError_tPvRmT3_T4_T5_T6_T7_T9_mT8_P12ihipStream_tbDpT10_ENKUlT_T0_E_clISt17integral_constantIbLb1EES1E_EEDaS19_S1A_EUlS19_E_NS1_11comp_targetILNS1_3genE4ELNS1_11target_archE910ELNS1_3gpuE8ELNS1_3repE0EEENS1_30default_config_static_selectorELNS0_4arch9wavefront6targetE1EEEvT1_,"axG",@progbits,_ZN7rocprim17ROCPRIM_400000_NS6detail17trampoline_kernelINS0_14default_configENS1_25partition_config_selectorILNS1_17partition_subalgoE8EbNS0_10empty_typeEbEEZZNS1_14partition_implILS5_8ELb0ES3_jN6hipcub16HIPCUB_304000_NS22TransformInputIteratorIbN2at6native8internal12_GLOBAL__N_110LoadBoolOpEPKhlEEPS6_PKS6_NS0_5tupleIJPbS6_EEENSN_IJSK_SK_EEENS0_18inequality_wrapperINSA_8EqualityEEEPlJS6_EEE10hipError_tPvRmT3_T4_T5_T6_T7_T9_mT8_P12ihipStream_tbDpT10_ENKUlT_T0_E_clISt17integral_constantIbLb1EES1E_EEDaS19_S1A_EUlS19_E_NS1_11comp_targetILNS1_3genE4ELNS1_11target_archE910ELNS1_3gpuE8ELNS1_3repE0EEENS1_30default_config_static_selectorELNS0_4arch9wavefront6targetE1EEEvT1_,comdat
	.globl	_ZN7rocprim17ROCPRIM_400000_NS6detail17trampoline_kernelINS0_14default_configENS1_25partition_config_selectorILNS1_17partition_subalgoE8EbNS0_10empty_typeEbEEZZNS1_14partition_implILS5_8ELb0ES3_jN6hipcub16HIPCUB_304000_NS22TransformInputIteratorIbN2at6native8internal12_GLOBAL__N_110LoadBoolOpEPKhlEEPS6_PKS6_NS0_5tupleIJPbS6_EEENSN_IJSK_SK_EEENS0_18inequality_wrapperINSA_8EqualityEEEPlJS6_EEE10hipError_tPvRmT3_T4_T5_T6_T7_T9_mT8_P12ihipStream_tbDpT10_ENKUlT_T0_E_clISt17integral_constantIbLb1EES1E_EEDaS19_S1A_EUlS19_E_NS1_11comp_targetILNS1_3genE4ELNS1_11target_archE910ELNS1_3gpuE8ELNS1_3repE0EEENS1_30default_config_static_selectorELNS0_4arch9wavefront6targetE1EEEvT1_ ; -- Begin function _ZN7rocprim17ROCPRIM_400000_NS6detail17trampoline_kernelINS0_14default_configENS1_25partition_config_selectorILNS1_17partition_subalgoE8EbNS0_10empty_typeEbEEZZNS1_14partition_implILS5_8ELb0ES3_jN6hipcub16HIPCUB_304000_NS22TransformInputIteratorIbN2at6native8internal12_GLOBAL__N_110LoadBoolOpEPKhlEEPS6_PKS6_NS0_5tupleIJPbS6_EEENSN_IJSK_SK_EEENS0_18inequality_wrapperINSA_8EqualityEEEPlJS6_EEE10hipError_tPvRmT3_T4_T5_T6_T7_T9_mT8_P12ihipStream_tbDpT10_ENKUlT_T0_E_clISt17integral_constantIbLb1EES1E_EEDaS19_S1A_EUlS19_E_NS1_11comp_targetILNS1_3genE4ELNS1_11target_archE910ELNS1_3gpuE8ELNS1_3repE0EEENS1_30default_config_static_selectorELNS0_4arch9wavefront6targetE1EEEvT1_
	.p2align	8
	.type	_ZN7rocprim17ROCPRIM_400000_NS6detail17trampoline_kernelINS0_14default_configENS1_25partition_config_selectorILNS1_17partition_subalgoE8EbNS0_10empty_typeEbEEZZNS1_14partition_implILS5_8ELb0ES3_jN6hipcub16HIPCUB_304000_NS22TransformInputIteratorIbN2at6native8internal12_GLOBAL__N_110LoadBoolOpEPKhlEEPS6_PKS6_NS0_5tupleIJPbS6_EEENSN_IJSK_SK_EEENS0_18inequality_wrapperINSA_8EqualityEEEPlJS6_EEE10hipError_tPvRmT3_T4_T5_T6_T7_T9_mT8_P12ihipStream_tbDpT10_ENKUlT_T0_E_clISt17integral_constantIbLb1EES1E_EEDaS19_S1A_EUlS19_E_NS1_11comp_targetILNS1_3genE4ELNS1_11target_archE910ELNS1_3gpuE8ELNS1_3repE0EEENS1_30default_config_static_selectorELNS0_4arch9wavefront6targetE1EEEvT1_,@function
_ZN7rocprim17ROCPRIM_400000_NS6detail17trampoline_kernelINS0_14default_configENS1_25partition_config_selectorILNS1_17partition_subalgoE8EbNS0_10empty_typeEbEEZZNS1_14partition_implILS5_8ELb0ES3_jN6hipcub16HIPCUB_304000_NS22TransformInputIteratorIbN2at6native8internal12_GLOBAL__N_110LoadBoolOpEPKhlEEPS6_PKS6_NS0_5tupleIJPbS6_EEENSN_IJSK_SK_EEENS0_18inequality_wrapperINSA_8EqualityEEEPlJS6_EEE10hipError_tPvRmT3_T4_T5_T6_T7_T9_mT8_P12ihipStream_tbDpT10_ENKUlT_T0_E_clISt17integral_constantIbLb1EES1E_EEDaS19_S1A_EUlS19_E_NS1_11comp_targetILNS1_3genE4ELNS1_11target_archE910ELNS1_3gpuE8ELNS1_3repE0EEENS1_30default_config_static_selectorELNS0_4arch9wavefront6targetE1EEEvT1_: ; @_ZN7rocprim17ROCPRIM_400000_NS6detail17trampoline_kernelINS0_14default_configENS1_25partition_config_selectorILNS1_17partition_subalgoE8EbNS0_10empty_typeEbEEZZNS1_14partition_implILS5_8ELb0ES3_jN6hipcub16HIPCUB_304000_NS22TransformInputIteratorIbN2at6native8internal12_GLOBAL__N_110LoadBoolOpEPKhlEEPS6_PKS6_NS0_5tupleIJPbS6_EEENSN_IJSK_SK_EEENS0_18inequality_wrapperINSA_8EqualityEEEPlJS6_EEE10hipError_tPvRmT3_T4_T5_T6_T7_T9_mT8_P12ihipStream_tbDpT10_ENKUlT_T0_E_clISt17integral_constantIbLb1EES1E_EEDaS19_S1A_EUlS19_E_NS1_11comp_targetILNS1_3genE4ELNS1_11target_archE910ELNS1_3gpuE8ELNS1_3repE0EEENS1_30default_config_static_selectorELNS0_4arch9wavefront6targetE1EEEvT1_
; %bb.0:
	s_load_dwordx2 s[6:7], s[4:5], 0x8
	s_load_dwordx2 s[8:9], s[4:5], 0x18
	;; [unrolled: 1-line block ×4, first 2 shown]
	s_load_dwordx4 s[20:23], s[4:5], 0x48
	s_load_dwordx2 s[26:27], s[4:5], 0x68
	v_cmp_ne_u32_e64 s[2:3], 0, v0
	v_cmp_eq_u32_e64 s[0:1], 0, v0
	s_and_saveexec_b64 s[12:13], s[0:1]
	s_cbranch_execz .LBB24_4
; %bb.1:
	s_mov_b64 s[16:17], exec
	v_mbcnt_lo_u32_b32 v1, s16, 0
	v_mbcnt_hi_u32_b32 v1, s17, v1
	v_cmp_eq_u32_e32 vcc, 0, v1
                                        ; implicit-def: $vgpr2
	s_and_saveexec_b64 s[14:15], vcc
	s_cbranch_execz .LBB24_3
; %bb.2:
	s_load_dwordx2 s[18:19], s[4:5], 0x78
	s_bcnt1_i32_b64 s16, s[16:17]
	v_mov_b32_e32 v2, 0
	v_mov_b32_e32 v3, s16
	s_waitcnt lgkmcnt(0)
	global_atomic_add v2, v2, v3, s[18:19] glc
.LBB24_3:
	s_or_b64 exec, exec, s[14:15]
	s_waitcnt vmcnt(0)
	v_readfirstlane_b32 s14, v2
	v_add_u32_e32 v1, s14, v1
	v_mov_b32_e32 v2, 0
	ds_write_b32 v2, v1
.LBB24_4:
	s_or_b64 exec, exec, s[12:13]
	v_mov_b32_e32 v1, 0
	s_waitcnt lgkmcnt(0)
	s_barrier
	ds_read_b32 v4, v1
	s_waitcnt lgkmcnt(0)
	s_barrier
	global_load_dwordx2 v[16:17], v1, s[22:23]
	s_load_dword s4, s[4:5], 0x70
	s_add_u32 s12, s6, s8
	s_addc_u32 s13, s7, s9
	v_mov_b32_e32 v3, s11
	v_readfirstlane_b32 s33, v4
	s_waitcnt lgkmcnt(0)
	s_add_i32 s6, s4, -1
	s_lshl_b32 s5, s6, 12
	s_add_i32 s11, s8, s5
	s_lshl_b32 s4, s4, 12
	s_add_u32 s4, s8, s4
	s_addc_u32 s5, s9, 0
	v_mov_b32_e32 v2, s10
	s_cmp_eq_u32 s33, s6
	v_lshlrev_b32_e32 v1, 12, v4
	v_cmp_ge_u64_e32 vcc, s[4:5], v[2:3]
	s_cselect_b64 s[18:19], -1, 0
	s_and_b64 s[6:7], vcc, s[18:19]
	v_mov_b32_e32 v2, s13
	v_add_co_u32_e32 v10, vcc, s12, v1
	s_xor_b64 s[22:23], s[6:7], -1
	v_addc_co_u32_e32 v11, vcc, 0, v2, vcc
	s_mov_b64 s[4:5], -1
	s_and_b64 vcc, exec, s[22:23]
	s_cbranch_vccz .LBB24_6
; %bb.5:
	v_readfirstlane_b32 s4, v10
	v_readfirstlane_b32 s5, v11
	s_nop 4
	global_load_ubyte v1, v0, s[4:5]
	global_load_ubyte v2, v0, s[4:5] offset:128
	global_load_ubyte v3, v0, s[4:5] offset:256
	;; [unrolled: 1-line block ×31, first 2 shown]
	s_mov_b64 s[4:5], 0
	s_waitcnt vmcnt(31)
	v_cmp_ne_u16_e32 vcc, 0, v1
	v_cndmask_b32_e64 v1, 0, 1, vcc
	s_waitcnt vmcnt(30)
	v_cmp_ne_u16_e32 vcc, 0, v2
	v_cndmask_b32_e64 v2, 0, 1, vcc
	;; [unrolled: 3-line block ×32, first 2 shown]
	ds_write_b8 v0, v1
	ds_write_b8 v0, v2 offset:132
	ds_write_b8 v0, v3 offset:264
	;; [unrolled: 1-line block ×31, first 2 shown]
	s_waitcnt lgkmcnt(0)
	s_barrier
.LBB24_6:
	s_andn2_b64 vcc, exec, s[4:5]
	s_sub_i32 s84, s10, s11
	s_cbranch_vccnz .LBB24_72
; %bb.7:
	v_cmp_gt_u32_e32 vcc, s84, v0
                                        ; implicit-def: $vgpr1
	s_and_saveexec_b64 s[4:5], vcc
	s_cbranch_execz .LBB24_9
; %bb.8:
	v_readfirstlane_b32 s10, v10
	v_readfirstlane_b32 s11, v11
	s_nop 4
	global_load_ubyte v1, v0, s[10:11]
	s_waitcnt vmcnt(0)
	v_cmp_ne_u16_e32 vcc, 0, v1
	v_cndmask_b32_e64 v1, 0, 1, vcc
.LBB24_9:
	s_or_b64 exec, exec, s[4:5]
	v_or_b32_e32 v2, 0x80, v0
	v_cmp_gt_u32_e32 vcc, s84, v2
                                        ; implicit-def: $vgpr3
	s_and_saveexec_b64 s[4:5], vcc
	s_cbranch_execz .LBB24_11
; %bb.10:
	v_readfirstlane_b32 s10, v10
	v_readfirstlane_b32 s11, v11
	s_nop 4
	global_load_ubyte v3, v0, s[10:11] offset:128
	s_waitcnt vmcnt(0)
	v_cmp_ne_u16_e32 vcc, 0, v3
	v_cndmask_b32_e64 v3, 0, 1, vcc
.LBB24_11:
	s_or_b64 exec, exec, s[4:5]
	v_or_b32_e32 v4, 0x100, v0
	v_cmp_gt_u32_e32 vcc, s84, v4
                                        ; implicit-def: $vgpr5
	s_and_saveexec_b64 s[4:5], vcc
	s_cbranch_execz .LBB24_13
; %bb.12:
	v_readfirstlane_b32 s10, v10
	v_readfirstlane_b32 s11, v11
	s_nop 4
	global_load_ubyte v5, v0, s[10:11] offset:256
	s_waitcnt vmcnt(0)
	v_cmp_ne_u16_e32 vcc, 0, v5
	v_cndmask_b32_e64 v5, 0, 1, vcc
.LBB24_13:
	s_or_b64 exec, exec, s[4:5]
	v_or_b32_e32 v6, 0x180, v0
	v_cmp_gt_u32_e32 vcc, s84, v6
                                        ; implicit-def: $vgpr7
	s_and_saveexec_b64 s[4:5], vcc
	s_cbranch_execz .LBB24_15
; %bb.14:
	v_readfirstlane_b32 s10, v10
	v_readfirstlane_b32 s11, v11
	s_nop 4
	global_load_ubyte v7, v0, s[10:11] offset:384
	s_waitcnt vmcnt(0)
	v_cmp_ne_u16_e32 vcc, 0, v7
	v_cndmask_b32_e64 v7, 0, 1, vcc
.LBB24_15:
	s_or_b64 exec, exec, s[4:5]
	v_or_b32_e32 v8, 0x200, v0
	v_cmp_gt_u32_e32 vcc, s84, v8
                                        ; implicit-def: $vgpr9
	s_and_saveexec_b64 s[4:5], vcc
	s_cbranch_execz .LBB24_17
; %bb.16:
	v_readfirstlane_b32 s10, v10
	v_readfirstlane_b32 s11, v11
	s_nop 4
	global_load_ubyte v9, v0, s[10:11] offset:512
	s_waitcnt vmcnt(0)
	v_cmp_ne_u16_e32 vcc, 0, v9
	v_cndmask_b32_e64 v9, 0, 1, vcc
.LBB24_17:
	s_or_b64 exec, exec, s[4:5]
	v_or_b32_e32 v12, 0x280, v0
	v_cmp_gt_u32_e32 vcc, s84, v12
                                        ; implicit-def: $vgpr13
	s_and_saveexec_b64 s[4:5], vcc
	s_cbranch_execz .LBB24_19
; %bb.18:
	v_readfirstlane_b32 s10, v10
	v_readfirstlane_b32 s11, v11
	s_nop 4
	global_load_ubyte v13, v0, s[10:11] offset:640
	s_waitcnt vmcnt(0)
	v_cmp_ne_u16_e32 vcc, 0, v13
	v_cndmask_b32_e64 v13, 0, 1, vcc
.LBB24_19:
	s_or_b64 exec, exec, s[4:5]
	v_or_b32_e32 v14, 0x300, v0
	v_cmp_gt_u32_e32 vcc, s84, v14
                                        ; implicit-def: $vgpr15
	s_and_saveexec_b64 s[4:5], vcc
	s_cbranch_execz .LBB24_21
; %bb.20:
	v_readfirstlane_b32 s10, v10
	v_readfirstlane_b32 s11, v11
	s_nop 4
	global_load_ubyte v15, v0, s[10:11] offset:768
	s_waitcnt vmcnt(0)
	v_cmp_ne_u16_e32 vcc, 0, v15
	v_cndmask_b32_e64 v15, 0, 1, vcc
.LBB24_21:
	s_or_b64 exec, exec, s[4:5]
	v_or_b32_e32 v18, 0x380, v0
	v_cmp_gt_u32_e32 vcc, s84, v18
                                        ; implicit-def: $vgpr19
	s_and_saveexec_b64 s[4:5], vcc
	s_cbranch_execz .LBB24_23
; %bb.22:
	v_readfirstlane_b32 s10, v10
	v_readfirstlane_b32 s11, v11
	s_nop 4
	global_load_ubyte v19, v0, s[10:11] offset:896
	s_waitcnt vmcnt(0)
	v_cmp_ne_u16_e32 vcc, 0, v19
	v_cndmask_b32_e64 v19, 0, 1, vcc
.LBB24_23:
	s_or_b64 exec, exec, s[4:5]
	v_or_b32_e32 v20, 0x400, v0
	v_cmp_gt_u32_e32 vcc, s84, v20
                                        ; implicit-def: $vgpr21
	s_and_saveexec_b64 s[4:5], vcc
	s_cbranch_execz .LBB24_25
; %bb.24:
	v_readfirstlane_b32 s10, v10
	v_readfirstlane_b32 s11, v11
	s_nop 4
	global_load_ubyte v21, v0, s[10:11] offset:1024
	s_waitcnt vmcnt(0)
	v_cmp_ne_u16_e32 vcc, 0, v21
	v_cndmask_b32_e64 v21, 0, 1, vcc
.LBB24_25:
	s_or_b64 exec, exec, s[4:5]
	v_or_b32_e32 v22, 0x480, v0
	v_cmp_gt_u32_e32 vcc, s84, v22
                                        ; implicit-def: $vgpr23
	s_and_saveexec_b64 s[4:5], vcc
	s_cbranch_execz .LBB24_27
; %bb.26:
	v_readfirstlane_b32 s10, v10
	v_readfirstlane_b32 s11, v11
	s_nop 4
	global_load_ubyte v23, v0, s[10:11] offset:1152
	s_waitcnt vmcnt(0)
	v_cmp_ne_u16_e32 vcc, 0, v23
	v_cndmask_b32_e64 v23, 0, 1, vcc
.LBB24_27:
	s_or_b64 exec, exec, s[4:5]
	v_or_b32_e32 v24, 0x500, v0
	v_cmp_gt_u32_e32 vcc, s84, v24
                                        ; implicit-def: $vgpr25
	s_and_saveexec_b64 s[4:5], vcc
	s_cbranch_execz .LBB24_29
; %bb.28:
	v_readfirstlane_b32 s10, v10
	v_readfirstlane_b32 s11, v11
	s_nop 4
	global_load_ubyte v25, v0, s[10:11] offset:1280
	s_waitcnt vmcnt(0)
	v_cmp_ne_u16_e32 vcc, 0, v25
	v_cndmask_b32_e64 v25, 0, 1, vcc
.LBB24_29:
	s_or_b64 exec, exec, s[4:5]
	v_or_b32_e32 v26, 0x580, v0
	v_cmp_gt_u32_e32 vcc, s84, v26
                                        ; implicit-def: $vgpr27
	s_and_saveexec_b64 s[4:5], vcc
	s_cbranch_execz .LBB24_31
; %bb.30:
	v_readfirstlane_b32 s10, v10
	v_readfirstlane_b32 s11, v11
	s_nop 4
	global_load_ubyte v27, v0, s[10:11] offset:1408
	s_waitcnt vmcnt(0)
	v_cmp_ne_u16_e32 vcc, 0, v27
	v_cndmask_b32_e64 v27, 0, 1, vcc
.LBB24_31:
	s_or_b64 exec, exec, s[4:5]
	v_or_b32_e32 v28, 0x600, v0
	v_cmp_gt_u32_e32 vcc, s84, v28
                                        ; implicit-def: $vgpr29
	s_and_saveexec_b64 s[4:5], vcc
	s_cbranch_execz .LBB24_33
; %bb.32:
	v_readfirstlane_b32 s10, v10
	v_readfirstlane_b32 s11, v11
	s_nop 4
	global_load_ubyte v29, v0, s[10:11] offset:1536
	s_waitcnt vmcnt(0)
	v_cmp_ne_u16_e32 vcc, 0, v29
	v_cndmask_b32_e64 v29, 0, 1, vcc
.LBB24_33:
	s_or_b64 exec, exec, s[4:5]
	v_or_b32_e32 v30, 0x680, v0
	v_cmp_gt_u32_e32 vcc, s84, v30
                                        ; implicit-def: $vgpr31
	s_and_saveexec_b64 s[4:5], vcc
	s_cbranch_execz .LBB24_35
; %bb.34:
	v_readfirstlane_b32 s10, v10
	v_readfirstlane_b32 s11, v11
	s_nop 4
	global_load_ubyte v31, v0, s[10:11] offset:1664
	s_waitcnt vmcnt(0)
	v_cmp_ne_u16_e32 vcc, 0, v31
	v_cndmask_b32_e64 v31, 0, 1, vcc
.LBB24_35:
	s_or_b64 exec, exec, s[4:5]
	v_or_b32_e32 v32, 0x700, v0
	v_cmp_gt_u32_e32 vcc, s84, v32
                                        ; implicit-def: $vgpr33
	s_and_saveexec_b64 s[4:5], vcc
	s_cbranch_execz .LBB24_37
; %bb.36:
	v_readfirstlane_b32 s10, v10
	v_readfirstlane_b32 s11, v11
	s_nop 4
	global_load_ubyte v33, v0, s[10:11] offset:1792
	s_waitcnt vmcnt(0)
	v_cmp_ne_u16_e32 vcc, 0, v33
	v_cndmask_b32_e64 v33, 0, 1, vcc
.LBB24_37:
	s_or_b64 exec, exec, s[4:5]
	v_or_b32_e32 v34, 0x780, v0
	v_cmp_gt_u32_e32 vcc, s84, v34
                                        ; implicit-def: $vgpr35
	s_and_saveexec_b64 s[4:5], vcc
	s_cbranch_execz .LBB24_39
; %bb.38:
	v_readfirstlane_b32 s10, v10
	v_readfirstlane_b32 s11, v11
	s_nop 4
	global_load_ubyte v35, v0, s[10:11] offset:1920
	s_waitcnt vmcnt(0)
	v_cmp_ne_u16_e32 vcc, 0, v35
	v_cndmask_b32_e64 v35, 0, 1, vcc
.LBB24_39:
	s_or_b64 exec, exec, s[4:5]
	v_or_b32_e32 v36, 0x800, v0
	v_cmp_gt_u32_e32 vcc, s84, v36
                                        ; implicit-def: $vgpr37
	s_and_saveexec_b64 s[4:5], vcc
	s_cbranch_execz .LBB24_41
; %bb.40:
	v_readfirstlane_b32 s10, v10
	v_readfirstlane_b32 s11, v11
	s_nop 4
	global_load_ubyte v37, v0, s[10:11] offset:2048
	s_waitcnt vmcnt(0)
	v_cmp_ne_u16_e32 vcc, 0, v37
	v_cndmask_b32_e64 v37, 0, 1, vcc
.LBB24_41:
	s_or_b64 exec, exec, s[4:5]
	v_or_b32_e32 v38, 0x880, v0
	v_cmp_gt_u32_e32 vcc, s84, v38
                                        ; implicit-def: $vgpr39
	s_and_saveexec_b64 s[4:5], vcc
	s_cbranch_execz .LBB24_43
; %bb.42:
	v_readfirstlane_b32 s10, v10
	v_readfirstlane_b32 s11, v11
	s_nop 4
	global_load_ubyte v39, v0, s[10:11] offset:2176
	s_waitcnt vmcnt(0)
	v_cmp_ne_u16_e32 vcc, 0, v39
	v_cndmask_b32_e64 v39, 0, 1, vcc
.LBB24_43:
	s_or_b64 exec, exec, s[4:5]
	v_or_b32_e32 v40, 0x900, v0
	v_cmp_gt_u32_e32 vcc, s84, v40
                                        ; implicit-def: $vgpr41
	s_and_saveexec_b64 s[4:5], vcc
	s_cbranch_execz .LBB24_45
; %bb.44:
	v_readfirstlane_b32 s10, v10
	v_readfirstlane_b32 s11, v11
	s_nop 4
	global_load_ubyte v41, v0, s[10:11] offset:2304
	s_waitcnt vmcnt(0)
	v_cmp_ne_u16_e32 vcc, 0, v41
	v_cndmask_b32_e64 v41, 0, 1, vcc
.LBB24_45:
	s_or_b64 exec, exec, s[4:5]
	v_or_b32_e32 v42, 0x980, v0
	v_cmp_gt_u32_e32 vcc, s84, v42
                                        ; implicit-def: $vgpr43
	s_and_saveexec_b64 s[4:5], vcc
	s_cbranch_execz .LBB24_47
; %bb.46:
	v_readfirstlane_b32 s10, v10
	v_readfirstlane_b32 s11, v11
	s_nop 4
	global_load_ubyte v43, v0, s[10:11] offset:2432
	s_waitcnt vmcnt(0)
	v_cmp_ne_u16_e32 vcc, 0, v43
	v_cndmask_b32_e64 v43, 0, 1, vcc
.LBB24_47:
	s_or_b64 exec, exec, s[4:5]
	v_or_b32_e32 v44, 0xa00, v0
	v_cmp_gt_u32_e32 vcc, s84, v44
                                        ; implicit-def: $vgpr45
	s_and_saveexec_b64 s[4:5], vcc
	s_cbranch_execz .LBB24_49
; %bb.48:
	v_readfirstlane_b32 s10, v10
	v_readfirstlane_b32 s11, v11
	s_nop 4
	global_load_ubyte v45, v0, s[10:11] offset:2560
	s_waitcnt vmcnt(0)
	v_cmp_ne_u16_e32 vcc, 0, v45
	v_cndmask_b32_e64 v45, 0, 1, vcc
.LBB24_49:
	s_or_b64 exec, exec, s[4:5]
	v_or_b32_e32 v46, 0xa80, v0
	v_cmp_gt_u32_e32 vcc, s84, v46
                                        ; implicit-def: $vgpr47
	s_and_saveexec_b64 s[4:5], vcc
	s_cbranch_execz .LBB24_51
; %bb.50:
	v_readfirstlane_b32 s10, v10
	v_readfirstlane_b32 s11, v11
	s_nop 4
	global_load_ubyte v47, v0, s[10:11] offset:2688
	s_waitcnt vmcnt(0)
	v_cmp_ne_u16_e32 vcc, 0, v47
	v_cndmask_b32_e64 v47, 0, 1, vcc
.LBB24_51:
	s_or_b64 exec, exec, s[4:5]
	v_or_b32_e32 v48, 0xb00, v0
	v_cmp_gt_u32_e32 vcc, s84, v48
                                        ; implicit-def: $vgpr49
	s_and_saveexec_b64 s[4:5], vcc
	s_cbranch_execz .LBB24_53
; %bb.52:
	v_readfirstlane_b32 s10, v10
	v_readfirstlane_b32 s11, v11
	s_nop 4
	global_load_ubyte v49, v0, s[10:11] offset:2816
	s_waitcnt vmcnt(0)
	v_cmp_ne_u16_e32 vcc, 0, v49
	v_cndmask_b32_e64 v49, 0, 1, vcc
.LBB24_53:
	s_or_b64 exec, exec, s[4:5]
	v_or_b32_e32 v50, 0xb80, v0
	v_cmp_gt_u32_e32 vcc, s84, v50
                                        ; implicit-def: $vgpr51
	s_and_saveexec_b64 s[4:5], vcc
	s_cbranch_execz .LBB24_55
; %bb.54:
	v_readfirstlane_b32 s10, v10
	v_readfirstlane_b32 s11, v11
	s_nop 4
	global_load_ubyte v51, v0, s[10:11] offset:2944
	s_waitcnt vmcnt(0)
	v_cmp_ne_u16_e32 vcc, 0, v51
	v_cndmask_b32_e64 v51, 0, 1, vcc
.LBB24_55:
	s_or_b64 exec, exec, s[4:5]
	v_or_b32_e32 v52, 0xc00, v0
	v_cmp_gt_u32_e32 vcc, s84, v52
                                        ; implicit-def: $vgpr53
	s_and_saveexec_b64 s[4:5], vcc
	s_cbranch_execz .LBB24_57
; %bb.56:
	v_readfirstlane_b32 s10, v10
	v_readfirstlane_b32 s11, v11
	s_nop 4
	global_load_ubyte v53, v0, s[10:11] offset:3072
	s_waitcnt vmcnt(0)
	v_cmp_ne_u16_e32 vcc, 0, v53
	v_cndmask_b32_e64 v53, 0, 1, vcc
.LBB24_57:
	s_or_b64 exec, exec, s[4:5]
	v_or_b32_e32 v54, 0xc80, v0
	v_cmp_gt_u32_e32 vcc, s84, v54
                                        ; implicit-def: $vgpr55
	s_and_saveexec_b64 s[4:5], vcc
	s_cbranch_execz .LBB24_59
; %bb.58:
	v_readfirstlane_b32 s10, v10
	v_readfirstlane_b32 s11, v11
	s_nop 4
	global_load_ubyte v55, v0, s[10:11] offset:3200
	s_waitcnt vmcnt(0)
	v_cmp_ne_u16_e32 vcc, 0, v55
	v_cndmask_b32_e64 v55, 0, 1, vcc
.LBB24_59:
	s_or_b64 exec, exec, s[4:5]
	v_or_b32_e32 v56, 0xd00, v0
	v_cmp_gt_u32_e32 vcc, s84, v56
                                        ; implicit-def: $vgpr57
	s_and_saveexec_b64 s[4:5], vcc
	s_cbranch_execz .LBB24_61
; %bb.60:
	v_readfirstlane_b32 s10, v10
	v_readfirstlane_b32 s11, v11
	s_nop 4
	global_load_ubyte v57, v0, s[10:11] offset:3328
	s_waitcnt vmcnt(0)
	v_cmp_ne_u16_e32 vcc, 0, v57
	v_cndmask_b32_e64 v57, 0, 1, vcc
.LBB24_61:
	s_or_b64 exec, exec, s[4:5]
	v_or_b32_e32 v58, 0xd80, v0
	v_cmp_gt_u32_e32 vcc, s84, v58
                                        ; implicit-def: $vgpr59
	s_and_saveexec_b64 s[4:5], vcc
	s_cbranch_execz .LBB24_63
; %bb.62:
	v_readfirstlane_b32 s10, v10
	v_readfirstlane_b32 s11, v11
	s_nop 4
	global_load_ubyte v59, v0, s[10:11] offset:3456
	s_waitcnt vmcnt(0)
	v_cmp_ne_u16_e32 vcc, 0, v59
	v_cndmask_b32_e64 v59, 0, 1, vcc
.LBB24_63:
	s_or_b64 exec, exec, s[4:5]
	v_or_b32_e32 v60, 0xe00, v0
	v_cmp_gt_u32_e32 vcc, s84, v60
                                        ; implicit-def: $vgpr61
	s_and_saveexec_b64 s[4:5], vcc
	s_cbranch_execz .LBB24_65
; %bb.64:
	v_readfirstlane_b32 s10, v10
	v_readfirstlane_b32 s11, v11
	s_nop 4
	global_load_ubyte v61, v0, s[10:11] offset:3584
	s_waitcnt vmcnt(0)
	v_cmp_ne_u16_e32 vcc, 0, v61
	v_cndmask_b32_e64 v61, 0, 1, vcc
.LBB24_65:
	s_or_b64 exec, exec, s[4:5]
	v_or_b32_e32 v62, 0xe80, v0
	v_cmp_gt_u32_e32 vcc, s84, v62
                                        ; implicit-def: $vgpr63
	s_and_saveexec_b64 s[4:5], vcc
	s_cbranch_execz .LBB24_67
; %bb.66:
	v_readfirstlane_b32 s10, v10
	v_readfirstlane_b32 s11, v11
	s_nop 4
	global_load_ubyte v63, v0, s[10:11] offset:3712
	s_waitcnt vmcnt(0)
	v_cmp_ne_u16_e32 vcc, 0, v63
	v_cndmask_b32_e64 v63, 0, 1, vcc
.LBB24_67:
	s_or_b64 exec, exec, s[4:5]
	v_or_b32_e32 v64, 0xf00, v0
	v_cmp_gt_u32_e32 vcc, s84, v64
                                        ; implicit-def: $vgpr65
	s_and_saveexec_b64 s[4:5], vcc
	s_cbranch_execz .LBB24_69
; %bb.68:
	v_readfirstlane_b32 s10, v10
	v_readfirstlane_b32 s11, v11
	s_nop 4
	global_load_ubyte v65, v0, s[10:11] offset:3840
	s_waitcnt vmcnt(0)
	v_cmp_ne_u16_e32 vcc, 0, v65
	v_cndmask_b32_e64 v65, 0, 1, vcc
.LBB24_69:
	s_or_b64 exec, exec, s[4:5]
	v_or_b32_e32 v66, 0xf80, v0
	v_cmp_gt_u32_e32 vcc, s84, v66
                                        ; implicit-def: $vgpr67
	s_and_saveexec_b64 s[4:5], vcc
	s_cbranch_execz .LBB24_71
; %bb.70:
	v_readfirstlane_b32 s10, v10
	v_readfirstlane_b32 s11, v11
	s_nop 4
	global_load_ubyte v67, v0, s[10:11] offset:3968
	s_waitcnt vmcnt(0)
	v_cmp_ne_u16_e32 vcc, 0, v67
	v_cndmask_b32_e64 v67, 0, 1, vcc
.LBB24_71:
	s_or_b64 exec, exec, s[4:5]
	v_lshrrev_b32_e32 v2, 5, v2
	v_and_b32_e32 v2, 4, v2
	v_add_u32_e32 v2, v0, v2
	ds_write_b8 v2, v3 offset:128
	ds_write_b8 v0, v1
	v_lshrrev_b32_e32 v1, 5, v4
	v_and_b32_e32 v1, 12, v1
	v_add_u32_e32 v1, v0, v1
	ds_write_b8 v1, v5 offset:256
	v_lshrrev_b32_e32 v1, 5, v6
	v_and_b32_e32 v1, 12, v1
	v_add_u32_e32 v1, v0, v1
	ds_write_b8 v1, v7 offset:384
	;; [unrolled: 4-line block ×30, first 2 shown]
	s_waitcnt lgkmcnt(0)
	s_barrier
.LBB24_72:
	v_lshlrev_b32_e32 v1, 5, v0
	v_and_b32_e32 v2, 0x7c, v0
	v_add_u32_e32 v8, v2, v1
	ds_read2_b32 v[2:3], v8 offset0:6 offset1:7
	ds_read2_b32 v[4:5], v8 offset0:4 offset1:5
	;; [unrolled: 1-line block ×3, first 2 shown]
	ds_read2_b32 v[8:9], v8 offset1:1
	s_cmp_lg_u32 s33, 0
	s_cselect_b64 s[16:17], -1, 0
	s_cmp_lg_u64 s[8:9], 0
	s_cselect_b64 s[8:9], -1, 0
	s_or_b64 s[8:9], s[8:9], s[16:17]
	s_waitcnt lgkmcnt(3)
	v_lshrrev_b32_e32 v27, 8, v2
	v_lshrrev_b32_e32 v26, 16, v2
	v_lshrrev_b32_e32 v25, 24, v2
	v_lshrrev_b32_e32 v24, 8, v3
	v_lshrrev_b32_e32 v23, 16, v3
	v_lshrrev_b32_e32 v22, 24, v3
	s_waitcnt lgkmcnt(2)
	v_lshrrev_b32_e32 v33, 8, v4
	v_lshrrev_b32_e32 v32, 16, v4
	v_lshrrev_b32_e32 v31, 24, v4
	v_lshrrev_b32_e32 v30, 8, v5
	v_lshrrev_b32_e32 v29, 16, v5
	v_lshrrev_b32_e32 v28, 24, v5
	;; [unrolled: 7-line block ×4, first 2 shown]
	s_mov_b64 s[4:5], 0
	s_and_b64 vcc, exec, s[8:9]
	s_barrier
	s_cbranch_vccz .LBB24_77
; %bb.73:
	global_load_ubyte v10, v[10:11], off offset:-1
	s_and_b64 vcc, exec, s[22:23]
	ds_write_b8 v0, v22
	s_waitcnt vmcnt(0)
	v_cmp_ne_u16_e64 s[4:5], 0, v10
	v_cndmask_b32_e64 v10, 0, 1, s[4:5]
	s_cbranch_vccz .LBB24_79
; %bb.74:
	v_cndmask_b32_e64 v11, 0, 1, s[4:5]
	s_waitcnt lgkmcnt(0)
	s_barrier
	s_and_saveexec_b64 s[4:5], s[2:3]
	s_cbranch_execz .LBB24_76
; %bb.75:
	v_add_u32_e32 v11, -1, v0
	ds_read_u8 v11, v11
.LBB24_76:
	s_or_b64 exec, exec, s[4:5]
	v_cmp_ne_u16_sdwa s[4:5], v23, v22 src0_sel:BYTE_0 src1_sel:DWORD
	v_cndmask_b32_e64 v37, 0, 1, s[4:5]
	v_cmp_ne_u16_sdwa s[4:5], v24, v23 src0_sel:BYTE_0 src1_sel:BYTE_0
	v_cndmask_b32_e64 v39, 0, 1, s[4:5]
	v_cmp_ne_u16_sdwa s[4:5], v3, v24 src0_sel:BYTE_0 src1_sel:BYTE_0
	v_cndmask_b32_e64 v42, 0, 1, s[4:5]
	v_cmp_ne_u16_sdwa s[4:5], v25, v3 src0_sel:DWORD src1_sel:BYTE_0
	v_cndmask_b32_e64 v43, 0, 1, s[4:5]
	v_cmp_ne_u16_sdwa s[4:5], v26, v25 src0_sel:BYTE_0 src1_sel:DWORD
	v_cndmask_b32_e64 v46, 0, 1, s[4:5]
	v_cmp_ne_u16_sdwa s[4:5], v27, v26 src0_sel:BYTE_0 src1_sel:BYTE_0
	v_cndmask_b32_e64 v48, 0, 1, s[4:5]
	v_cmp_ne_u16_sdwa s[4:5], v2, v27 src0_sel:BYTE_0 src1_sel:BYTE_0
	v_cndmask_b32_e64 v51, 0, 1, s[4:5]
	v_cmp_ne_u16_sdwa s[4:5], v28, v2 src0_sel:DWORD src1_sel:BYTE_0
	v_cndmask_b32_e64 v53, 0, 1, s[4:5]
	;; [unrolled: 8-line block ×7, first 2 shown]
	v_cmp_ne_u16_sdwa s[4:5], v50, v49 src0_sel:BYTE_0 src1_sel:DWORD
	v_cndmask_b32_e64 v74, 0, 1, s[4:5]
	v_cmp_ne_u16_sdwa s[4:5], v52, v50 src0_sel:BYTE_0 src1_sel:BYTE_0
	v_cndmask_b32_e64 v75, 0, 1, s[4:5]
	v_cmp_ne_u16_sdwa s[4:5], v8, v52 src0_sel:BYTE_0 src1_sel:BYTE_0
	v_cndmask_b32_e64 v76, 0, 1, s[4:5]
	s_waitcnt lgkmcnt(0)
	v_cmp_ne_u16_sdwa s[8:9], v11, v8 src0_sel:BYTE_0 src1_sel:BYTE_0
	s_branch .LBB24_83
.LBB24_77:
                                        ; implicit-def: $sgpr8_sgpr9
                                        ; implicit-def: $vgpr76
                                        ; implicit-def: $vgpr75
                                        ; implicit-def: $vgpr74
                                        ; implicit-def: $vgpr73
                                        ; implicit-def: $vgpr72
                                        ; implicit-def: $vgpr71
                                        ; implicit-def: $vgpr70
                                        ; implicit-def: $vgpr69
                                        ; implicit-def: $vgpr68
                                        ; implicit-def: $vgpr67
                                        ; implicit-def: $vgpr66
                                        ; implicit-def: $vgpr65
                                        ; implicit-def: $vgpr64
                                        ; implicit-def: $vgpr63
                                        ; implicit-def: $vgpr62
                                        ; implicit-def: $vgpr61
                                        ; implicit-def: $vgpr60
                                        ; implicit-def: $vgpr59
                                        ; implicit-def: $vgpr58
                                        ; implicit-def: $vgpr57
                                        ; implicit-def: $vgpr56
                                        ; implicit-def: $vgpr55
                                        ; implicit-def: $vgpr54
                                        ; implicit-def: $vgpr53
                                        ; implicit-def: $vgpr51
                                        ; implicit-def: $vgpr48
                                        ; implicit-def: $vgpr46
                                        ; implicit-def: $vgpr43
                                        ; implicit-def: $vgpr42
                                        ; implicit-def: $vgpr39
                                        ; implicit-def: $vgpr37
	s_branch .LBB24_84
.LBB24_78:
                                        ; implicit-def: $sgpr12
	v_mov_b32_e32 v77, s12
	s_and_saveexec_b64 s[2:3], s[4:5]
	s_cbranch_execnz .LBB24_92
	s_branch .LBB24_93
.LBB24_79:
                                        ; implicit-def: $sgpr8_sgpr9
                                        ; implicit-def: $vgpr76
                                        ; implicit-def: $vgpr75
                                        ; implicit-def: $vgpr74
                                        ; implicit-def: $vgpr73
                                        ; implicit-def: $vgpr72
                                        ; implicit-def: $vgpr71
                                        ; implicit-def: $vgpr70
                                        ; implicit-def: $vgpr69
                                        ; implicit-def: $vgpr68
                                        ; implicit-def: $vgpr67
                                        ; implicit-def: $vgpr66
                                        ; implicit-def: $vgpr65
                                        ; implicit-def: $vgpr64
                                        ; implicit-def: $vgpr63
                                        ; implicit-def: $vgpr62
                                        ; implicit-def: $vgpr61
                                        ; implicit-def: $vgpr60
                                        ; implicit-def: $vgpr59
                                        ; implicit-def: $vgpr58
                                        ; implicit-def: $vgpr57
                                        ; implicit-def: $vgpr56
                                        ; implicit-def: $vgpr55
                                        ; implicit-def: $vgpr54
                                        ; implicit-def: $vgpr53
                                        ; implicit-def: $vgpr51
                                        ; implicit-def: $vgpr48
                                        ; implicit-def: $vgpr46
                                        ; implicit-def: $vgpr43
                                        ; implicit-def: $vgpr42
                                        ; implicit-def: $vgpr39
                                        ; implicit-def: $vgpr37
	s_cbranch_execz .LBB24_83
; %bb.80:
	s_waitcnt lgkmcnt(0)
	s_barrier
	s_and_saveexec_b64 s[4:5], s[2:3]
	s_cbranch_execz .LBB24_82
; %bb.81:
	v_add_u32_e32 v10, -1, v0
	ds_read_u8 v10, v10
.LBB24_82:
	s_or_b64 exec, exec, s[4:5]
	v_or_b32_e32 v11, 31, v1
	v_cmp_gt_u32_e32 vcc, s84, v11
	v_cmp_ne_u16_sdwa s[4:5], v23, v22 src0_sel:BYTE_0 src1_sel:DWORD
	s_and_b64 s[4:5], vcc, s[4:5]
	v_or_b32_e32 v11, 30, v1
	v_cndmask_b32_e64 v37, 0, 1, s[4:5]
	v_cmp_gt_u32_e32 vcc, s84, v11
	v_cmp_ne_u16_sdwa s[4:5], v24, v23 src0_sel:BYTE_0 src1_sel:BYTE_0
	s_and_b64 s[4:5], vcc, s[4:5]
	v_or_b32_e32 v11, 29, v1
	v_cndmask_b32_e64 v39, 0, 1, s[4:5]
	v_cmp_gt_u32_e32 vcc, s84, v11
	v_cmp_ne_u16_sdwa s[4:5], v3, v24 src0_sel:BYTE_0 src1_sel:BYTE_0
	s_and_b64 s[4:5], vcc, s[4:5]
	v_or_b32_e32 v11, 28, v1
	v_cndmask_b32_e64 v42, 0, 1, s[4:5]
	v_cmp_gt_u32_e32 vcc, s84, v11
	v_cmp_ne_u16_sdwa s[4:5], v25, v3 src0_sel:DWORD src1_sel:BYTE_0
	s_and_b64 s[4:5], vcc, s[4:5]
	v_or_b32_e32 v11, 27, v1
	v_cndmask_b32_e64 v43, 0, 1, s[4:5]
	v_cmp_gt_u32_e32 vcc, s84, v11
	v_cmp_ne_u16_sdwa s[4:5], v26, v25 src0_sel:BYTE_0 src1_sel:DWORD
	s_and_b64 s[4:5], vcc, s[4:5]
	v_or_b32_e32 v11, 26, v1
	v_cndmask_b32_e64 v46, 0, 1, s[4:5]
	v_cmp_gt_u32_e32 vcc, s84, v11
	v_cmp_ne_u16_sdwa s[4:5], v27, v26 src0_sel:BYTE_0 src1_sel:BYTE_0
	s_and_b64 s[4:5], vcc, s[4:5]
	v_or_b32_e32 v11, 25, v1
	v_cndmask_b32_e64 v48, 0, 1, s[4:5]
	v_cmp_gt_u32_e32 vcc, s84, v11
	v_cmp_ne_u16_sdwa s[4:5], v2, v27 src0_sel:BYTE_0 src1_sel:BYTE_0
	s_and_b64 s[4:5], vcc, s[4:5]
	v_or_b32_e32 v11, 24, v1
	v_cndmask_b32_e64 v51, 0, 1, s[4:5]
	v_cmp_gt_u32_e32 vcc, s84, v11
	v_cmp_ne_u16_sdwa s[4:5], v28, v2 src0_sel:DWORD src1_sel:BYTE_0
	s_and_b64 s[4:5], vcc, s[4:5]
	v_or_b32_e32 v11, 23, v1
	v_cndmask_b32_e64 v53, 0, 1, s[4:5]
	;; [unrolled: 20-line block ×7, first 2 shown]
	v_cmp_gt_u32_e32 vcc, s84, v11
	v_cmp_ne_u16_sdwa s[4:5], v50, v49 src0_sel:BYTE_0 src1_sel:DWORD
	s_and_b64 s[4:5], vcc, s[4:5]
	v_or_b32_e32 v11, 2, v1
	v_cndmask_b32_e64 v74, 0, 1, s[4:5]
	v_cmp_gt_u32_e32 vcc, s84, v11
	v_cmp_ne_u16_sdwa s[4:5], v52, v50 src0_sel:BYTE_0 src1_sel:BYTE_0
	s_and_b64 s[4:5], vcc, s[4:5]
	v_or_b32_e32 v11, 1, v1
	v_cndmask_b32_e64 v75, 0, 1, s[4:5]
	v_cmp_gt_u32_e32 vcc, s84, v11
	v_cmp_ne_u16_sdwa s[4:5], v8, v52 src0_sel:BYTE_0 src1_sel:BYTE_0
	s_and_b64 s[4:5], vcc, s[4:5]
	v_cndmask_b32_e64 v76, 0, 1, s[4:5]
	v_cmp_gt_u32_e32 vcc, s84, v1
	s_waitcnt lgkmcnt(0)
	v_cmp_ne_u16_sdwa s[4:5], v10, v8 src0_sel:BYTE_0 src1_sel:BYTE_0
	s_and_b64 s[8:9], vcc, s[4:5]
.LBB24_83:
	s_mov_b64 s[4:5], -1
	s_cbranch_execnz .LBB24_78
.LBB24_84:
	s_and_b64 vcc, exec, s[22:23]
	v_cmp_ne_u16_sdwa s[8:9], v23, v22 src0_sel:BYTE_0 src1_sel:DWORD
	v_cmp_ne_u16_sdwa s[10:11], v24, v23 src0_sel:BYTE_0 src1_sel:BYTE_0
	v_cmp_ne_u16_sdwa s[12:13], v3, v24 src0_sel:BYTE_0 src1_sel:BYTE_0
	v_cmp_ne_u16_sdwa s[14:15], v25, v3 src0_sel:DWORD src1_sel:BYTE_0
	v_cmp_ne_u16_sdwa s[28:29], v26, v25 src0_sel:BYTE_0 src1_sel:DWORD
	v_cmp_ne_u16_sdwa s[30:31], v27, v26 src0_sel:BYTE_0 src1_sel:BYTE_0
	v_cmp_ne_u16_sdwa s[34:35], v2, v27 src0_sel:BYTE_0 src1_sel:BYTE_0
	v_cmp_ne_u16_sdwa s[36:37], v28, v2 src0_sel:DWORD src1_sel:BYTE_0
	;; [unrolled: 4-line block ×7, first 2 shown]
	v_cmp_ne_u16_sdwa s[78:79], v50, v49 src0_sel:BYTE_0 src1_sel:DWORD
	v_cmp_ne_u16_sdwa s[80:81], v52, v50 src0_sel:BYTE_0 src1_sel:BYTE_0
	v_cmp_ne_u16_sdwa s[82:83], v8, v52 src0_sel:BYTE_0 src1_sel:BYTE_0
	ds_write_b8 v0, v22
	s_cbranch_vccz .LBB24_88
; %bb.85:
	v_cndmask_b32_e64 v37, 0, 1, s[8:9]
	v_cndmask_b32_e64 v39, 0, 1, s[10:11]
	;; [unrolled: 1-line block ×31, first 2 shown]
	s_waitcnt lgkmcnt(0)
	s_barrier
	s_waitcnt lgkmcnt(0)
                                        ; implicit-def: $sgpr8_sgpr9
	s_and_saveexec_b64 s[10:11], s[2:3]
	s_xor_b64 s[10:11], exec, s[10:11]
	s_cbranch_execz .LBB24_87
; %bb.86:
	v_add_u32_e32 v10, -1, v0
	ds_read_u8 v10, v10
	s_or_b64 s[4:5], s[4:5], exec
	s_waitcnt lgkmcnt(0)
	v_cmp_ne_u16_sdwa s[8:9], v10, v8 src0_sel:DWORD src1_sel:BYTE_0
	s_and_b64 s[8:9], s[8:9], exec
.LBB24_87:
	s_or_b64 exec, exec, s[10:11]
	s_mov_b32 s12, 1
	s_branch .LBB24_91
.LBB24_88:
                                        ; implicit-def: $sgpr8_sgpr9
                                        ; implicit-def: $vgpr76
                                        ; implicit-def: $vgpr75
                                        ; implicit-def: $vgpr74
                                        ; implicit-def: $vgpr73
                                        ; implicit-def: $vgpr72
                                        ; implicit-def: $vgpr71
                                        ; implicit-def: $vgpr70
                                        ; implicit-def: $vgpr69
                                        ; implicit-def: $vgpr68
                                        ; implicit-def: $vgpr67
                                        ; implicit-def: $vgpr66
                                        ; implicit-def: $vgpr65
                                        ; implicit-def: $vgpr64
                                        ; implicit-def: $vgpr63
                                        ; implicit-def: $vgpr62
                                        ; implicit-def: $vgpr61
                                        ; implicit-def: $vgpr60
                                        ; implicit-def: $vgpr59
                                        ; implicit-def: $vgpr58
                                        ; implicit-def: $vgpr57
                                        ; implicit-def: $vgpr56
                                        ; implicit-def: $vgpr55
                                        ; implicit-def: $vgpr54
                                        ; implicit-def: $vgpr53
                                        ; implicit-def: $vgpr51
                                        ; implicit-def: $vgpr48
                                        ; implicit-def: $vgpr46
                                        ; implicit-def: $vgpr43
                                        ; implicit-def: $vgpr42
                                        ; implicit-def: $vgpr39
                                        ; implicit-def: $vgpr37
                                        ; implicit-def: $sgpr12
	s_cbranch_execz .LBB24_91
; %bb.89:
	v_or_b32_e32 v10, 31, v1
	v_cmp_gt_u32_e32 vcc, s84, v10
	v_cmp_ne_u16_sdwa s[8:9], v23, v22 src0_sel:BYTE_0 src1_sel:DWORD
	s_and_b64 s[8:9], vcc, s[8:9]
	v_or_b32_e32 v10, 30, v1
	v_cndmask_b32_e64 v37, 0, 1, s[8:9]
	v_cmp_gt_u32_e32 vcc, s84, v10
	v_cmp_ne_u16_sdwa s[8:9], v24, v23 src0_sel:BYTE_0 src1_sel:BYTE_0
	s_and_b64 s[8:9], vcc, s[8:9]
	v_or_b32_e32 v10, 29, v1
	v_cndmask_b32_e64 v39, 0, 1, s[8:9]
	v_cmp_gt_u32_e32 vcc, s84, v10
	v_cmp_ne_u16_sdwa s[8:9], v3, v24 src0_sel:BYTE_0 src1_sel:BYTE_0
	s_and_b64 s[8:9], vcc, s[8:9]
	v_or_b32_e32 v10, 28, v1
	v_cndmask_b32_e64 v42, 0, 1, s[8:9]
	v_cmp_gt_u32_e32 vcc, s84, v10
	v_cmp_ne_u16_sdwa s[8:9], v25, v3 src0_sel:DWORD src1_sel:BYTE_0
	s_and_b64 s[8:9], vcc, s[8:9]
	v_or_b32_e32 v10, 27, v1
	v_cndmask_b32_e64 v43, 0, 1, s[8:9]
	v_cmp_gt_u32_e32 vcc, s84, v10
	v_cmp_ne_u16_sdwa s[8:9], v26, v25 src0_sel:BYTE_0 src1_sel:DWORD
	s_and_b64 s[8:9], vcc, s[8:9]
	v_or_b32_e32 v10, 26, v1
	v_cndmask_b32_e64 v46, 0, 1, s[8:9]
	v_cmp_gt_u32_e32 vcc, s84, v10
	v_cmp_ne_u16_sdwa s[8:9], v27, v26 src0_sel:BYTE_0 src1_sel:BYTE_0
	s_and_b64 s[8:9], vcc, s[8:9]
	v_or_b32_e32 v10, 25, v1
	v_cndmask_b32_e64 v48, 0, 1, s[8:9]
	v_cmp_gt_u32_e32 vcc, s84, v10
	v_cmp_ne_u16_sdwa s[8:9], v2, v27 src0_sel:BYTE_0 src1_sel:BYTE_0
	s_and_b64 s[8:9], vcc, s[8:9]
	v_or_b32_e32 v10, 24, v1
	v_cndmask_b32_e64 v51, 0, 1, s[8:9]
	v_cmp_gt_u32_e32 vcc, s84, v10
	v_cmp_ne_u16_sdwa s[8:9], v28, v2 src0_sel:DWORD src1_sel:BYTE_0
	s_and_b64 s[8:9], vcc, s[8:9]
	v_or_b32_e32 v10, 23, v1
	v_cndmask_b32_e64 v53, 0, 1, s[8:9]
	v_cmp_gt_u32_e32 vcc, s84, v10
	v_cmp_ne_u16_sdwa s[8:9], v29, v28 src0_sel:BYTE_0 src1_sel:DWORD
	s_and_b64 s[8:9], vcc, s[8:9]
	v_or_b32_e32 v10, 22, v1
	v_cndmask_b32_e64 v54, 0, 1, s[8:9]
	v_cmp_gt_u32_e32 vcc, s84, v10
	v_cmp_ne_u16_sdwa s[8:9], v30, v29 src0_sel:BYTE_0 src1_sel:BYTE_0
	s_and_b64 s[8:9], vcc, s[8:9]
	v_or_b32_e32 v10, 21, v1
	v_cndmask_b32_e64 v55, 0, 1, s[8:9]
	v_cmp_gt_u32_e32 vcc, s84, v10
	v_cmp_ne_u16_sdwa s[8:9], v5, v30 src0_sel:BYTE_0 src1_sel:BYTE_0
	s_and_b64 s[8:9], vcc, s[8:9]
	v_or_b32_e32 v10, 20, v1
	v_cndmask_b32_e64 v56, 0, 1, s[8:9]
	v_cmp_gt_u32_e32 vcc, s84, v10
	v_cmp_ne_u16_sdwa s[8:9], v31, v5 src0_sel:DWORD src1_sel:BYTE_0
	s_and_b64 s[8:9], vcc, s[8:9]
	v_or_b32_e32 v10, 19, v1
	v_cndmask_b32_e64 v57, 0, 1, s[8:9]
	v_cmp_gt_u32_e32 vcc, s84, v10
	v_cmp_ne_u16_sdwa s[8:9], v32, v31 src0_sel:BYTE_0 src1_sel:DWORD
	s_and_b64 s[8:9], vcc, s[8:9]
	v_or_b32_e32 v10, 18, v1
	v_cndmask_b32_e64 v58, 0, 1, s[8:9]
	v_cmp_gt_u32_e32 vcc, s84, v10
	v_cmp_ne_u16_sdwa s[8:9], v33, v32 src0_sel:BYTE_0 src1_sel:BYTE_0
	s_and_b64 s[8:9], vcc, s[8:9]
	v_or_b32_e32 v10, 17, v1
	v_cndmask_b32_e64 v59, 0, 1, s[8:9]
	v_cmp_gt_u32_e32 vcc, s84, v10
	v_cmp_ne_u16_sdwa s[8:9], v4, v33 src0_sel:BYTE_0 src1_sel:BYTE_0
	s_and_b64 s[8:9], vcc, s[8:9]
	v_or_b32_e32 v10, 16, v1
	v_cndmask_b32_e64 v60, 0, 1, s[8:9]
	v_cmp_gt_u32_e32 vcc, s84, v10
	v_cmp_ne_u16_sdwa s[8:9], v34, v4 src0_sel:DWORD src1_sel:BYTE_0
	s_and_b64 s[8:9], vcc, s[8:9]
	v_or_b32_e32 v10, 15, v1
	v_cndmask_b32_e64 v61, 0, 1, s[8:9]
	v_cmp_gt_u32_e32 vcc, s84, v10
	v_cmp_ne_u16_sdwa s[8:9], v35, v34 src0_sel:BYTE_0 src1_sel:DWORD
	s_and_b64 s[8:9], vcc, s[8:9]
	v_or_b32_e32 v10, 14, v1
	v_cndmask_b32_e64 v62, 0, 1, s[8:9]
	v_cmp_gt_u32_e32 vcc, s84, v10
	v_cmp_ne_u16_sdwa s[8:9], v36, v35 src0_sel:BYTE_0 src1_sel:BYTE_0
	s_and_b64 s[8:9], vcc, s[8:9]
	v_or_b32_e32 v10, 13, v1
	v_cndmask_b32_e64 v63, 0, 1, s[8:9]
	v_cmp_gt_u32_e32 vcc, s84, v10
	v_cmp_ne_u16_sdwa s[8:9], v7, v36 src0_sel:BYTE_0 src1_sel:BYTE_0
	s_and_b64 s[8:9], vcc, s[8:9]
	v_or_b32_e32 v10, 12, v1
	v_cndmask_b32_e64 v64, 0, 1, s[8:9]
	v_cmp_gt_u32_e32 vcc, s84, v10
	v_cmp_ne_u16_sdwa s[8:9], v38, v7 src0_sel:DWORD src1_sel:BYTE_0
	s_and_b64 s[8:9], vcc, s[8:9]
	v_or_b32_e32 v10, 11, v1
	v_cndmask_b32_e64 v65, 0, 1, s[8:9]
	v_cmp_gt_u32_e32 vcc, s84, v10
	v_cmp_ne_u16_sdwa s[8:9], v40, v38 src0_sel:BYTE_0 src1_sel:DWORD
	s_and_b64 s[8:9], vcc, s[8:9]
	v_or_b32_e32 v10, 10, v1
	v_cndmask_b32_e64 v66, 0, 1, s[8:9]
	v_cmp_gt_u32_e32 vcc, s84, v10
	v_cmp_ne_u16_sdwa s[8:9], v41, v40 src0_sel:BYTE_0 src1_sel:BYTE_0
	s_and_b64 s[8:9], vcc, s[8:9]
	v_or_b32_e32 v10, 9, v1
	v_cndmask_b32_e64 v67, 0, 1, s[8:9]
	v_cmp_gt_u32_e32 vcc, s84, v10
	v_cmp_ne_u16_sdwa s[8:9], v6, v41 src0_sel:BYTE_0 src1_sel:BYTE_0
	s_and_b64 s[8:9], vcc, s[8:9]
	v_or_b32_e32 v10, 8, v1
	v_cndmask_b32_e64 v68, 0, 1, s[8:9]
	v_cmp_gt_u32_e32 vcc, s84, v10
	v_cmp_ne_u16_sdwa s[8:9], v44, v6 src0_sel:DWORD src1_sel:BYTE_0
	s_and_b64 s[8:9], vcc, s[8:9]
	v_or_b32_e32 v10, 7, v1
	v_cndmask_b32_e64 v69, 0, 1, s[8:9]
	v_cmp_gt_u32_e32 vcc, s84, v10
	v_cmp_ne_u16_sdwa s[8:9], v45, v44 src0_sel:BYTE_0 src1_sel:DWORD
	s_and_b64 s[8:9], vcc, s[8:9]
	v_or_b32_e32 v10, 6, v1
	v_cndmask_b32_e64 v70, 0, 1, s[8:9]
	v_cmp_gt_u32_e32 vcc, s84, v10
	v_cmp_ne_u16_sdwa s[8:9], v47, v45 src0_sel:BYTE_0 src1_sel:BYTE_0
	s_and_b64 s[8:9], vcc, s[8:9]
	v_or_b32_e32 v10, 5, v1
	v_cndmask_b32_e64 v71, 0, 1, s[8:9]
	v_cmp_gt_u32_e32 vcc, s84, v10
	v_cmp_ne_u16_sdwa s[8:9], v9, v47 src0_sel:BYTE_0 src1_sel:BYTE_0
	s_and_b64 s[8:9], vcc, s[8:9]
	v_or_b32_e32 v10, 4, v1
	v_cndmask_b32_e64 v72, 0, 1, s[8:9]
	v_cmp_gt_u32_e32 vcc, s84, v10
	v_cmp_ne_u16_sdwa s[8:9], v49, v9 src0_sel:DWORD src1_sel:BYTE_0
	s_and_b64 s[8:9], vcc, s[8:9]
	v_or_b32_e32 v10, 3, v1
	v_cndmask_b32_e64 v73, 0, 1, s[8:9]
	v_cmp_gt_u32_e32 vcc, s84, v10
	v_cmp_ne_u16_sdwa s[8:9], v50, v49 src0_sel:BYTE_0 src1_sel:DWORD
	s_and_b64 s[8:9], vcc, s[8:9]
	v_or_b32_e32 v10, 2, v1
	v_cndmask_b32_e64 v74, 0, 1, s[8:9]
	v_cmp_gt_u32_e32 vcc, s84, v10
	v_cmp_ne_u16_sdwa s[8:9], v52, v50 src0_sel:BYTE_0 src1_sel:BYTE_0
	s_and_b64 s[8:9], vcc, s[8:9]
	v_or_b32_e32 v10, 1, v1
	v_cndmask_b32_e64 v75, 0, 1, s[8:9]
	v_cmp_gt_u32_e32 vcc, s84, v10
	v_cmp_ne_u16_sdwa s[8:9], v8, v52 src0_sel:BYTE_0 src1_sel:BYTE_0
	s_and_b64 s[8:9], vcc, s[8:9]
	s_mov_b32 s12, 1
	v_cndmask_b32_e64 v76, 0, 1, s[8:9]
	s_waitcnt lgkmcnt(0)
	s_barrier
	s_waitcnt lgkmcnt(0)
                                        ; implicit-def: $sgpr8_sgpr9
	s_and_saveexec_b64 s[10:11], s[2:3]
	s_cbranch_execz .LBB24_317
; %bb.90:
	v_add_u32_e32 v10, -1, v0
	ds_read_u8 v10, v10
	v_cmp_gt_u32_e32 vcc, s84, v1
	s_or_b64 s[4:5], s[4:5], exec
	s_waitcnt lgkmcnt(0)
	v_and_b32_e32 v10, 0xff, v10
	v_cmp_ne_u16_sdwa s[2:3], v10, v8 src0_sel:DWORD src1_sel:BYTE_0
	s_and_b64 s[2:3], vcc, s[2:3]
	s_and_b64 s[8:9], s[2:3], exec
	s_or_b64 exec, exec, s[10:11]
.LBB24_91:
	v_mov_b32_e32 v77, s12
	s_and_saveexec_b64 s[2:3], s[4:5]
.LBB24_92:
	v_cndmask_b32_e64 v77, 0, 1, s[8:9]
.LBB24_93:
	s_or_b64 exec, exec, s[2:3]
	s_andn2_b64 vcc, exec, s[6:7]
	s_cbranch_vccnz .LBB24_95
; %bb.94:
	v_cmp_gt_u32_e32 vcc, s84, v1
	v_or_b32_e32 v10, 1, v1
	v_cndmask_b32_e32 v77, 0, v77, vcc
	v_cmp_gt_u32_e32 vcc, s84, v10
	v_or_b32_e32 v10, 2, v1
	v_cndmask_b32_e32 v76, 0, v76, vcc
	;; [unrolled: 3-line block ×31, first 2 shown]
	v_cmp_gt_u32_e32 vcc, s84, v1
	v_cndmask_b32_e32 v37, 0, v37, vcc
.LBB24_95:
	v_mbcnt_lo_u32_b32 v10, -1, 0
	v_mbcnt_hi_u32_b32 v88, -1, v10
	v_and_b32_e32 v10, 15, v88
	v_cmp_eq_u32_e64 s[12:13], 0, v10
	v_cmp_lt_u32_e64 s[10:11], 1, v10
	v_cmp_lt_u32_e64 s[8:9], 3, v10
	;; [unrolled: 1-line block ×3, first 2 shown]
	v_and_b32_e32 v10, 16, v88
	v_cmp_eq_u32_e64 s[4:5], 0, v10
	v_or_b32_e32 v10, 63, v0
	v_and_b32_e32 v116, 0xff, v43
	v_and_b32_e32 v117, 0xff, v42
	v_cmp_eq_u32_e64 s[2:3], v10, v0
	v_add_u32_sdwa v10, v39, v37 dst_sel:DWORD dst_unused:UNUSED_PAD src0_sel:BYTE_0 src1_sel:BYTE_0
	v_and_b32_e32 v114, 0xff, v48
	v_and_b32_e32 v115, 0xff, v46
	v_add3_u32 v10, v10, v117, v116
	v_and_b32_e32 v112, 0xff, v53
	v_and_b32_e32 v113, 0xff, v51
	v_add3_u32 v10, v10, v115, v114
	;; [unrolled: 3-line block ×12, first 2 shown]
	v_add3_u32 v10, v10, v78, v1
	v_and_b32_e32 v89, 0xff, v75
	v_and_b32_e32 v90, 0xff, v74
	v_add3_u32 v10, v10, v90, v89
	v_and_b32_e32 v91, 0xff, v77
	v_and_b32_e32 v92, 0xff, v76
	v_add3_u32 v94, v10, v92, v91
	v_cmp_lt_u32_e64 s[14:15], 31, v88
	s_and_b64 vcc, exec, s[16:17]
	v_lshrrev_b32_e32 v93, 6, v0
	s_waitcnt lgkmcnt(0)
	s_barrier
	s_cbranch_vccz .LBB24_126
; %bb.96:
	v_mov_b32_dpp v10, v94 row_shr:1 row_mask:0xf bank_mask:0xf
	v_cndmask_b32_e64 v10, v10, 0, s[12:13]
	v_add_u32_e32 v10, v10, v94
	s_nop 1
	v_mov_b32_dpp v11, v10 row_shr:2 row_mask:0xf bank_mask:0xf
	v_cndmask_b32_e64 v11, 0, v11, s[10:11]
	v_add_u32_e32 v10, v10, v11
	s_nop 1
	;; [unrolled: 4-line block ×4, first 2 shown]
	v_mov_b32_dpp v11, v10 row_bcast:15 row_mask:0xf bank_mask:0xf
	v_cndmask_b32_e64 v11, v11, 0, s[4:5]
	v_add_u32_e32 v10, v10, v11
	s_nop 1
	v_mov_b32_dpp v11, v10 row_bcast:31 row_mask:0xf bank_mask:0xf
	v_cndmask_b32_e64 v11, 0, v11, s[14:15]
	v_add_u32_e32 v10, v10, v11
	s_and_saveexec_b64 s[16:17], s[2:3]
	s_cbranch_execz .LBB24_98
; %bb.97:
	v_lshlrev_b32_e32 v11, 2, v93
	ds_write_b32 v11, v10
.LBB24_98:
	s_or_b64 exec, exec, s[16:17]
	v_cmp_gt_u32_e32 vcc, 2, v0
	s_waitcnt lgkmcnt(0)
	s_barrier
	s_and_saveexec_b64 s[16:17], vcc
	s_cbranch_execz .LBB24_100
; %bb.99:
	v_lshlrev_b32_e32 v11, 2, v0
	ds_read_b32 v12, v11
	v_bfe_i32 v13, v88, 0, 1
	s_waitcnt lgkmcnt(0)
	v_mov_b32_dpp v14, v12 row_shr:1 row_mask:0xf bank_mask:0xf
	v_and_b32_e32 v13, v13, v14
	v_add_u32_e32 v12, v13, v12
	ds_write_b32 v11, v12
.LBB24_100:
	s_or_b64 exec, exec, s[16:17]
	v_cmp_gt_u32_e32 vcc, 64, v0
	v_cmp_lt_u32_e64 s[16:17], 63, v0
	s_waitcnt lgkmcnt(0)
	s_barrier
	s_waitcnt lgkmcnt(0)
                                        ; implicit-def: $vgpr95
	s_and_saveexec_b64 s[28:29], s[16:17]
	s_cbranch_execz .LBB24_102
; %bb.101:
	v_lshl_add_u32 v11, v93, 2, -4
	ds_read_b32 v95, v11
	s_waitcnt lgkmcnt(0)
	v_add_u32_e32 v10, v95, v10
.LBB24_102:
	s_or_b64 exec, exec, s[28:29]
	v_add_u32_e32 v11, -1, v88
	v_and_b32_e32 v12, 64, v88
	v_cmp_lt_i32_e64 s[16:17], v11, v12
	v_cndmask_b32_e64 v11, v11, v88, s[16:17]
	v_lshlrev_b32_e32 v11, 2, v11
	ds_bpermute_b32 v96, v11, v10
	v_cmp_eq_u32_e64 s[16:17], 0, v88
	s_and_saveexec_b64 s[28:29], vcc
	s_cbranch_execz .LBB24_125
; %bb.103:
	v_mov_b32_e32 v21, 0
	ds_read_b32 v10, v21 offset:4
	s_and_saveexec_b64 s[30:31], s[16:17]
	s_cbranch_execz .LBB24_105
; %bb.104:
	s_add_i32 s34, s33, 64
	s_mov_b32 s35, 0
	s_lshl_b64 s[34:35], s[34:35], 3
	s_add_u32 s34, s26, s34
	v_mov_b32_e32 v11, 1
	s_addc_u32 s35, s27, s35
	s_waitcnt lgkmcnt(0)
	global_store_dwordx2 v21, v[10:11], s[34:35]
.LBB24_105:
	s_or_b64 exec, exec, s[30:31]
	v_xad_u32 v12, v88, -1, s33
	v_add_u32_e32 v20, 64, v12
	v_lshlrev_b64 v[14:15], 3, v[20:21]
	v_mov_b32_e32 v11, s27
	v_add_co_u32_e32 v14, vcc, s26, v14
	v_addc_co_u32_e32 v15, vcc, v11, v15, vcc
	global_load_dwordx2 v[18:19], v[14:15], off glc
	s_waitcnt vmcnt(0)
	v_cmp_eq_u16_sdwa s[34:35], v19, v21 src0_sel:BYTE_0 src1_sel:DWORD
	s_and_saveexec_b64 s[30:31], s[34:35]
	s_cbranch_execz .LBB24_111
; %bb.106:
	s_mov_b32 s36, 1
	s_mov_b64 s[34:35], 0
	v_mov_b32_e32 v11, 0
.LBB24_107:                             ; =>This Loop Header: Depth=1
                                        ;     Child Loop BB24_108 Depth 2
	s_max_u32 s37, s36, 1
.LBB24_108:                             ;   Parent Loop BB24_107 Depth=1
                                        ; =>  This Inner Loop Header: Depth=2
	s_add_i32 s37, s37, -1
	s_cmp_eq_u32 s37, 0
	s_sleep 1
	s_cbranch_scc0 .LBB24_108
; %bb.109:                              ;   in Loop: Header=BB24_107 Depth=1
	global_load_dwordx2 v[18:19], v[14:15], off glc
	s_cmp_lt_u32 s36, 32
	s_cselect_b64 s[38:39], -1, 0
	s_cmp_lg_u64 s[38:39], 0
	s_addc_u32 s36, s36, 0
	s_waitcnt vmcnt(0)
	v_cmp_ne_u16_sdwa s[38:39], v19, v11 src0_sel:BYTE_0 src1_sel:DWORD
	s_or_b64 s[34:35], s[38:39], s[34:35]
	s_andn2_b64 exec, exec, s[34:35]
	s_cbranch_execnz .LBB24_107
; %bb.110:
	s_or_b64 exec, exec, s[34:35]
.LBB24_111:
	s_or_b64 exec, exec, s[30:31]
	v_and_b32_e32 v97, 63, v88
	v_mov_b32_e32 v11, 2
	v_cmp_ne_u32_e32 vcc, 63, v97
	v_cmp_eq_u16_sdwa s[30:31], v19, v11 src0_sel:BYTE_0 src1_sel:DWORD
	v_lshlrev_b64 v[14:15], v88, -1
	v_addc_co_u32_e32 v21, vcc, 0, v88, vcc
	v_and_b32_e32 v13, s31, v15
	v_lshlrev_b32_e32 v98, 2, v21
	v_or_b32_e32 v13, 0x80000000, v13
	ds_bpermute_b32 v21, v98, v18
	v_and_b32_e32 v20, s30, v14
	v_ffbl_b32_e32 v13, v13
	v_add_u32_e32 v13, 32, v13
	v_ffbl_b32_e32 v20, v20
	v_min_u32_e32 v13, v20, v13
	v_cmp_lt_u32_e32 vcc, v97, v13
	s_waitcnt lgkmcnt(0)
	v_cndmask_b32_e32 v20, 0, v21, vcc
	v_cmp_gt_u32_e32 vcc, 62, v97
	v_add_u32_e32 v18, v20, v18
	v_cndmask_b32_e64 v20, 0, 1, vcc
	v_lshlrev_b32_e32 v20, 1, v20
	v_add_lshl_u32 v99, v20, v88, 2
	ds_bpermute_b32 v20, v99, v18
	v_add_u32_e32 v100, 2, v97
	v_cmp_le_u32_e32 vcc, v100, v13
	v_add_u32_e32 v102, 4, v97
	v_add_u32_e32 v119, 8, v97
	s_waitcnt lgkmcnt(0)
	v_cndmask_b32_e32 v20, 0, v20, vcc
	v_cmp_gt_u32_e32 vcc, 60, v97
	v_add_u32_e32 v18, v18, v20
	v_cndmask_b32_e64 v20, 0, 1, vcc
	v_lshlrev_b32_e32 v20, 2, v20
	v_add_lshl_u32 v101, v20, v88, 2
	ds_bpermute_b32 v20, v101, v18
	v_cmp_le_u32_e32 vcc, v102, v13
	v_add_u32_e32 v122, 16, v97
	v_add_u32_e32 v124, 32, v97
	s_waitcnt lgkmcnt(0)
	v_cndmask_b32_e32 v20, 0, v20, vcc
	v_cmp_gt_u32_e32 vcc, 56, v97
	v_add_u32_e32 v18, v18, v20
	v_cndmask_b32_e64 v20, 0, 1, vcc
	v_lshlrev_b32_e32 v20, 3, v20
	v_add_lshl_u32 v118, v20, v88, 2
	ds_bpermute_b32 v20, v118, v18
	v_cmp_le_u32_e32 vcc, v119, v13
	s_waitcnt lgkmcnt(0)
	v_cndmask_b32_e32 v20, 0, v20, vcc
	v_cmp_gt_u32_e32 vcc, 48, v97
	v_add_u32_e32 v18, v18, v20
	v_cndmask_b32_e64 v20, 0, 1, vcc
	v_lshlrev_b32_e32 v20, 4, v20
	v_add_lshl_u32 v121, v20, v88, 2
	ds_bpermute_b32 v20, v121, v18
	v_cmp_le_u32_e32 vcc, v122, v13
	s_waitcnt lgkmcnt(0)
	v_cndmask_b32_e32 v20, 0, v20, vcc
	v_cmp_gt_u32_e32 vcc, 32, v97
	v_add_u32_e32 v18, v18, v20
	v_cndmask_b32_e64 v20, 0, 1, vcc
	v_lshlrev_b32_e32 v20, 5, v20
	v_add_lshl_u32 v123, v20, v88, 2
	ds_bpermute_b32 v20, v123, v18
	v_cmp_le_u32_e32 vcc, v124, v13
	s_waitcnt lgkmcnt(0)
	v_cndmask_b32_e32 v13, 0, v20, vcc
	v_add_u32_e32 v18, v18, v13
	v_mov_b32_e32 v13, 0
	s_branch .LBB24_113
.LBB24_112:                             ;   in Loop: Header=BB24_113 Depth=1
	s_or_b64 exec, exec, s[30:31]
	v_cmp_eq_u16_sdwa s[30:31], v19, v11 src0_sel:BYTE_0 src1_sel:DWORD
	v_and_b32_e32 v20, s31, v15
	v_or_b32_e32 v20, 0x80000000, v20
	ds_bpermute_b32 v125, v98, v18
	v_and_b32_e32 v21, s30, v14
	v_ffbl_b32_e32 v20, v20
	v_add_u32_e32 v20, 32, v20
	v_ffbl_b32_e32 v21, v21
	v_min_u32_e32 v20, v21, v20
	v_cmp_lt_u32_e32 vcc, v97, v20
	s_waitcnt lgkmcnt(0)
	v_cndmask_b32_e32 v21, 0, v125, vcc
	v_add_u32_e32 v18, v21, v18
	ds_bpermute_b32 v21, v99, v18
	v_cmp_le_u32_e32 vcc, v100, v20
	v_subrev_u32_e32 v12, 64, v12
	s_waitcnt lgkmcnt(0)
	v_cndmask_b32_e32 v21, 0, v21, vcc
	v_add_u32_e32 v18, v18, v21
	ds_bpermute_b32 v21, v101, v18
	v_cmp_le_u32_e32 vcc, v102, v20
	s_waitcnt lgkmcnt(0)
	v_cndmask_b32_e32 v21, 0, v21, vcc
	v_add_u32_e32 v18, v18, v21
	ds_bpermute_b32 v21, v118, v18
	v_cmp_le_u32_e32 vcc, v119, v20
	;; [unrolled: 5-line block ×4, first 2 shown]
	s_waitcnt lgkmcnt(0)
	v_cndmask_b32_e32 v20, 0, v21, vcc
	v_add3_u32 v18, v20, v120, v18
.LBB24_113:                             ; =>This Loop Header: Depth=1
                                        ;     Child Loop BB24_116 Depth 2
                                        ;       Child Loop BB24_117 Depth 3
	v_cmp_ne_u16_sdwa s[30:31], v19, v11 src0_sel:BYTE_0 src1_sel:DWORD
	v_cndmask_b32_e64 v19, 0, 1, s[30:31]
	;;#ASMSTART
	;;#ASMEND
	v_cmp_ne_u32_e32 vcc, 0, v19
	s_cmp_lg_u64 vcc, exec
	v_mov_b32_e32 v120, v18
	s_cbranch_scc1 .LBB24_120
; %bb.114:                              ;   in Loop: Header=BB24_113 Depth=1
	v_lshlrev_b64 v[18:19], 3, v[12:13]
	v_mov_b32_e32 v21, s27
	v_add_co_u32_e32 v20, vcc, s26, v18
	v_addc_co_u32_e32 v21, vcc, v21, v19, vcc
	global_load_dwordx2 v[18:19], v[20:21], off glc
	s_waitcnt vmcnt(0)
	v_cmp_eq_u16_sdwa s[34:35], v19, v13 src0_sel:BYTE_0 src1_sel:DWORD
	s_and_saveexec_b64 s[30:31], s[34:35]
	s_cbranch_execz .LBB24_112
; %bb.115:                              ;   in Loop: Header=BB24_113 Depth=1
	s_mov_b32 s36, 1
	s_mov_b64 s[34:35], 0
.LBB24_116:                             ;   Parent Loop BB24_113 Depth=1
                                        ; =>  This Loop Header: Depth=2
                                        ;       Child Loop BB24_117 Depth 3
	s_max_u32 s37, s36, 1
.LBB24_117:                             ;   Parent Loop BB24_113 Depth=1
                                        ;     Parent Loop BB24_116 Depth=2
                                        ; =>    This Inner Loop Header: Depth=3
	s_add_i32 s37, s37, -1
	s_cmp_eq_u32 s37, 0
	s_sleep 1
	s_cbranch_scc0 .LBB24_117
; %bb.118:                              ;   in Loop: Header=BB24_116 Depth=2
	global_load_dwordx2 v[18:19], v[20:21], off glc
	s_cmp_lt_u32 s36, 32
	s_cselect_b64 s[38:39], -1, 0
	s_cmp_lg_u64 s[38:39], 0
	s_addc_u32 s36, s36, 0
	s_waitcnt vmcnt(0)
	v_cmp_ne_u16_sdwa s[38:39], v19, v13 src0_sel:BYTE_0 src1_sel:DWORD
	s_or_b64 s[34:35], s[38:39], s[34:35]
	s_andn2_b64 exec, exec, s[34:35]
	s_cbranch_execnz .LBB24_116
; %bb.119:                              ;   in Loop: Header=BB24_113 Depth=1
	s_or_b64 exec, exec, s[34:35]
	s_branch .LBB24_112
.LBB24_120:                             ;   in Loop: Header=BB24_113 Depth=1
                                        ; implicit-def: $vgpr18
                                        ; implicit-def: $vgpr19
	s_cbranch_execz .LBB24_113
; %bb.121:
	s_and_saveexec_b64 s[30:31], s[16:17]
	s_cbranch_execz .LBB24_123
; %bb.122:
	s_add_i32 s34, s33, 64
	s_mov_b32 s35, 0
	s_lshl_b64 s[34:35], s[34:35], 3
	s_add_u32 s34, s26, s34
	v_add_u32_e32 v12, v120, v10
	v_mov_b32_e32 v13, 2
	s_addc_u32 s35, s27, s35
	v_mov_b32_e32 v11, 0
	s_movk_i32 s33, 0x1000
	global_store_dwordx2 v11, v[12:13], s[34:35]
	v_add_u32_e64 v11, s33, 0
	ds_write2_b32 v11, v10, v120 offset0:32 offset1:34
.LBB24_123:
	s_or_b64 exec, exec, s[30:31]
	s_and_b64 exec, exec, s[0:1]
	s_cbranch_execz .LBB24_125
; %bb.124:
	v_mov_b32_e32 v10, 0
	ds_write_b32 v10, v120 offset:4
.LBB24_125:
	s_or_b64 exec, exec, s[28:29]
	v_mov_b32_e32 v10, 0
	s_movk_i32 s28, 0x1000
	s_waitcnt lgkmcnt(0)
	s_barrier
	ds_read_b32 v10, v10 offset:4
	v_add_u32_e64 v11, s28, 0
	s_waitcnt lgkmcnt(0)
	s_barrier
	ds_read2_b32 v[18:19], v11 offset0:32 offset1:34
	v_cndmask_b32_e64 v11, v96, v95, s[16:17]
	v_cndmask_b32_e64 v11, v11, 0, s[0:1]
	v_add_u32_e32 v99, v10, v11
	s_branch .LBB24_136
.LBB24_126:
                                        ; implicit-def: $vgpr19
                                        ; implicit-def: $vgpr99
	s_cbranch_execz .LBB24_136
; %bb.127:
	v_mov_b32_dpp v10, v94 row_shr:1 row_mask:0xf bank_mask:0xf
	v_cndmask_b32_e64 v10, v10, 0, s[12:13]
	v_add_u32_e32 v10, v10, v94
	s_nop 1
	v_mov_b32_dpp v11, v10 row_shr:2 row_mask:0xf bank_mask:0xf
	v_cndmask_b32_e64 v11, 0, v11, s[10:11]
	v_add_u32_e32 v10, v10, v11
	s_nop 1
	;; [unrolled: 4-line block ×4, first 2 shown]
	v_mov_b32_dpp v11, v10 row_bcast:15 row_mask:0xf bank_mask:0xf
	v_cndmask_b32_e64 v11, v11, 0, s[4:5]
	v_add_u32_e32 v10, v10, v11
	s_nop 1
	v_mov_b32_dpp v11, v10 row_bcast:31 row_mask:0xf bank_mask:0xf
	v_cndmask_b32_e64 v11, 0, v11, s[14:15]
	v_add_u32_e32 v10, v10, v11
	s_and_saveexec_b64 s[4:5], s[2:3]
	s_cbranch_execz .LBB24_129
; %bb.128:
	v_lshlrev_b32_e32 v11, 2, v93
	ds_write_b32 v11, v10
.LBB24_129:
	s_or_b64 exec, exec, s[4:5]
	v_cmp_gt_u32_e32 vcc, 2, v0
	s_waitcnt lgkmcnt(0)
	s_barrier
	s_and_saveexec_b64 s[2:3], vcc
	s_cbranch_execz .LBB24_131
; %bb.130:
	v_lshlrev_b32_e32 v11, 2, v0
	ds_read_b32 v12, v11
	v_bfe_i32 v13, v88, 0, 1
	s_waitcnt lgkmcnt(0)
	v_mov_b32_dpp v14, v12 row_shr:1 row_mask:0xf bank_mask:0xf
	v_and_b32_e32 v13, v13, v14
	v_add_u32_e32 v12, v13, v12
	ds_write_b32 v11, v12
.LBB24_131:
	s_or_b64 exec, exec, s[2:3]
	v_cmp_lt_u32_e32 vcc, 63, v0
	v_mov_b32_e32 v12, 0
	v_mov_b32_e32 v11, 0
	s_waitcnt lgkmcnt(0)
	s_barrier
	s_and_saveexec_b64 s[2:3], vcc
	s_cbranch_execz .LBB24_133
; %bb.132:
	v_lshl_add_u32 v11, v93, 2, -4
	ds_read_b32 v11, v11
.LBB24_133:
	s_or_b64 exec, exec, s[2:3]
	v_add_u32_e32 v13, -1, v88
	v_and_b32_e32 v14, 64, v88
	v_cmp_lt_i32_e32 vcc, v13, v14
	v_cndmask_b32_e32 v13, v13, v88, vcc
	s_waitcnt lgkmcnt(0)
	v_add_u32_e32 v10, v11, v10
	v_lshlrev_b32_e32 v13, 2, v13
	ds_bpermute_b32 v10, v13, v10
	ds_read_b32 v18, v12 offset:4
	s_and_saveexec_b64 s[2:3], s[0:1]
	s_cbranch_execz .LBB24_135
; %bb.134:
	v_mov_b32_e32 v12, 0
	v_mov_b32_e32 v19, 2
	s_waitcnt lgkmcnt(0)
	global_store_dwordx2 v12, v[18:19], s[26:27] offset:512
.LBB24_135:
	s_or_b64 exec, exec, s[2:3]
	v_cmp_eq_u32_e32 vcc, 0, v88
	s_waitcnt lgkmcnt(1)
	v_cndmask_b32_e32 v10, v10, v11, vcc
	v_mov_b32_e32 v19, 0
	v_cndmask_b32_e64 v99, v10, 0, s[0:1]
	s_waitcnt lgkmcnt(0)
	s_barrier
.LBB24_136:
	v_add_u32_e32 v102, v99, v91
	v_add_u32_e32 v101, v102, v92
	;; [unrolled: 1-line block ×29, first 2 shown]
	s_movk_i32 s2, 0x81
	v_add_u32_e32 v12, v13, v117
	s_waitcnt lgkmcnt(0)
	v_cmp_gt_u32_e32 vcc, s2, v18
	v_add_u32_sdwa v11, v12, v39 dst_sel:DWORD dst_unused:UNUSED_PAD src0_sel:DWORD src1_sel:BYTE_0
	s_mov_b64 s[2:3], -1
	s_cbranch_vccnz .LBB24_140
; %bb.137:
	s_and_b64 vcc, exec, s[2:3]
	s_cbranch_vccnz .LBB24_237
.LBB24_138:
	s_and_b64 s[0:1], s[0:1], s[18:19]
	s_and_saveexec_b64 s[2:3], s[0:1]
	s_cbranch_execnz .LBB24_316
.LBB24_139:
	s_endpgm
.LBB24_140:
	v_mov_b32_e32 v1, s25
	s_waitcnt vmcnt(0)
	v_add_co_u32_e32 v10, vcc, s24, v16
	v_add_u32_e32 v103, v19, v18
	v_addc_co_u32_e32 v1, vcc, v1, v17, vcc
	v_cmp_lt_u32_e32 vcc, v99, v103
	s_or_b64 s[4:5], s[22:23], vcc
	s_and_saveexec_b64 s[2:3], s[4:5]
	s_cbranch_execz .LBB24_143
; %bb.141:
	v_and_b32_e32 v104, 1, v77
	v_cmp_eq_u32_e32 vcc, 1, v104
	s_and_b64 exec, exec, vcc
	s_cbranch_execz .LBB24_143
; %bb.142:
	v_readfirstlane_b32 s4, v10
	v_readfirstlane_b32 s5, v1
	s_nop 4
	global_store_byte v99, v8, s[4:5]
.LBB24_143:
	s_or_b64 exec, exec, s[2:3]
	v_cmp_lt_u32_e32 vcc, v102, v103
	s_or_b64 s[4:5], s[22:23], vcc
	s_and_saveexec_b64 s[2:3], s[4:5]
	s_cbranch_execz .LBB24_146
; %bb.144:
	v_and_b32_e32 v104, 1, v76
	v_cmp_eq_u32_e32 vcc, 1, v104
	s_and_b64 exec, exec, vcc
	s_cbranch_execz .LBB24_146
; %bb.145:
	v_readfirstlane_b32 s4, v10
	v_readfirstlane_b32 s5, v1
	s_nop 4
	global_store_byte v102, v52, s[4:5]
.LBB24_146:
	s_or_b64 exec, exec, s[2:3]
	;; [unrolled: 16-line block ×32, first 2 shown]
	s_branch .LBB24_138
.LBB24_237:
	v_and_b32_e32 v1, 1, v77
	v_cmp_eq_u32_e32 vcc, 1, v1
	s_and_saveexec_b64 s[2:3], vcc
	s_cbranch_execz .LBB24_239
; %bb.238:
	v_sub_u32_e32 v1, v99, v19
	ds_write_b8 v1, v8
.LBB24_239:
	s_or_b64 exec, exec, s[2:3]
	v_and_b32_e32 v1, 1, v76
	v_cmp_eq_u32_e32 vcc, 1, v1
	s_and_saveexec_b64 s[2:3], vcc
	s_cbranch_execz .LBB24_241
; %bb.240:
	v_sub_u32_e32 v1, v102, v19
	ds_write_b8 v1, v52
.LBB24_241:
	s_or_b64 exec, exec, s[2:3]
	;; [unrolled: 9-line block ×32, first 2 shown]
	v_cmp_lt_u32_e32 vcc, v0, v18
	s_waitcnt lgkmcnt(0)
	s_barrier
	s_and_saveexec_b64 s[4:5], vcc
	s_cbranch_execz .LBB24_315
; %bb.302:
	v_mov_b32_e32 v1, s25
	s_waitcnt vmcnt(0)
	v_add_co_u32_e32 v2, vcc, s24, v16
	v_addc_co_u32_e32 v1, vcc, v1, v17, vcc
	v_add_co_u32_e32 v20, vcc, v2, v19
	v_addc_co_u32_e32 v21, vcc, 0, v1, vcc
	v_xad_u32 v1, v0, -1, v18
	s_movk_i32 s2, 0xb80
	v_cmp_gt_u32_e32 vcc, s2, v1
	s_movk_i32 s2, 0xb7f
	v_cmp_lt_u32_e64 s[2:3], s2, v1
	s_and_saveexec_b64 s[6:7], s[2:3]
	s_cbranch_execz .LBB24_312
; %bb.303:
	v_sub_u32_e32 v2, v0, v18
	v_or_b32_e32 v2, 0x7f, v2
	v_cmp_ge_u32_e64 s[2:3], v2, v0
	s_mov_b64 s[10:11], -1
	s_and_saveexec_b64 s[8:9], s[2:3]
	s_cbranch_execz .LBB24_311
; %bb.304:
	v_lshrrev_b32_e32 v22, 7, v1
	v_or_b32_e32 v7, 0x380, v0
	v_or_b32_e32 v6, 0x300, v0
	;; [unrolled: 1-line block ×7, first 2 shown]
	v_add_u32_e32 v23, -7, v22
	v_pk_mov_b32 v[14:15], v[6:7], v[6:7] op_sel:[0,1]
	v_cmp_lt_u32_e64 s[2:3], 7, v23
	v_mov_b32_e32 v24, 0
	v_pk_mov_b32 v[12:13], v[4:5], v[4:5] op_sel:[0,1]
	v_pk_mov_b32 v[10:11], v[2:3], v[2:3] op_sel:[0,1]
	;; [unrolled: 1-line block ×3, first 2 shown]
	s_and_saveexec_b64 s[10:11], s[2:3]
	s_cbranch_execz .LBB24_308
; %bb.305:
	v_lshrrev_b32_e32 v8, 3, v23
	v_add_u32_e32 v8, 1, v8
	v_and_b32_e32 v24, 0x3ffffffe, v8
	v_pk_mov_b32 v[14:15], v[6:7], v[6:7] op_sel:[0,1]
	s_mov_b32 s14, 0
	s_mov_b64 s[12:13], 0
	v_mov_b32_e32 v25, v0
	v_pk_mov_b32 v[12:13], v[4:5], v[4:5] op_sel:[0,1]
	v_pk_mov_b32 v[10:11], v[2:3], v[2:3] op_sel:[0,1]
	;; [unrolled: 1-line block ×3, first 2 shown]
.LBB24_306:                             ; =>This Inner Loop Header: Depth=1
	v_add_co_u32_e64 v2, s[2:3], v20, v8
	v_addc_co_u32_e64 v3, s[2:3], 0, v21, s[2:3]
	v_add_co_u32_e64 v4, s[2:3], v20, v9
	v_addc_co_u32_e64 v5, s[2:3], 0, v21, s[2:3]
	;; [unrolled: 2-line block ×8, first 2 shown]
	v_add_u32_e32 v36, 0x400, v8
	v_add_co_u32_e64 v36, s[2:3], v20, v36
	v_add_u32_e32 v38, 0x400, v9
	v_addc_co_u32_e64 v37, s[2:3], 0, v21, s[2:3]
	v_add_co_u32_e64 v38, s[2:3], v20, v38
	v_add_u32_e32 v40, 0x400, v10
	v_addc_co_u32_e64 v39, s[2:3], 0, v21, s[2:3]
	;; [unrolled: 3-line block ×6, first 2 shown]
	v_add_co_u32_e64 v48, s[2:3], v20, v48
	ds_read_u8 v52, v25
	ds_read_u8 v53, v25 offset:128
	ds_read_u8 v54, v25 offset:256
	;; [unrolled: 1-line block ×7, first 2 shown]
	v_add_u32_e32 v1, 0x400, v15
	ds_read_u8 v60, v25 offset:1024
	ds_read_u8 v61, v25 offset:1152
	;; [unrolled: 1-line block ×8, first 2 shown]
	v_addc_co_u32_e64 v49, s[2:3], 0, v21, s[2:3]
	v_add_co_u32_e64 v50, s[2:3], v20, v1
	v_add_u32_e32 v24, -2, v24
	v_addc_co_u32_e64 v51, s[2:3], 0, v21, s[2:3]
	s_add_i32 s14, s14, 16
	v_cmp_eq_u32_e64 s[2:3], 0, v24
	v_add_u32_e32 v15, 0x800, v15
	v_add_u32_e32 v14, 0x800, v14
	v_add_u32_e32 v13, 0x800, v13
	v_add_u32_e32 v12, 0x800, v12
	v_add_u32_e32 v11, 0x800, v11
	v_add_u32_e32 v10, 0x800, v10
	v_add_u32_e32 v9, 0x800, v9
	v_add_u32_e32 v8, 0x800, v8
	v_add_u32_e32 v25, 0x800, v25
	v_mov_b32_e32 v1, s14
	s_or_b64 s[12:13], s[2:3], s[12:13]
	s_waitcnt lgkmcnt(14)
	global_store_byte v[2:3], v52, off
	global_store_byte v[4:5], v53, off
	s_waitcnt lgkmcnt(13)
	global_store_byte v[6:7], v54, off
	s_waitcnt lgkmcnt(12)
	;; [unrolled: 2-line block ×14, first 2 shown]
	global_store_byte v[50:51], v67, off
	s_andn2_b64 exec, exec, s[12:13]
	s_cbranch_execnz .LBB24_306
; %bb.307:
	s_or_b64 exec, exec, s[12:13]
	v_lshlrev_b32_e32 v24, 7, v1
.LBB24_308:
	s_or_b64 exec, exec, s[10:11]
	v_and_b32_e32 v1, 8, v23
	v_cmp_eq_u32_e64 s[2:3], 0, v1
	s_and_saveexec_b64 s[10:11], s[2:3]
	s_cbranch_execz .LBB24_310
; %bb.309:
	v_add_co_u32_e64 v2, s[2:3], v20, v8
	v_addc_co_u32_e64 v3, s[2:3], 0, v21, s[2:3]
	v_add_co_u32_e64 v4, s[2:3], v20, v9
	v_addc_co_u32_e64 v5, s[2:3], 0, v21, s[2:3]
	;; [unrolled: 2-line block ×4, first 2 shown]
	v_add_co_u32_e64 v10, s[2:3], v20, v12
	v_or_b32_e32 v1, v0, v24
	v_addc_co_u32_e64 v11, s[2:3], 0, v21, s[2:3]
	ds_read_u8 v23, v1
	ds_read_u8 v26, v1 offset:128
	ds_read_u8 v27, v1 offset:256
	;; [unrolled: 1-line block ×7, first 2 shown]
	v_add_co_u32_e64 v12, s[2:3], v20, v13
	v_addc_co_u32_e64 v13, s[2:3], 0, v21, s[2:3]
	v_add_co_u32_e64 v24, s[2:3], v20, v14
	v_addc_co_u32_e64 v25, s[2:3], 0, v21, s[2:3]
	;; [unrolled: 2-line block ×3, first 2 shown]
	s_waitcnt lgkmcnt(7)
	global_store_byte v[2:3], v23, off
	s_waitcnt lgkmcnt(6)
	global_store_byte v[4:5], v26, off
	s_waitcnt lgkmcnt(5)
	global_store_byte v[6:7], v27, off
	s_waitcnt lgkmcnt(4)
	global_store_byte v[8:9], v28, off
	s_waitcnt lgkmcnt(3)
	global_store_byte v[10:11], v29, off
	s_waitcnt lgkmcnt(2)
	global_store_byte v[12:13], v30, off
	s_waitcnt lgkmcnt(1)
	global_store_byte v[24:25], v31, off
	s_waitcnt lgkmcnt(0)
	global_store_byte v[14:15], v1, off
.LBB24_310:
	s_or_b64 exec, exec, s[10:11]
	v_add_u32_e32 v1, 1, v22
	v_and_b32_e32 v2, 0x3fffff8, v1
	v_cmp_ne_u32_e64 s[2:3], v1, v2
	v_lshl_or_b32 v0, v2, 7, v0
	s_orn2_b64 s[10:11], s[2:3], exec
.LBB24_311:
	s_or_b64 exec, exec, s[8:9]
	s_andn2_b64 s[2:3], vcc, exec
	s_and_b64 s[8:9], s[10:11], exec
	s_or_b64 vcc, s[2:3], s[8:9]
.LBB24_312:
	s_or_b64 exec, exec, s[6:7]
	s_and_b64 exec, exec, vcc
	s_cbranch_execz .LBB24_315
; %bb.313:
	s_mov_b64 s[2:3], 0
.LBB24_314:                             ; =>This Inner Loop Header: Depth=1
	ds_read_u8 v1, v0
	v_readfirstlane_b32 s6, v20
	v_readfirstlane_b32 s7, v21
	s_waitcnt lgkmcnt(0)
	s_nop 3
	global_store_byte v0, v1, s[6:7]
	v_add_u32_e32 v0, 0x80, v0
	v_cmp_ge_u32_e32 vcc, v0, v18
	s_or_b64 s[2:3], vcc, s[2:3]
	s_andn2_b64 exec, exec, s[2:3]
	s_cbranch_execnz .LBB24_314
.LBB24_315:
	s_or_b64 exec, exec, s[4:5]
	s_and_b64 s[0:1], s[0:1], s[18:19]
	s_and_saveexec_b64 s[2:3], s[0:1]
	s_cbranch_execz .LBB24_139
.LBB24_316:
	s_waitcnt vmcnt(0)
	v_add_co_u32_e32 v0, vcc, v16, v18
	v_addc_co_u32_e32 v1, vcc, 0, v17, vcc
	v_add_co_u32_e32 v0, vcc, v0, v19
	v_mov_b32_e32 v2, 0
	v_addc_co_u32_e32 v1, vcc, 0, v1, vcc
	global_store_dwordx2 v2, v[0:1], s[20:21]
	s_endpgm
.LBB24_317:
	s_or_b64 exec, exec, s[10:11]
	v_mov_b32_e32 v77, s12
	s_and_saveexec_b64 s[2:3], s[4:5]
	s_cbranch_execnz .LBB24_92
	s_branch .LBB24_93
	.section	.rodata,"a",@progbits
	.p2align	6, 0x0
	.amdhsa_kernel _ZN7rocprim17ROCPRIM_400000_NS6detail17trampoline_kernelINS0_14default_configENS1_25partition_config_selectorILNS1_17partition_subalgoE8EbNS0_10empty_typeEbEEZZNS1_14partition_implILS5_8ELb0ES3_jN6hipcub16HIPCUB_304000_NS22TransformInputIteratorIbN2at6native8internal12_GLOBAL__N_110LoadBoolOpEPKhlEEPS6_PKS6_NS0_5tupleIJPbS6_EEENSN_IJSK_SK_EEENS0_18inequality_wrapperINSA_8EqualityEEEPlJS6_EEE10hipError_tPvRmT3_T4_T5_T6_T7_T9_mT8_P12ihipStream_tbDpT10_ENKUlT_T0_E_clISt17integral_constantIbLb1EES1E_EEDaS19_S1A_EUlS19_E_NS1_11comp_targetILNS1_3genE4ELNS1_11target_archE910ELNS1_3gpuE8ELNS1_3repE0EEENS1_30default_config_static_selectorELNS0_4arch9wavefront6targetE1EEEvT1_
		.amdhsa_group_segment_fixed_size 4236
		.amdhsa_private_segment_fixed_size 0
		.amdhsa_kernarg_size 136
		.amdhsa_user_sgpr_count 6
		.amdhsa_user_sgpr_private_segment_buffer 1
		.amdhsa_user_sgpr_dispatch_ptr 0
		.amdhsa_user_sgpr_queue_ptr 0
		.amdhsa_user_sgpr_kernarg_segment_ptr 1
		.amdhsa_user_sgpr_dispatch_id 0
		.amdhsa_user_sgpr_flat_scratch_init 0
		.amdhsa_user_sgpr_kernarg_preload_length 0
		.amdhsa_user_sgpr_kernarg_preload_offset 0
		.amdhsa_user_sgpr_private_segment_size 0
		.amdhsa_uses_dynamic_stack 0
		.amdhsa_system_sgpr_private_segment_wavefront_offset 0
		.amdhsa_system_sgpr_workgroup_id_x 1
		.amdhsa_system_sgpr_workgroup_id_y 0
		.amdhsa_system_sgpr_workgroup_id_z 0
		.amdhsa_system_sgpr_workgroup_info 0
		.amdhsa_system_vgpr_workitem_id 0
		.amdhsa_next_free_vgpr 126
		.amdhsa_next_free_sgpr 85
		.amdhsa_accum_offset 128
		.amdhsa_reserve_vcc 1
		.amdhsa_reserve_flat_scratch 0
		.amdhsa_float_round_mode_32 0
		.amdhsa_float_round_mode_16_64 0
		.amdhsa_float_denorm_mode_32 3
		.amdhsa_float_denorm_mode_16_64 3
		.amdhsa_dx10_clamp 1
		.amdhsa_ieee_mode 1
		.amdhsa_fp16_overflow 0
		.amdhsa_tg_split 0
		.amdhsa_exception_fp_ieee_invalid_op 0
		.amdhsa_exception_fp_denorm_src 0
		.amdhsa_exception_fp_ieee_div_zero 0
		.amdhsa_exception_fp_ieee_overflow 0
		.amdhsa_exception_fp_ieee_underflow 0
		.amdhsa_exception_fp_ieee_inexact 0
		.amdhsa_exception_int_div_zero 0
	.end_amdhsa_kernel
	.section	.text._ZN7rocprim17ROCPRIM_400000_NS6detail17trampoline_kernelINS0_14default_configENS1_25partition_config_selectorILNS1_17partition_subalgoE8EbNS0_10empty_typeEbEEZZNS1_14partition_implILS5_8ELb0ES3_jN6hipcub16HIPCUB_304000_NS22TransformInputIteratorIbN2at6native8internal12_GLOBAL__N_110LoadBoolOpEPKhlEEPS6_PKS6_NS0_5tupleIJPbS6_EEENSN_IJSK_SK_EEENS0_18inequality_wrapperINSA_8EqualityEEEPlJS6_EEE10hipError_tPvRmT3_T4_T5_T6_T7_T9_mT8_P12ihipStream_tbDpT10_ENKUlT_T0_E_clISt17integral_constantIbLb1EES1E_EEDaS19_S1A_EUlS19_E_NS1_11comp_targetILNS1_3genE4ELNS1_11target_archE910ELNS1_3gpuE8ELNS1_3repE0EEENS1_30default_config_static_selectorELNS0_4arch9wavefront6targetE1EEEvT1_,"axG",@progbits,_ZN7rocprim17ROCPRIM_400000_NS6detail17trampoline_kernelINS0_14default_configENS1_25partition_config_selectorILNS1_17partition_subalgoE8EbNS0_10empty_typeEbEEZZNS1_14partition_implILS5_8ELb0ES3_jN6hipcub16HIPCUB_304000_NS22TransformInputIteratorIbN2at6native8internal12_GLOBAL__N_110LoadBoolOpEPKhlEEPS6_PKS6_NS0_5tupleIJPbS6_EEENSN_IJSK_SK_EEENS0_18inequality_wrapperINSA_8EqualityEEEPlJS6_EEE10hipError_tPvRmT3_T4_T5_T6_T7_T9_mT8_P12ihipStream_tbDpT10_ENKUlT_T0_E_clISt17integral_constantIbLb1EES1E_EEDaS19_S1A_EUlS19_E_NS1_11comp_targetILNS1_3genE4ELNS1_11target_archE910ELNS1_3gpuE8ELNS1_3repE0EEENS1_30default_config_static_selectorELNS0_4arch9wavefront6targetE1EEEvT1_,comdat
.Lfunc_end24:
	.size	_ZN7rocprim17ROCPRIM_400000_NS6detail17trampoline_kernelINS0_14default_configENS1_25partition_config_selectorILNS1_17partition_subalgoE8EbNS0_10empty_typeEbEEZZNS1_14partition_implILS5_8ELb0ES3_jN6hipcub16HIPCUB_304000_NS22TransformInputIteratorIbN2at6native8internal12_GLOBAL__N_110LoadBoolOpEPKhlEEPS6_PKS6_NS0_5tupleIJPbS6_EEENSN_IJSK_SK_EEENS0_18inequality_wrapperINSA_8EqualityEEEPlJS6_EEE10hipError_tPvRmT3_T4_T5_T6_T7_T9_mT8_P12ihipStream_tbDpT10_ENKUlT_T0_E_clISt17integral_constantIbLb1EES1E_EEDaS19_S1A_EUlS19_E_NS1_11comp_targetILNS1_3genE4ELNS1_11target_archE910ELNS1_3gpuE8ELNS1_3repE0EEENS1_30default_config_static_selectorELNS0_4arch9wavefront6targetE1EEEvT1_, .Lfunc_end24-_ZN7rocprim17ROCPRIM_400000_NS6detail17trampoline_kernelINS0_14default_configENS1_25partition_config_selectorILNS1_17partition_subalgoE8EbNS0_10empty_typeEbEEZZNS1_14partition_implILS5_8ELb0ES3_jN6hipcub16HIPCUB_304000_NS22TransformInputIteratorIbN2at6native8internal12_GLOBAL__N_110LoadBoolOpEPKhlEEPS6_PKS6_NS0_5tupleIJPbS6_EEENSN_IJSK_SK_EEENS0_18inequality_wrapperINSA_8EqualityEEEPlJS6_EEE10hipError_tPvRmT3_T4_T5_T6_T7_T9_mT8_P12ihipStream_tbDpT10_ENKUlT_T0_E_clISt17integral_constantIbLb1EES1E_EEDaS19_S1A_EUlS19_E_NS1_11comp_targetILNS1_3genE4ELNS1_11target_archE910ELNS1_3gpuE8ELNS1_3repE0EEENS1_30default_config_static_selectorELNS0_4arch9wavefront6targetE1EEEvT1_
                                        ; -- End function
	.section	.AMDGPU.csdata,"",@progbits
; Kernel info:
; codeLenInByte = 14536
; NumSgprs: 89
; NumVgprs: 126
; NumAgprs: 0
; TotalNumVgprs: 126
; ScratchSize: 0
; MemoryBound: 0
; FloatMode: 240
; IeeeMode: 1
; LDSByteSize: 4236 bytes/workgroup (compile time only)
; SGPRBlocks: 11
; VGPRBlocks: 15
; NumSGPRsForWavesPerEU: 89
; NumVGPRsForWavesPerEU: 126
; AccumOffset: 128
; Occupancy: 4
; WaveLimiterHint : 1
; COMPUTE_PGM_RSRC2:SCRATCH_EN: 0
; COMPUTE_PGM_RSRC2:USER_SGPR: 6
; COMPUTE_PGM_RSRC2:TRAP_HANDLER: 0
; COMPUTE_PGM_RSRC2:TGID_X_EN: 1
; COMPUTE_PGM_RSRC2:TGID_Y_EN: 0
; COMPUTE_PGM_RSRC2:TGID_Z_EN: 0
; COMPUTE_PGM_RSRC2:TIDIG_COMP_CNT: 0
; COMPUTE_PGM_RSRC3_GFX90A:ACCUM_OFFSET: 31
; COMPUTE_PGM_RSRC3_GFX90A:TG_SPLIT: 0
	.section	.text._ZN7rocprim17ROCPRIM_400000_NS6detail17trampoline_kernelINS0_14default_configENS1_25partition_config_selectorILNS1_17partition_subalgoE8EbNS0_10empty_typeEbEEZZNS1_14partition_implILS5_8ELb0ES3_jN6hipcub16HIPCUB_304000_NS22TransformInputIteratorIbN2at6native8internal12_GLOBAL__N_110LoadBoolOpEPKhlEEPS6_PKS6_NS0_5tupleIJPbS6_EEENSN_IJSK_SK_EEENS0_18inequality_wrapperINSA_8EqualityEEEPlJS6_EEE10hipError_tPvRmT3_T4_T5_T6_T7_T9_mT8_P12ihipStream_tbDpT10_ENKUlT_T0_E_clISt17integral_constantIbLb1EES1E_EEDaS19_S1A_EUlS19_E_NS1_11comp_targetILNS1_3genE3ELNS1_11target_archE908ELNS1_3gpuE7ELNS1_3repE0EEENS1_30default_config_static_selectorELNS0_4arch9wavefront6targetE1EEEvT1_,"axG",@progbits,_ZN7rocprim17ROCPRIM_400000_NS6detail17trampoline_kernelINS0_14default_configENS1_25partition_config_selectorILNS1_17partition_subalgoE8EbNS0_10empty_typeEbEEZZNS1_14partition_implILS5_8ELb0ES3_jN6hipcub16HIPCUB_304000_NS22TransformInputIteratorIbN2at6native8internal12_GLOBAL__N_110LoadBoolOpEPKhlEEPS6_PKS6_NS0_5tupleIJPbS6_EEENSN_IJSK_SK_EEENS0_18inequality_wrapperINSA_8EqualityEEEPlJS6_EEE10hipError_tPvRmT3_T4_T5_T6_T7_T9_mT8_P12ihipStream_tbDpT10_ENKUlT_T0_E_clISt17integral_constantIbLb1EES1E_EEDaS19_S1A_EUlS19_E_NS1_11comp_targetILNS1_3genE3ELNS1_11target_archE908ELNS1_3gpuE7ELNS1_3repE0EEENS1_30default_config_static_selectorELNS0_4arch9wavefront6targetE1EEEvT1_,comdat
	.globl	_ZN7rocprim17ROCPRIM_400000_NS6detail17trampoline_kernelINS0_14default_configENS1_25partition_config_selectorILNS1_17partition_subalgoE8EbNS0_10empty_typeEbEEZZNS1_14partition_implILS5_8ELb0ES3_jN6hipcub16HIPCUB_304000_NS22TransformInputIteratorIbN2at6native8internal12_GLOBAL__N_110LoadBoolOpEPKhlEEPS6_PKS6_NS0_5tupleIJPbS6_EEENSN_IJSK_SK_EEENS0_18inequality_wrapperINSA_8EqualityEEEPlJS6_EEE10hipError_tPvRmT3_T4_T5_T6_T7_T9_mT8_P12ihipStream_tbDpT10_ENKUlT_T0_E_clISt17integral_constantIbLb1EES1E_EEDaS19_S1A_EUlS19_E_NS1_11comp_targetILNS1_3genE3ELNS1_11target_archE908ELNS1_3gpuE7ELNS1_3repE0EEENS1_30default_config_static_selectorELNS0_4arch9wavefront6targetE1EEEvT1_ ; -- Begin function _ZN7rocprim17ROCPRIM_400000_NS6detail17trampoline_kernelINS0_14default_configENS1_25partition_config_selectorILNS1_17partition_subalgoE8EbNS0_10empty_typeEbEEZZNS1_14partition_implILS5_8ELb0ES3_jN6hipcub16HIPCUB_304000_NS22TransformInputIteratorIbN2at6native8internal12_GLOBAL__N_110LoadBoolOpEPKhlEEPS6_PKS6_NS0_5tupleIJPbS6_EEENSN_IJSK_SK_EEENS0_18inequality_wrapperINSA_8EqualityEEEPlJS6_EEE10hipError_tPvRmT3_T4_T5_T6_T7_T9_mT8_P12ihipStream_tbDpT10_ENKUlT_T0_E_clISt17integral_constantIbLb1EES1E_EEDaS19_S1A_EUlS19_E_NS1_11comp_targetILNS1_3genE3ELNS1_11target_archE908ELNS1_3gpuE7ELNS1_3repE0EEENS1_30default_config_static_selectorELNS0_4arch9wavefront6targetE1EEEvT1_
	.p2align	8
	.type	_ZN7rocprim17ROCPRIM_400000_NS6detail17trampoline_kernelINS0_14default_configENS1_25partition_config_selectorILNS1_17partition_subalgoE8EbNS0_10empty_typeEbEEZZNS1_14partition_implILS5_8ELb0ES3_jN6hipcub16HIPCUB_304000_NS22TransformInputIteratorIbN2at6native8internal12_GLOBAL__N_110LoadBoolOpEPKhlEEPS6_PKS6_NS0_5tupleIJPbS6_EEENSN_IJSK_SK_EEENS0_18inequality_wrapperINSA_8EqualityEEEPlJS6_EEE10hipError_tPvRmT3_T4_T5_T6_T7_T9_mT8_P12ihipStream_tbDpT10_ENKUlT_T0_E_clISt17integral_constantIbLb1EES1E_EEDaS19_S1A_EUlS19_E_NS1_11comp_targetILNS1_3genE3ELNS1_11target_archE908ELNS1_3gpuE7ELNS1_3repE0EEENS1_30default_config_static_selectorELNS0_4arch9wavefront6targetE1EEEvT1_,@function
_ZN7rocprim17ROCPRIM_400000_NS6detail17trampoline_kernelINS0_14default_configENS1_25partition_config_selectorILNS1_17partition_subalgoE8EbNS0_10empty_typeEbEEZZNS1_14partition_implILS5_8ELb0ES3_jN6hipcub16HIPCUB_304000_NS22TransformInputIteratorIbN2at6native8internal12_GLOBAL__N_110LoadBoolOpEPKhlEEPS6_PKS6_NS0_5tupleIJPbS6_EEENSN_IJSK_SK_EEENS0_18inequality_wrapperINSA_8EqualityEEEPlJS6_EEE10hipError_tPvRmT3_T4_T5_T6_T7_T9_mT8_P12ihipStream_tbDpT10_ENKUlT_T0_E_clISt17integral_constantIbLb1EES1E_EEDaS19_S1A_EUlS19_E_NS1_11comp_targetILNS1_3genE3ELNS1_11target_archE908ELNS1_3gpuE7ELNS1_3repE0EEENS1_30default_config_static_selectorELNS0_4arch9wavefront6targetE1EEEvT1_: ; @_ZN7rocprim17ROCPRIM_400000_NS6detail17trampoline_kernelINS0_14default_configENS1_25partition_config_selectorILNS1_17partition_subalgoE8EbNS0_10empty_typeEbEEZZNS1_14partition_implILS5_8ELb0ES3_jN6hipcub16HIPCUB_304000_NS22TransformInputIteratorIbN2at6native8internal12_GLOBAL__N_110LoadBoolOpEPKhlEEPS6_PKS6_NS0_5tupleIJPbS6_EEENSN_IJSK_SK_EEENS0_18inequality_wrapperINSA_8EqualityEEEPlJS6_EEE10hipError_tPvRmT3_T4_T5_T6_T7_T9_mT8_P12ihipStream_tbDpT10_ENKUlT_T0_E_clISt17integral_constantIbLb1EES1E_EEDaS19_S1A_EUlS19_E_NS1_11comp_targetILNS1_3genE3ELNS1_11target_archE908ELNS1_3gpuE7ELNS1_3repE0EEENS1_30default_config_static_selectorELNS0_4arch9wavefront6targetE1EEEvT1_
; %bb.0:
	.section	.rodata,"a",@progbits
	.p2align	6, 0x0
	.amdhsa_kernel _ZN7rocprim17ROCPRIM_400000_NS6detail17trampoline_kernelINS0_14default_configENS1_25partition_config_selectorILNS1_17partition_subalgoE8EbNS0_10empty_typeEbEEZZNS1_14partition_implILS5_8ELb0ES3_jN6hipcub16HIPCUB_304000_NS22TransformInputIteratorIbN2at6native8internal12_GLOBAL__N_110LoadBoolOpEPKhlEEPS6_PKS6_NS0_5tupleIJPbS6_EEENSN_IJSK_SK_EEENS0_18inequality_wrapperINSA_8EqualityEEEPlJS6_EEE10hipError_tPvRmT3_T4_T5_T6_T7_T9_mT8_P12ihipStream_tbDpT10_ENKUlT_T0_E_clISt17integral_constantIbLb1EES1E_EEDaS19_S1A_EUlS19_E_NS1_11comp_targetILNS1_3genE3ELNS1_11target_archE908ELNS1_3gpuE7ELNS1_3repE0EEENS1_30default_config_static_selectorELNS0_4arch9wavefront6targetE1EEEvT1_
		.amdhsa_group_segment_fixed_size 0
		.amdhsa_private_segment_fixed_size 0
		.amdhsa_kernarg_size 136
		.amdhsa_user_sgpr_count 6
		.amdhsa_user_sgpr_private_segment_buffer 1
		.amdhsa_user_sgpr_dispatch_ptr 0
		.amdhsa_user_sgpr_queue_ptr 0
		.amdhsa_user_sgpr_kernarg_segment_ptr 1
		.amdhsa_user_sgpr_dispatch_id 0
		.amdhsa_user_sgpr_flat_scratch_init 0
		.amdhsa_user_sgpr_kernarg_preload_length 0
		.amdhsa_user_sgpr_kernarg_preload_offset 0
		.amdhsa_user_sgpr_private_segment_size 0
		.amdhsa_uses_dynamic_stack 0
		.amdhsa_system_sgpr_private_segment_wavefront_offset 0
		.amdhsa_system_sgpr_workgroup_id_x 1
		.amdhsa_system_sgpr_workgroup_id_y 0
		.amdhsa_system_sgpr_workgroup_id_z 0
		.amdhsa_system_sgpr_workgroup_info 0
		.amdhsa_system_vgpr_workitem_id 0
		.amdhsa_next_free_vgpr 1
		.amdhsa_next_free_sgpr 0
		.amdhsa_accum_offset 4
		.amdhsa_reserve_vcc 0
		.amdhsa_reserve_flat_scratch 0
		.amdhsa_float_round_mode_32 0
		.amdhsa_float_round_mode_16_64 0
		.amdhsa_float_denorm_mode_32 3
		.amdhsa_float_denorm_mode_16_64 3
		.amdhsa_dx10_clamp 1
		.amdhsa_ieee_mode 1
		.amdhsa_fp16_overflow 0
		.amdhsa_tg_split 0
		.amdhsa_exception_fp_ieee_invalid_op 0
		.amdhsa_exception_fp_denorm_src 0
		.amdhsa_exception_fp_ieee_div_zero 0
		.amdhsa_exception_fp_ieee_overflow 0
		.amdhsa_exception_fp_ieee_underflow 0
		.amdhsa_exception_fp_ieee_inexact 0
		.amdhsa_exception_int_div_zero 0
	.end_amdhsa_kernel
	.section	.text._ZN7rocprim17ROCPRIM_400000_NS6detail17trampoline_kernelINS0_14default_configENS1_25partition_config_selectorILNS1_17partition_subalgoE8EbNS0_10empty_typeEbEEZZNS1_14partition_implILS5_8ELb0ES3_jN6hipcub16HIPCUB_304000_NS22TransformInputIteratorIbN2at6native8internal12_GLOBAL__N_110LoadBoolOpEPKhlEEPS6_PKS6_NS0_5tupleIJPbS6_EEENSN_IJSK_SK_EEENS0_18inequality_wrapperINSA_8EqualityEEEPlJS6_EEE10hipError_tPvRmT3_T4_T5_T6_T7_T9_mT8_P12ihipStream_tbDpT10_ENKUlT_T0_E_clISt17integral_constantIbLb1EES1E_EEDaS19_S1A_EUlS19_E_NS1_11comp_targetILNS1_3genE3ELNS1_11target_archE908ELNS1_3gpuE7ELNS1_3repE0EEENS1_30default_config_static_selectorELNS0_4arch9wavefront6targetE1EEEvT1_,"axG",@progbits,_ZN7rocprim17ROCPRIM_400000_NS6detail17trampoline_kernelINS0_14default_configENS1_25partition_config_selectorILNS1_17partition_subalgoE8EbNS0_10empty_typeEbEEZZNS1_14partition_implILS5_8ELb0ES3_jN6hipcub16HIPCUB_304000_NS22TransformInputIteratorIbN2at6native8internal12_GLOBAL__N_110LoadBoolOpEPKhlEEPS6_PKS6_NS0_5tupleIJPbS6_EEENSN_IJSK_SK_EEENS0_18inequality_wrapperINSA_8EqualityEEEPlJS6_EEE10hipError_tPvRmT3_T4_T5_T6_T7_T9_mT8_P12ihipStream_tbDpT10_ENKUlT_T0_E_clISt17integral_constantIbLb1EES1E_EEDaS19_S1A_EUlS19_E_NS1_11comp_targetILNS1_3genE3ELNS1_11target_archE908ELNS1_3gpuE7ELNS1_3repE0EEENS1_30default_config_static_selectorELNS0_4arch9wavefront6targetE1EEEvT1_,comdat
.Lfunc_end25:
	.size	_ZN7rocprim17ROCPRIM_400000_NS6detail17trampoline_kernelINS0_14default_configENS1_25partition_config_selectorILNS1_17partition_subalgoE8EbNS0_10empty_typeEbEEZZNS1_14partition_implILS5_8ELb0ES3_jN6hipcub16HIPCUB_304000_NS22TransformInputIteratorIbN2at6native8internal12_GLOBAL__N_110LoadBoolOpEPKhlEEPS6_PKS6_NS0_5tupleIJPbS6_EEENSN_IJSK_SK_EEENS0_18inequality_wrapperINSA_8EqualityEEEPlJS6_EEE10hipError_tPvRmT3_T4_T5_T6_T7_T9_mT8_P12ihipStream_tbDpT10_ENKUlT_T0_E_clISt17integral_constantIbLb1EES1E_EEDaS19_S1A_EUlS19_E_NS1_11comp_targetILNS1_3genE3ELNS1_11target_archE908ELNS1_3gpuE7ELNS1_3repE0EEENS1_30default_config_static_selectorELNS0_4arch9wavefront6targetE1EEEvT1_, .Lfunc_end25-_ZN7rocprim17ROCPRIM_400000_NS6detail17trampoline_kernelINS0_14default_configENS1_25partition_config_selectorILNS1_17partition_subalgoE8EbNS0_10empty_typeEbEEZZNS1_14partition_implILS5_8ELb0ES3_jN6hipcub16HIPCUB_304000_NS22TransformInputIteratorIbN2at6native8internal12_GLOBAL__N_110LoadBoolOpEPKhlEEPS6_PKS6_NS0_5tupleIJPbS6_EEENSN_IJSK_SK_EEENS0_18inequality_wrapperINSA_8EqualityEEEPlJS6_EEE10hipError_tPvRmT3_T4_T5_T6_T7_T9_mT8_P12ihipStream_tbDpT10_ENKUlT_T0_E_clISt17integral_constantIbLb1EES1E_EEDaS19_S1A_EUlS19_E_NS1_11comp_targetILNS1_3genE3ELNS1_11target_archE908ELNS1_3gpuE7ELNS1_3repE0EEENS1_30default_config_static_selectorELNS0_4arch9wavefront6targetE1EEEvT1_
                                        ; -- End function
	.section	.AMDGPU.csdata,"",@progbits
; Kernel info:
; codeLenInByte = 0
; NumSgprs: 4
; NumVgprs: 0
; NumAgprs: 0
; TotalNumVgprs: 0
; ScratchSize: 0
; MemoryBound: 0
; FloatMode: 240
; IeeeMode: 1
; LDSByteSize: 0 bytes/workgroup (compile time only)
; SGPRBlocks: 0
; VGPRBlocks: 0
; NumSGPRsForWavesPerEU: 4
; NumVGPRsForWavesPerEU: 1
; AccumOffset: 4
; Occupancy: 8
; WaveLimiterHint : 0
; COMPUTE_PGM_RSRC2:SCRATCH_EN: 0
; COMPUTE_PGM_RSRC2:USER_SGPR: 6
; COMPUTE_PGM_RSRC2:TRAP_HANDLER: 0
; COMPUTE_PGM_RSRC2:TGID_X_EN: 1
; COMPUTE_PGM_RSRC2:TGID_Y_EN: 0
; COMPUTE_PGM_RSRC2:TGID_Z_EN: 0
; COMPUTE_PGM_RSRC2:TIDIG_COMP_CNT: 0
; COMPUTE_PGM_RSRC3_GFX90A:ACCUM_OFFSET: 0
; COMPUTE_PGM_RSRC3_GFX90A:TG_SPLIT: 0
	.section	.text._ZN7rocprim17ROCPRIM_400000_NS6detail17trampoline_kernelINS0_14default_configENS1_25partition_config_selectorILNS1_17partition_subalgoE8EbNS0_10empty_typeEbEEZZNS1_14partition_implILS5_8ELb0ES3_jN6hipcub16HIPCUB_304000_NS22TransformInputIteratorIbN2at6native8internal12_GLOBAL__N_110LoadBoolOpEPKhlEEPS6_PKS6_NS0_5tupleIJPbS6_EEENSN_IJSK_SK_EEENS0_18inequality_wrapperINSA_8EqualityEEEPlJS6_EEE10hipError_tPvRmT3_T4_T5_T6_T7_T9_mT8_P12ihipStream_tbDpT10_ENKUlT_T0_E_clISt17integral_constantIbLb1EES1E_EEDaS19_S1A_EUlS19_E_NS1_11comp_targetILNS1_3genE2ELNS1_11target_archE906ELNS1_3gpuE6ELNS1_3repE0EEENS1_30default_config_static_selectorELNS0_4arch9wavefront6targetE1EEEvT1_,"axG",@progbits,_ZN7rocprim17ROCPRIM_400000_NS6detail17trampoline_kernelINS0_14default_configENS1_25partition_config_selectorILNS1_17partition_subalgoE8EbNS0_10empty_typeEbEEZZNS1_14partition_implILS5_8ELb0ES3_jN6hipcub16HIPCUB_304000_NS22TransformInputIteratorIbN2at6native8internal12_GLOBAL__N_110LoadBoolOpEPKhlEEPS6_PKS6_NS0_5tupleIJPbS6_EEENSN_IJSK_SK_EEENS0_18inequality_wrapperINSA_8EqualityEEEPlJS6_EEE10hipError_tPvRmT3_T4_T5_T6_T7_T9_mT8_P12ihipStream_tbDpT10_ENKUlT_T0_E_clISt17integral_constantIbLb1EES1E_EEDaS19_S1A_EUlS19_E_NS1_11comp_targetILNS1_3genE2ELNS1_11target_archE906ELNS1_3gpuE6ELNS1_3repE0EEENS1_30default_config_static_selectorELNS0_4arch9wavefront6targetE1EEEvT1_,comdat
	.globl	_ZN7rocprim17ROCPRIM_400000_NS6detail17trampoline_kernelINS0_14default_configENS1_25partition_config_selectorILNS1_17partition_subalgoE8EbNS0_10empty_typeEbEEZZNS1_14partition_implILS5_8ELb0ES3_jN6hipcub16HIPCUB_304000_NS22TransformInputIteratorIbN2at6native8internal12_GLOBAL__N_110LoadBoolOpEPKhlEEPS6_PKS6_NS0_5tupleIJPbS6_EEENSN_IJSK_SK_EEENS0_18inequality_wrapperINSA_8EqualityEEEPlJS6_EEE10hipError_tPvRmT3_T4_T5_T6_T7_T9_mT8_P12ihipStream_tbDpT10_ENKUlT_T0_E_clISt17integral_constantIbLb1EES1E_EEDaS19_S1A_EUlS19_E_NS1_11comp_targetILNS1_3genE2ELNS1_11target_archE906ELNS1_3gpuE6ELNS1_3repE0EEENS1_30default_config_static_selectorELNS0_4arch9wavefront6targetE1EEEvT1_ ; -- Begin function _ZN7rocprim17ROCPRIM_400000_NS6detail17trampoline_kernelINS0_14default_configENS1_25partition_config_selectorILNS1_17partition_subalgoE8EbNS0_10empty_typeEbEEZZNS1_14partition_implILS5_8ELb0ES3_jN6hipcub16HIPCUB_304000_NS22TransformInputIteratorIbN2at6native8internal12_GLOBAL__N_110LoadBoolOpEPKhlEEPS6_PKS6_NS0_5tupleIJPbS6_EEENSN_IJSK_SK_EEENS0_18inequality_wrapperINSA_8EqualityEEEPlJS6_EEE10hipError_tPvRmT3_T4_T5_T6_T7_T9_mT8_P12ihipStream_tbDpT10_ENKUlT_T0_E_clISt17integral_constantIbLb1EES1E_EEDaS19_S1A_EUlS19_E_NS1_11comp_targetILNS1_3genE2ELNS1_11target_archE906ELNS1_3gpuE6ELNS1_3repE0EEENS1_30default_config_static_selectorELNS0_4arch9wavefront6targetE1EEEvT1_
	.p2align	8
	.type	_ZN7rocprim17ROCPRIM_400000_NS6detail17trampoline_kernelINS0_14default_configENS1_25partition_config_selectorILNS1_17partition_subalgoE8EbNS0_10empty_typeEbEEZZNS1_14partition_implILS5_8ELb0ES3_jN6hipcub16HIPCUB_304000_NS22TransformInputIteratorIbN2at6native8internal12_GLOBAL__N_110LoadBoolOpEPKhlEEPS6_PKS6_NS0_5tupleIJPbS6_EEENSN_IJSK_SK_EEENS0_18inequality_wrapperINSA_8EqualityEEEPlJS6_EEE10hipError_tPvRmT3_T4_T5_T6_T7_T9_mT8_P12ihipStream_tbDpT10_ENKUlT_T0_E_clISt17integral_constantIbLb1EES1E_EEDaS19_S1A_EUlS19_E_NS1_11comp_targetILNS1_3genE2ELNS1_11target_archE906ELNS1_3gpuE6ELNS1_3repE0EEENS1_30default_config_static_selectorELNS0_4arch9wavefront6targetE1EEEvT1_,@function
_ZN7rocprim17ROCPRIM_400000_NS6detail17trampoline_kernelINS0_14default_configENS1_25partition_config_selectorILNS1_17partition_subalgoE8EbNS0_10empty_typeEbEEZZNS1_14partition_implILS5_8ELb0ES3_jN6hipcub16HIPCUB_304000_NS22TransformInputIteratorIbN2at6native8internal12_GLOBAL__N_110LoadBoolOpEPKhlEEPS6_PKS6_NS0_5tupleIJPbS6_EEENSN_IJSK_SK_EEENS0_18inequality_wrapperINSA_8EqualityEEEPlJS6_EEE10hipError_tPvRmT3_T4_T5_T6_T7_T9_mT8_P12ihipStream_tbDpT10_ENKUlT_T0_E_clISt17integral_constantIbLb1EES1E_EEDaS19_S1A_EUlS19_E_NS1_11comp_targetILNS1_3genE2ELNS1_11target_archE906ELNS1_3gpuE6ELNS1_3repE0EEENS1_30default_config_static_selectorELNS0_4arch9wavefront6targetE1EEEvT1_: ; @_ZN7rocprim17ROCPRIM_400000_NS6detail17trampoline_kernelINS0_14default_configENS1_25partition_config_selectorILNS1_17partition_subalgoE8EbNS0_10empty_typeEbEEZZNS1_14partition_implILS5_8ELb0ES3_jN6hipcub16HIPCUB_304000_NS22TransformInputIteratorIbN2at6native8internal12_GLOBAL__N_110LoadBoolOpEPKhlEEPS6_PKS6_NS0_5tupleIJPbS6_EEENSN_IJSK_SK_EEENS0_18inequality_wrapperINSA_8EqualityEEEPlJS6_EEE10hipError_tPvRmT3_T4_T5_T6_T7_T9_mT8_P12ihipStream_tbDpT10_ENKUlT_T0_E_clISt17integral_constantIbLb1EES1E_EEDaS19_S1A_EUlS19_E_NS1_11comp_targetILNS1_3genE2ELNS1_11target_archE906ELNS1_3gpuE6ELNS1_3repE0EEENS1_30default_config_static_selectorELNS0_4arch9wavefront6targetE1EEEvT1_
; %bb.0:
	.section	.rodata,"a",@progbits
	.p2align	6, 0x0
	.amdhsa_kernel _ZN7rocprim17ROCPRIM_400000_NS6detail17trampoline_kernelINS0_14default_configENS1_25partition_config_selectorILNS1_17partition_subalgoE8EbNS0_10empty_typeEbEEZZNS1_14partition_implILS5_8ELb0ES3_jN6hipcub16HIPCUB_304000_NS22TransformInputIteratorIbN2at6native8internal12_GLOBAL__N_110LoadBoolOpEPKhlEEPS6_PKS6_NS0_5tupleIJPbS6_EEENSN_IJSK_SK_EEENS0_18inequality_wrapperINSA_8EqualityEEEPlJS6_EEE10hipError_tPvRmT3_T4_T5_T6_T7_T9_mT8_P12ihipStream_tbDpT10_ENKUlT_T0_E_clISt17integral_constantIbLb1EES1E_EEDaS19_S1A_EUlS19_E_NS1_11comp_targetILNS1_3genE2ELNS1_11target_archE906ELNS1_3gpuE6ELNS1_3repE0EEENS1_30default_config_static_selectorELNS0_4arch9wavefront6targetE1EEEvT1_
		.amdhsa_group_segment_fixed_size 0
		.amdhsa_private_segment_fixed_size 0
		.amdhsa_kernarg_size 136
		.amdhsa_user_sgpr_count 6
		.amdhsa_user_sgpr_private_segment_buffer 1
		.amdhsa_user_sgpr_dispatch_ptr 0
		.amdhsa_user_sgpr_queue_ptr 0
		.amdhsa_user_sgpr_kernarg_segment_ptr 1
		.amdhsa_user_sgpr_dispatch_id 0
		.amdhsa_user_sgpr_flat_scratch_init 0
		.amdhsa_user_sgpr_kernarg_preload_length 0
		.amdhsa_user_sgpr_kernarg_preload_offset 0
		.amdhsa_user_sgpr_private_segment_size 0
		.amdhsa_uses_dynamic_stack 0
		.amdhsa_system_sgpr_private_segment_wavefront_offset 0
		.amdhsa_system_sgpr_workgroup_id_x 1
		.amdhsa_system_sgpr_workgroup_id_y 0
		.amdhsa_system_sgpr_workgroup_id_z 0
		.amdhsa_system_sgpr_workgroup_info 0
		.amdhsa_system_vgpr_workitem_id 0
		.amdhsa_next_free_vgpr 1
		.amdhsa_next_free_sgpr 0
		.amdhsa_accum_offset 4
		.amdhsa_reserve_vcc 0
		.amdhsa_reserve_flat_scratch 0
		.amdhsa_float_round_mode_32 0
		.amdhsa_float_round_mode_16_64 0
		.amdhsa_float_denorm_mode_32 3
		.amdhsa_float_denorm_mode_16_64 3
		.amdhsa_dx10_clamp 1
		.amdhsa_ieee_mode 1
		.amdhsa_fp16_overflow 0
		.amdhsa_tg_split 0
		.amdhsa_exception_fp_ieee_invalid_op 0
		.amdhsa_exception_fp_denorm_src 0
		.amdhsa_exception_fp_ieee_div_zero 0
		.amdhsa_exception_fp_ieee_overflow 0
		.amdhsa_exception_fp_ieee_underflow 0
		.amdhsa_exception_fp_ieee_inexact 0
		.amdhsa_exception_int_div_zero 0
	.end_amdhsa_kernel
	.section	.text._ZN7rocprim17ROCPRIM_400000_NS6detail17trampoline_kernelINS0_14default_configENS1_25partition_config_selectorILNS1_17partition_subalgoE8EbNS0_10empty_typeEbEEZZNS1_14partition_implILS5_8ELb0ES3_jN6hipcub16HIPCUB_304000_NS22TransformInputIteratorIbN2at6native8internal12_GLOBAL__N_110LoadBoolOpEPKhlEEPS6_PKS6_NS0_5tupleIJPbS6_EEENSN_IJSK_SK_EEENS0_18inequality_wrapperINSA_8EqualityEEEPlJS6_EEE10hipError_tPvRmT3_T4_T5_T6_T7_T9_mT8_P12ihipStream_tbDpT10_ENKUlT_T0_E_clISt17integral_constantIbLb1EES1E_EEDaS19_S1A_EUlS19_E_NS1_11comp_targetILNS1_3genE2ELNS1_11target_archE906ELNS1_3gpuE6ELNS1_3repE0EEENS1_30default_config_static_selectorELNS0_4arch9wavefront6targetE1EEEvT1_,"axG",@progbits,_ZN7rocprim17ROCPRIM_400000_NS6detail17trampoline_kernelINS0_14default_configENS1_25partition_config_selectorILNS1_17partition_subalgoE8EbNS0_10empty_typeEbEEZZNS1_14partition_implILS5_8ELb0ES3_jN6hipcub16HIPCUB_304000_NS22TransformInputIteratorIbN2at6native8internal12_GLOBAL__N_110LoadBoolOpEPKhlEEPS6_PKS6_NS0_5tupleIJPbS6_EEENSN_IJSK_SK_EEENS0_18inequality_wrapperINSA_8EqualityEEEPlJS6_EEE10hipError_tPvRmT3_T4_T5_T6_T7_T9_mT8_P12ihipStream_tbDpT10_ENKUlT_T0_E_clISt17integral_constantIbLb1EES1E_EEDaS19_S1A_EUlS19_E_NS1_11comp_targetILNS1_3genE2ELNS1_11target_archE906ELNS1_3gpuE6ELNS1_3repE0EEENS1_30default_config_static_selectorELNS0_4arch9wavefront6targetE1EEEvT1_,comdat
.Lfunc_end26:
	.size	_ZN7rocprim17ROCPRIM_400000_NS6detail17trampoline_kernelINS0_14default_configENS1_25partition_config_selectorILNS1_17partition_subalgoE8EbNS0_10empty_typeEbEEZZNS1_14partition_implILS5_8ELb0ES3_jN6hipcub16HIPCUB_304000_NS22TransformInputIteratorIbN2at6native8internal12_GLOBAL__N_110LoadBoolOpEPKhlEEPS6_PKS6_NS0_5tupleIJPbS6_EEENSN_IJSK_SK_EEENS0_18inequality_wrapperINSA_8EqualityEEEPlJS6_EEE10hipError_tPvRmT3_T4_T5_T6_T7_T9_mT8_P12ihipStream_tbDpT10_ENKUlT_T0_E_clISt17integral_constantIbLb1EES1E_EEDaS19_S1A_EUlS19_E_NS1_11comp_targetILNS1_3genE2ELNS1_11target_archE906ELNS1_3gpuE6ELNS1_3repE0EEENS1_30default_config_static_selectorELNS0_4arch9wavefront6targetE1EEEvT1_, .Lfunc_end26-_ZN7rocprim17ROCPRIM_400000_NS6detail17trampoline_kernelINS0_14default_configENS1_25partition_config_selectorILNS1_17partition_subalgoE8EbNS0_10empty_typeEbEEZZNS1_14partition_implILS5_8ELb0ES3_jN6hipcub16HIPCUB_304000_NS22TransformInputIteratorIbN2at6native8internal12_GLOBAL__N_110LoadBoolOpEPKhlEEPS6_PKS6_NS0_5tupleIJPbS6_EEENSN_IJSK_SK_EEENS0_18inequality_wrapperINSA_8EqualityEEEPlJS6_EEE10hipError_tPvRmT3_T4_T5_T6_T7_T9_mT8_P12ihipStream_tbDpT10_ENKUlT_T0_E_clISt17integral_constantIbLb1EES1E_EEDaS19_S1A_EUlS19_E_NS1_11comp_targetILNS1_3genE2ELNS1_11target_archE906ELNS1_3gpuE6ELNS1_3repE0EEENS1_30default_config_static_selectorELNS0_4arch9wavefront6targetE1EEEvT1_
                                        ; -- End function
	.section	.AMDGPU.csdata,"",@progbits
; Kernel info:
; codeLenInByte = 0
; NumSgprs: 4
; NumVgprs: 0
; NumAgprs: 0
; TotalNumVgprs: 0
; ScratchSize: 0
; MemoryBound: 0
; FloatMode: 240
; IeeeMode: 1
; LDSByteSize: 0 bytes/workgroup (compile time only)
; SGPRBlocks: 0
; VGPRBlocks: 0
; NumSGPRsForWavesPerEU: 4
; NumVGPRsForWavesPerEU: 1
; AccumOffset: 4
; Occupancy: 8
; WaveLimiterHint : 0
; COMPUTE_PGM_RSRC2:SCRATCH_EN: 0
; COMPUTE_PGM_RSRC2:USER_SGPR: 6
; COMPUTE_PGM_RSRC2:TRAP_HANDLER: 0
; COMPUTE_PGM_RSRC2:TGID_X_EN: 1
; COMPUTE_PGM_RSRC2:TGID_Y_EN: 0
; COMPUTE_PGM_RSRC2:TGID_Z_EN: 0
; COMPUTE_PGM_RSRC2:TIDIG_COMP_CNT: 0
; COMPUTE_PGM_RSRC3_GFX90A:ACCUM_OFFSET: 0
; COMPUTE_PGM_RSRC3_GFX90A:TG_SPLIT: 0
	.section	.text._ZN7rocprim17ROCPRIM_400000_NS6detail17trampoline_kernelINS0_14default_configENS1_25partition_config_selectorILNS1_17partition_subalgoE8EbNS0_10empty_typeEbEEZZNS1_14partition_implILS5_8ELb0ES3_jN6hipcub16HIPCUB_304000_NS22TransformInputIteratorIbN2at6native8internal12_GLOBAL__N_110LoadBoolOpEPKhlEEPS6_PKS6_NS0_5tupleIJPbS6_EEENSN_IJSK_SK_EEENS0_18inequality_wrapperINSA_8EqualityEEEPlJS6_EEE10hipError_tPvRmT3_T4_T5_T6_T7_T9_mT8_P12ihipStream_tbDpT10_ENKUlT_T0_E_clISt17integral_constantIbLb1EES1E_EEDaS19_S1A_EUlS19_E_NS1_11comp_targetILNS1_3genE10ELNS1_11target_archE1200ELNS1_3gpuE4ELNS1_3repE0EEENS1_30default_config_static_selectorELNS0_4arch9wavefront6targetE1EEEvT1_,"axG",@progbits,_ZN7rocprim17ROCPRIM_400000_NS6detail17trampoline_kernelINS0_14default_configENS1_25partition_config_selectorILNS1_17partition_subalgoE8EbNS0_10empty_typeEbEEZZNS1_14partition_implILS5_8ELb0ES3_jN6hipcub16HIPCUB_304000_NS22TransformInputIteratorIbN2at6native8internal12_GLOBAL__N_110LoadBoolOpEPKhlEEPS6_PKS6_NS0_5tupleIJPbS6_EEENSN_IJSK_SK_EEENS0_18inequality_wrapperINSA_8EqualityEEEPlJS6_EEE10hipError_tPvRmT3_T4_T5_T6_T7_T9_mT8_P12ihipStream_tbDpT10_ENKUlT_T0_E_clISt17integral_constantIbLb1EES1E_EEDaS19_S1A_EUlS19_E_NS1_11comp_targetILNS1_3genE10ELNS1_11target_archE1200ELNS1_3gpuE4ELNS1_3repE0EEENS1_30default_config_static_selectorELNS0_4arch9wavefront6targetE1EEEvT1_,comdat
	.globl	_ZN7rocprim17ROCPRIM_400000_NS6detail17trampoline_kernelINS0_14default_configENS1_25partition_config_selectorILNS1_17partition_subalgoE8EbNS0_10empty_typeEbEEZZNS1_14partition_implILS5_8ELb0ES3_jN6hipcub16HIPCUB_304000_NS22TransformInputIteratorIbN2at6native8internal12_GLOBAL__N_110LoadBoolOpEPKhlEEPS6_PKS6_NS0_5tupleIJPbS6_EEENSN_IJSK_SK_EEENS0_18inequality_wrapperINSA_8EqualityEEEPlJS6_EEE10hipError_tPvRmT3_T4_T5_T6_T7_T9_mT8_P12ihipStream_tbDpT10_ENKUlT_T0_E_clISt17integral_constantIbLb1EES1E_EEDaS19_S1A_EUlS19_E_NS1_11comp_targetILNS1_3genE10ELNS1_11target_archE1200ELNS1_3gpuE4ELNS1_3repE0EEENS1_30default_config_static_selectorELNS0_4arch9wavefront6targetE1EEEvT1_ ; -- Begin function _ZN7rocprim17ROCPRIM_400000_NS6detail17trampoline_kernelINS0_14default_configENS1_25partition_config_selectorILNS1_17partition_subalgoE8EbNS0_10empty_typeEbEEZZNS1_14partition_implILS5_8ELb0ES3_jN6hipcub16HIPCUB_304000_NS22TransformInputIteratorIbN2at6native8internal12_GLOBAL__N_110LoadBoolOpEPKhlEEPS6_PKS6_NS0_5tupleIJPbS6_EEENSN_IJSK_SK_EEENS0_18inequality_wrapperINSA_8EqualityEEEPlJS6_EEE10hipError_tPvRmT3_T4_T5_T6_T7_T9_mT8_P12ihipStream_tbDpT10_ENKUlT_T0_E_clISt17integral_constantIbLb1EES1E_EEDaS19_S1A_EUlS19_E_NS1_11comp_targetILNS1_3genE10ELNS1_11target_archE1200ELNS1_3gpuE4ELNS1_3repE0EEENS1_30default_config_static_selectorELNS0_4arch9wavefront6targetE1EEEvT1_
	.p2align	8
	.type	_ZN7rocprim17ROCPRIM_400000_NS6detail17trampoline_kernelINS0_14default_configENS1_25partition_config_selectorILNS1_17partition_subalgoE8EbNS0_10empty_typeEbEEZZNS1_14partition_implILS5_8ELb0ES3_jN6hipcub16HIPCUB_304000_NS22TransformInputIteratorIbN2at6native8internal12_GLOBAL__N_110LoadBoolOpEPKhlEEPS6_PKS6_NS0_5tupleIJPbS6_EEENSN_IJSK_SK_EEENS0_18inequality_wrapperINSA_8EqualityEEEPlJS6_EEE10hipError_tPvRmT3_T4_T5_T6_T7_T9_mT8_P12ihipStream_tbDpT10_ENKUlT_T0_E_clISt17integral_constantIbLb1EES1E_EEDaS19_S1A_EUlS19_E_NS1_11comp_targetILNS1_3genE10ELNS1_11target_archE1200ELNS1_3gpuE4ELNS1_3repE0EEENS1_30default_config_static_selectorELNS0_4arch9wavefront6targetE1EEEvT1_,@function
_ZN7rocprim17ROCPRIM_400000_NS6detail17trampoline_kernelINS0_14default_configENS1_25partition_config_selectorILNS1_17partition_subalgoE8EbNS0_10empty_typeEbEEZZNS1_14partition_implILS5_8ELb0ES3_jN6hipcub16HIPCUB_304000_NS22TransformInputIteratorIbN2at6native8internal12_GLOBAL__N_110LoadBoolOpEPKhlEEPS6_PKS6_NS0_5tupleIJPbS6_EEENSN_IJSK_SK_EEENS0_18inequality_wrapperINSA_8EqualityEEEPlJS6_EEE10hipError_tPvRmT3_T4_T5_T6_T7_T9_mT8_P12ihipStream_tbDpT10_ENKUlT_T0_E_clISt17integral_constantIbLb1EES1E_EEDaS19_S1A_EUlS19_E_NS1_11comp_targetILNS1_3genE10ELNS1_11target_archE1200ELNS1_3gpuE4ELNS1_3repE0EEENS1_30default_config_static_selectorELNS0_4arch9wavefront6targetE1EEEvT1_: ; @_ZN7rocprim17ROCPRIM_400000_NS6detail17trampoline_kernelINS0_14default_configENS1_25partition_config_selectorILNS1_17partition_subalgoE8EbNS0_10empty_typeEbEEZZNS1_14partition_implILS5_8ELb0ES3_jN6hipcub16HIPCUB_304000_NS22TransformInputIteratorIbN2at6native8internal12_GLOBAL__N_110LoadBoolOpEPKhlEEPS6_PKS6_NS0_5tupleIJPbS6_EEENSN_IJSK_SK_EEENS0_18inequality_wrapperINSA_8EqualityEEEPlJS6_EEE10hipError_tPvRmT3_T4_T5_T6_T7_T9_mT8_P12ihipStream_tbDpT10_ENKUlT_T0_E_clISt17integral_constantIbLb1EES1E_EEDaS19_S1A_EUlS19_E_NS1_11comp_targetILNS1_3genE10ELNS1_11target_archE1200ELNS1_3gpuE4ELNS1_3repE0EEENS1_30default_config_static_selectorELNS0_4arch9wavefront6targetE1EEEvT1_
; %bb.0:
	.section	.rodata,"a",@progbits
	.p2align	6, 0x0
	.amdhsa_kernel _ZN7rocprim17ROCPRIM_400000_NS6detail17trampoline_kernelINS0_14default_configENS1_25partition_config_selectorILNS1_17partition_subalgoE8EbNS0_10empty_typeEbEEZZNS1_14partition_implILS5_8ELb0ES3_jN6hipcub16HIPCUB_304000_NS22TransformInputIteratorIbN2at6native8internal12_GLOBAL__N_110LoadBoolOpEPKhlEEPS6_PKS6_NS0_5tupleIJPbS6_EEENSN_IJSK_SK_EEENS0_18inequality_wrapperINSA_8EqualityEEEPlJS6_EEE10hipError_tPvRmT3_T4_T5_T6_T7_T9_mT8_P12ihipStream_tbDpT10_ENKUlT_T0_E_clISt17integral_constantIbLb1EES1E_EEDaS19_S1A_EUlS19_E_NS1_11comp_targetILNS1_3genE10ELNS1_11target_archE1200ELNS1_3gpuE4ELNS1_3repE0EEENS1_30default_config_static_selectorELNS0_4arch9wavefront6targetE1EEEvT1_
		.amdhsa_group_segment_fixed_size 0
		.amdhsa_private_segment_fixed_size 0
		.amdhsa_kernarg_size 136
		.amdhsa_user_sgpr_count 6
		.amdhsa_user_sgpr_private_segment_buffer 1
		.amdhsa_user_sgpr_dispatch_ptr 0
		.amdhsa_user_sgpr_queue_ptr 0
		.amdhsa_user_sgpr_kernarg_segment_ptr 1
		.amdhsa_user_sgpr_dispatch_id 0
		.amdhsa_user_sgpr_flat_scratch_init 0
		.amdhsa_user_sgpr_kernarg_preload_length 0
		.amdhsa_user_sgpr_kernarg_preload_offset 0
		.amdhsa_user_sgpr_private_segment_size 0
		.amdhsa_uses_dynamic_stack 0
		.amdhsa_system_sgpr_private_segment_wavefront_offset 0
		.amdhsa_system_sgpr_workgroup_id_x 1
		.amdhsa_system_sgpr_workgroup_id_y 0
		.amdhsa_system_sgpr_workgroup_id_z 0
		.amdhsa_system_sgpr_workgroup_info 0
		.amdhsa_system_vgpr_workitem_id 0
		.amdhsa_next_free_vgpr 1
		.amdhsa_next_free_sgpr 0
		.amdhsa_accum_offset 4
		.amdhsa_reserve_vcc 0
		.amdhsa_reserve_flat_scratch 0
		.amdhsa_float_round_mode_32 0
		.amdhsa_float_round_mode_16_64 0
		.amdhsa_float_denorm_mode_32 3
		.amdhsa_float_denorm_mode_16_64 3
		.amdhsa_dx10_clamp 1
		.amdhsa_ieee_mode 1
		.amdhsa_fp16_overflow 0
		.amdhsa_tg_split 0
		.amdhsa_exception_fp_ieee_invalid_op 0
		.amdhsa_exception_fp_denorm_src 0
		.amdhsa_exception_fp_ieee_div_zero 0
		.amdhsa_exception_fp_ieee_overflow 0
		.amdhsa_exception_fp_ieee_underflow 0
		.amdhsa_exception_fp_ieee_inexact 0
		.amdhsa_exception_int_div_zero 0
	.end_amdhsa_kernel
	.section	.text._ZN7rocprim17ROCPRIM_400000_NS6detail17trampoline_kernelINS0_14default_configENS1_25partition_config_selectorILNS1_17partition_subalgoE8EbNS0_10empty_typeEbEEZZNS1_14partition_implILS5_8ELb0ES3_jN6hipcub16HIPCUB_304000_NS22TransformInputIteratorIbN2at6native8internal12_GLOBAL__N_110LoadBoolOpEPKhlEEPS6_PKS6_NS0_5tupleIJPbS6_EEENSN_IJSK_SK_EEENS0_18inequality_wrapperINSA_8EqualityEEEPlJS6_EEE10hipError_tPvRmT3_T4_T5_T6_T7_T9_mT8_P12ihipStream_tbDpT10_ENKUlT_T0_E_clISt17integral_constantIbLb1EES1E_EEDaS19_S1A_EUlS19_E_NS1_11comp_targetILNS1_3genE10ELNS1_11target_archE1200ELNS1_3gpuE4ELNS1_3repE0EEENS1_30default_config_static_selectorELNS0_4arch9wavefront6targetE1EEEvT1_,"axG",@progbits,_ZN7rocprim17ROCPRIM_400000_NS6detail17trampoline_kernelINS0_14default_configENS1_25partition_config_selectorILNS1_17partition_subalgoE8EbNS0_10empty_typeEbEEZZNS1_14partition_implILS5_8ELb0ES3_jN6hipcub16HIPCUB_304000_NS22TransformInputIteratorIbN2at6native8internal12_GLOBAL__N_110LoadBoolOpEPKhlEEPS6_PKS6_NS0_5tupleIJPbS6_EEENSN_IJSK_SK_EEENS0_18inequality_wrapperINSA_8EqualityEEEPlJS6_EEE10hipError_tPvRmT3_T4_T5_T6_T7_T9_mT8_P12ihipStream_tbDpT10_ENKUlT_T0_E_clISt17integral_constantIbLb1EES1E_EEDaS19_S1A_EUlS19_E_NS1_11comp_targetILNS1_3genE10ELNS1_11target_archE1200ELNS1_3gpuE4ELNS1_3repE0EEENS1_30default_config_static_selectorELNS0_4arch9wavefront6targetE1EEEvT1_,comdat
.Lfunc_end27:
	.size	_ZN7rocprim17ROCPRIM_400000_NS6detail17trampoline_kernelINS0_14default_configENS1_25partition_config_selectorILNS1_17partition_subalgoE8EbNS0_10empty_typeEbEEZZNS1_14partition_implILS5_8ELb0ES3_jN6hipcub16HIPCUB_304000_NS22TransformInputIteratorIbN2at6native8internal12_GLOBAL__N_110LoadBoolOpEPKhlEEPS6_PKS6_NS0_5tupleIJPbS6_EEENSN_IJSK_SK_EEENS0_18inequality_wrapperINSA_8EqualityEEEPlJS6_EEE10hipError_tPvRmT3_T4_T5_T6_T7_T9_mT8_P12ihipStream_tbDpT10_ENKUlT_T0_E_clISt17integral_constantIbLb1EES1E_EEDaS19_S1A_EUlS19_E_NS1_11comp_targetILNS1_3genE10ELNS1_11target_archE1200ELNS1_3gpuE4ELNS1_3repE0EEENS1_30default_config_static_selectorELNS0_4arch9wavefront6targetE1EEEvT1_, .Lfunc_end27-_ZN7rocprim17ROCPRIM_400000_NS6detail17trampoline_kernelINS0_14default_configENS1_25partition_config_selectorILNS1_17partition_subalgoE8EbNS0_10empty_typeEbEEZZNS1_14partition_implILS5_8ELb0ES3_jN6hipcub16HIPCUB_304000_NS22TransformInputIteratorIbN2at6native8internal12_GLOBAL__N_110LoadBoolOpEPKhlEEPS6_PKS6_NS0_5tupleIJPbS6_EEENSN_IJSK_SK_EEENS0_18inequality_wrapperINSA_8EqualityEEEPlJS6_EEE10hipError_tPvRmT3_T4_T5_T6_T7_T9_mT8_P12ihipStream_tbDpT10_ENKUlT_T0_E_clISt17integral_constantIbLb1EES1E_EEDaS19_S1A_EUlS19_E_NS1_11comp_targetILNS1_3genE10ELNS1_11target_archE1200ELNS1_3gpuE4ELNS1_3repE0EEENS1_30default_config_static_selectorELNS0_4arch9wavefront6targetE1EEEvT1_
                                        ; -- End function
	.section	.AMDGPU.csdata,"",@progbits
; Kernel info:
; codeLenInByte = 0
; NumSgprs: 4
; NumVgprs: 0
; NumAgprs: 0
; TotalNumVgprs: 0
; ScratchSize: 0
; MemoryBound: 0
; FloatMode: 240
; IeeeMode: 1
; LDSByteSize: 0 bytes/workgroup (compile time only)
; SGPRBlocks: 0
; VGPRBlocks: 0
; NumSGPRsForWavesPerEU: 4
; NumVGPRsForWavesPerEU: 1
; AccumOffset: 4
; Occupancy: 8
; WaveLimiterHint : 0
; COMPUTE_PGM_RSRC2:SCRATCH_EN: 0
; COMPUTE_PGM_RSRC2:USER_SGPR: 6
; COMPUTE_PGM_RSRC2:TRAP_HANDLER: 0
; COMPUTE_PGM_RSRC2:TGID_X_EN: 1
; COMPUTE_PGM_RSRC2:TGID_Y_EN: 0
; COMPUTE_PGM_RSRC2:TGID_Z_EN: 0
; COMPUTE_PGM_RSRC2:TIDIG_COMP_CNT: 0
; COMPUTE_PGM_RSRC3_GFX90A:ACCUM_OFFSET: 0
; COMPUTE_PGM_RSRC3_GFX90A:TG_SPLIT: 0
	.section	.text._ZN7rocprim17ROCPRIM_400000_NS6detail17trampoline_kernelINS0_14default_configENS1_25partition_config_selectorILNS1_17partition_subalgoE8EbNS0_10empty_typeEbEEZZNS1_14partition_implILS5_8ELb0ES3_jN6hipcub16HIPCUB_304000_NS22TransformInputIteratorIbN2at6native8internal12_GLOBAL__N_110LoadBoolOpEPKhlEEPS6_PKS6_NS0_5tupleIJPbS6_EEENSN_IJSK_SK_EEENS0_18inequality_wrapperINSA_8EqualityEEEPlJS6_EEE10hipError_tPvRmT3_T4_T5_T6_T7_T9_mT8_P12ihipStream_tbDpT10_ENKUlT_T0_E_clISt17integral_constantIbLb1EES1E_EEDaS19_S1A_EUlS19_E_NS1_11comp_targetILNS1_3genE9ELNS1_11target_archE1100ELNS1_3gpuE3ELNS1_3repE0EEENS1_30default_config_static_selectorELNS0_4arch9wavefront6targetE1EEEvT1_,"axG",@progbits,_ZN7rocprim17ROCPRIM_400000_NS6detail17trampoline_kernelINS0_14default_configENS1_25partition_config_selectorILNS1_17partition_subalgoE8EbNS0_10empty_typeEbEEZZNS1_14partition_implILS5_8ELb0ES3_jN6hipcub16HIPCUB_304000_NS22TransformInputIteratorIbN2at6native8internal12_GLOBAL__N_110LoadBoolOpEPKhlEEPS6_PKS6_NS0_5tupleIJPbS6_EEENSN_IJSK_SK_EEENS0_18inequality_wrapperINSA_8EqualityEEEPlJS6_EEE10hipError_tPvRmT3_T4_T5_T6_T7_T9_mT8_P12ihipStream_tbDpT10_ENKUlT_T0_E_clISt17integral_constantIbLb1EES1E_EEDaS19_S1A_EUlS19_E_NS1_11comp_targetILNS1_3genE9ELNS1_11target_archE1100ELNS1_3gpuE3ELNS1_3repE0EEENS1_30default_config_static_selectorELNS0_4arch9wavefront6targetE1EEEvT1_,comdat
	.globl	_ZN7rocprim17ROCPRIM_400000_NS6detail17trampoline_kernelINS0_14default_configENS1_25partition_config_selectorILNS1_17partition_subalgoE8EbNS0_10empty_typeEbEEZZNS1_14partition_implILS5_8ELb0ES3_jN6hipcub16HIPCUB_304000_NS22TransformInputIteratorIbN2at6native8internal12_GLOBAL__N_110LoadBoolOpEPKhlEEPS6_PKS6_NS0_5tupleIJPbS6_EEENSN_IJSK_SK_EEENS0_18inequality_wrapperINSA_8EqualityEEEPlJS6_EEE10hipError_tPvRmT3_T4_T5_T6_T7_T9_mT8_P12ihipStream_tbDpT10_ENKUlT_T0_E_clISt17integral_constantIbLb1EES1E_EEDaS19_S1A_EUlS19_E_NS1_11comp_targetILNS1_3genE9ELNS1_11target_archE1100ELNS1_3gpuE3ELNS1_3repE0EEENS1_30default_config_static_selectorELNS0_4arch9wavefront6targetE1EEEvT1_ ; -- Begin function _ZN7rocprim17ROCPRIM_400000_NS6detail17trampoline_kernelINS0_14default_configENS1_25partition_config_selectorILNS1_17partition_subalgoE8EbNS0_10empty_typeEbEEZZNS1_14partition_implILS5_8ELb0ES3_jN6hipcub16HIPCUB_304000_NS22TransformInputIteratorIbN2at6native8internal12_GLOBAL__N_110LoadBoolOpEPKhlEEPS6_PKS6_NS0_5tupleIJPbS6_EEENSN_IJSK_SK_EEENS0_18inequality_wrapperINSA_8EqualityEEEPlJS6_EEE10hipError_tPvRmT3_T4_T5_T6_T7_T9_mT8_P12ihipStream_tbDpT10_ENKUlT_T0_E_clISt17integral_constantIbLb1EES1E_EEDaS19_S1A_EUlS19_E_NS1_11comp_targetILNS1_3genE9ELNS1_11target_archE1100ELNS1_3gpuE3ELNS1_3repE0EEENS1_30default_config_static_selectorELNS0_4arch9wavefront6targetE1EEEvT1_
	.p2align	8
	.type	_ZN7rocprim17ROCPRIM_400000_NS6detail17trampoline_kernelINS0_14default_configENS1_25partition_config_selectorILNS1_17partition_subalgoE8EbNS0_10empty_typeEbEEZZNS1_14partition_implILS5_8ELb0ES3_jN6hipcub16HIPCUB_304000_NS22TransformInputIteratorIbN2at6native8internal12_GLOBAL__N_110LoadBoolOpEPKhlEEPS6_PKS6_NS0_5tupleIJPbS6_EEENSN_IJSK_SK_EEENS0_18inequality_wrapperINSA_8EqualityEEEPlJS6_EEE10hipError_tPvRmT3_T4_T5_T6_T7_T9_mT8_P12ihipStream_tbDpT10_ENKUlT_T0_E_clISt17integral_constantIbLb1EES1E_EEDaS19_S1A_EUlS19_E_NS1_11comp_targetILNS1_3genE9ELNS1_11target_archE1100ELNS1_3gpuE3ELNS1_3repE0EEENS1_30default_config_static_selectorELNS0_4arch9wavefront6targetE1EEEvT1_,@function
_ZN7rocprim17ROCPRIM_400000_NS6detail17trampoline_kernelINS0_14default_configENS1_25partition_config_selectorILNS1_17partition_subalgoE8EbNS0_10empty_typeEbEEZZNS1_14partition_implILS5_8ELb0ES3_jN6hipcub16HIPCUB_304000_NS22TransformInputIteratorIbN2at6native8internal12_GLOBAL__N_110LoadBoolOpEPKhlEEPS6_PKS6_NS0_5tupleIJPbS6_EEENSN_IJSK_SK_EEENS0_18inequality_wrapperINSA_8EqualityEEEPlJS6_EEE10hipError_tPvRmT3_T4_T5_T6_T7_T9_mT8_P12ihipStream_tbDpT10_ENKUlT_T0_E_clISt17integral_constantIbLb1EES1E_EEDaS19_S1A_EUlS19_E_NS1_11comp_targetILNS1_3genE9ELNS1_11target_archE1100ELNS1_3gpuE3ELNS1_3repE0EEENS1_30default_config_static_selectorELNS0_4arch9wavefront6targetE1EEEvT1_: ; @_ZN7rocprim17ROCPRIM_400000_NS6detail17trampoline_kernelINS0_14default_configENS1_25partition_config_selectorILNS1_17partition_subalgoE8EbNS0_10empty_typeEbEEZZNS1_14partition_implILS5_8ELb0ES3_jN6hipcub16HIPCUB_304000_NS22TransformInputIteratorIbN2at6native8internal12_GLOBAL__N_110LoadBoolOpEPKhlEEPS6_PKS6_NS0_5tupleIJPbS6_EEENSN_IJSK_SK_EEENS0_18inequality_wrapperINSA_8EqualityEEEPlJS6_EEE10hipError_tPvRmT3_T4_T5_T6_T7_T9_mT8_P12ihipStream_tbDpT10_ENKUlT_T0_E_clISt17integral_constantIbLb1EES1E_EEDaS19_S1A_EUlS19_E_NS1_11comp_targetILNS1_3genE9ELNS1_11target_archE1100ELNS1_3gpuE3ELNS1_3repE0EEENS1_30default_config_static_selectorELNS0_4arch9wavefront6targetE1EEEvT1_
; %bb.0:
	.section	.rodata,"a",@progbits
	.p2align	6, 0x0
	.amdhsa_kernel _ZN7rocprim17ROCPRIM_400000_NS6detail17trampoline_kernelINS0_14default_configENS1_25partition_config_selectorILNS1_17partition_subalgoE8EbNS0_10empty_typeEbEEZZNS1_14partition_implILS5_8ELb0ES3_jN6hipcub16HIPCUB_304000_NS22TransformInputIteratorIbN2at6native8internal12_GLOBAL__N_110LoadBoolOpEPKhlEEPS6_PKS6_NS0_5tupleIJPbS6_EEENSN_IJSK_SK_EEENS0_18inequality_wrapperINSA_8EqualityEEEPlJS6_EEE10hipError_tPvRmT3_T4_T5_T6_T7_T9_mT8_P12ihipStream_tbDpT10_ENKUlT_T0_E_clISt17integral_constantIbLb1EES1E_EEDaS19_S1A_EUlS19_E_NS1_11comp_targetILNS1_3genE9ELNS1_11target_archE1100ELNS1_3gpuE3ELNS1_3repE0EEENS1_30default_config_static_selectorELNS0_4arch9wavefront6targetE1EEEvT1_
		.amdhsa_group_segment_fixed_size 0
		.amdhsa_private_segment_fixed_size 0
		.amdhsa_kernarg_size 136
		.amdhsa_user_sgpr_count 6
		.amdhsa_user_sgpr_private_segment_buffer 1
		.amdhsa_user_sgpr_dispatch_ptr 0
		.amdhsa_user_sgpr_queue_ptr 0
		.amdhsa_user_sgpr_kernarg_segment_ptr 1
		.amdhsa_user_sgpr_dispatch_id 0
		.amdhsa_user_sgpr_flat_scratch_init 0
		.amdhsa_user_sgpr_kernarg_preload_length 0
		.amdhsa_user_sgpr_kernarg_preload_offset 0
		.amdhsa_user_sgpr_private_segment_size 0
		.amdhsa_uses_dynamic_stack 0
		.amdhsa_system_sgpr_private_segment_wavefront_offset 0
		.amdhsa_system_sgpr_workgroup_id_x 1
		.amdhsa_system_sgpr_workgroup_id_y 0
		.amdhsa_system_sgpr_workgroup_id_z 0
		.amdhsa_system_sgpr_workgroup_info 0
		.amdhsa_system_vgpr_workitem_id 0
		.amdhsa_next_free_vgpr 1
		.amdhsa_next_free_sgpr 0
		.amdhsa_accum_offset 4
		.amdhsa_reserve_vcc 0
		.amdhsa_reserve_flat_scratch 0
		.amdhsa_float_round_mode_32 0
		.amdhsa_float_round_mode_16_64 0
		.amdhsa_float_denorm_mode_32 3
		.amdhsa_float_denorm_mode_16_64 3
		.amdhsa_dx10_clamp 1
		.amdhsa_ieee_mode 1
		.amdhsa_fp16_overflow 0
		.amdhsa_tg_split 0
		.amdhsa_exception_fp_ieee_invalid_op 0
		.amdhsa_exception_fp_denorm_src 0
		.amdhsa_exception_fp_ieee_div_zero 0
		.amdhsa_exception_fp_ieee_overflow 0
		.amdhsa_exception_fp_ieee_underflow 0
		.amdhsa_exception_fp_ieee_inexact 0
		.amdhsa_exception_int_div_zero 0
	.end_amdhsa_kernel
	.section	.text._ZN7rocprim17ROCPRIM_400000_NS6detail17trampoline_kernelINS0_14default_configENS1_25partition_config_selectorILNS1_17partition_subalgoE8EbNS0_10empty_typeEbEEZZNS1_14partition_implILS5_8ELb0ES3_jN6hipcub16HIPCUB_304000_NS22TransformInputIteratorIbN2at6native8internal12_GLOBAL__N_110LoadBoolOpEPKhlEEPS6_PKS6_NS0_5tupleIJPbS6_EEENSN_IJSK_SK_EEENS0_18inequality_wrapperINSA_8EqualityEEEPlJS6_EEE10hipError_tPvRmT3_T4_T5_T6_T7_T9_mT8_P12ihipStream_tbDpT10_ENKUlT_T0_E_clISt17integral_constantIbLb1EES1E_EEDaS19_S1A_EUlS19_E_NS1_11comp_targetILNS1_3genE9ELNS1_11target_archE1100ELNS1_3gpuE3ELNS1_3repE0EEENS1_30default_config_static_selectorELNS0_4arch9wavefront6targetE1EEEvT1_,"axG",@progbits,_ZN7rocprim17ROCPRIM_400000_NS6detail17trampoline_kernelINS0_14default_configENS1_25partition_config_selectorILNS1_17partition_subalgoE8EbNS0_10empty_typeEbEEZZNS1_14partition_implILS5_8ELb0ES3_jN6hipcub16HIPCUB_304000_NS22TransformInputIteratorIbN2at6native8internal12_GLOBAL__N_110LoadBoolOpEPKhlEEPS6_PKS6_NS0_5tupleIJPbS6_EEENSN_IJSK_SK_EEENS0_18inequality_wrapperINSA_8EqualityEEEPlJS6_EEE10hipError_tPvRmT3_T4_T5_T6_T7_T9_mT8_P12ihipStream_tbDpT10_ENKUlT_T0_E_clISt17integral_constantIbLb1EES1E_EEDaS19_S1A_EUlS19_E_NS1_11comp_targetILNS1_3genE9ELNS1_11target_archE1100ELNS1_3gpuE3ELNS1_3repE0EEENS1_30default_config_static_selectorELNS0_4arch9wavefront6targetE1EEEvT1_,comdat
.Lfunc_end28:
	.size	_ZN7rocprim17ROCPRIM_400000_NS6detail17trampoline_kernelINS0_14default_configENS1_25partition_config_selectorILNS1_17partition_subalgoE8EbNS0_10empty_typeEbEEZZNS1_14partition_implILS5_8ELb0ES3_jN6hipcub16HIPCUB_304000_NS22TransformInputIteratorIbN2at6native8internal12_GLOBAL__N_110LoadBoolOpEPKhlEEPS6_PKS6_NS0_5tupleIJPbS6_EEENSN_IJSK_SK_EEENS0_18inequality_wrapperINSA_8EqualityEEEPlJS6_EEE10hipError_tPvRmT3_T4_T5_T6_T7_T9_mT8_P12ihipStream_tbDpT10_ENKUlT_T0_E_clISt17integral_constantIbLb1EES1E_EEDaS19_S1A_EUlS19_E_NS1_11comp_targetILNS1_3genE9ELNS1_11target_archE1100ELNS1_3gpuE3ELNS1_3repE0EEENS1_30default_config_static_selectorELNS0_4arch9wavefront6targetE1EEEvT1_, .Lfunc_end28-_ZN7rocprim17ROCPRIM_400000_NS6detail17trampoline_kernelINS0_14default_configENS1_25partition_config_selectorILNS1_17partition_subalgoE8EbNS0_10empty_typeEbEEZZNS1_14partition_implILS5_8ELb0ES3_jN6hipcub16HIPCUB_304000_NS22TransformInputIteratorIbN2at6native8internal12_GLOBAL__N_110LoadBoolOpEPKhlEEPS6_PKS6_NS0_5tupleIJPbS6_EEENSN_IJSK_SK_EEENS0_18inequality_wrapperINSA_8EqualityEEEPlJS6_EEE10hipError_tPvRmT3_T4_T5_T6_T7_T9_mT8_P12ihipStream_tbDpT10_ENKUlT_T0_E_clISt17integral_constantIbLb1EES1E_EEDaS19_S1A_EUlS19_E_NS1_11comp_targetILNS1_3genE9ELNS1_11target_archE1100ELNS1_3gpuE3ELNS1_3repE0EEENS1_30default_config_static_selectorELNS0_4arch9wavefront6targetE1EEEvT1_
                                        ; -- End function
	.section	.AMDGPU.csdata,"",@progbits
; Kernel info:
; codeLenInByte = 0
; NumSgprs: 4
; NumVgprs: 0
; NumAgprs: 0
; TotalNumVgprs: 0
; ScratchSize: 0
; MemoryBound: 0
; FloatMode: 240
; IeeeMode: 1
; LDSByteSize: 0 bytes/workgroup (compile time only)
; SGPRBlocks: 0
; VGPRBlocks: 0
; NumSGPRsForWavesPerEU: 4
; NumVGPRsForWavesPerEU: 1
; AccumOffset: 4
; Occupancy: 8
; WaveLimiterHint : 0
; COMPUTE_PGM_RSRC2:SCRATCH_EN: 0
; COMPUTE_PGM_RSRC2:USER_SGPR: 6
; COMPUTE_PGM_RSRC2:TRAP_HANDLER: 0
; COMPUTE_PGM_RSRC2:TGID_X_EN: 1
; COMPUTE_PGM_RSRC2:TGID_Y_EN: 0
; COMPUTE_PGM_RSRC2:TGID_Z_EN: 0
; COMPUTE_PGM_RSRC2:TIDIG_COMP_CNT: 0
; COMPUTE_PGM_RSRC3_GFX90A:ACCUM_OFFSET: 0
; COMPUTE_PGM_RSRC3_GFX90A:TG_SPLIT: 0
	.section	.text._ZN7rocprim17ROCPRIM_400000_NS6detail17trampoline_kernelINS0_14default_configENS1_25partition_config_selectorILNS1_17partition_subalgoE8EbNS0_10empty_typeEbEEZZNS1_14partition_implILS5_8ELb0ES3_jN6hipcub16HIPCUB_304000_NS22TransformInputIteratorIbN2at6native8internal12_GLOBAL__N_110LoadBoolOpEPKhlEEPS6_PKS6_NS0_5tupleIJPbS6_EEENSN_IJSK_SK_EEENS0_18inequality_wrapperINSA_8EqualityEEEPlJS6_EEE10hipError_tPvRmT3_T4_T5_T6_T7_T9_mT8_P12ihipStream_tbDpT10_ENKUlT_T0_E_clISt17integral_constantIbLb1EES1E_EEDaS19_S1A_EUlS19_E_NS1_11comp_targetILNS1_3genE8ELNS1_11target_archE1030ELNS1_3gpuE2ELNS1_3repE0EEENS1_30default_config_static_selectorELNS0_4arch9wavefront6targetE1EEEvT1_,"axG",@progbits,_ZN7rocprim17ROCPRIM_400000_NS6detail17trampoline_kernelINS0_14default_configENS1_25partition_config_selectorILNS1_17partition_subalgoE8EbNS0_10empty_typeEbEEZZNS1_14partition_implILS5_8ELb0ES3_jN6hipcub16HIPCUB_304000_NS22TransformInputIteratorIbN2at6native8internal12_GLOBAL__N_110LoadBoolOpEPKhlEEPS6_PKS6_NS0_5tupleIJPbS6_EEENSN_IJSK_SK_EEENS0_18inequality_wrapperINSA_8EqualityEEEPlJS6_EEE10hipError_tPvRmT3_T4_T5_T6_T7_T9_mT8_P12ihipStream_tbDpT10_ENKUlT_T0_E_clISt17integral_constantIbLb1EES1E_EEDaS19_S1A_EUlS19_E_NS1_11comp_targetILNS1_3genE8ELNS1_11target_archE1030ELNS1_3gpuE2ELNS1_3repE0EEENS1_30default_config_static_selectorELNS0_4arch9wavefront6targetE1EEEvT1_,comdat
	.globl	_ZN7rocprim17ROCPRIM_400000_NS6detail17trampoline_kernelINS0_14default_configENS1_25partition_config_selectorILNS1_17partition_subalgoE8EbNS0_10empty_typeEbEEZZNS1_14partition_implILS5_8ELb0ES3_jN6hipcub16HIPCUB_304000_NS22TransformInputIteratorIbN2at6native8internal12_GLOBAL__N_110LoadBoolOpEPKhlEEPS6_PKS6_NS0_5tupleIJPbS6_EEENSN_IJSK_SK_EEENS0_18inequality_wrapperINSA_8EqualityEEEPlJS6_EEE10hipError_tPvRmT3_T4_T5_T6_T7_T9_mT8_P12ihipStream_tbDpT10_ENKUlT_T0_E_clISt17integral_constantIbLb1EES1E_EEDaS19_S1A_EUlS19_E_NS1_11comp_targetILNS1_3genE8ELNS1_11target_archE1030ELNS1_3gpuE2ELNS1_3repE0EEENS1_30default_config_static_selectorELNS0_4arch9wavefront6targetE1EEEvT1_ ; -- Begin function _ZN7rocprim17ROCPRIM_400000_NS6detail17trampoline_kernelINS0_14default_configENS1_25partition_config_selectorILNS1_17partition_subalgoE8EbNS0_10empty_typeEbEEZZNS1_14partition_implILS5_8ELb0ES3_jN6hipcub16HIPCUB_304000_NS22TransformInputIteratorIbN2at6native8internal12_GLOBAL__N_110LoadBoolOpEPKhlEEPS6_PKS6_NS0_5tupleIJPbS6_EEENSN_IJSK_SK_EEENS0_18inequality_wrapperINSA_8EqualityEEEPlJS6_EEE10hipError_tPvRmT3_T4_T5_T6_T7_T9_mT8_P12ihipStream_tbDpT10_ENKUlT_T0_E_clISt17integral_constantIbLb1EES1E_EEDaS19_S1A_EUlS19_E_NS1_11comp_targetILNS1_3genE8ELNS1_11target_archE1030ELNS1_3gpuE2ELNS1_3repE0EEENS1_30default_config_static_selectorELNS0_4arch9wavefront6targetE1EEEvT1_
	.p2align	8
	.type	_ZN7rocprim17ROCPRIM_400000_NS6detail17trampoline_kernelINS0_14default_configENS1_25partition_config_selectorILNS1_17partition_subalgoE8EbNS0_10empty_typeEbEEZZNS1_14partition_implILS5_8ELb0ES3_jN6hipcub16HIPCUB_304000_NS22TransformInputIteratorIbN2at6native8internal12_GLOBAL__N_110LoadBoolOpEPKhlEEPS6_PKS6_NS0_5tupleIJPbS6_EEENSN_IJSK_SK_EEENS0_18inequality_wrapperINSA_8EqualityEEEPlJS6_EEE10hipError_tPvRmT3_T4_T5_T6_T7_T9_mT8_P12ihipStream_tbDpT10_ENKUlT_T0_E_clISt17integral_constantIbLb1EES1E_EEDaS19_S1A_EUlS19_E_NS1_11comp_targetILNS1_3genE8ELNS1_11target_archE1030ELNS1_3gpuE2ELNS1_3repE0EEENS1_30default_config_static_selectorELNS0_4arch9wavefront6targetE1EEEvT1_,@function
_ZN7rocprim17ROCPRIM_400000_NS6detail17trampoline_kernelINS0_14default_configENS1_25partition_config_selectorILNS1_17partition_subalgoE8EbNS0_10empty_typeEbEEZZNS1_14partition_implILS5_8ELb0ES3_jN6hipcub16HIPCUB_304000_NS22TransformInputIteratorIbN2at6native8internal12_GLOBAL__N_110LoadBoolOpEPKhlEEPS6_PKS6_NS0_5tupleIJPbS6_EEENSN_IJSK_SK_EEENS0_18inequality_wrapperINSA_8EqualityEEEPlJS6_EEE10hipError_tPvRmT3_T4_T5_T6_T7_T9_mT8_P12ihipStream_tbDpT10_ENKUlT_T0_E_clISt17integral_constantIbLb1EES1E_EEDaS19_S1A_EUlS19_E_NS1_11comp_targetILNS1_3genE8ELNS1_11target_archE1030ELNS1_3gpuE2ELNS1_3repE0EEENS1_30default_config_static_selectorELNS0_4arch9wavefront6targetE1EEEvT1_: ; @_ZN7rocprim17ROCPRIM_400000_NS6detail17trampoline_kernelINS0_14default_configENS1_25partition_config_selectorILNS1_17partition_subalgoE8EbNS0_10empty_typeEbEEZZNS1_14partition_implILS5_8ELb0ES3_jN6hipcub16HIPCUB_304000_NS22TransformInputIteratorIbN2at6native8internal12_GLOBAL__N_110LoadBoolOpEPKhlEEPS6_PKS6_NS0_5tupleIJPbS6_EEENSN_IJSK_SK_EEENS0_18inequality_wrapperINSA_8EqualityEEEPlJS6_EEE10hipError_tPvRmT3_T4_T5_T6_T7_T9_mT8_P12ihipStream_tbDpT10_ENKUlT_T0_E_clISt17integral_constantIbLb1EES1E_EEDaS19_S1A_EUlS19_E_NS1_11comp_targetILNS1_3genE8ELNS1_11target_archE1030ELNS1_3gpuE2ELNS1_3repE0EEENS1_30default_config_static_selectorELNS0_4arch9wavefront6targetE1EEEvT1_
; %bb.0:
	.section	.rodata,"a",@progbits
	.p2align	6, 0x0
	.amdhsa_kernel _ZN7rocprim17ROCPRIM_400000_NS6detail17trampoline_kernelINS0_14default_configENS1_25partition_config_selectorILNS1_17partition_subalgoE8EbNS0_10empty_typeEbEEZZNS1_14partition_implILS5_8ELb0ES3_jN6hipcub16HIPCUB_304000_NS22TransformInputIteratorIbN2at6native8internal12_GLOBAL__N_110LoadBoolOpEPKhlEEPS6_PKS6_NS0_5tupleIJPbS6_EEENSN_IJSK_SK_EEENS0_18inequality_wrapperINSA_8EqualityEEEPlJS6_EEE10hipError_tPvRmT3_T4_T5_T6_T7_T9_mT8_P12ihipStream_tbDpT10_ENKUlT_T0_E_clISt17integral_constantIbLb1EES1E_EEDaS19_S1A_EUlS19_E_NS1_11comp_targetILNS1_3genE8ELNS1_11target_archE1030ELNS1_3gpuE2ELNS1_3repE0EEENS1_30default_config_static_selectorELNS0_4arch9wavefront6targetE1EEEvT1_
		.amdhsa_group_segment_fixed_size 0
		.amdhsa_private_segment_fixed_size 0
		.amdhsa_kernarg_size 136
		.amdhsa_user_sgpr_count 6
		.amdhsa_user_sgpr_private_segment_buffer 1
		.amdhsa_user_sgpr_dispatch_ptr 0
		.amdhsa_user_sgpr_queue_ptr 0
		.amdhsa_user_sgpr_kernarg_segment_ptr 1
		.amdhsa_user_sgpr_dispatch_id 0
		.amdhsa_user_sgpr_flat_scratch_init 0
		.amdhsa_user_sgpr_kernarg_preload_length 0
		.amdhsa_user_sgpr_kernarg_preload_offset 0
		.amdhsa_user_sgpr_private_segment_size 0
		.amdhsa_uses_dynamic_stack 0
		.amdhsa_system_sgpr_private_segment_wavefront_offset 0
		.amdhsa_system_sgpr_workgroup_id_x 1
		.amdhsa_system_sgpr_workgroup_id_y 0
		.amdhsa_system_sgpr_workgroup_id_z 0
		.amdhsa_system_sgpr_workgroup_info 0
		.amdhsa_system_vgpr_workitem_id 0
		.amdhsa_next_free_vgpr 1
		.amdhsa_next_free_sgpr 0
		.amdhsa_accum_offset 4
		.amdhsa_reserve_vcc 0
		.amdhsa_reserve_flat_scratch 0
		.amdhsa_float_round_mode_32 0
		.amdhsa_float_round_mode_16_64 0
		.amdhsa_float_denorm_mode_32 3
		.amdhsa_float_denorm_mode_16_64 3
		.amdhsa_dx10_clamp 1
		.amdhsa_ieee_mode 1
		.amdhsa_fp16_overflow 0
		.amdhsa_tg_split 0
		.amdhsa_exception_fp_ieee_invalid_op 0
		.amdhsa_exception_fp_denorm_src 0
		.amdhsa_exception_fp_ieee_div_zero 0
		.amdhsa_exception_fp_ieee_overflow 0
		.amdhsa_exception_fp_ieee_underflow 0
		.amdhsa_exception_fp_ieee_inexact 0
		.amdhsa_exception_int_div_zero 0
	.end_amdhsa_kernel
	.section	.text._ZN7rocprim17ROCPRIM_400000_NS6detail17trampoline_kernelINS0_14default_configENS1_25partition_config_selectorILNS1_17partition_subalgoE8EbNS0_10empty_typeEbEEZZNS1_14partition_implILS5_8ELb0ES3_jN6hipcub16HIPCUB_304000_NS22TransformInputIteratorIbN2at6native8internal12_GLOBAL__N_110LoadBoolOpEPKhlEEPS6_PKS6_NS0_5tupleIJPbS6_EEENSN_IJSK_SK_EEENS0_18inequality_wrapperINSA_8EqualityEEEPlJS6_EEE10hipError_tPvRmT3_T4_T5_T6_T7_T9_mT8_P12ihipStream_tbDpT10_ENKUlT_T0_E_clISt17integral_constantIbLb1EES1E_EEDaS19_S1A_EUlS19_E_NS1_11comp_targetILNS1_3genE8ELNS1_11target_archE1030ELNS1_3gpuE2ELNS1_3repE0EEENS1_30default_config_static_selectorELNS0_4arch9wavefront6targetE1EEEvT1_,"axG",@progbits,_ZN7rocprim17ROCPRIM_400000_NS6detail17trampoline_kernelINS0_14default_configENS1_25partition_config_selectorILNS1_17partition_subalgoE8EbNS0_10empty_typeEbEEZZNS1_14partition_implILS5_8ELb0ES3_jN6hipcub16HIPCUB_304000_NS22TransformInputIteratorIbN2at6native8internal12_GLOBAL__N_110LoadBoolOpEPKhlEEPS6_PKS6_NS0_5tupleIJPbS6_EEENSN_IJSK_SK_EEENS0_18inequality_wrapperINSA_8EqualityEEEPlJS6_EEE10hipError_tPvRmT3_T4_T5_T6_T7_T9_mT8_P12ihipStream_tbDpT10_ENKUlT_T0_E_clISt17integral_constantIbLb1EES1E_EEDaS19_S1A_EUlS19_E_NS1_11comp_targetILNS1_3genE8ELNS1_11target_archE1030ELNS1_3gpuE2ELNS1_3repE0EEENS1_30default_config_static_selectorELNS0_4arch9wavefront6targetE1EEEvT1_,comdat
.Lfunc_end29:
	.size	_ZN7rocprim17ROCPRIM_400000_NS6detail17trampoline_kernelINS0_14default_configENS1_25partition_config_selectorILNS1_17partition_subalgoE8EbNS0_10empty_typeEbEEZZNS1_14partition_implILS5_8ELb0ES3_jN6hipcub16HIPCUB_304000_NS22TransformInputIteratorIbN2at6native8internal12_GLOBAL__N_110LoadBoolOpEPKhlEEPS6_PKS6_NS0_5tupleIJPbS6_EEENSN_IJSK_SK_EEENS0_18inequality_wrapperINSA_8EqualityEEEPlJS6_EEE10hipError_tPvRmT3_T4_T5_T6_T7_T9_mT8_P12ihipStream_tbDpT10_ENKUlT_T0_E_clISt17integral_constantIbLb1EES1E_EEDaS19_S1A_EUlS19_E_NS1_11comp_targetILNS1_3genE8ELNS1_11target_archE1030ELNS1_3gpuE2ELNS1_3repE0EEENS1_30default_config_static_selectorELNS0_4arch9wavefront6targetE1EEEvT1_, .Lfunc_end29-_ZN7rocprim17ROCPRIM_400000_NS6detail17trampoline_kernelINS0_14default_configENS1_25partition_config_selectorILNS1_17partition_subalgoE8EbNS0_10empty_typeEbEEZZNS1_14partition_implILS5_8ELb0ES3_jN6hipcub16HIPCUB_304000_NS22TransformInputIteratorIbN2at6native8internal12_GLOBAL__N_110LoadBoolOpEPKhlEEPS6_PKS6_NS0_5tupleIJPbS6_EEENSN_IJSK_SK_EEENS0_18inequality_wrapperINSA_8EqualityEEEPlJS6_EEE10hipError_tPvRmT3_T4_T5_T6_T7_T9_mT8_P12ihipStream_tbDpT10_ENKUlT_T0_E_clISt17integral_constantIbLb1EES1E_EEDaS19_S1A_EUlS19_E_NS1_11comp_targetILNS1_3genE8ELNS1_11target_archE1030ELNS1_3gpuE2ELNS1_3repE0EEENS1_30default_config_static_selectorELNS0_4arch9wavefront6targetE1EEEvT1_
                                        ; -- End function
	.section	.AMDGPU.csdata,"",@progbits
; Kernel info:
; codeLenInByte = 0
; NumSgprs: 4
; NumVgprs: 0
; NumAgprs: 0
; TotalNumVgprs: 0
; ScratchSize: 0
; MemoryBound: 0
; FloatMode: 240
; IeeeMode: 1
; LDSByteSize: 0 bytes/workgroup (compile time only)
; SGPRBlocks: 0
; VGPRBlocks: 0
; NumSGPRsForWavesPerEU: 4
; NumVGPRsForWavesPerEU: 1
; AccumOffset: 4
; Occupancy: 8
; WaveLimiterHint : 0
; COMPUTE_PGM_RSRC2:SCRATCH_EN: 0
; COMPUTE_PGM_RSRC2:USER_SGPR: 6
; COMPUTE_PGM_RSRC2:TRAP_HANDLER: 0
; COMPUTE_PGM_RSRC2:TGID_X_EN: 1
; COMPUTE_PGM_RSRC2:TGID_Y_EN: 0
; COMPUTE_PGM_RSRC2:TGID_Z_EN: 0
; COMPUTE_PGM_RSRC2:TIDIG_COMP_CNT: 0
; COMPUTE_PGM_RSRC3_GFX90A:ACCUM_OFFSET: 0
; COMPUTE_PGM_RSRC3_GFX90A:TG_SPLIT: 0
	.section	.text._ZN7rocprim17ROCPRIM_400000_NS6detail31init_lookback_scan_state_kernelINS1_19lookback_scan_stateIjLb1ELb1EEENS1_16block_id_wrapperIjLb0EEEEEvT_jT0_jPNS7_10value_typeE,"axG",@progbits,_ZN7rocprim17ROCPRIM_400000_NS6detail31init_lookback_scan_state_kernelINS1_19lookback_scan_stateIjLb1ELb1EEENS1_16block_id_wrapperIjLb0EEEEEvT_jT0_jPNS7_10value_typeE,comdat
	.protected	_ZN7rocprim17ROCPRIM_400000_NS6detail31init_lookback_scan_state_kernelINS1_19lookback_scan_stateIjLb1ELb1EEENS1_16block_id_wrapperIjLb0EEEEEvT_jT0_jPNS7_10value_typeE ; -- Begin function _ZN7rocprim17ROCPRIM_400000_NS6detail31init_lookback_scan_state_kernelINS1_19lookback_scan_stateIjLb1ELb1EEENS1_16block_id_wrapperIjLb0EEEEEvT_jT0_jPNS7_10value_typeE
	.globl	_ZN7rocprim17ROCPRIM_400000_NS6detail31init_lookback_scan_state_kernelINS1_19lookback_scan_stateIjLb1ELb1EEENS1_16block_id_wrapperIjLb0EEEEEvT_jT0_jPNS7_10value_typeE
	.p2align	8
	.type	_ZN7rocprim17ROCPRIM_400000_NS6detail31init_lookback_scan_state_kernelINS1_19lookback_scan_stateIjLb1ELb1EEENS1_16block_id_wrapperIjLb0EEEEEvT_jT0_jPNS7_10value_typeE,@function
_ZN7rocprim17ROCPRIM_400000_NS6detail31init_lookback_scan_state_kernelINS1_19lookback_scan_stateIjLb1ELb1EEENS1_16block_id_wrapperIjLb0EEEEEvT_jT0_jPNS7_10value_typeE: ; @_ZN7rocprim17ROCPRIM_400000_NS6detail31init_lookback_scan_state_kernelINS1_19lookback_scan_stateIjLb1ELb1EEENS1_16block_id_wrapperIjLb0EEEEEvT_jT0_jPNS7_10value_typeE
; %bb.0:
	s_load_dword s7, s[4:5], 0x2c
	s_load_dwordx2 s[2:3], s[4:5], 0x18
	s_load_dwordx2 s[0:1], s[4:5], 0x0
	s_load_dword s8, s[4:5], 0x8
	s_waitcnt lgkmcnt(0)
	s_and_b32 s7, s7, 0xffff
	s_mul_i32 s6, s6, s7
	s_cmp_eq_u64 s[2:3], 0
	v_add_u32_e32 v0, s6, v0
	s_cbranch_scc1 .LBB30_9
; %bb.1:
	s_load_dword s6, s[4:5], 0x10
	s_mov_b32 s7, 0
	s_waitcnt lgkmcnt(0)
	s_cmp_lt_u32 s6, s8
	s_cselect_b32 s4, s6, 0
	v_cmp_eq_u32_e32 vcc, s4, v0
	s_and_saveexec_b64 s[4:5], vcc
	s_cbranch_execz .LBB30_8
; %bb.2:
	s_add_i32 s6, s6, 64
	s_lshl_b64 s[6:7], s[6:7], 3
	s_add_u32 s6, s0, s6
	s_addc_u32 s7, s1, s7
	v_mov_b32_e32 v2, 0
	global_load_dwordx2 v[4:5], v2, s[6:7] glc
	s_waitcnt vmcnt(0)
	v_and_b32_e32 v3, 0xff, v5
	v_cmp_ne_u64_e32 vcc, 0, v[2:3]
	s_cbranch_vccnz .LBB30_7
; %bb.3:
	s_mov_b32 s9, 1
.LBB30_4:                               ; =>This Loop Header: Depth=1
                                        ;     Child Loop BB30_5 Depth 2
	s_max_u32 s10, s9, 1
.LBB30_5:                               ;   Parent Loop BB30_4 Depth=1
                                        ; =>  This Inner Loop Header: Depth=2
	s_add_i32 s10, s10, -1
	s_cmp_eq_u32 s10, 0
	s_sleep 1
	s_cbranch_scc0 .LBB30_5
; %bb.6:                                ;   in Loop: Header=BB30_4 Depth=1
	global_load_dwordx2 v[4:5], v2, s[6:7] glc
	s_cmp_lt_u32 s9, 32
	s_cselect_b64 s[10:11], -1, 0
	s_cmp_lg_u64 s[10:11], 0
	s_addc_u32 s9, s9, 0
	s_waitcnt vmcnt(0)
	v_and_b32_e32 v3, 0xff, v5
	v_cmp_ne_u64_e32 vcc, 0, v[2:3]
	s_cbranch_vccz .LBB30_4
.LBB30_7:
	v_mov_b32_e32 v1, 0
	global_store_dword v1, v4, s[2:3]
.LBB30_8:
	s_or_b64 exec, exec, s[4:5]
.LBB30_9:
	v_cmp_gt_u32_e32 vcc, s8, v0
	s_and_saveexec_b64 s[2:3], vcc
	s_cbranch_execnz .LBB30_12
; %bb.10:
	s_or_b64 exec, exec, s[2:3]
	v_cmp_gt_u32_e32 vcc, 64, v0
	s_and_saveexec_b64 s[2:3], vcc
	s_cbranch_execnz .LBB30_13
.LBB30_11:
	s_endpgm
.LBB30_12:
	v_add_u32_e32 v2, 64, v0
	v_mov_b32_e32 v3, 0
	v_lshlrev_b64 v[4:5], 3, v[2:3]
	v_mov_b32_e32 v1, s1
	v_add_co_u32_e32 v4, vcc, s0, v4
	v_addc_co_u32_e32 v5, vcc, v1, v5, vcc
	v_mov_b32_e32 v2, v3
	global_store_dwordx2 v[4:5], v[2:3], off
	s_or_b64 exec, exec, s[2:3]
	v_cmp_gt_u32_e32 vcc, 64, v0
	s_and_saveexec_b64 s[2:3], vcc
	s_cbranch_execz .LBB30_11
.LBB30_13:
	v_mov_b32_e32 v1, 0
	v_lshlrev_b64 v[2:3], 3, v[0:1]
	v_mov_b32_e32 v0, s1
	v_add_co_u32_e32 v2, vcc, s0, v2
	v_addc_co_u32_e32 v3, vcc, v0, v3, vcc
	v_mov_b32_e32 v5, 0xff
	v_mov_b32_e32 v4, v1
	global_store_dwordx2 v[2:3], v[4:5], off
	s_endpgm
	.section	.rodata,"a",@progbits
	.p2align	6, 0x0
	.amdhsa_kernel _ZN7rocprim17ROCPRIM_400000_NS6detail31init_lookback_scan_state_kernelINS1_19lookback_scan_stateIjLb1ELb1EEENS1_16block_id_wrapperIjLb0EEEEEvT_jT0_jPNS7_10value_typeE
		.amdhsa_group_segment_fixed_size 0
		.amdhsa_private_segment_fixed_size 0
		.amdhsa_kernarg_size 288
		.amdhsa_user_sgpr_count 6
		.amdhsa_user_sgpr_private_segment_buffer 1
		.amdhsa_user_sgpr_dispatch_ptr 0
		.amdhsa_user_sgpr_queue_ptr 0
		.amdhsa_user_sgpr_kernarg_segment_ptr 1
		.amdhsa_user_sgpr_dispatch_id 0
		.amdhsa_user_sgpr_flat_scratch_init 0
		.amdhsa_user_sgpr_kernarg_preload_length 0
		.amdhsa_user_sgpr_kernarg_preload_offset 0
		.amdhsa_user_sgpr_private_segment_size 0
		.amdhsa_uses_dynamic_stack 0
		.amdhsa_system_sgpr_private_segment_wavefront_offset 0
		.amdhsa_system_sgpr_workgroup_id_x 1
		.amdhsa_system_sgpr_workgroup_id_y 0
		.amdhsa_system_sgpr_workgroup_id_z 0
		.amdhsa_system_sgpr_workgroup_info 0
		.amdhsa_system_vgpr_workitem_id 0
		.amdhsa_next_free_vgpr 6
		.amdhsa_next_free_sgpr 12
		.amdhsa_accum_offset 8
		.amdhsa_reserve_vcc 1
		.amdhsa_reserve_flat_scratch 0
		.amdhsa_float_round_mode_32 0
		.amdhsa_float_round_mode_16_64 0
		.amdhsa_float_denorm_mode_32 3
		.amdhsa_float_denorm_mode_16_64 3
		.amdhsa_dx10_clamp 1
		.amdhsa_ieee_mode 1
		.amdhsa_fp16_overflow 0
		.amdhsa_tg_split 0
		.amdhsa_exception_fp_ieee_invalid_op 0
		.amdhsa_exception_fp_denorm_src 0
		.amdhsa_exception_fp_ieee_div_zero 0
		.amdhsa_exception_fp_ieee_overflow 0
		.amdhsa_exception_fp_ieee_underflow 0
		.amdhsa_exception_fp_ieee_inexact 0
		.amdhsa_exception_int_div_zero 0
	.end_amdhsa_kernel
	.section	.text._ZN7rocprim17ROCPRIM_400000_NS6detail31init_lookback_scan_state_kernelINS1_19lookback_scan_stateIjLb1ELb1EEENS1_16block_id_wrapperIjLb0EEEEEvT_jT0_jPNS7_10value_typeE,"axG",@progbits,_ZN7rocprim17ROCPRIM_400000_NS6detail31init_lookback_scan_state_kernelINS1_19lookback_scan_stateIjLb1ELb1EEENS1_16block_id_wrapperIjLb0EEEEEvT_jT0_jPNS7_10value_typeE,comdat
.Lfunc_end30:
	.size	_ZN7rocprim17ROCPRIM_400000_NS6detail31init_lookback_scan_state_kernelINS1_19lookback_scan_stateIjLb1ELb1EEENS1_16block_id_wrapperIjLb0EEEEEvT_jT0_jPNS7_10value_typeE, .Lfunc_end30-_ZN7rocprim17ROCPRIM_400000_NS6detail31init_lookback_scan_state_kernelINS1_19lookback_scan_stateIjLb1ELb1EEENS1_16block_id_wrapperIjLb0EEEEEvT_jT0_jPNS7_10value_typeE
                                        ; -- End function
	.section	.AMDGPU.csdata,"",@progbits
; Kernel info:
; codeLenInByte = 364
; NumSgprs: 16
; NumVgprs: 6
; NumAgprs: 0
; TotalNumVgprs: 6
; ScratchSize: 0
; MemoryBound: 0
; FloatMode: 240
; IeeeMode: 1
; LDSByteSize: 0 bytes/workgroup (compile time only)
; SGPRBlocks: 1
; VGPRBlocks: 0
; NumSGPRsForWavesPerEU: 16
; NumVGPRsForWavesPerEU: 6
; AccumOffset: 8
; Occupancy: 8
; WaveLimiterHint : 0
; COMPUTE_PGM_RSRC2:SCRATCH_EN: 0
; COMPUTE_PGM_RSRC2:USER_SGPR: 6
; COMPUTE_PGM_RSRC2:TRAP_HANDLER: 0
; COMPUTE_PGM_RSRC2:TGID_X_EN: 1
; COMPUTE_PGM_RSRC2:TGID_Y_EN: 0
; COMPUTE_PGM_RSRC2:TGID_Z_EN: 0
; COMPUTE_PGM_RSRC2:TIDIG_COMP_CNT: 0
; COMPUTE_PGM_RSRC3_GFX90A:ACCUM_OFFSET: 1
; COMPUTE_PGM_RSRC3_GFX90A:TG_SPLIT: 0
	.section	.text._ZN7rocprim17ROCPRIM_400000_NS6detail17trampoline_kernelINS0_14default_configENS1_25partition_config_selectorILNS1_17partition_subalgoE8EbNS0_10empty_typeEbEEZZNS1_14partition_implILS5_8ELb0ES3_jN6hipcub16HIPCUB_304000_NS22TransformInputIteratorIbN2at6native8internal12_GLOBAL__N_110LoadBoolOpEPKhlEEPS6_PKS6_NS0_5tupleIJPbS6_EEENSN_IJSK_SK_EEENS0_18inequality_wrapperINSA_8EqualityEEEPlJS6_EEE10hipError_tPvRmT3_T4_T5_T6_T7_T9_mT8_P12ihipStream_tbDpT10_ENKUlT_T0_E_clISt17integral_constantIbLb1EES1D_IbLb0EEEEDaS19_S1A_EUlS19_E_NS1_11comp_targetILNS1_3genE0ELNS1_11target_archE4294967295ELNS1_3gpuE0ELNS1_3repE0EEENS1_30default_config_static_selectorELNS0_4arch9wavefront6targetE1EEEvT1_,"axG",@progbits,_ZN7rocprim17ROCPRIM_400000_NS6detail17trampoline_kernelINS0_14default_configENS1_25partition_config_selectorILNS1_17partition_subalgoE8EbNS0_10empty_typeEbEEZZNS1_14partition_implILS5_8ELb0ES3_jN6hipcub16HIPCUB_304000_NS22TransformInputIteratorIbN2at6native8internal12_GLOBAL__N_110LoadBoolOpEPKhlEEPS6_PKS6_NS0_5tupleIJPbS6_EEENSN_IJSK_SK_EEENS0_18inequality_wrapperINSA_8EqualityEEEPlJS6_EEE10hipError_tPvRmT3_T4_T5_T6_T7_T9_mT8_P12ihipStream_tbDpT10_ENKUlT_T0_E_clISt17integral_constantIbLb1EES1D_IbLb0EEEEDaS19_S1A_EUlS19_E_NS1_11comp_targetILNS1_3genE0ELNS1_11target_archE4294967295ELNS1_3gpuE0ELNS1_3repE0EEENS1_30default_config_static_selectorELNS0_4arch9wavefront6targetE1EEEvT1_,comdat
	.globl	_ZN7rocprim17ROCPRIM_400000_NS6detail17trampoline_kernelINS0_14default_configENS1_25partition_config_selectorILNS1_17partition_subalgoE8EbNS0_10empty_typeEbEEZZNS1_14partition_implILS5_8ELb0ES3_jN6hipcub16HIPCUB_304000_NS22TransformInputIteratorIbN2at6native8internal12_GLOBAL__N_110LoadBoolOpEPKhlEEPS6_PKS6_NS0_5tupleIJPbS6_EEENSN_IJSK_SK_EEENS0_18inequality_wrapperINSA_8EqualityEEEPlJS6_EEE10hipError_tPvRmT3_T4_T5_T6_T7_T9_mT8_P12ihipStream_tbDpT10_ENKUlT_T0_E_clISt17integral_constantIbLb1EES1D_IbLb0EEEEDaS19_S1A_EUlS19_E_NS1_11comp_targetILNS1_3genE0ELNS1_11target_archE4294967295ELNS1_3gpuE0ELNS1_3repE0EEENS1_30default_config_static_selectorELNS0_4arch9wavefront6targetE1EEEvT1_ ; -- Begin function _ZN7rocprim17ROCPRIM_400000_NS6detail17trampoline_kernelINS0_14default_configENS1_25partition_config_selectorILNS1_17partition_subalgoE8EbNS0_10empty_typeEbEEZZNS1_14partition_implILS5_8ELb0ES3_jN6hipcub16HIPCUB_304000_NS22TransformInputIteratorIbN2at6native8internal12_GLOBAL__N_110LoadBoolOpEPKhlEEPS6_PKS6_NS0_5tupleIJPbS6_EEENSN_IJSK_SK_EEENS0_18inequality_wrapperINSA_8EqualityEEEPlJS6_EEE10hipError_tPvRmT3_T4_T5_T6_T7_T9_mT8_P12ihipStream_tbDpT10_ENKUlT_T0_E_clISt17integral_constantIbLb1EES1D_IbLb0EEEEDaS19_S1A_EUlS19_E_NS1_11comp_targetILNS1_3genE0ELNS1_11target_archE4294967295ELNS1_3gpuE0ELNS1_3repE0EEENS1_30default_config_static_selectorELNS0_4arch9wavefront6targetE1EEEvT1_
	.p2align	8
	.type	_ZN7rocprim17ROCPRIM_400000_NS6detail17trampoline_kernelINS0_14default_configENS1_25partition_config_selectorILNS1_17partition_subalgoE8EbNS0_10empty_typeEbEEZZNS1_14partition_implILS5_8ELb0ES3_jN6hipcub16HIPCUB_304000_NS22TransformInputIteratorIbN2at6native8internal12_GLOBAL__N_110LoadBoolOpEPKhlEEPS6_PKS6_NS0_5tupleIJPbS6_EEENSN_IJSK_SK_EEENS0_18inequality_wrapperINSA_8EqualityEEEPlJS6_EEE10hipError_tPvRmT3_T4_T5_T6_T7_T9_mT8_P12ihipStream_tbDpT10_ENKUlT_T0_E_clISt17integral_constantIbLb1EES1D_IbLb0EEEEDaS19_S1A_EUlS19_E_NS1_11comp_targetILNS1_3genE0ELNS1_11target_archE4294967295ELNS1_3gpuE0ELNS1_3repE0EEENS1_30default_config_static_selectorELNS0_4arch9wavefront6targetE1EEEvT1_,@function
_ZN7rocprim17ROCPRIM_400000_NS6detail17trampoline_kernelINS0_14default_configENS1_25partition_config_selectorILNS1_17partition_subalgoE8EbNS0_10empty_typeEbEEZZNS1_14partition_implILS5_8ELb0ES3_jN6hipcub16HIPCUB_304000_NS22TransformInputIteratorIbN2at6native8internal12_GLOBAL__N_110LoadBoolOpEPKhlEEPS6_PKS6_NS0_5tupleIJPbS6_EEENSN_IJSK_SK_EEENS0_18inequality_wrapperINSA_8EqualityEEEPlJS6_EEE10hipError_tPvRmT3_T4_T5_T6_T7_T9_mT8_P12ihipStream_tbDpT10_ENKUlT_T0_E_clISt17integral_constantIbLb1EES1D_IbLb0EEEEDaS19_S1A_EUlS19_E_NS1_11comp_targetILNS1_3genE0ELNS1_11target_archE4294967295ELNS1_3gpuE0ELNS1_3repE0EEENS1_30default_config_static_selectorELNS0_4arch9wavefront6targetE1EEEvT1_: ; @_ZN7rocprim17ROCPRIM_400000_NS6detail17trampoline_kernelINS0_14default_configENS1_25partition_config_selectorILNS1_17partition_subalgoE8EbNS0_10empty_typeEbEEZZNS1_14partition_implILS5_8ELb0ES3_jN6hipcub16HIPCUB_304000_NS22TransformInputIteratorIbN2at6native8internal12_GLOBAL__N_110LoadBoolOpEPKhlEEPS6_PKS6_NS0_5tupleIJPbS6_EEENSN_IJSK_SK_EEENS0_18inequality_wrapperINSA_8EqualityEEEPlJS6_EEE10hipError_tPvRmT3_T4_T5_T6_T7_T9_mT8_P12ihipStream_tbDpT10_ENKUlT_T0_E_clISt17integral_constantIbLb1EES1D_IbLb0EEEEDaS19_S1A_EUlS19_E_NS1_11comp_targetILNS1_3genE0ELNS1_11target_archE4294967295ELNS1_3gpuE0ELNS1_3repE0EEENS1_30default_config_static_selectorELNS0_4arch9wavefront6targetE1EEEvT1_
; %bb.0:
	.section	.rodata,"a",@progbits
	.p2align	6, 0x0
	.amdhsa_kernel _ZN7rocprim17ROCPRIM_400000_NS6detail17trampoline_kernelINS0_14default_configENS1_25partition_config_selectorILNS1_17partition_subalgoE8EbNS0_10empty_typeEbEEZZNS1_14partition_implILS5_8ELb0ES3_jN6hipcub16HIPCUB_304000_NS22TransformInputIteratorIbN2at6native8internal12_GLOBAL__N_110LoadBoolOpEPKhlEEPS6_PKS6_NS0_5tupleIJPbS6_EEENSN_IJSK_SK_EEENS0_18inequality_wrapperINSA_8EqualityEEEPlJS6_EEE10hipError_tPvRmT3_T4_T5_T6_T7_T9_mT8_P12ihipStream_tbDpT10_ENKUlT_T0_E_clISt17integral_constantIbLb1EES1D_IbLb0EEEEDaS19_S1A_EUlS19_E_NS1_11comp_targetILNS1_3genE0ELNS1_11target_archE4294967295ELNS1_3gpuE0ELNS1_3repE0EEENS1_30default_config_static_selectorELNS0_4arch9wavefront6targetE1EEEvT1_
		.amdhsa_group_segment_fixed_size 0
		.amdhsa_private_segment_fixed_size 0
		.amdhsa_kernarg_size 120
		.amdhsa_user_sgpr_count 6
		.amdhsa_user_sgpr_private_segment_buffer 1
		.amdhsa_user_sgpr_dispatch_ptr 0
		.amdhsa_user_sgpr_queue_ptr 0
		.amdhsa_user_sgpr_kernarg_segment_ptr 1
		.amdhsa_user_sgpr_dispatch_id 0
		.amdhsa_user_sgpr_flat_scratch_init 0
		.amdhsa_user_sgpr_kernarg_preload_length 0
		.amdhsa_user_sgpr_kernarg_preload_offset 0
		.amdhsa_user_sgpr_private_segment_size 0
		.amdhsa_uses_dynamic_stack 0
		.amdhsa_system_sgpr_private_segment_wavefront_offset 0
		.amdhsa_system_sgpr_workgroup_id_x 1
		.amdhsa_system_sgpr_workgroup_id_y 0
		.amdhsa_system_sgpr_workgroup_id_z 0
		.amdhsa_system_sgpr_workgroup_info 0
		.amdhsa_system_vgpr_workitem_id 0
		.amdhsa_next_free_vgpr 1
		.amdhsa_next_free_sgpr 0
		.amdhsa_accum_offset 4
		.amdhsa_reserve_vcc 0
		.amdhsa_reserve_flat_scratch 0
		.amdhsa_float_round_mode_32 0
		.amdhsa_float_round_mode_16_64 0
		.amdhsa_float_denorm_mode_32 3
		.amdhsa_float_denorm_mode_16_64 3
		.amdhsa_dx10_clamp 1
		.amdhsa_ieee_mode 1
		.amdhsa_fp16_overflow 0
		.amdhsa_tg_split 0
		.amdhsa_exception_fp_ieee_invalid_op 0
		.amdhsa_exception_fp_denorm_src 0
		.amdhsa_exception_fp_ieee_div_zero 0
		.amdhsa_exception_fp_ieee_overflow 0
		.amdhsa_exception_fp_ieee_underflow 0
		.amdhsa_exception_fp_ieee_inexact 0
		.amdhsa_exception_int_div_zero 0
	.end_amdhsa_kernel
	.section	.text._ZN7rocprim17ROCPRIM_400000_NS6detail17trampoline_kernelINS0_14default_configENS1_25partition_config_selectorILNS1_17partition_subalgoE8EbNS0_10empty_typeEbEEZZNS1_14partition_implILS5_8ELb0ES3_jN6hipcub16HIPCUB_304000_NS22TransformInputIteratorIbN2at6native8internal12_GLOBAL__N_110LoadBoolOpEPKhlEEPS6_PKS6_NS0_5tupleIJPbS6_EEENSN_IJSK_SK_EEENS0_18inequality_wrapperINSA_8EqualityEEEPlJS6_EEE10hipError_tPvRmT3_T4_T5_T6_T7_T9_mT8_P12ihipStream_tbDpT10_ENKUlT_T0_E_clISt17integral_constantIbLb1EES1D_IbLb0EEEEDaS19_S1A_EUlS19_E_NS1_11comp_targetILNS1_3genE0ELNS1_11target_archE4294967295ELNS1_3gpuE0ELNS1_3repE0EEENS1_30default_config_static_selectorELNS0_4arch9wavefront6targetE1EEEvT1_,"axG",@progbits,_ZN7rocprim17ROCPRIM_400000_NS6detail17trampoline_kernelINS0_14default_configENS1_25partition_config_selectorILNS1_17partition_subalgoE8EbNS0_10empty_typeEbEEZZNS1_14partition_implILS5_8ELb0ES3_jN6hipcub16HIPCUB_304000_NS22TransformInputIteratorIbN2at6native8internal12_GLOBAL__N_110LoadBoolOpEPKhlEEPS6_PKS6_NS0_5tupleIJPbS6_EEENSN_IJSK_SK_EEENS0_18inequality_wrapperINSA_8EqualityEEEPlJS6_EEE10hipError_tPvRmT3_T4_T5_T6_T7_T9_mT8_P12ihipStream_tbDpT10_ENKUlT_T0_E_clISt17integral_constantIbLb1EES1D_IbLb0EEEEDaS19_S1A_EUlS19_E_NS1_11comp_targetILNS1_3genE0ELNS1_11target_archE4294967295ELNS1_3gpuE0ELNS1_3repE0EEENS1_30default_config_static_selectorELNS0_4arch9wavefront6targetE1EEEvT1_,comdat
.Lfunc_end31:
	.size	_ZN7rocprim17ROCPRIM_400000_NS6detail17trampoline_kernelINS0_14default_configENS1_25partition_config_selectorILNS1_17partition_subalgoE8EbNS0_10empty_typeEbEEZZNS1_14partition_implILS5_8ELb0ES3_jN6hipcub16HIPCUB_304000_NS22TransformInputIteratorIbN2at6native8internal12_GLOBAL__N_110LoadBoolOpEPKhlEEPS6_PKS6_NS0_5tupleIJPbS6_EEENSN_IJSK_SK_EEENS0_18inequality_wrapperINSA_8EqualityEEEPlJS6_EEE10hipError_tPvRmT3_T4_T5_T6_T7_T9_mT8_P12ihipStream_tbDpT10_ENKUlT_T0_E_clISt17integral_constantIbLb1EES1D_IbLb0EEEEDaS19_S1A_EUlS19_E_NS1_11comp_targetILNS1_3genE0ELNS1_11target_archE4294967295ELNS1_3gpuE0ELNS1_3repE0EEENS1_30default_config_static_selectorELNS0_4arch9wavefront6targetE1EEEvT1_, .Lfunc_end31-_ZN7rocprim17ROCPRIM_400000_NS6detail17trampoline_kernelINS0_14default_configENS1_25partition_config_selectorILNS1_17partition_subalgoE8EbNS0_10empty_typeEbEEZZNS1_14partition_implILS5_8ELb0ES3_jN6hipcub16HIPCUB_304000_NS22TransformInputIteratorIbN2at6native8internal12_GLOBAL__N_110LoadBoolOpEPKhlEEPS6_PKS6_NS0_5tupleIJPbS6_EEENSN_IJSK_SK_EEENS0_18inequality_wrapperINSA_8EqualityEEEPlJS6_EEE10hipError_tPvRmT3_T4_T5_T6_T7_T9_mT8_P12ihipStream_tbDpT10_ENKUlT_T0_E_clISt17integral_constantIbLb1EES1D_IbLb0EEEEDaS19_S1A_EUlS19_E_NS1_11comp_targetILNS1_3genE0ELNS1_11target_archE4294967295ELNS1_3gpuE0ELNS1_3repE0EEENS1_30default_config_static_selectorELNS0_4arch9wavefront6targetE1EEEvT1_
                                        ; -- End function
	.section	.AMDGPU.csdata,"",@progbits
; Kernel info:
; codeLenInByte = 0
; NumSgprs: 4
; NumVgprs: 0
; NumAgprs: 0
; TotalNumVgprs: 0
; ScratchSize: 0
; MemoryBound: 0
; FloatMode: 240
; IeeeMode: 1
; LDSByteSize: 0 bytes/workgroup (compile time only)
; SGPRBlocks: 0
; VGPRBlocks: 0
; NumSGPRsForWavesPerEU: 4
; NumVGPRsForWavesPerEU: 1
; AccumOffset: 4
; Occupancy: 8
; WaveLimiterHint : 0
; COMPUTE_PGM_RSRC2:SCRATCH_EN: 0
; COMPUTE_PGM_RSRC2:USER_SGPR: 6
; COMPUTE_PGM_RSRC2:TRAP_HANDLER: 0
; COMPUTE_PGM_RSRC2:TGID_X_EN: 1
; COMPUTE_PGM_RSRC2:TGID_Y_EN: 0
; COMPUTE_PGM_RSRC2:TGID_Z_EN: 0
; COMPUTE_PGM_RSRC2:TIDIG_COMP_CNT: 0
; COMPUTE_PGM_RSRC3_GFX90A:ACCUM_OFFSET: 0
; COMPUTE_PGM_RSRC3_GFX90A:TG_SPLIT: 0
	.section	.text._ZN7rocprim17ROCPRIM_400000_NS6detail17trampoline_kernelINS0_14default_configENS1_25partition_config_selectorILNS1_17partition_subalgoE8EbNS0_10empty_typeEbEEZZNS1_14partition_implILS5_8ELb0ES3_jN6hipcub16HIPCUB_304000_NS22TransformInputIteratorIbN2at6native8internal12_GLOBAL__N_110LoadBoolOpEPKhlEEPS6_PKS6_NS0_5tupleIJPbS6_EEENSN_IJSK_SK_EEENS0_18inequality_wrapperINSA_8EqualityEEEPlJS6_EEE10hipError_tPvRmT3_T4_T5_T6_T7_T9_mT8_P12ihipStream_tbDpT10_ENKUlT_T0_E_clISt17integral_constantIbLb1EES1D_IbLb0EEEEDaS19_S1A_EUlS19_E_NS1_11comp_targetILNS1_3genE5ELNS1_11target_archE942ELNS1_3gpuE9ELNS1_3repE0EEENS1_30default_config_static_selectorELNS0_4arch9wavefront6targetE1EEEvT1_,"axG",@progbits,_ZN7rocprim17ROCPRIM_400000_NS6detail17trampoline_kernelINS0_14default_configENS1_25partition_config_selectorILNS1_17partition_subalgoE8EbNS0_10empty_typeEbEEZZNS1_14partition_implILS5_8ELb0ES3_jN6hipcub16HIPCUB_304000_NS22TransformInputIteratorIbN2at6native8internal12_GLOBAL__N_110LoadBoolOpEPKhlEEPS6_PKS6_NS0_5tupleIJPbS6_EEENSN_IJSK_SK_EEENS0_18inequality_wrapperINSA_8EqualityEEEPlJS6_EEE10hipError_tPvRmT3_T4_T5_T6_T7_T9_mT8_P12ihipStream_tbDpT10_ENKUlT_T0_E_clISt17integral_constantIbLb1EES1D_IbLb0EEEEDaS19_S1A_EUlS19_E_NS1_11comp_targetILNS1_3genE5ELNS1_11target_archE942ELNS1_3gpuE9ELNS1_3repE0EEENS1_30default_config_static_selectorELNS0_4arch9wavefront6targetE1EEEvT1_,comdat
	.globl	_ZN7rocprim17ROCPRIM_400000_NS6detail17trampoline_kernelINS0_14default_configENS1_25partition_config_selectorILNS1_17partition_subalgoE8EbNS0_10empty_typeEbEEZZNS1_14partition_implILS5_8ELb0ES3_jN6hipcub16HIPCUB_304000_NS22TransformInputIteratorIbN2at6native8internal12_GLOBAL__N_110LoadBoolOpEPKhlEEPS6_PKS6_NS0_5tupleIJPbS6_EEENSN_IJSK_SK_EEENS0_18inequality_wrapperINSA_8EqualityEEEPlJS6_EEE10hipError_tPvRmT3_T4_T5_T6_T7_T9_mT8_P12ihipStream_tbDpT10_ENKUlT_T0_E_clISt17integral_constantIbLb1EES1D_IbLb0EEEEDaS19_S1A_EUlS19_E_NS1_11comp_targetILNS1_3genE5ELNS1_11target_archE942ELNS1_3gpuE9ELNS1_3repE0EEENS1_30default_config_static_selectorELNS0_4arch9wavefront6targetE1EEEvT1_ ; -- Begin function _ZN7rocprim17ROCPRIM_400000_NS6detail17trampoline_kernelINS0_14default_configENS1_25partition_config_selectorILNS1_17partition_subalgoE8EbNS0_10empty_typeEbEEZZNS1_14partition_implILS5_8ELb0ES3_jN6hipcub16HIPCUB_304000_NS22TransformInputIteratorIbN2at6native8internal12_GLOBAL__N_110LoadBoolOpEPKhlEEPS6_PKS6_NS0_5tupleIJPbS6_EEENSN_IJSK_SK_EEENS0_18inequality_wrapperINSA_8EqualityEEEPlJS6_EEE10hipError_tPvRmT3_T4_T5_T6_T7_T9_mT8_P12ihipStream_tbDpT10_ENKUlT_T0_E_clISt17integral_constantIbLb1EES1D_IbLb0EEEEDaS19_S1A_EUlS19_E_NS1_11comp_targetILNS1_3genE5ELNS1_11target_archE942ELNS1_3gpuE9ELNS1_3repE0EEENS1_30default_config_static_selectorELNS0_4arch9wavefront6targetE1EEEvT1_
	.p2align	8
	.type	_ZN7rocprim17ROCPRIM_400000_NS6detail17trampoline_kernelINS0_14default_configENS1_25partition_config_selectorILNS1_17partition_subalgoE8EbNS0_10empty_typeEbEEZZNS1_14partition_implILS5_8ELb0ES3_jN6hipcub16HIPCUB_304000_NS22TransformInputIteratorIbN2at6native8internal12_GLOBAL__N_110LoadBoolOpEPKhlEEPS6_PKS6_NS0_5tupleIJPbS6_EEENSN_IJSK_SK_EEENS0_18inequality_wrapperINSA_8EqualityEEEPlJS6_EEE10hipError_tPvRmT3_T4_T5_T6_T7_T9_mT8_P12ihipStream_tbDpT10_ENKUlT_T0_E_clISt17integral_constantIbLb1EES1D_IbLb0EEEEDaS19_S1A_EUlS19_E_NS1_11comp_targetILNS1_3genE5ELNS1_11target_archE942ELNS1_3gpuE9ELNS1_3repE0EEENS1_30default_config_static_selectorELNS0_4arch9wavefront6targetE1EEEvT1_,@function
_ZN7rocprim17ROCPRIM_400000_NS6detail17trampoline_kernelINS0_14default_configENS1_25partition_config_selectorILNS1_17partition_subalgoE8EbNS0_10empty_typeEbEEZZNS1_14partition_implILS5_8ELb0ES3_jN6hipcub16HIPCUB_304000_NS22TransformInputIteratorIbN2at6native8internal12_GLOBAL__N_110LoadBoolOpEPKhlEEPS6_PKS6_NS0_5tupleIJPbS6_EEENSN_IJSK_SK_EEENS0_18inequality_wrapperINSA_8EqualityEEEPlJS6_EEE10hipError_tPvRmT3_T4_T5_T6_T7_T9_mT8_P12ihipStream_tbDpT10_ENKUlT_T0_E_clISt17integral_constantIbLb1EES1D_IbLb0EEEEDaS19_S1A_EUlS19_E_NS1_11comp_targetILNS1_3genE5ELNS1_11target_archE942ELNS1_3gpuE9ELNS1_3repE0EEENS1_30default_config_static_selectorELNS0_4arch9wavefront6targetE1EEEvT1_: ; @_ZN7rocprim17ROCPRIM_400000_NS6detail17trampoline_kernelINS0_14default_configENS1_25partition_config_selectorILNS1_17partition_subalgoE8EbNS0_10empty_typeEbEEZZNS1_14partition_implILS5_8ELb0ES3_jN6hipcub16HIPCUB_304000_NS22TransformInputIteratorIbN2at6native8internal12_GLOBAL__N_110LoadBoolOpEPKhlEEPS6_PKS6_NS0_5tupleIJPbS6_EEENSN_IJSK_SK_EEENS0_18inequality_wrapperINSA_8EqualityEEEPlJS6_EEE10hipError_tPvRmT3_T4_T5_T6_T7_T9_mT8_P12ihipStream_tbDpT10_ENKUlT_T0_E_clISt17integral_constantIbLb1EES1D_IbLb0EEEEDaS19_S1A_EUlS19_E_NS1_11comp_targetILNS1_3genE5ELNS1_11target_archE942ELNS1_3gpuE9ELNS1_3repE0EEENS1_30default_config_static_selectorELNS0_4arch9wavefront6targetE1EEEvT1_
; %bb.0:
	.section	.rodata,"a",@progbits
	.p2align	6, 0x0
	.amdhsa_kernel _ZN7rocprim17ROCPRIM_400000_NS6detail17trampoline_kernelINS0_14default_configENS1_25partition_config_selectorILNS1_17partition_subalgoE8EbNS0_10empty_typeEbEEZZNS1_14partition_implILS5_8ELb0ES3_jN6hipcub16HIPCUB_304000_NS22TransformInputIteratorIbN2at6native8internal12_GLOBAL__N_110LoadBoolOpEPKhlEEPS6_PKS6_NS0_5tupleIJPbS6_EEENSN_IJSK_SK_EEENS0_18inequality_wrapperINSA_8EqualityEEEPlJS6_EEE10hipError_tPvRmT3_T4_T5_T6_T7_T9_mT8_P12ihipStream_tbDpT10_ENKUlT_T0_E_clISt17integral_constantIbLb1EES1D_IbLb0EEEEDaS19_S1A_EUlS19_E_NS1_11comp_targetILNS1_3genE5ELNS1_11target_archE942ELNS1_3gpuE9ELNS1_3repE0EEENS1_30default_config_static_selectorELNS0_4arch9wavefront6targetE1EEEvT1_
		.amdhsa_group_segment_fixed_size 0
		.amdhsa_private_segment_fixed_size 0
		.amdhsa_kernarg_size 120
		.amdhsa_user_sgpr_count 6
		.amdhsa_user_sgpr_private_segment_buffer 1
		.amdhsa_user_sgpr_dispatch_ptr 0
		.amdhsa_user_sgpr_queue_ptr 0
		.amdhsa_user_sgpr_kernarg_segment_ptr 1
		.amdhsa_user_sgpr_dispatch_id 0
		.amdhsa_user_sgpr_flat_scratch_init 0
		.amdhsa_user_sgpr_kernarg_preload_length 0
		.amdhsa_user_sgpr_kernarg_preload_offset 0
		.amdhsa_user_sgpr_private_segment_size 0
		.amdhsa_uses_dynamic_stack 0
		.amdhsa_system_sgpr_private_segment_wavefront_offset 0
		.amdhsa_system_sgpr_workgroup_id_x 1
		.amdhsa_system_sgpr_workgroup_id_y 0
		.amdhsa_system_sgpr_workgroup_id_z 0
		.amdhsa_system_sgpr_workgroup_info 0
		.amdhsa_system_vgpr_workitem_id 0
		.amdhsa_next_free_vgpr 1
		.amdhsa_next_free_sgpr 0
		.amdhsa_accum_offset 4
		.amdhsa_reserve_vcc 0
		.amdhsa_reserve_flat_scratch 0
		.amdhsa_float_round_mode_32 0
		.amdhsa_float_round_mode_16_64 0
		.amdhsa_float_denorm_mode_32 3
		.amdhsa_float_denorm_mode_16_64 3
		.amdhsa_dx10_clamp 1
		.amdhsa_ieee_mode 1
		.amdhsa_fp16_overflow 0
		.amdhsa_tg_split 0
		.amdhsa_exception_fp_ieee_invalid_op 0
		.amdhsa_exception_fp_denorm_src 0
		.amdhsa_exception_fp_ieee_div_zero 0
		.amdhsa_exception_fp_ieee_overflow 0
		.amdhsa_exception_fp_ieee_underflow 0
		.amdhsa_exception_fp_ieee_inexact 0
		.amdhsa_exception_int_div_zero 0
	.end_amdhsa_kernel
	.section	.text._ZN7rocprim17ROCPRIM_400000_NS6detail17trampoline_kernelINS0_14default_configENS1_25partition_config_selectorILNS1_17partition_subalgoE8EbNS0_10empty_typeEbEEZZNS1_14partition_implILS5_8ELb0ES3_jN6hipcub16HIPCUB_304000_NS22TransformInputIteratorIbN2at6native8internal12_GLOBAL__N_110LoadBoolOpEPKhlEEPS6_PKS6_NS0_5tupleIJPbS6_EEENSN_IJSK_SK_EEENS0_18inequality_wrapperINSA_8EqualityEEEPlJS6_EEE10hipError_tPvRmT3_T4_T5_T6_T7_T9_mT8_P12ihipStream_tbDpT10_ENKUlT_T0_E_clISt17integral_constantIbLb1EES1D_IbLb0EEEEDaS19_S1A_EUlS19_E_NS1_11comp_targetILNS1_3genE5ELNS1_11target_archE942ELNS1_3gpuE9ELNS1_3repE0EEENS1_30default_config_static_selectorELNS0_4arch9wavefront6targetE1EEEvT1_,"axG",@progbits,_ZN7rocprim17ROCPRIM_400000_NS6detail17trampoline_kernelINS0_14default_configENS1_25partition_config_selectorILNS1_17partition_subalgoE8EbNS0_10empty_typeEbEEZZNS1_14partition_implILS5_8ELb0ES3_jN6hipcub16HIPCUB_304000_NS22TransformInputIteratorIbN2at6native8internal12_GLOBAL__N_110LoadBoolOpEPKhlEEPS6_PKS6_NS0_5tupleIJPbS6_EEENSN_IJSK_SK_EEENS0_18inequality_wrapperINSA_8EqualityEEEPlJS6_EEE10hipError_tPvRmT3_T4_T5_T6_T7_T9_mT8_P12ihipStream_tbDpT10_ENKUlT_T0_E_clISt17integral_constantIbLb1EES1D_IbLb0EEEEDaS19_S1A_EUlS19_E_NS1_11comp_targetILNS1_3genE5ELNS1_11target_archE942ELNS1_3gpuE9ELNS1_3repE0EEENS1_30default_config_static_selectorELNS0_4arch9wavefront6targetE1EEEvT1_,comdat
.Lfunc_end32:
	.size	_ZN7rocprim17ROCPRIM_400000_NS6detail17trampoline_kernelINS0_14default_configENS1_25partition_config_selectorILNS1_17partition_subalgoE8EbNS0_10empty_typeEbEEZZNS1_14partition_implILS5_8ELb0ES3_jN6hipcub16HIPCUB_304000_NS22TransformInputIteratorIbN2at6native8internal12_GLOBAL__N_110LoadBoolOpEPKhlEEPS6_PKS6_NS0_5tupleIJPbS6_EEENSN_IJSK_SK_EEENS0_18inequality_wrapperINSA_8EqualityEEEPlJS6_EEE10hipError_tPvRmT3_T4_T5_T6_T7_T9_mT8_P12ihipStream_tbDpT10_ENKUlT_T0_E_clISt17integral_constantIbLb1EES1D_IbLb0EEEEDaS19_S1A_EUlS19_E_NS1_11comp_targetILNS1_3genE5ELNS1_11target_archE942ELNS1_3gpuE9ELNS1_3repE0EEENS1_30default_config_static_selectorELNS0_4arch9wavefront6targetE1EEEvT1_, .Lfunc_end32-_ZN7rocprim17ROCPRIM_400000_NS6detail17trampoline_kernelINS0_14default_configENS1_25partition_config_selectorILNS1_17partition_subalgoE8EbNS0_10empty_typeEbEEZZNS1_14partition_implILS5_8ELb0ES3_jN6hipcub16HIPCUB_304000_NS22TransformInputIteratorIbN2at6native8internal12_GLOBAL__N_110LoadBoolOpEPKhlEEPS6_PKS6_NS0_5tupleIJPbS6_EEENSN_IJSK_SK_EEENS0_18inequality_wrapperINSA_8EqualityEEEPlJS6_EEE10hipError_tPvRmT3_T4_T5_T6_T7_T9_mT8_P12ihipStream_tbDpT10_ENKUlT_T0_E_clISt17integral_constantIbLb1EES1D_IbLb0EEEEDaS19_S1A_EUlS19_E_NS1_11comp_targetILNS1_3genE5ELNS1_11target_archE942ELNS1_3gpuE9ELNS1_3repE0EEENS1_30default_config_static_selectorELNS0_4arch9wavefront6targetE1EEEvT1_
                                        ; -- End function
	.section	.AMDGPU.csdata,"",@progbits
; Kernel info:
; codeLenInByte = 0
; NumSgprs: 4
; NumVgprs: 0
; NumAgprs: 0
; TotalNumVgprs: 0
; ScratchSize: 0
; MemoryBound: 0
; FloatMode: 240
; IeeeMode: 1
; LDSByteSize: 0 bytes/workgroup (compile time only)
; SGPRBlocks: 0
; VGPRBlocks: 0
; NumSGPRsForWavesPerEU: 4
; NumVGPRsForWavesPerEU: 1
; AccumOffset: 4
; Occupancy: 8
; WaveLimiterHint : 0
; COMPUTE_PGM_RSRC2:SCRATCH_EN: 0
; COMPUTE_PGM_RSRC2:USER_SGPR: 6
; COMPUTE_PGM_RSRC2:TRAP_HANDLER: 0
; COMPUTE_PGM_RSRC2:TGID_X_EN: 1
; COMPUTE_PGM_RSRC2:TGID_Y_EN: 0
; COMPUTE_PGM_RSRC2:TGID_Z_EN: 0
; COMPUTE_PGM_RSRC2:TIDIG_COMP_CNT: 0
; COMPUTE_PGM_RSRC3_GFX90A:ACCUM_OFFSET: 0
; COMPUTE_PGM_RSRC3_GFX90A:TG_SPLIT: 0
	.section	.text._ZN7rocprim17ROCPRIM_400000_NS6detail17trampoline_kernelINS0_14default_configENS1_25partition_config_selectorILNS1_17partition_subalgoE8EbNS0_10empty_typeEbEEZZNS1_14partition_implILS5_8ELb0ES3_jN6hipcub16HIPCUB_304000_NS22TransformInputIteratorIbN2at6native8internal12_GLOBAL__N_110LoadBoolOpEPKhlEEPS6_PKS6_NS0_5tupleIJPbS6_EEENSN_IJSK_SK_EEENS0_18inequality_wrapperINSA_8EqualityEEEPlJS6_EEE10hipError_tPvRmT3_T4_T5_T6_T7_T9_mT8_P12ihipStream_tbDpT10_ENKUlT_T0_E_clISt17integral_constantIbLb1EES1D_IbLb0EEEEDaS19_S1A_EUlS19_E_NS1_11comp_targetILNS1_3genE4ELNS1_11target_archE910ELNS1_3gpuE8ELNS1_3repE0EEENS1_30default_config_static_selectorELNS0_4arch9wavefront6targetE1EEEvT1_,"axG",@progbits,_ZN7rocprim17ROCPRIM_400000_NS6detail17trampoline_kernelINS0_14default_configENS1_25partition_config_selectorILNS1_17partition_subalgoE8EbNS0_10empty_typeEbEEZZNS1_14partition_implILS5_8ELb0ES3_jN6hipcub16HIPCUB_304000_NS22TransformInputIteratorIbN2at6native8internal12_GLOBAL__N_110LoadBoolOpEPKhlEEPS6_PKS6_NS0_5tupleIJPbS6_EEENSN_IJSK_SK_EEENS0_18inequality_wrapperINSA_8EqualityEEEPlJS6_EEE10hipError_tPvRmT3_T4_T5_T6_T7_T9_mT8_P12ihipStream_tbDpT10_ENKUlT_T0_E_clISt17integral_constantIbLb1EES1D_IbLb0EEEEDaS19_S1A_EUlS19_E_NS1_11comp_targetILNS1_3genE4ELNS1_11target_archE910ELNS1_3gpuE8ELNS1_3repE0EEENS1_30default_config_static_selectorELNS0_4arch9wavefront6targetE1EEEvT1_,comdat
	.globl	_ZN7rocprim17ROCPRIM_400000_NS6detail17trampoline_kernelINS0_14default_configENS1_25partition_config_selectorILNS1_17partition_subalgoE8EbNS0_10empty_typeEbEEZZNS1_14partition_implILS5_8ELb0ES3_jN6hipcub16HIPCUB_304000_NS22TransformInputIteratorIbN2at6native8internal12_GLOBAL__N_110LoadBoolOpEPKhlEEPS6_PKS6_NS0_5tupleIJPbS6_EEENSN_IJSK_SK_EEENS0_18inequality_wrapperINSA_8EqualityEEEPlJS6_EEE10hipError_tPvRmT3_T4_T5_T6_T7_T9_mT8_P12ihipStream_tbDpT10_ENKUlT_T0_E_clISt17integral_constantIbLb1EES1D_IbLb0EEEEDaS19_S1A_EUlS19_E_NS1_11comp_targetILNS1_3genE4ELNS1_11target_archE910ELNS1_3gpuE8ELNS1_3repE0EEENS1_30default_config_static_selectorELNS0_4arch9wavefront6targetE1EEEvT1_ ; -- Begin function _ZN7rocprim17ROCPRIM_400000_NS6detail17trampoline_kernelINS0_14default_configENS1_25partition_config_selectorILNS1_17partition_subalgoE8EbNS0_10empty_typeEbEEZZNS1_14partition_implILS5_8ELb0ES3_jN6hipcub16HIPCUB_304000_NS22TransformInputIteratorIbN2at6native8internal12_GLOBAL__N_110LoadBoolOpEPKhlEEPS6_PKS6_NS0_5tupleIJPbS6_EEENSN_IJSK_SK_EEENS0_18inequality_wrapperINSA_8EqualityEEEPlJS6_EEE10hipError_tPvRmT3_T4_T5_T6_T7_T9_mT8_P12ihipStream_tbDpT10_ENKUlT_T0_E_clISt17integral_constantIbLb1EES1D_IbLb0EEEEDaS19_S1A_EUlS19_E_NS1_11comp_targetILNS1_3genE4ELNS1_11target_archE910ELNS1_3gpuE8ELNS1_3repE0EEENS1_30default_config_static_selectorELNS0_4arch9wavefront6targetE1EEEvT1_
	.p2align	8
	.type	_ZN7rocprim17ROCPRIM_400000_NS6detail17trampoline_kernelINS0_14default_configENS1_25partition_config_selectorILNS1_17partition_subalgoE8EbNS0_10empty_typeEbEEZZNS1_14partition_implILS5_8ELb0ES3_jN6hipcub16HIPCUB_304000_NS22TransformInputIteratorIbN2at6native8internal12_GLOBAL__N_110LoadBoolOpEPKhlEEPS6_PKS6_NS0_5tupleIJPbS6_EEENSN_IJSK_SK_EEENS0_18inequality_wrapperINSA_8EqualityEEEPlJS6_EEE10hipError_tPvRmT3_T4_T5_T6_T7_T9_mT8_P12ihipStream_tbDpT10_ENKUlT_T0_E_clISt17integral_constantIbLb1EES1D_IbLb0EEEEDaS19_S1A_EUlS19_E_NS1_11comp_targetILNS1_3genE4ELNS1_11target_archE910ELNS1_3gpuE8ELNS1_3repE0EEENS1_30default_config_static_selectorELNS0_4arch9wavefront6targetE1EEEvT1_,@function
_ZN7rocprim17ROCPRIM_400000_NS6detail17trampoline_kernelINS0_14default_configENS1_25partition_config_selectorILNS1_17partition_subalgoE8EbNS0_10empty_typeEbEEZZNS1_14partition_implILS5_8ELb0ES3_jN6hipcub16HIPCUB_304000_NS22TransformInputIteratorIbN2at6native8internal12_GLOBAL__N_110LoadBoolOpEPKhlEEPS6_PKS6_NS0_5tupleIJPbS6_EEENSN_IJSK_SK_EEENS0_18inequality_wrapperINSA_8EqualityEEEPlJS6_EEE10hipError_tPvRmT3_T4_T5_T6_T7_T9_mT8_P12ihipStream_tbDpT10_ENKUlT_T0_E_clISt17integral_constantIbLb1EES1D_IbLb0EEEEDaS19_S1A_EUlS19_E_NS1_11comp_targetILNS1_3genE4ELNS1_11target_archE910ELNS1_3gpuE8ELNS1_3repE0EEENS1_30default_config_static_selectorELNS0_4arch9wavefront6targetE1EEEvT1_: ; @_ZN7rocprim17ROCPRIM_400000_NS6detail17trampoline_kernelINS0_14default_configENS1_25partition_config_selectorILNS1_17partition_subalgoE8EbNS0_10empty_typeEbEEZZNS1_14partition_implILS5_8ELb0ES3_jN6hipcub16HIPCUB_304000_NS22TransformInputIteratorIbN2at6native8internal12_GLOBAL__N_110LoadBoolOpEPKhlEEPS6_PKS6_NS0_5tupleIJPbS6_EEENSN_IJSK_SK_EEENS0_18inequality_wrapperINSA_8EqualityEEEPlJS6_EEE10hipError_tPvRmT3_T4_T5_T6_T7_T9_mT8_P12ihipStream_tbDpT10_ENKUlT_T0_E_clISt17integral_constantIbLb1EES1D_IbLb0EEEEDaS19_S1A_EUlS19_E_NS1_11comp_targetILNS1_3genE4ELNS1_11target_archE910ELNS1_3gpuE8ELNS1_3repE0EEENS1_30default_config_static_selectorELNS0_4arch9wavefront6targetE1EEEvT1_
; %bb.0:
	s_load_dwordx2 s[8:9], s[4:5], 0x58
	s_load_dwordx2 s[2:3], s[4:5], 0x8
	;; [unrolled: 1-line block ×3, first 2 shown]
	s_load_dwordx4 s[20:23], s[4:5], 0x48
	v_mov_b32_e32 v1, v0
	s_waitcnt lgkmcnt(0)
	v_mov_b32_e32 v3, s9
	s_load_dword s9, s[4:5], 0x70
	s_add_u32 s14, s2, s0
	s_addc_u32 s15, s3, s1
	s_lshl_b32 s16, s6, 12
	v_mov_b32_e32 v2, s8
	s_waitcnt lgkmcnt(0)
	s_add_i32 s10, s9, -1
	s_lshl_b32 s2, s10, 12
	s_add_i32 s7, s0, s2
	s_lshl_b32 s2, s9, 12
	s_add_u32 s2, s0, s2
	s_addc_u32 s3, s1, 0
	s_cmp_eq_u32 s6, s10
	s_load_dwordx2 s[22:23], s[22:23], 0x0
	v_cmp_ge_u64_e32 vcc, s[2:3], v[2:3]
	s_cselect_b64 s[24:25], -1, 0
	s_and_b64 s[12:13], s[24:25], vcc
	s_xor_b64 s[26:27], s[12:13], -1
	s_add_u32 s2, s14, s16
	s_mov_b64 s[10:11], -1
	s_addc_u32 s3, s15, 0
	s_and_b64 vcc, exec, s[26:27]
	s_cbranch_vccz .LBB33_2
; %bb.1:
	global_load_ubyte v2, v0, s[2:3]
	global_load_ubyte v3, v0, s[2:3] offset:128
	global_load_ubyte v4, v0, s[2:3] offset:256
	;; [unrolled: 1-line block ×31, first 2 shown]
	s_mov_b64 s[10:11], 0
	s_waitcnt vmcnt(31)
	v_cmp_ne_u16_e32 vcc, 0, v2
	v_cndmask_b32_e64 v2, 0, 1, vcc
	s_waitcnt vmcnt(30)
	v_cmp_ne_u16_e32 vcc, 0, v3
	v_cndmask_b32_e64 v3, 0, 1, vcc
	;; [unrolled: 3-line block ×32, first 2 shown]
	ds_write_b8 v0, v2
	ds_write_b8 v0, v3 offset:132
	ds_write_b8 v0, v4 offset:264
	ds_write_b8 v0, v5 offset:396
	ds_write_b8 v0, v6 offset:528
	ds_write_b8 v0, v7 offset:660
	ds_write_b8 v0, v8 offset:792
	ds_write_b8 v0, v9 offset:924
	ds_write_b8 v0, v10 offset:1056
	ds_write_b8 v0, v11 offset:1188
	ds_write_b8 v0, v12 offset:1320
	ds_write_b8 v0, v13 offset:1452
	ds_write_b8 v0, v14 offset:1584
	ds_write_b8 v0, v15 offset:1716
	ds_write_b8 v0, v16 offset:1848
	ds_write_b8 v0, v17 offset:1980
	ds_write_b8 v0, v18 offset:2112
	ds_write_b8 v0, v19 offset:2244
	ds_write_b8 v0, v20 offset:2376
	ds_write_b8 v0, v21 offset:2508
	ds_write_b8 v0, v22 offset:2640
	ds_write_b8 v0, v23 offset:2772
	ds_write_b8 v0, v24 offset:2904
	ds_write_b8 v0, v25 offset:3036
	ds_write_b8 v0, v26 offset:3168
	ds_write_b8 v0, v27 offset:3300
	ds_write_b8 v0, v28 offset:3432
	ds_write_b8 v0, v29 offset:3564
	ds_write_b8 v0, v30 offset:3696
	ds_write_b8 v0, v31 offset:3828
	ds_write_b8 v0, v32 offset:3960
	ds_write_b8 v0, v33 offset:4092
	s_waitcnt lgkmcnt(0)
	s_barrier
.LBB33_2:
	s_andn2_b64 vcc, exec, s[10:11]
	s_sub_i32 s7, s8, s7
	s_cbranch_vccnz .LBB33_68
; %bb.3:
	v_cmp_gt_u32_e32 vcc, s7, v0
                                        ; implicit-def: $vgpr2
	s_and_saveexec_b64 s[8:9], vcc
	s_cbranch_execz .LBB33_5
; %bb.4:
	global_load_ubyte v2, v0, s[2:3]
	s_waitcnt vmcnt(0)
	v_cmp_ne_u16_e32 vcc, 0, v2
	v_cndmask_b32_e64 v2, 0, 1, vcc
.LBB33_5:
	s_or_b64 exec, exec, s[8:9]
	v_or_b32_e32 v3, 0x80, v0
	v_cmp_gt_u32_e32 vcc, s7, v3
                                        ; implicit-def: $vgpr4
	s_and_saveexec_b64 s[8:9], vcc
	s_cbranch_execz .LBB33_7
; %bb.6:
	global_load_ubyte v4, v0, s[2:3] offset:128
	s_waitcnt vmcnt(0)
	v_cmp_ne_u16_e32 vcc, 0, v4
	v_cndmask_b32_e64 v4, 0, 1, vcc
.LBB33_7:
	s_or_b64 exec, exec, s[8:9]
	v_or_b32_e32 v5, 0x100, v0
	v_cmp_gt_u32_e32 vcc, s7, v5
                                        ; implicit-def: $vgpr6
	s_and_saveexec_b64 s[8:9], vcc
	s_cbranch_execz .LBB33_9
; %bb.8:
	global_load_ubyte v6, v0, s[2:3] offset:256
	s_waitcnt vmcnt(0)
	v_cmp_ne_u16_e32 vcc, 0, v6
	v_cndmask_b32_e64 v6, 0, 1, vcc
.LBB33_9:
	s_or_b64 exec, exec, s[8:9]
	v_or_b32_e32 v7, 0x180, v0
	v_cmp_gt_u32_e32 vcc, s7, v7
                                        ; implicit-def: $vgpr8
	s_and_saveexec_b64 s[8:9], vcc
	s_cbranch_execz .LBB33_11
; %bb.10:
	global_load_ubyte v8, v0, s[2:3] offset:384
	s_waitcnt vmcnt(0)
	v_cmp_ne_u16_e32 vcc, 0, v8
	v_cndmask_b32_e64 v8, 0, 1, vcc
.LBB33_11:
	s_or_b64 exec, exec, s[8:9]
	v_or_b32_e32 v9, 0x200, v0
	v_cmp_gt_u32_e32 vcc, s7, v9
                                        ; implicit-def: $vgpr10
	s_and_saveexec_b64 s[8:9], vcc
	s_cbranch_execz .LBB33_13
; %bb.12:
	global_load_ubyte v10, v0, s[2:3] offset:512
	s_waitcnt vmcnt(0)
	v_cmp_ne_u16_e32 vcc, 0, v10
	v_cndmask_b32_e64 v10, 0, 1, vcc
.LBB33_13:
	s_or_b64 exec, exec, s[8:9]
	v_or_b32_e32 v11, 0x280, v0
	v_cmp_gt_u32_e32 vcc, s7, v11
                                        ; implicit-def: $vgpr12
	s_and_saveexec_b64 s[8:9], vcc
	s_cbranch_execz .LBB33_15
; %bb.14:
	global_load_ubyte v12, v0, s[2:3] offset:640
	s_waitcnt vmcnt(0)
	v_cmp_ne_u16_e32 vcc, 0, v12
	v_cndmask_b32_e64 v12, 0, 1, vcc
.LBB33_15:
	s_or_b64 exec, exec, s[8:9]
	v_or_b32_e32 v13, 0x300, v0
	v_cmp_gt_u32_e32 vcc, s7, v13
                                        ; implicit-def: $vgpr14
	s_and_saveexec_b64 s[8:9], vcc
	s_cbranch_execz .LBB33_17
; %bb.16:
	global_load_ubyte v14, v0, s[2:3] offset:768
	s_waitcnt vmcnt(0)
	v_cmp_ne_u16_e32 vcc, 0, v14
	v_cndmask_b32_e64 v14, 0, 1, vcc
.LBB33_17:
	s_or_b64 exec, exec, s[8:9]
	v_or_b32_e32 v15, 0x380, v0
	v_cmp_gt_u32_e32 vcc, s7, v15
                                        ; implicit-def: $vgpr16
	s_and_saveexec_b64 s[8:9], vcc
	s_cbranch_execz .LBB33_19
; %bb.18:
	global_load_ubyte v16, v0, s[2:3] offset:896
	s_waitcnt vmcnt(0)
	v_cmp_ne_u16_e32 vcc, 0, v16
	v_cndmask_b32_e64 v16, 0, 1, vcc
.LBB33_19:
	s_or_b64 exec, exec, s[8:9]
	v_or_b32_e32 v17, 0x400, v0
	v_cmp_gt_u32_e32 vcc, s7, v17
                                        ; implicit-def: $vgpr18
	s_and_saveexec_b64 s[8:9], vcc
	s_cbranch_execz .LBB33_21
; %bb.20:
	global_load_ubyte v18, v0, s[2:3] offset:1024
	s_waitcnt vmcnt(0)
	v_cmp_ne_u16_e32 vcc, 0, v18
	v_cndmask_b32_e64 v18, 0, 1, vcc
.LBB33_21:
	s_or_b64 exec, exec, s[8:9]
	v_or_b32_e32 v19, 0x480, v0
	v_cmp_gt_u32_e32 vcc, s7, v19
                                        ; implicit-def: $vgpr20
	s_and_saveexec_b64 s[8:9], vcc
	s_cbranch_execz .LBB33_23
; %bb.22:
	global_load_ubyte v20, v0, s[2:3] offset:1152
	s_waitcnt vmcnt(0)
	v_cmp_ne_u16_e32 vcc, 0, v20
	v_cndmask_b32_e64 v20, 0, 1, vcc
.LBB33_23:
	s_or_b64 exec, exec, s[8:9]
	v_or_b32_e32 v21, 0x500, v0
	v_cmp_gt_u32_e32 vcc, s7, v21
                                        ; implicit-def: $vgpr22
	s_and_saveexec_b64 s[8:9], vcc
	s_cbranch_execz .LBB33_25
; %bb.24:
	global_load_ubyte v22, v0, s[2:3] offset:1280
	s_waitcnt vmcnt(0)
	v_cmp_ne_u16_e32 vcc, 0, v22
	v_cndmask_b32_e64 v22, 0, 1, vcc
.LBB33_25:
	s_or_b64 exec, exec, s[8:9]
	v_or_b32_e32 v23, 0x580, v0
	v_cmp_gt_u32_e32 vcc, s7, v23
                                        ; implicit-def: $vgpr24
	s_and_saveexec_b64 s[8:9], vcc
	s_cbranch_execz .LBB33_27
; %bb.26:
	global_load_ubyte v24, v0, s[2:3] offset:1408
	s_waitcnt vmcnt(0)
	v_cmp_ne_u16_e32 vcc, 0, v24
	v_cndmask_b32_e64 v24, 0, 1, vcc
.LBB33_27:
	s_or_b64 exec, exec, s[8:9]
	v_or_b32_e32 v25, 0x600, v0
	v_cmp_gt_u32_e32 vcc, s7, v25
                                        ; implicit-def: $vgpr26
	s_and_saveexec_b64 s[8:9], vcc
	s_cbranch_execz .LBB33_29
; %bb.28:
	global_load_ubyte v26, v0, s[2:3] offset:1536
	s_waitcnt vmcnt(0)
	v_cmp_ne_u16_e32 vcc, 0, v26
	v_cndmask_b32_e64 v26, 0, 1, vcc
.LBB33_29:
	s_or_b64 exec, exec, s[8:9]
	v_or_b32_e32 v27, 0x680, v0
	v_cmp_gt_u32_e32 vcc, s7, v27
                                        ; implicit-def: $vgpr28
	s_and_saveexec_b64 s[8:9], vcc
	s_cbranch_execz .LBB33_31
; %bb.30:
	global_load_ubyte v28, v0, s[2:3] offset:1664
	s_waitcnt vmcnt(0)
	v_cmp_ne_u16_e32 vcc, 0, v28
	v_cndmask_b32_e64 v28, 0, 1, vcc
.LBB33_31:
	s_or_b64 exec, exec, s[8:9]
	v_or_b32_e32 v29, 0x700, v0
	v_cmp_gt_u32_e32 vcc, s7, v29
                                        ; implicit-def: $vgpr30
	s_and_saveexec_b64 s[8:9], vcc
	s_cbranch_execz .LBB33_33
; %bb.32:
	global_load_ubyte v30, v0, s[2:3] offset:1792
	s_waitcnt vmcnt(0)
	v_cmp_ne_u16_e32 vcc, 0, v30
	v_cndmask_b32_e64 v30, 0, 1, vcc
.LBB33_33:
	s_or_b64 exec, exec, s[8:9]
	v_or_b32_e32 v31, 0x780, v0
	v_cmp_gt_u32_e32 vcc, s7, v31
                                        ; implicit-def: $vgpr32
	s_and_saveexec_b64 s[8:9], vcc
	s_cbranch_execz .LBB33_35
; %bb.34:
	global_load_ubyte v32, v0, s[2:3] offset:1920
	s_waitcnt vmcnt(0)
	v_cmp_ne_u16_e32 vcc, 0, v32
	v_cndmask_b32_e64 v32, 0, 1, vcc
.LBB33_35:
	s_or_b64 exec, exec, s[8:9]
	v_or_b32_e32 v33, 0x800, v0
	v_cmp_gt_u32_e32 vcc, s7, v33
                                        ; implicit-def: $vgpr34
	s_and_saveexec_b64 s[8:9], vcc
	s_cbranch_execz .LBB33_37
; %bb.36:
	global_load_ubyte v34, v0, s[2:3] offset:2048
	s_waitcnt vmcnt(0)
	v_cmp_ne_u16_e32 vcc, 0, v34
	v_cndmask_b32_e64 v34, 0, 1, vcc
.LBB33_37:
	s_or_b64 exec, exec, s[8:9]
	v_or_b32_e32 v35, 0x880, v0
	v_cmp_gt_u32_e32 vcc, s7, v35
                                        ; implicit-def: $vgpr36
	s_and_saveexec_b64 s[8:9], vcc
	s_cbranch_execz .LBB33_39
; %bb.38:
	global_load_ubyte v36, v0, s[2:3] offset:2176
	s_waitcnt vmcnt(0)
	v_cmp_ne_u16_e32 vcc, 0, v36
	v_cndmask_b32_e64 v36, 0, 1, vcc
.LBB33_39:
	s_or_b64 exec, exec, s[8:9]
	v_or_b32_e32 v37, 0x900, v0
	v_cmp_gt_u32_e32 vcc, s7, v37
                                        ; implicit-def: $vgpr38
	s_and_saveexec_b64 s[8:9], vcc
	s_cbranch_execz .LBB33_41
; %bb.40:
	global_load_ubyte v38, v0, s[2:3] offset:2304
	s_waitcnt vmcnt(0)
	v_cmp_ne_u16_e32 vcc, 0, v38
	v_cndmask_b32_e64 v38, 0, 1, vcc
.LBB33_41:
	s_or_b64 exec, exec, s[8:9]
	v_or_b32_e32 v39, 0x980, v0
	v_cmp_gt_u32_e32 vcc, s7, v39
                                        ; implicit-def: $vgpr40
	s_and_saveexec_b64 s[8:9], vcc
	s_cbranch_execz .LBB33_43
; %bb.42:
	global_load_ubyte v40, v0, s[2:3] offset:2432
	s_waitcnt vmcnt(0)
	v_cmp_ne_u16_e32 vcc, 0, v40
	v_cndmask_b32_e64 v40, 0, 1, vcc
.LBB33_43:
	s_or_b64 exec, exec, s[8:9]
	v_or_b32_e32 v41, 0xa00, v0
	v_cmp_gt_u32_e32 vcc, s7, v41
                                        ; implicit-def: $vgpr42
	s_and_saveexec_b64 s[8:9], vcc
	s_cbranch_execz .LBB33_45
; %bb.44:
	global_load_ubyte v42, v0, s[2:3] offset:2560
	s_waitcnt vmcnt(0)
	v_cmp_ne_u16_e32 vcc, 0, v42
	v_cndmask_b32_e64 v42, 0, 1, vcc
.LBB33_45:
	s_or_b64 exec, exec, s[8:9]
	v_or_b32_e32 v43, 0xa80, v0
	v_cmp_gt_u32_e32 vcc, s7, v43
                                        ; implicit-def: $vgpr44
	s_and_saveexec_b64 s[8:9], vcc
	s_cbranch_execz .LBB33_47
; %bb.46:
	global_load_ubyte v44, v0, s[2:3] offset:2688
	s_waitcnt vmcnt(0)
	v_cmp_ne_u16_e32 vcc, 0, v44
	v_cndmask_b32_e64 v44, 0, 1, vcc
.LBB33_47:
	s_or_b64 exec, exec, s[8:9]
	v_or_b32_e32 v45, 0xb00, v0
	v_cmp_gt_u32_e32 vcc, s7, v45
                                        ; implicit-def: $vgpr46
	s_and_saveexec_b64 s[8:9], vcc
	s_cbranch_execz .LBB33_49
; %bb.48:
	global_load_ubyte v46, v0, s[2:3] offset:2816
	s_waitcnt vmcnt(0)
	v_cmp_ne_u16_e32 vcc, 0, v46
	v_cndmask_b32_e64 v46, 0, 1, vcc
.LBB33_49:
	s_or_b64 exec, exec, s[8:9]
	v_or_b32_e32 v47, 0xb80, v0
	v_cmp_gt_u32_e32 vcc, s7, v47
                                        ; implicit-def: $vgpr48
	s_and_saveexec_b64 s[8:9], vcc
	s_cbranch_execz .LBB33_51
; %bb.50:
	global_load_ubyte v48, v0, s[2:3] offset:2944
	s_waitcnt vmcnt(0)
	v_cmp_ne_u16_e32 vcc, 0, v48
	v_cndmask_b32_e64 v48, 0, 1, vcc
.LBB33_51:
	s_or_b64 exec, exec, s[8:9]
	v_or_b32_e32 v49, 0xc00, v0
	v_cmp_gt_u32_e32 vcc, s7, v49
                                        ; implicit-def: $vgpr50
	s_and_saveexec_b64 s[8:9], vcc
	s_cbranch_execz .LBB33_53
; %bb.52:
	global_load_ubyte v50, v0, s[2:3] offset:3072
	s_waitcnt vmcnt(0)
	v_cmp_ne_u16_e32 vcc, 0, v50
	v_cndmask_b32_e64 v50, 0, 1, vcc
.LBB33_53:
	s_or_b64 exec, exec, s[8:9]
	v_or_b32_e32 v51, 0xc80, v0
	v_cmp_gt_u32_e32 vcc, s7, v51
                                        ; implicit-def: $vgpr52
	s_and_saveexec_b64 s[8:9], vcc
	s_cbranch_execz .LBB33_55
; %bb.54:
	global_load_ubyte v52, v0, s[2:3] offset:3200
	s_waitcnt vmcnt(0)
	v_cmp_ne_u16_e32 vcc, 0, v52
	v_cndmask_b32_e64 v52, 0, 1, vcc
.LBB33_55:
	s_or_b64 exec, exec, s[8:9]
	v_or_b32_e32 v53, 0xd00, v0
	v_cmp_gt_u32_e32 vcc, s7, v53
                                        ; implicit-def: $vgpr54
	s_and_saveexec_b64 s[8:9], vcc
	s_cbranch_execz .LBB33_57
; %bb.56:
	global_load_ubyte v54, v0, s[2:3] offset:3328
	s_waitcnt vmcnt(0)
	v_cmp_ne_u16_e32 vcc, 0, v54
	v_cndmask_b32_e64 v54, 0, 1, vcc
.LBB33_57:
	s_or_b64 exec, exec, s[8:9]
	v_or_b32_e32 v55, 0xd80, v0
	v_cmp_gt_u32_e32 vcc, s7, v55
                                        ; implicit-def: $vgpr56
	s_and_saveexec_b64 s[8:9], vcc
	s_cbranch_execz .LBB33_59
; %bb.58:
	global_load_ubyte v56, v0, s[2:3] offset:3456
	s_waitcnt vmcnt(0)
	v_cmp_ne_u16_e32 vcc, 0, v56
	v_cndmask_b32_e64 v56, 0, 1, vcc
.LBB33_59:
	s_or_b64 exec, exec, s[8:9]
	v_or_b32_e32 v57, 0xe00, v0
	v_cmp_gt_u32_e32 vcc, s7, v57
                                        ; implicit-def: $vgpr58
	s_and_saveexec_b64 s[8:9], vcc
	s_cbranch_execz .LBB33_61
; %bb.60:
	global_load_ubyte v58, v0, s[2:3] offset:3584
	s_waitcnt vmcnt(0)
	v_cmp_ne_u16_e32 vcc, 0, v58
	v_cndmask_b32_e64 v58, 0, 1, vcc
.LBB33_61:
	s_or_b64 exec, exec, s[8:9]
	v_or_b32_e32 v59, 0xe80, v0
	v_cmp_gt_u32_e32 vcc, s7, v59
                                        ; implicit-def: $vgpr60
	s_and_saveexec_b64 s[8:9], vcc
	s_cbranch_execz .LBB33_63
; %bb.62:
	global_load_ubyte v60, v0, s[2:3] offset:3712
	s_waitcnt vmcnt(0)
	v_cmp_ne_u16_e32 vcc, 0, v60
	v_cndmask_b32_e64 v60, 0, 1, vcc
.LBB33_63:
	s_or_b64 exec, exec, s[8:9]
	v_or_b32_e32 v61, 0xf00, v0
	v_cmp_gt_u32_e32 vcc, s7, v61
                                        ; implicit-def: $vgpr62
	s_and_saveexec_b64 s[8:9], vcc
	s_cbranch_execz .LBB33_65
; %bb.64:
	global_load_ubyte v62, v0, s[2:3] offset:3840
	s_waitcnt vmcnt(0)
	v_cmp_ne_u16_e32 vcc, 0, v62
	v_cndmask_b32_e64 v62, 0, 1, vcc
.LBB33_65:
	s_or_b64 exec, exec, s[8:9]
	v_or_b32_e32 v63, 0xf80, v0
	v_cmp_gt_u32_e32 vcc, s7, v63
                                        ; implicit-def: $vgpr64
	s_and_saveexec_b64 s[8:9], vcc
	s_cbranch_execz .LBB33_67
; %bb.66:
	global_load_ubyte v64, v0, s[2:3] offset:3968
	s_waitcnt vmcnt(0)
	v_cmp_ne_u16_e32 vcc, 0, v64
	v_cndmask_b32_e64 v64, 0, 1, vcc
.LBB33_67:
	s_or_b64 exec, exec, s[8:9]
	v_lshrrev_b32_e32 v3, 5, v3
	v_and_b32_e32 v3, 4, v3
	v_add_u32_e32 v3, v0, v3
	ds_write_b8 v3, v4 offset:128
	ds_write_b8 v0, v2
	v_lshrrev_b32_e32 v2, 5, v5
	v_and_b32_e32 v2, 12, v2
	v_add_u32_e32 v2, v0, v2
	ds_write_b8 v2, v6 offset:256
	v_lshrrev_b32_e32 v2, 5, v7
	v_and_b32_e32 v2, 12, v2
	v_add_u32_e32 v2, v0, v2
	ds_write_b8 v2, v8 offset:384
	;; [unrolled: 4-line block ×30, first 2 shown]
	s_waitcnt lgkmcnt(0)
	s_barrier
.LBB33_68:
	v_lshlrev_b32_e32 v10, 5, v0
	v_and_b32_e32 v2, 0x7c, v0
	v_add_u32_e32 v8, v2, v10
	s_waitcnt lgkmcnt(0)
	ds_read2_b32 v[2:3], v8 offset0:6 offset1:7
	ds_read2_b32 v[4:5], v8 offset0:4 offset1:5
	;; [unrolled: 1-line block ×3, first 2 shown]
	ds_read2_b32 v[8:9], v8 offset1:1
	s_cmp_lg_u32 s6, 0
	s_cselect_b64 s[16:17], -1, 0
	s_cmp_lg_u64 s[0:1], 0
	s_cselect_b64 s[0:1], -1, 0
	s_or_b64 s[0:1], s[16:17], s[0:1]
	s_waitcnt lgkmcnt(3)
	v_lshrrev_b32_e32 v25, 8, v2
	v_lshrrev_b32_e32 v24, 16, v2
	v_lshrrev_b32_e32 v23, 24, v2
	v_lshrrev_b32_e32 v22, 8, v3
	v_lshrrev_b32_e32 v21, 16, v3
	v_lshrrev_b32_e32 v20, 24, v3
	s_waitcnt lgkmcnt(2)
	v_lshrrev_b32_e32 v31, 8, v4
	v_lshrrev_b32_e32 v30, 16, v4
	v_lshrrev_b32_e32 v29, 24, v4
	v_lshrrev_b32_e32 v28, 8, v5
	v_lshrrev_b32_e32 v27, 16, v5
	v_lshrrev_b32_e32 v26, 24, v5
	;; [unrolled: 7-line block ×4, first 2 shown]
	s_mov_b64 s[14:15], 0
	s_and_b64 vcc, exec, s[0:1]
	s_barrier
	s_cbranch_vccz .LBB33_73
; %bb.69:
	v_mov_b32_e32 v11, 0
	global_load_ubyte v11, v11, s[2:3] offset:-1
	s_and_b64 vcc, exec, s[26:27]
	ds_write_b8 v0, v20
	s_waitcnt vmcnt(0)
	v_cmp_ne_u16_e64 s[0:1], 0, v11
	v_cndmask_b32_e64 v11, 0, 1, s[0:1]
	s_cbranch_vccz .LBB33_75
; %bb.70:
	v_cndmask_b32_e64 v12, 0, 1, s[0:1]
	v_cmp_ne_u32_e32 vcc, 0, v0
	s_waitcnt lgkmcnt(0)
	s_barrier
	s_and_saveexec_b64 s[0:1], vcc
	s_cbranch_execz .LBB33_72
; %bb.71:
	v_add_u32_e32 v12, -1, v0
	ds_read_u8 v12, v12
.LBB33_72:
	s_or_b64 exec, exec, s[0:1]
	v_cmp_ne_u16_sdwa s[0:1], v21, v20 src0_sel:BYTE_0 src1_sel:DWORD
	v_cndmask_b32_e64 v35, 0, 1, s[0:1]
	v_cmp_ne_u16_sdwa s[0:1], v22, v21 src0_sel:BYTE_0 src1_sel:BYTE_0
	v_cndmask_b32_e64 v38, 0, 1, s[0:1]
	v_cmp_ne_u16_sdwa s[0:1], v3, v22 src0_sel:BYTE_0 src1_sel:BYTE_0
	v_cndmask_b32_e64 v40, 0, 1, s[0:1]
	v_cmp_ne_u16_sdwa s[0:1], v23, v3 src0_sel:DWORD src1_sel:BYTE_0
	v_cndmask_b32_e64 v41, 0, 1, s[0:1]
	v_cmp_ne_u16_sdwa s[0:1], v24, v23 src0_sel:BYTE_0 src1_sel:DWORD
	v_cndmask_b32_e64 v44, 0, 1, s[0:1]
	v_cmp_ne_u16_sdwa s[0:1], v25, v24 src0_sel:BYTE_0 src1_sel:BYTE_0
	v_cndmask_b32_e64 v46, 0, 1, s[0:1]
	v_cmp_ne_u16_sdwa s[0:1], v2, v25 src0_sel:BYTE_0 src1_sel:BYTE_0
	v_cndmask_b32_e64 v49, 0, 1, s[0:1]
	v_cmp_ne_u16_sdwa s[0:1], v26, v2 src0_sel:DWORD src1_sel:BYTE_0
	v_cndmask_b32_e64 v51, 0, 1, s[0:1]
	;; [unrolled: 8-line block ×7, first 2 shown]
	v_cmp_ne_u16_sdwa s[0:1], v48, v47 src0_sel:BYTE_0 src1_sel:DWORD
	v_cndmask_b32_e64 v72, 0, 1, s[0:1]
	v_cmp_ne_u16_sdwa s[0:1], v50, v48 src0_sel:BYTE_0 src1_sel:BYTE_0
	v_cndmask_b32_e64 v73, 0, 1, s[0:1]
	v_cmp_ne_u16_sdwa s[0:1], v8, v50 src0_sel:BYTE_0 src1_sel:BYTE_0
	v_cndmask_b32_e64 v74, 0, 1, s[0:1]
	s_waitcnt lgkmcnt(0)
	v_cmp_ne_u16_sdwa s[18:19], v12, v8 src0_sel:BYTE_0 src1_sel:BYTE_0
	s_branch .LBB33_79
.LBB33_73:
                                        ; implicit-def: $sgpr18_sgpr19
                                        ; implicit-def: $vgpr74
                                        ; implicit-def: $vgpr73
                                        ; implicit-def: $vgpr72
                                        ; implicit-def: $vgpr71
                                        ; implicit-def: $vgpr70
                                        ; implicit-def: $vgpr69
                                        ; implicit-def: $vgpr68
                                        ; implicit-def: $vgpr67
                                        ; implicit-def: $vgpr66
                                        ; implicit-def: $vgpr65
                                        ; implicit-def: $vgpr64
                                        ; implicit-def: $vgpr63
                                        ; implicit-def: $vgpr62
                                        ; implicit-def: $vgpr61
                                        ; implicit-def: $vgpr60
                                        ; implicit-def: $vgpr59
                                        ; implicit-def: $vgpr58
                                        ; implicit-def: $vgpr57
                                        ; implicit-def: $vgpr56
                                        ; implicit-def: $vgpr55
                                        ; implicit-def: $vgpr54
                                        ; implicit-def: $vgpr53
                                        ; implicit-def: $vgpr52
                                        ; implicit-def: $vgpr51
                                        ; implicit-def: $vgpr49
                                        ; implicit-def: $vgpr46
                                        ; implicit-def: $vgpr44
                                        ; implicit-def: $vgpr41
                                        ; implicit-def: $vgpr40
                                        ; implicit-def: $vgpr38
                                        ; implicit-def: $vgpr35
	s_branch .LBB33_80
.LBB33_74:
                                        ; implicit-def: $sgpr28
	v_mov_b32_e32 v75, s28
	s_and_saveexec_b64 s[0:1], s[14:15]
	s_cbranch_execnz .LBB33_88
	s_branch .LBB33_89
.LBB33_75:
                                        ; implicit-def: $sgpr18_sgpr19
                                        ; implicit-def: $vgpr74
                                        ; implicit-def: $vgpr73
                                        ; implicit-def: $vgpr72
                                        ; implicit-def: $vgpr71
                                        ; implicit-def: $vgpr70
                                        ; implicit-def: $vgpr69
                                        ; implicit-def: $vgpr68
                                        ; implicit-def: $vgpr67
                                        ; implicit-def: $vgpr66
                                        ; implicit-def: $vgpr65
                                        ; implicit-def: $vgpr64
                                        ; implicit-def: $vgpr63
                                        ; implicit-def: $vgpr62
                                        ; implicit-def: $vgpr61
                                        ; implicit-def: $vgpr60
                                        ; implicit-def: $vgpr59
                                        ; implicit-def: $vgpr58
                                        ; implicit-def: $vgpr57
                                        ; implicit-def: $vgpr56
                                        ; implicit-def: $vgpr55
                                        ; implicit-def: $vgpr54
                                        ; implicit-def: $vgpr53
                                        ; implicit-def: $vgpr52
                                        ; implicit-def: $vgpr51
                                        ; implicit-def: $vgpr49
                                        ; implicit-def: $vgpr46
                                        ; implicit-def: $vgpr44
                                        ; implicit-def: $vgpr41
                                        ; implicit-def: $vgpr40
                                        ; implicit-def: $vgpr38
                                        ; implicit-def: $vgpr35
	s_cbranch_execz .LBB33_79
; %bb.76:
	v_cmp_ne_u32_e32 vcc, 0, v0
	s_waitcnt lgkmcnt(0)
	s_barrier
	s_and_saveexec_b64 s[0:1], vcc
	s_cbranch_execz .LBB33_78
; %bb.77:
	v_add_u32_e32 v11, -1, v0
	ds_read_u8 v11, v11
.LBB33_78:
	s_or_b64 exec, exec, s[0:1]
	v_or_b32_e32 v12, 31, v10
	v_cmp_gt_u32_e32 vcc, s7, v12
	v_cmp_ne_u16_sdwa s[0:1], v21, v20 src0_sel:BYTE_0 src1_sel:DWORD
	s_and_b64 s[0:1], vcc, s[0:1]
	v_or_b32_e32 v12, 30, v10
	v_cndmask_b32_e64 v35, 0, 1, s[0:1]
	v_cmp_gt_u32_e32 vcc, s7, v12
	v_cmp_ne_u16_sdwa s[0:1], v22, v21 src0_sel:BYTE_0 src1_sel:BYTE_0
	s_and_b64 s[0:1], vcc, s[0:1]
	v_or_b32_e32 v12, 29, v10
	v_cndmask_b32_e64 v38, 0, 1, s[0:1]
	v_cmp_gt_u32_e32 vcc, s7, v12
	v_cmp_ne_u16_sdwa s[0:1], v3, v22 src0_sel:BYTE_0 src1_sel:BYTE_0
	s_and_b64 s[0:1], vcc, s[0:1]
	v_or_b32_e32 v12, 28, v10
	v_cndmask_b32_e64 v40, 0, 1, s[0:1]
	v_cmp_gt_u32_e32 vcc, s7, v12
	v_cmp_ne_u16_sdwa s[0:1], v23, v3 src0_sel:DWORD src1_sel:BYTE_0
	s_and_b64 s[0:1], vcc, s[0:1]
	v_or_b32_e32 v12, 27, v10
	v_cndmask_b32_e64 v41, 0, 1, s[0:1]
	v_cmp_gt_u32_e32 vcc, s7, v12
	v_cmp_ne_u16_sdwa s[0:1], v24, v23 src0_sel:BYTE_0 src1_sel:DWORD
	s_and_b64 s[0:1], vcc, s[0:1]
	v_or_b32_e32 v12, 26, v10
	v_cndmask_b32_e64 v44, 0, 1, s[0:1]
	v_cmp_gt_u32_e32 vcc, s7, v12
	v_cmp_ne_u16_sdwa s[0:1], v25, v24 src0_sel:BYTE_0 src1_sel:BYTE_0
	s_and_b64 s[0:1], vcc, s[0:1]
	v_or_b32_e32 v12, 25, v10
	v_cndmask_b32_e64 v46, 0, 1, s[0:1]
	v_cmp_gt_u32_e32 vcc, s7, v12
	v_cmp_ne_u16_sdwa s[0:1], v2, v25 src0_sel:BYTE_0 src1_sel:BYTE_0
	s_and_b64 s[0:1], vcc, s[0:1]
	v_or_b32_e32 v12, 24, v10
	v_cndmask_b32_e64 v49, 0, 1, s[0:1]
	v_cmp_gt_u32_e32 vcc, s7, v12
	v_cmp_ne_u16_sdwa s[0:1], v26, v2 src0_sel:DWORD src1_sel:BYTE_0
	s_and_b64 s[0:1], vcc, s[0:1]
	v_or_b32_e32 v12, 23, v10
	v_cndmask_b32_e64 v51, 0, 1, s[0:1]
	;; [unrolled: 20-line block ×7, first 2 shown]
	v_cmp_gt_u32_e32 vcc, s7, v12
	v_cmp_ne_u16_sdwa s[0:1], v48, v47 src0_sel:BYTE_0 src1_sel:DWORD
	s_and_b64 s[0:1], vcc, s[0:1]
	v_or_b32_e32 v12, 2, v10
	v_cndmask_b32_e64 v72, 0, 1, s[0:1]
	v_cmp_gt_u32_e32 vcc, s7, v12
	v_cmp_ne_u16_sdwa s[0:1], v50, v48 src0_sel:BYTE_0 src1_sel:BYTE_0
	s_and_b64 s[0:1], vcc, s[0:1]
	v_or_b32_e32 v12, 1, v10
	v_cndmask_b32_e64 v73, 0, 1, s[0:1]
	v_cmp_gt_u32_e32 vcc, s7, v12
	v_cmp_ne_u16_sdwa s[0:1], v8, v50 src0_sel:BYTE_0 src1_sel:BYTE_0
	s_and_b64 s[0:1], vcc, s[0:1]
	v_cndmask_b32_e64 v74, 0, 1, s[0:1]
	v_cmp_gt_u32_e32 vcc, s7, v10
	s_waitcnt lgkmcnt(0)
	v_cmp_ne_u16_sdwa s[0:1], v11, v8 src0_sel:BYTE_0 src1_sel:BYTE_0
	s_and_b64 s[18:19], vcc, s[0:1]
.LBB33_79:
	s_mov_b64 s[14:15], -1
	s_cbranch_execnz .LBB33_74
.LBB33_80:
	s_and_b64 vcc, exec, s[26:27]
	v_cmp_ne_u16_sdwa s[0:1], v21, v20 src0_sel:BYTE_0 src1_sel:DWORD
	v_cmp_ne_u16_sdwa s[2:3], v22, v21 src0_sel:BYTE_0 src1_sel:BYTE_0
	v_cmp_ne_u16_sdwa s[8:9], v3, v22 src0_sel:BYTE_0 src1_sel:BYTE_0
	v_cmp_ne_u16_sdwa s[10:11], v23, v3 src0_sel:DWORD src1_sel:BYTE_0
	v_cmp_ne_u16_sdwa s[18:19], v24, v23 src0_sel:BYTE_0 src1_sel:DWORD
	v_cmp_ne_u16_sdwa s[28:29], v25, v24 src0_sel:BYTE_0 src1_sel:BYTE_0
	v_cmp_ne_u16_sdwa s[30:31], v2, v25 src0_sel:BYTE_0 src1_sel:BYTE_0
	v_cmp_ne_u16_sdwa s[34:35], v26, v2 src0_sel:DWORD src1_sel:BYTE_0
	;; [unrolled: 4-line block ×7, first 2 shown]
	v_cmp_ne_u16_sdwa s[76:77], v48, v47 src0_sel:BYTE_0 src1_sel:DWORD
	v_cmp_ne_u16_sdwa s[78:79], v50, v48 src0_sel:BYTE_0 src1_sel:BYTE_0
	v_cmp_ne_u16_sdwa s[80:81], v8, v50 src0_sel:BYTE_0 src1_sel:BYTE_0
	ds_write_b8 v0, v20
	s_cbranch_vccz .LBB33_84
; %bb.81:
	v_cndmask_b32_e64 v35, 0, 1, s[0:1]
	v_cndmask_b32_e64 v38, 0, 1, s[2:3]
	;; [unrolled: 1-line block ×31, first 2 shown]
	v_cmp_ne_u32_e32 vcc, 0, v0
	s_waitcnt lgkmcnt(0)
	s_barrier
	s_waitcnt lgkmcnt(0)
                                        ; implicit-def: $sgpr18_sgpr19
	s_and_saveexec_b64 s[0:1], vcc
	s_xor_b64 s[0:1], exec, s[0:1]
	s_cbranch_execz .LBB33_83
; %bb.82:
	v_add_u32_e32 v11, -1, v0
	ds_read_u8 v11, v11
	s_or_b64 s[14:15], s[14:15], exec
	s_waitcnt lgkmcnt(0)
	v_cmp_ne_u16_sdwa s[2:3], v11, v8 src0_sel:DWORD src1_sel:BYTE_0
	s_and_b64 s[18:19], s[2:3], exec
.LBB33_83:
	s_or_b64 exec, exec, s[0:1]
	s_mov_b32 s28, 1
	s_branch .LBB33_87
.LBB33_84:
                                        ; implicit-def: $sgpr18_sgpr19
                                        ; implicit-def: $vgpr74
                                        ; implicit-def: $vgpr73
                                        ; implicit-def: $vgpr72
                                        ; implicit-def: $vgpr71
                                        ; implicit-def: $vgpr70
                                        ; implicit-def: $vgpr69
                                        ; implicit-def: $vgpr68
                                        ; implicit-def: $vgpr67
                                        ; implicit-def: $vgpr66
                                        ; implicit-def: $vgpr65
                                        ; implicit-def: $vgpr64
                                        ; implicit-def: $vgpr63
                                        ; implicit-def: $vgpr62
                                        ; implicit-def: $vgpr61
                                        ; implicit-def: $vgpr60
                                        ; implicit-def: $vgpr59
                                        ; implicit-def: $vgpr58
                                        ; implicit-def: $vgpr57
                                        ; implicit-def: $vgpr56
                                        ; implicit-def: $vgpr55
                                        ; implicit-def: $vgpr54
                                        ; implicit-def: $vgpr53
                                        ; implicit-def: $vgpr52
                                        ; implicit-def: $vgpr51
                                        ; implicit-def: $vgpr49
                                        ; implicit-def: $vgpr46
                                        ; implicit-def: $vgpr44
                                        ; implicit-def: $vgpr41
                                        ; implicit-def: $vgpr40
                                        ; implicit-def: $vgpr38
                                        ; implicit-def: $vgpr35
                                        ; implicit-def: $sgpr28
	s_cbranch_execz .LBB33_87
; %bb.85:
	v_or_b32_e32 v11, 31, v10
	v_cmp_gt_u32_e32 vcc, s7, v11
	v_cmp_ne_u16_sdwa s[0:1], v21, v20 src0_sel:BYTE_0 src1_sel:DWORD
	s_and_b64 s[0:1], vcc, s[0:1]
	v_or_b32_e32 v11, 30, v10
	v_cndmask_b32_e64 v35, 0, 1, s[0:1]
	v_cmp_gt_u32_e32 vcc, s7, v11
	v_cmp_ne_u16_sdwa s[0:1], v22, v21 src0_sel:BYTE_0 src1_sel:BYTE_0
	s_and_b64 s[0:1], vcc, s[0:1]
	v_or_b32_e32 v11, 29, v10
	v_cndmask_b32_e64 v38, 0, 1, s[0:1]
	v_cmp_gt_u32_e32 vcc, s7, v11
	v_cmp_ne_u16_sdwa s[0:1], v3, v22 src0_sel:BYTE_0 src1_sel:BYTE_0
	s_and_b64 s[0:1], vcc, s[0:1]
	v_or_b32_e32 v11, 28, v10
	v_cndmask_b32_e64 v40, 0, 1, s[0:1]
	v_cmp_gt_u32_e32 vcc, s7, v11
	v_cmp_ne_u16_sdwa s[0:1], v23, v3 src0_sel:DWORD src1_sel:BYTE_0
	s_and_b64 s[0:1], vcc, s[0:1]
	v_or_b32_e32 v11, 27, v10
	v_cndmask_b32_e64 v41, 0, 1, s[0:1]
	v_cmp_gt_u32_e32 vcc, s7, v11
	v_cmp_ne_u16_sdwa s[0:1], v24, v23 src0_sel:BYTE_0 src1_sel:DWORD
	s_and_b64 s[0:1], vcc, s[0:1]
	v_or_b32_e32 v11, 26, v10
	v_cndmask_b32_e64 v44, 0, 1, s[0:1]
	v_cmp_gt_u32_e32 vcc, s7, v11
	v_cmp_ne_u16_sdwa s[0:1], v25, v24 src0_sel:BYTE_0 src1_sel:BYTE_0
	s_and_b64 s[0:1], vcc, s[0:1]
	v_or_b32_e32 v11, 25, v10
	v_cndmask_b32_e64 v46, 0, 1, s[0:1]
	v_cmp_gt_u32_e32 vcc, s7, v11
	v_cmp_ne_u16_sdwa s[0:1], v2, v25 src0_sel:BYTE_0 src1_sel:BYTE_0
	s_and_b64 s[0:1], vcc, s[0:1]
	v_or_b32_e32 v11, 24, v10
	v_cndmask_b32_e64 v49, 0, 1, s[0:1]
	v_cmp_gt_u32_e32 vcc, s7, v11
	v_cmp_ne_u16_sdwa s[0:1], v26, v2 src0_sel:DWORD src1_sel:BYTE_0
	s_and_b64 s[0:1], vcc, s[0:1]
	v_or_b32_e32 v11, 23, v10
	v_cndmask_b32_e64 v51, 0, 1, s[0:1]
	;; [unrolled: 20-line block ×6, first 2 shown]
	v_cmp_gt_u32_e32 vcc, s7, v11
	v_cmp_ne_u16_sdwa s[0:1], v43, v42 src0_sel:BYTE_0 src1_sel:DWORD
	s_and_b64 s[0:1], vcc, s[0:1]
	v_or_b32_e32 v11, 6, v10
	v_cndmask_b32_e64 v68, 0, 1, s[0:1]
	v_cmp_gt_u32_e32 vcc, s7, v11
	v_cmp_ne_u16_sdwa s[0:1], v45, v43 src0_sel:BYTE_0 src1_sel:BYTE_0
	v_or_b32_e32 v11, 5, v10
	s_and_b64 s[0:1], vcc, s[0:1]
	v_cmp_gt_u32_e32 vcc, s7, v11
	v_or_b32_e32 v11, 4, v10
	v_cndmask_b32_e64 v69, 0, 1, s[0:1]
	v_cmp_gt_u32_e64 s[0:1], s7, v11
	v_or_b32_e32 v11, 3, v10
	v_cmp_ne_u16_sdwa s[30:31], v47, v9 src0_sel:DWORD src1_sel:BYTE_0
	v_cmp_gt_u32_e64 s[2:3], s7, v11
	v_or_b32_e32 v11, 2, v10
	v_cmp_ne_u16_sdwa s[34:35], v48, v47 src0_sel:BYTE_0 src1_sel:DWORD
	s_and_b64 s[0:1], s[0:1], s[30:31]
	v_cmp_gt_u32_e64 s[8:9], s7, v11
	v_or_b32_e32 v11, 1, v10
	v_cmp_ne_u16_sdwa s[36:37], v50, v48 src0_sel:BYTE_0 src1_sel:BYTE_0
	v_cndmask_b32_e64 v71, 0, 1, s[0:1]
	s_and_b64 s[0:1], s[2:3], s[34:35]
	v_cmp_ne_u16_sdwa s[18:19], v9, v45 src0_sel:BYTE_0 src1_sel:BYTE_0
	v_cmp_gt_u32_e64 s[10:11], s7, v11
	v_cmp_ne_u16_sdwa s[38:39], v8, v50 src0_sel:BYTE_0 src1_sel:BYTE_0
	v_cndmask_b32_e64 v72, 0, 1, s[0:1]
	s_and_b64 s[0:1], s[8:9], s[36:37]
	s_and_b64 s[18:19], vcc, s[18:19]
	v_cndmask_b32_e64 v73, 0, 1, s[0:1]
	s_and_b64 s[0:1], s[10:11], s[38:39]
	v_cndmask_b32_e64 v70, 0, 1, s[18:19]
	s_mov_b32 s28, 1
	v_cmp_ne_u32_e32 vcc, 0, v0
	v_cndmask_b32_e64 v74, 0, 1, s[0:1]
	s_waitcnt lgkmcnt(0)
	s_barrier
	s_waitcnt lgkmcnt(0)
                                        ; implicit-def: $sgpr18_sgpr19
	s_and_saveexec_b64 s[0:1], vcc
	s_cbranch_execz .LBB33_313
; %bb.86:
	v_add_u32_e32 v11, -1, v0
	ds_read_u8 v11, v11
	v_cmp_gt_u32_e32 vcc, s7, v10
	s_or_b64 s[14:15], s[14:15], exec
	s_waitcnt lgkmcnt(0)
	v_and_b32_e32 v11, 0xff, v11
	v_cmp_ne_u16_sdwa s[2:3], v11, v8 src0_sel:DWORD src1_sel:BYTE_0
	s_and_b64 s[2:3], vcc, s[2:3]
	s_and_b64 s[18:19], s[2:3], exec
	s_or_b64 exec, exec, s[0:1]
.LBB33_87:
	v_mov_b32_e32 v75, s28
	s_and_saveexec_b64 s[0:1], s[14:15]
.LBB33_88:
	v_cndmask_b32_e64 v75, 0, 1, s[18:19]
.LBB33_89:
	s_or_b64 exec, exec, s[0:1]
	s_load_dwordx2 s[28:29], s[4:5], 0x68
	s_andn2_b64 vcc, exec, s[12:13]
	s_cbranch_vccnz .LBB33_91
; %bb.90:
	v_cmp_gt_u32_e32 vcc, s7, v10
	v_or_b32_e32 v11, 1, v10
	v_cndmask_b32_e32 v75, 0, v75, vcc
	v_cmp_gt_u32_e32 vcc, s7, v11
	v_or_b32_e32 v11, 2, v10
	v_cndmask_b32_e32 v74, 0, v74, vcc
	;; [unrolled: 3-line block ×31, first 2 shown]
	v_cmp_gt_u32_e32 vcc, s7, v10
	v_cndmask_b32_e32 v35, 0, v35, vcc
.LBB33_91:
	v_mbcnt_lo_u32_b32 v10, -1, 0
	v_mbcnt_hi_u32_b32 v86, -1, v10
	v_and_b32_e32 v10, 15, v86
	v_cmp_eq_u32_e64 s[12:13], 0, v10
	v_cmp_lt_u32_e64 s[10:11], 1, v10
	v_cmp_lt_u32_e64 s[8:9], 3, v10
	;; [unrolled: 1-line block ×3, first 2 shown]
	v_and_b32_e32 v10, 16, v86
	v_cmp_eq_u32_e64 s[2:3], 0, v10
	v_or_b32_e32 v10, 63, v0
	v_and_b32_e32 v114, 0xff, v41
	v_and_b32_e32 v115, 0xff, v40
	v_cmp_eq_u32_e64 s[0:1], v10, v0
	v_add_u32_sdwa v10, v38, v35 dst_sel:DWORD dst_unused:UNUSED_PAD src0_sel:BYTE_0 src1_sel:BYTE_0
	v_and_b32_e32 v112, 0xff, v46
	v_and_b32_e32 v113, 0xff, v44
	v_add3_u32 v10, v10, v115, v114
	v_and_b32_e32 v110, 0xff, v51
	v_and_b32_e32 v111, 0xff, v49
	v_add3_u32 v10, v10, v113, v112
	;; [unrolled: 3-line block ×12, first 2 shown]
	v_add3_u32 v10, v10, v77, v76
	v_and_b32_e32 v87, 0xff, v73
	v_and_b32_e32 v88, 0xff, v72
	v_add3_u32 v10, v10, v88, v87
	v_and_b32_e32 v89, 0xff, v75
	v_and_b32_e32 v90, 0xff, v74
	v_add3_u32 v92, v10, v90, v89
	v_cmp_lt_u32_e64 s[14:15], 31, v86
	s_and_b64 vcc, exec, s[16:17]
	v_lshrrev_b32_e32 v91, 6, v0
	s_waitcnt lgkmcnt(0)
	s_barrier
	s_cbranch_vccz .LBB33_122
; %bb.92:
	v_mov_b32_dpp v10, v92 row_shr:1 row_mask:0xf bank_mask:0xf
	v_cndmask_b32_e64 v10, v10, 0, s[12:13]
	v_add_u32_e32 v10, v10, v92
	s_nop 1
	v_mov_b32_dpp v11, v10 row_shr:2 row_mask:0xf bank_mask:0xf
	v_cndmask_b32_e64 v11, 0, v11, s[10:11]
	v_add_u32_e32 v10, v10, v11
	s_nop 1
	;; [unrolled: 4-line block ×4, first 2 shown]
	v_mov_b32_dpp v11, v10 row_bcast:15 row_mask:0xf bank_mask:0xf
	v_cndmask_b32_e64 v11, v11, 0, s[2:3]
	v_add_u32_e32 v10, v10, v11
	s_nop 1
	v_mov_b32_dpp v11, v10 row_bcast:31 row_mask:0xf bank_mask:0xf
	v_cndmask_b32_e64 v11, 0, v11, s[14:15]
	v_add_u32_e32 v10, v10, v11
	s_and_saveexec_b64 s[16:17], s[0:1]
	s_cbranch_execz .LBB33_94
; %bb.93:
	v_lshlrev_b32_e32 v11, 2, v91
	ds_write_b32 v11, v10
.LBB33_94:
	s_or_b64 exec, exec, s[16:17]
	v_cmp_gt_u32_e32 vcc, 2, v0
	s_waitcnt lgkmcnt(0)
	s_barrier
	s_and_saveexec_b64 s[16:17], vcc
	s_cbranch_execz .LBB33_96
; %bb.95:
	v_lshlrev_b32_e32 v11, 2, v0
	ds_read_b32 v12, v11
	v_bfe_i32 v13, v86, 0, 1
	s_waitcnt lgkmcnt(0)
	v_mov_b32_dpp v14, v12 row_shr:1 row_mask:0xf bank_mask:0xf
	v_and_b32_e32 v13, v13, v14
	v_add_u32_e32 v12, v13, v12
	ds_write_b32 v11, v12
.LBB33_96:
	s_or_b64 exec, exec, s[16:17]
	v_cmp_gt_u32_e32 vcc, 64, v0
	v_cmp_lt_u32_e64 s[16:17], 63, v0
	s_waitcnt lgkmcnt(0)
	s_barrier
	s_waitcnt lgkmcnt(0)
                                        ; implicit-def: $vgpr93
	s_and_saveexec_b64 s[30:31], s[16:17]
	s_cbranch_execz .LBB33_98
; %bb.97:
	v_lshl_add_u32 v11, v91, 2, -4
	ds_read_b32 v93, v11
	s_waitcnt lgkmcnt(0)
	v_add_u32_e32 v10, v93, v10
.LBB33_98:
	s_or_b64 exec, exec, s[30:31]
	v_add_u32_e32 v11, -1, v86
	v_and_b32_e32 v12, 64, v86
	v_cmp_lt_i32_e64 s[16:17], v11, v12
	v_cndmask_b32_e64 v11, v11, v86, s[16:17]
	v_lshlrev_b32_e32 v11, 2, v11
	ds_bpermute_b32 v94, v11, v10
	v_cmp_eq_u32_e64 s[16:17], 0, v86
	s_and_saveexec_b64 s[30:31], vcc
	s_cbranch_execz .LBB33_121
; %bb.99:
	v_mov_b32_e32 v19, 0
	ds_read_b32 v10, v19 offset:4
	s_and_saveexec_b64 s[34:35], s[16:17]
	s_cbranch_execz .LBB33_101
; %bb.100:
	s_add_i32 s36, s6, 64
	s_mov_b32 s37, 0
	s_lshl_b64 s[36:37], s[36:37], 3
	s_add_u32 s36, s28, s36
	v_mov_b32_e32 v11, 1
	s_addc_u32 s37, s29, s37
	s_waitcnt lgkmcnt(0)
	global_store_dwordx2 v19, v[10:11], s[36:37]
.LBB33_101:
	s_or_b64 exec, exec, s[34:35]
	v_xad_u32 v12, v86, -1, s6
	v_add_u32_e32 v18, 64, v12
	v_lshlrev_b64 v[14:15], 3, v[18:19]
	v_mov_b32_e32 v11, s29
	v_add_co_u32_e32 v14, vcc, s28, v14
	v_addc_co_u32_e32 v15, vcc, v11, v15, vcc
	global_load_dwordx2 v[16:17], v[14:15], off glc
	s_waitcnt vmcnt(0)
	v_cmp_eq_u16_sdwa s[36:37], v17, v19 src0_sel:BYTE_0 src1_sel:DWORD
	s_and_saveexec_b64 s[34:35], s[36:37]
	s_cbranch_execz .LBB33_107
; %bb.102:
	s_mov_b32 s7, 1
	s_mov_b64 s[36:37], 0
	v_mov_b32_e32 v11, 0
.LBB33_103:                             ; =>This Loop Header: Depth=1
                                        ;     Child Loop BB33_104 Depth 2
	s_max_u32 s33, s7, 1
.LBB33_104:                             ;   Parent Loop BB33_103 Depth=1
                                        ; =>  This Inner Loop Header: Depth=2
	s_add_i32 s33, s33, -1
	s_cmp_eq_u32 s33, 0
	s_sleep 1
	s_cbranch_scc0 .LBB33_104
; %bb.105:                              ;   in Loop: Header=BB33_103 Depth=1
	global_load_dwordx2 v[16:17], v[14:15], off glc
	s_cmp_lt_u32 s7, 32
	s_cselect_b64 s[38:39], -1, 0
	s_cmp_lg_u64 s[38:39], 0
	s_addc_u32 s7, s7, 0
	s_waitcnt vmcnt(0)
	v_cmp_ne_u16_sdwa s[38:39], v17, v11 src0_sel:BYTE_0 src1_sel:DWORD
	s_or_b64 s[36:37], s[38:39], s[36:37]
	s_andn2_b64 exec, exec, s[36:37]
	s_cbranch_execnz .LBB33_103
; %bb.106:
	s_or_b64 exec, exec, s[36:37]
.LBB33_107:
	s_or_b64 exec, exec, s[34:35]
	v_and_b32_e32 v95, 63, v86
	v_mov_b32_e32 v11, 2
	v_cmp_ne_u32_e32 vcc, 63, v95
	v_cmp_eq_u16_sdwa s[34:35], v17, v11 src0_sel:BYTE_0 src1_sel:DWORD
	v_lshlrev_b64 v[14:15], v86, -1
	v_addc_co_u32_e32 v19, vcc, 0, v86, vcc
	v_and_b32_e32 v13, s35, v15
	v_lshlrev_b32_e32 v96, 2, v19
	v_or_b32_e32 v13, 0x80000000, v13
	ds_bpermute_b32 v19, v96, v16
	v_and_b32_e32 v18, s34, v14
	v_ffbl_b32_e32 v13, v13
	v_add_u32_e32 v13, 32, v13
	v_ffbl_b32_e32 v18, v18
	v_min_u32_e32 v13, v18, v13
	v_cmp_lt_u32_e32 vcc, v95, v13
	s_waitcnt lgkmcnt(0)
	v_cndmask_b32_e32 v18, 0, v19, vcc
	v_cmp_gt_u32_e32 vcc, 62, v95
	v_add_u32_e32 v16, v18, v16
	v_cndmask_b32_e64 v18, 0, 1, vcc
	v_lshlrev_b32_e32 v18, 1, v18
	v_add_lshl_u32 v97, v18, v86, 2
	ds_bpermute_b32 v18, v97, v16
	v_add_u32_e32 v98, 2, v95
	v_cmp_le_u32_e32 vcc, v98, v13
	v_add_u32_e32 v116, 4, v95
	v_add_u32_e32 v118, 8, v95
	s_waitcnt lgkmcnt(0)
	v_cndmask_b32_e32 v18, 0, v18, vcc
	v_cmp_gt_u32_e32 vcc, 60, v95
	v_add_u32_e32 v16, v16, v18
	v_cndmask_b32_e64 v18, 0, 1, vcc
	v_lshlrev_b32_e32 v18, 2, v18
	v_add_lshl_u32 v99, v18, v86, 2
	ds_bpermute_b32 v18, v99, v16
	v_cmp_le_u32_e32 vcc, v116, v13
	v_add_u32_e32 v121, 16, v95
	v_add_u32_e32 v123, 32, v95
	s_waitcnt lgkmcnt(0)
	v_cndmask_b32_e32 v18, 0, v18, vcc
	v_cmp_gt_u32_e32 vcc, 56, v95
	v_add_u32_e32 v16, v16, v18
	v_cndmask_b32_e64 v18, 0, 1, vcc
	v_lshlrev_b32_e32 v18, 3, v18
	v_add_lshl_u32 v117, v18, v86, 2
	ds_bpermute_b32 v18, v117, v16
	v_cmp_le_u32_e32 vcc, v118, v13
	s_waitcnt lgkmcnt(0)
	v_cndmask_b32_e32 v18, 0, v18, vcc
	v_cmp_gt_u32_e32 vcc, 48, v95
	v_add_u32_e32 v16, v16, v18
	v_cndmask_b32_e64 v18, 0, 1, vcc
	v_lshlrev_b32_e32 v18, 4, v18
	v_add_lshl_u32 v120, v18, v86, 2
	ds_bpermute_b32 v18, v120, v16
	v_cmp_le_u32_e32 vcc, v121, v13
	;; [unrolled: 9-line block ×3, first 2 shown]
	s_waitcnt lgkmcnt(0)
	v_cndmask_b32_e32 v13, 0, v18, vcc
	v_add_u32_e32 v16, v16, v13
	v_mov_b32_e32 v13, 0
	s_branch .LBB33_109
.LBB33_108:                             ;   in Loop: Header=BB33_109 Depth=1
	s_or_b64 exec, exec, s[34:35]
	v_cmp_eq_u16_sdwa s[34:35], v17, v11 src0_sel:BYTE_0 src1_sel:DWORD
	v_and_b32_e32 v18, s35, v15
	v_or_b32_e32 v18, 0x80000000, v18
	ds_bpermute_b32 v124, v96, v16
	v_and_b32_e32 v19, s34, v14
	v_ffbl_b32_e32 v18, v18
	v_add_u32_e32 v18, 32, v18
	v_ffbl_b32_e32 v19, v19
	v_min_u32_e32 v18, v19, v18
	v_cmp_lt_u32_e32 vcc, v95, v18
	s_waitcnt lgkmcnt(0)
	v_cndmask_b32_e32 v19, 0, v124, vcc
	v_add_u32_e32 v16, v19, v16
	ds_bpermute_b32 v19, v97, v16
	v_cmp_le_u32_e32 vcc, v98, v18
	v_subrev_u32_e32 v12, 64, v12
	s_waitcnt lgkmcnt(0)
	v_cndmask_b32_e32 v19, 0, v19, vcc
	v_add_u32_e32 v16, v16, v19
	ds_bpermute_b32 v19, v99, v16
	v_cmp_le_u32_e32 vcc, v116, v18
	s_waitcnt lgkmcnt(0)
	v_cndmask_b32_e32 v19, 0, v19, vcc
	v_add_u32_e32 v16, v16, v19
	ds_bpermute_b32 v19, v117, v16
	v_cmp_le_u32_e32 vcc, v118, v18
	;; [unrolled: 5-line block ×4, first 2 shown]
	s_waitcnt lgkmcnt(0)
	v_cndmask_b32_e32 v18, 0, v19, vcc
	v_add3_u32 v16, v18, v119, v16
.LBB33_109:                             ; =>This Loop Header: Depth=1
                                        ;     Child Loop BB33_112 Depth 2
                                        ;       Child Loop BB33_113 Depth 3
	v_cmp_ne_u16_sdwa s[34:35], v17, v11 src0_sel:BYTE_0 src1_sel:DWORD
	v_cndmask_b32_e64 v17, 0, 1, s[34:35]
	;;#ASMSTART
	;;#ASMEND
	v_cmp_ne_u32_e32 vcc, 0, v17
	s_cmp_lg_u64 vcc, exec
	v_mov_b32_e32 v119, v16
	s_cbranch_scc1 .LBB33_116
; %bb.110:                              ;   in Loop: Header=BB33_109 Depth=1
	v_lshlrev_b64 v[16:17], 3, v[12:13]
	v_mov_b32_e32 v19, s29
	v_add_co_u32_e32 v18, vcc, s28, v16
	v_addc_co_u32_e32 v19, vcc, v19, v17, vcc
	global_load_dwordx2 v[16:17], v[18:19], off glc
	s_waitcnt vmcnt(0)
	v_cmp_eq_u16_sdwa s[36:37], v17, v13 src0_sel:BYTE_0 src1_sel:DWORD
	s_and_saveexec_b64 s[34:35], s[36:37]
	s_cbranch_execz .LBB33_108
; %bb.111:                              ;   in Loop: Header=BB33_109 Depth=1
	s_mov_b32 s7, 1
	s_mov_b64 s[36:37], 0
.LBB33_112:                             ;   Parent Loop BB33_109 Depth=1
                                        ; =>  This Loop Header: Depth=2
                                        ;       Child Loop BB33_113 Depth 3
	s_max_u32 s33, s7, 1
.LBB33_113:                             ;   Parent Loop BB33_109 Depth=1
                                        ;     Parent Loop BB33_112 Depth=2
                                        ; =>    This Inner Loop Header: Depth=3
	s_add_i32 s33, s33, -1
	s_cmp_eq_u32 s33, 0
	s_sleep 1
	s_cbranch_scc0 .LBB33_113
; %bb.114:                              ;   in Loop: Header=BB33_112 Depth=2
	global_load_dwordx2 v[16:17], v[18:19], off glc
	s_cmp_lt_u32 s7, 32
	s_cselect_b64 s[38:39], -1, 0
	s_cmp_lg_u64 s[38:39], 0
	s_addc_u32 s7, s7, 0
	s_waitcnt vmcnt(0)
	v_cmp_ne_u16_sdwa s[38:39], v17, v13 src0_sel:BYTE_0 src1_sel:DWORD
	s_or_b64 s[36:37], s[38:39], s[36:37]
	s_andn2_b64 exec, exec, s[36:37]
	s_cbranch_execnz .LBB33_112
; %bb.115:                              ;   in Loop: Header=BB33_109 Depth=1
	s_or_b64 exec, exec, s[36:37]
	s_branch .LBB33_108
.LBB33_116:                             ;   in Loop: Header=BB33_109 Depth=1
                                        ; implicit-def: $vgpr16
                                        ; implicit-def: $vgpr17
	s_cbranch_execz .LBB33_109
; %bb.117:
	s_and_saveexec_b64 s[34:35], s[16:17]
	s_cbranch_execz .LBB33_119
; %bb.118:
	s_add_i32 s6, s6, 64
	s_mov_b32 s7, 0
	s_lshl_b64 s[6:7], s[6:7], 3
	s_add_u32 s6, s28, s6
	v_add_u32_e32 v12, v119, v10
	v_mov_b32_e32 v13, 2
	s_addc_u32 s7, s29, s7
	v_mov_b32_e32 v11, 0
	global_store_dwordx2 v11, v[12:13], s[6:7]
	s_movk_i32 s6, 0x1000
	v_add_u32_e64 v11, s6, 0
	ds_write2_b32 v11, v10, v119 offset0:32 offset1:34
.LBB33_119:
	s_or_b64 exec, exec, s[34:35]
	v_cmp_eq_u32_e32 vcc, 0, v0
	s_and_b64 exec, exec, vcc
	s_cbranch_execz .LBB33_121
; %bb.120:
	v_mov_b32_e32 v10, 0
	ds_write_b32 v10, v119 offset:4
.LBB33_121:
	s_or_b64 exec, exec, s[30:31]
	v_mov_b32_e32 v11, 0
	s_movk_i32 s6, 0x1000
	s_waitcnt lgkmcnt(0)
	s_barrier
	ds_read_b32 v11, v11 offset:4
	v_add_u32_e64 v12, s6, 0
	s_waitcnt lgkmcnt(0)
	s_barrier
	ds_read2_b32 v[16:17], v12 offset0:32 offset1:34
	v_cndmask_b32_e64 v10, v94, v93, s[16:17]
	v_cmp_ne_u32_e32 vcc, 0, v0
	v_cndmask_b32_e32 v10, 0, v10, vcc
	v_add_u32_e32 v96, v11, v10
	s_load_dwordx2 s[4:5], s[4:5], 0x30
	s_branch .LBB33_132
.LBB33_122:
                                        ; implicit-def: $vgpr17
                                        ; implicit-def: $vgpr96
	s_load_dwordx2 s[4:5], s[4:5], 0x30
	s_cbranch_execz .LBB33_132
; %bb.123:
	v_mov_b32_dpp v10, v92 row_shr:1 row_mask:0xf bank_mask:0xf
	v_cndmask_b32_e64 v10, v10, 0, s[12:13]
	v_add_u32_e32 v10, v10, v92
	s_nop 1
	v_mov_b32_dpp v11, v10 row_shr:2 row_mask:0xf bank_mask:0xf
	v_cndmask_b32_e64 v11, 0, v11, s[10:11]
	v_add_u32_e32 v10, v10, v11
	s_nop 1
	;; [unrolled: 4-line block ×4, first 2 shown]
	v_mov_b32_dpp v11, v10 row_bcast:15 row_mask:0xf bank_mask:0xf
	v_cndmask_b32_e64 v11, v11, 0, s[2:3]
	v_add_u32_e32 v10, v10, v11
	s_nop 1
	v_mov_b32_dpp v11, v10 row_bcast:31 row_mask:0xf bank_mask:0xf
	v_cndmask_b32_e64 v11, 0, v11, s[14:15]
	v_add_u32_e32 v10, v10, v11
	s_and_saveexec_b64 s[2:3], s[0:1]
	s_cbranch_execz .LBB33_125
; %bb.124:
	v_lshlrev_b32_e32 v11, 2, v91
	ds_write_b32 v11, v10
.LBB33_125:
	s_or_b64 exec, exec, s[2:3]
	v_cmp_gt_u32_e32 vcc, 2, v0
	s_waitcnt lgkmcnt(0)
	s_barrier
	s_and_saveexec_b64 s[0:1], vcc
	s_cbranch_execz .LBB33_127
; %bb.126:
	v_lshlrev_b32_e32 v11, 2, v0
	ds_read_b32 v12, v11
	v_bfe_i32 v13, v86, 0, 1
	s_waitcnt lgkmcnt(0)
	v_mov_b32_dpp v14, v12 row_shr:1 row_mask:0xf bank_mask:0xf
	v_and_b32_e32 v13, v13, v14
	v_add_u32_e32 v12, v13, v12
	ds_write_b32 v11, v12
.LBB33_127:
	s_or_b64 exec, exec, s[0:1]
	v_cmp_lt_u32_e32 vcc, 63, v0
	v_mov_b32_e32 v12, 0
	v_mov_b32_e32 v11, 0
	s_waitcnt lgkmcnt(0)
	s_barrier
	s_and_saveexec_b64 s[0:1], vcc
	s_cbranch_execz .LBB33_129
; %bb.128:
	v_lshl_add_u32 v11, v91, 2, -4
	ds_read_b32 v11, v11
.LBB33_129:
	s_or_b64 exec, exec, s[0:1]
	v_add_u32_e32 v13, -1, v86
	v_and_b32_e32 v14, 64, v86
	v_cmp_lt_i32_e32 vcc, v13, v14
	v_cndmask_b32_e32 v13, v13, v86, vcc
	s_waitcnt lgkmcnt(0)
	v_add_u32_e32 v10, v11, v10
	v_lshlrev_b32_e32 v13, 2, v13
	ds_bpermute_b32 v10, v13, v10
	ds_read_b32 v16, v12 offset:4
	v_cmp_eq_u32_e32 vcc, 0, v0
	s_and_saveexec_b64 s[0:1], vcc
	s_cbranch_execz .LBB33_131
; %bb.130:
	v_mov_b32_e32 v12, 0
	v_mov_b32_e32 v17, 2
	s_waitcnt lgkmcnt(0)
	global_store_dwordx2 v12, v[16:17], s[28:29] offset:512
.LBB33_131:
	s_or_b64 exec, exec, s[0:1]
	v_cmp_eq_u32_e64 s[0:1], 0, v86
	s_waitcnt lgkmcnt(1)
	v_cndmask_b32_e64 v10, v10, v11, s[0:1]
	v_mov_b32_e32 v17, 0
	v_cndmask_b32_e64 v96, v10, 0, vcc
	s_waitcnt lgkmcnt(0)
	s_barrier
.LBB33_132:
	v_add_u32_e32 v99, v96, v89
	v_add_u32_e32 v98, v99, v90
	;; [unrolled: 1-line block ×29, first 2 shown]
	s_movk_i32 s0, 0x81
	v_add_u32_e32 v11, v12, v115
	s_waitcnt lgkmcnt(0)
	v_cmp_gt_u32_e32 vcc, s0, v16
	v_add_u32_sdwa v10, v11, v38 dst_sel:DWORD dst_unused:UNUSED_PAD src0_sel:DWORD src1_sel:BYTE_0
	s_mov_b64 s[0:1], -1
	s_cbranch_vccnz .LBB33_136
; %bb.133:
	s_and_b64 vcc, exec, s[0:1]
	s_cbranch_vccnz .LBB33_233
.LBB33_134:
	v_cmp_eq_u32_e32 vcc, 0, v0
	s_and_b64 s[0:1], vcc, s[24:25]
	s_and_saveexec_b64 s[2:3], s[0:1]
	s_cbranch_execnz .LBB33_312
.LBB33_135:
	s_endpgm
.LBB33_136:
	v_add_u32_e32 v100, v17, v16
	s_add_u32 s0, s4, s22
	v_cmp_lt_u32_e32 vcc, v96, v100
	s_addc_u32 s1, s5, s23
	s_or_b64 s[6:7], s[26:27], vcc
	s_and_saveexec_b64 s[2:3], s[6:7]
	s_cbranch_execz .LBB33_139
; %bb.137:
	v_and_b32_e32 v101, 1, v75
	v_cmp_eq_u32_e32 vcc, 1, v101
	s_and_b64 exec, exec, vcc
	s_cbranch_execz .LBB33_139
; %bb.138:
	global_store_byte v96, v8, s[0:1]
.LBB33_139:
	s_or_b64 exec, exec, s[2:3]
	v_cmp_lt_u32_e32 vcc, v99, v100
	s_or_b64 s[6:7], s[26:27], vcc
	s_and_saveexec_b64 s[2:3], s[6:7]
	s_cbranch_execz .LBB33_142
; %bb.140:
	v_and_b32_e32 v101, 1, v74
	v_cmp_eq_u32_e32 vcc, 1, v101
	s_and_b64 exec, exec, vcc
	s_cbranch_execz .LBB33_142
; %bb.141:
	global_store_byte v99, v50, s[0:1]
.LBB33_142:
	s_or_b64 exec, exec, s[2:3]
	v_cmp_lt_u32_e32 vcc, v98, v100
	;; [unrolled: 13-line block ×31, first 2 shown]
	s_or_b64 s[6:7], s[26:27], vcc
	s_and_saveexec_b64 s[2:3], s[6:7]
	s_cbranch_execz .LBB33_232
; %bb.230:
	v_and_b32_e32 v100, 1, v35
	v_cmp_eq_u32_e32 vcc, 1, v100
	s_and_b64 exec, exec, vcc
	s_cbranch_execz .LBB33_232
; %bb.231:
	global_store_byte v10, v20, s[0:1]
.LBB33_232:
	s_or_b64 exec, exec, s[2:3]
	s_branch .LBB33_134
.LBB33_233:
	v_and_b32_e32 v75, 1, v75
	v_cmp_eq_u32_e32 vcc, 1, v75
	s_and_saveexec_b64 s[0:1], vcc
	s_cbranch_execz .LBB33_235
; %bb.234:
	v_sub_u32_e32 v75, v96, v17
	ds_write_b8 v75, v8
.LBB33_235:
	s_or_b64 exec, exec, s[0:1]
	v_and_b32_e32 v8, 1, v74
	v_cmp_eq_u32_e32 vcc, 1, v8
	s_and_saveexec_b64 s[0:1], vcc
	s_cbranch_execz .LBB33_237
; %bb.236:
	v_sub_u32_e32 v8, v99, v17
	ds_write_b8 v8, v50
.LBB33_237:
	s_or_b64 exec, exec, s[0:1]
	;; [unrolled: 9-line block ×32, first 2 shown]
	v_cmp_lt_u32_e32 vcc, v0, v16
	s_waitcnt lgkmcnt(0)
	s_barrier
	s_and_saveexec_b64 s[2:3], vcc
	s_cbranch_execz .LBB33_311
; %bb.298:
	s_add_u32 s0, s4, s22
	s_addc_u32 s1, s5, s23
	v_mov_b32_e32 v2, s1
	v_add_co_u32_e32 v18, vcc, s0, v17
	v_addc_co_u32_e32 v19, vcc, 0, v2, vcc
	v_xad_u32 v2, v0, -1, v16
	s_movk_i32 s0, 0xb80
	v_cmp_gt_u32_e32 vcc, s0, v2
	s_movk_i32 s0, 0xb7f
	v_cmp_lt_u32_e64 s[0:1], s0, v2
	s_and_saveexec_b64 s[4:5], s[0:1]
	s_cbranch_execz .LBB33_308
; %bb.299:
	v_sub_u32_e32 v3, v0, v16
	v_or_b32_e32 v3, 0x7f, v3
	v_cmp_ge_u32_e64 s[0:1], v3, v0
	s_mov_b64 s[8:9], -1
	s_and_saveexec_b64 s[6:7], s[0:1]
	s_cbranch_execz .LBB33_307
; %bb.300:
	v_lshrrev_b32_e32 v20, 7, v2
	v_or_b32_e32 v7, 0x380, v0
	v_or_b32_e32 v6, 0x300, v0
	;; [unrolled: 1-line block ×7, first 2 shown]
	v_add_u32_e32 v21, -7, v20
	v_pk_mov_b32 v[14:15], v[6:7], v[6:7] op_sel:[0,1]
	v_cmp_lt_u32_e64 s[0:1], 7, v21
	v_mov_b32_e32 v22, 0
	v_pk_mov_b32 v[12:13], v[4:5], v[4:5] op_sel:[0,1]
	v_pk_mov_b32 v[10:11], v[2:3], v[2:3] op_sel:[0,1]
	;; [unrolled: 1-line block ×3, first 2 shown]
	s_and_saveexec_b64 s[8:9], s[0:1]
	s_cbranch_execz .LBB33_304
; %bb.301:
	v_lshrrev_b32_e32 v8, 3, v21
	v_add_u32_e32 v8, 1, v8
	v_and_b32_e32 v22, 0x3ffffffe, v8
	v_pk_mov_b32 v[14:15], v[6:7], v[6:7] op_sel:[0,1]
	s_mov_b32 s12, 0
	s_mov_b64 s[10:11], 0
	v_mov_b32_e32 v23, v0
	v_pk_mov_b32 v[12:13], v[4:5], v[4:5] op_sel:[0,1]
	v_pk_mov_b32 v[10:11], v[2:3], v[2:3] op_sel:[0,1]
	;; [unrolled: 1-line block ×3, first 2 shown]
.LBB33_302:                             ; =>This Inner Loop Header: Depth=1
	v_add_co_u32_e64 v2, s[0:1], v18, v8
	v_addc_co_u32_e64 v3, s[0:1], 0, v19, s[0:1]
	v_add_co_u32_e64 v4, s[0:1], v18, v9
	v_addc_co_u32_e64 v5, s[0:1], 0, v19, s[0:1]
	;; [unrolled: 2-line block ×8, first 2 shown]
	v_add_u32_e32 v34, 0x400, v8
	v_add_co_u32_e64 v34, s[0:1], v18, v34
	v_add_u32_e32 v36, 0x400, v9
	v_addc_co_u32_e64 v35, s[0:1], 0, v19, s[0:1]
	v_add_co_u32_e64 v36, s[0:1], v18, v36
	v_add_u32_e32 v38, 0x400, v10
	v_addc_co_u32_e64 v37, s[0:1], 0, v19, s[0:1]
	;; [unrolled: 3-line block ×6, first 2 shown]
	v_add_co_u32_e64 v46, s[0:1], v18, v46
	ds_read_u8 v50, v23
	ds_read_u8 v51, v23 offset:128
	ds_read_u8 v52, v23 offset:256
	ds_read_u8 v53, v23 offset:384
	ds_read_u8 v54, v23 offset:512
	ds_read_u8 v55, v23 offset:640
	ds_read_u8 v56, v23 offset:768
	ds_read_u8 v57, v23 offset:896
	v_add_u32_e32 v1, 0x400, v15
	ds_read_u8 v58, v23 offset:1024
	ds_read_u8 v59, v23 offset:1152
	;; [unrolled: 1-line block ×8, first 2 shown]
	v_addc_co_u32_e64 v47, s[0:1], 0, v19, s[0:1]
	v_add_co_u32_e64 v48, s[0:1], v18, v1
	v_add_u32_e32 v22, -2, v22
	v_addc_co_u32_e64 v49, s[0:1], 0, v19, s[0:1]
	s_add_i32 s12, s12, 16
	v_cmp_eq_u32_e64 s[0:1], 0, v22
	v_add_u32_e32 v15, 0x800, v15
	v_add_u32_e32 v14, 0x800, v14
	;; [unrolled: 1-line block ×9, first 2 shown]
	v_mov_b32_e32 v1, s12
	s_or_b64 s[10:11], s[0:1], s[10:11]
	s_waitcnt lgkmcnt(14)
	global_store_byte v[2:3], v50, off
	global_store_byte v[4:5], v51, off
	s_waitcnt lgkmcnt(13)
	global_store_byte v[6:7], v52, off
	s_waitcnt lgkmcnt(12)
	;; [unrolled: 2-line block ×14, first 2 shown]
	global_store_byte v[48:49], v65, off
	s_andn2_b64 exec, exec, s[10:11]
	s_cbranch_execnz .LBB33_302
; %bb.303:
	s_or_b64 exec, exec, s[10:11]
	v_lshlrev_b32_e32 v22, 7, v1
.LBB33_304:
	s_or_b64 exec, exec, s[8:9]
	v_and_b32_e32 v1, 8, v21
	v_cmp_eq_u32_e64 s[0:1], 0, v1
	s_and_saveexec_b64 s[8:9], s[0:1]
	s_cbranch_execz .LBB33_306
; %bb.305:
	v_add_co_u32_e64 v2, s[0:1], v18, v8
	v_addc_co_u32_e64 v3, s[0:1], 0, v19, s[0:1]
	v_add_co_u32_e64 v4, s[0:1], v18, v9
	v_addc_co_u32_e64 v5, s[0:1], 0, v19, s[0:1]
	;; [unrolled: 2-line block ×4, first 2 shown]
	v_add_co_u32_e64 v10, s[0:1], v18, v12
	v_or_b32_e32 v1, v0, v22
	v_addc_co_u32_e64 v11, s[0:1], 0, v19, s[0:1]
	ds_read_u8 v21, v1
	ds_read_u8 v24, v1 offset:128
	ds_read_u8 v25, v1 offset:256
	;; [unrolled: 1-line block ×7, first 2 shown]
	v_add_co_u32_e64 v12, s[0:1], v18, v13
	v_addc_co_u32_e64 v13, s[0:1], 0, v19, s[0:1]
	v_add_co_u32_e64 v22, s[0:1], v18, v14
	v_addc_co_u32_e64 v23, s[0:1], 0, v19, s[0:1]
	;; [unrolled: 2-line block ×3, first 2 shown]
	s_waitcnt lgkmcnt(7)
	global_store_byte v[2:3], v21, off
	s_waitcnt lgkmcnt(6)
	global_store_byte v[4:5], v24, off
	;; [unrolled: 2-line block ×8, first 2 shown]
.LBB33_306:
	s_or_b64 exec, exec, s[8:9]
	v_add_u32_e32 v2, 1, v20
	v_and_b32_e32 v3, 0x3fffff8, v2
	v_cmp_ne_u32_e64 s[0:1], v2, v3
	v_lshl_or_b32 v1, v3, 7, v0
	s_orn2_b64 s[8:9], s[0:1], exec
.LBB33_307:
	s_or_b64 exec, exec, s[6:7]
	s_andn2_b64 s[0:1], vcc, exec
	s_and_b64 s[6:7], s[8:9], exec
	s_or_b64 vcc, s[0:1], s[6:7]
.LBB33_308:
	s_or_b64 exec, exec, s[4:5]
	s_and_b64 exec, exec, vcc
	s_cbranch_execz .LBB33_311
; %bb.309:
	s_mov_b64 s[0:1], 0
.LBB33_310:                             ; =>This Inner Loop Header: Depth=1
	ds_read_u8 v2, v1
	v_readfirstlane_b32 s4, v18
	v_readfirstlane_b32 s5, v19
	s_waitcnt lgkmcnt(0)
	s_nop 3
	global_store_byte v1, v2, s[4:5]
	v_add_u32_e32 v1, 0x80, v1
	v_cmp_ge_u32_e32 vcc, v1, v16
	s_or_b64 s[0:1], vcc, s[0:1]
	s_andn2_b64 exec, exec, s[0:1]
	s_cbranch_execnz .LBB33_310
.LBB33_311:
	s_or_b64 exec, exec, s[2:3]
	v_cmp_eq_u32_e32 vcc, 0, v0
	s_and_b64 s[0:1], vcc, s[24:25]
	s_and_saveexec_b64 s[2:3], s[0:1]
	s_cbranch_execz .LBB33_135
.LBB33_312:
	v_mov_b32_e32 v0, s23
	v_add_co_u32_e32 v1, vcc, s22, v16
	v_addc_co_u32_e32 v3, vcc, 0, v0, vcc
	v_add_co_u32_e32 v0, vcc, v1, v17
	v_mov_b32_e32 v2, 0
	v_addc_co_u32_e32 v1, vcc, 0, v3, vcc
	global_store_dwordx2 v2, v[0:1], s[20:21]
	s_endpgm
.LBB33_313:
	s_or_b64 exec, exec, s[0:1]
	v_mov_b32_e32 v75, s28
	s_and_saveexec_b64 s[0:1], s[14:15]
	s_cbranch_execnz .LBB33_88
	s_branch .LBB33_89
	.section	.rodata,"a",@progbits
	.p2align	6, 0x0
	.amdhsa_kernel _ZN7rocprim17ROCPRIM_400000_NS6detail17trampoline_kernelINS0_14default_configENS1_25partition_config_selectorILNS1_17partition_subalgoE8EbNS0_10empty_typeEbEEZZNS1_14partition_implILS5_8ELb0ES3_jN6hipcub16HIPCUB_304000_NS22TransformInputIteratorIbN2at6native8internal12_GLOBAL__N_110LoadBoolOpEPKhlEEPS6_PKS6_NS0_5tupleIJPbS6_EEENSN_IJSK_SK_EEENS0_18inequality_wrapperINSA_8EqualityEEEPlJS6_EEE10hipError_tPvRmT3_T4_T5_T6_T7_T9_mT8_P12ihipStream_tbDpT10_ENKUlT_T0_E_clISt17integral_constantIbLb1EES1D_IbLb0EEEEDaS19_S1A_EUlS19_E_NS1_11comp_targetILNS1_3genE4ELNS1_11target_archE910ELNS1_3gpuE8ELNS1_3repE0EEENS1_30default_config_static_selectorELNS0_4arch9wavefront6targetE1EEEvT1_
		.amdhsa_group_segment_fixed_size 4236
		.amdhsa_private_segment_fixed_size 0
		.amdhsa_kernarg_size 120
		.amdhsa_user_sgpr_count 6
		.amdhsa_user_sgpr_private_segment_buffer 1
		.amdhsa_user_sgpr_dispatch_ptr 0
		.amdhsa_user_sgpr_queue_ptr 0
		.amdhsa_user_sgpr_kernarg_segment_ptr 1
		.amdhsa_user_sgpr_dispatch_id 0
		.amdhsa_user_sgpr_flat_scratch_init 0
		.amdhsa_user_sgpr_kernarg_preload_length 0
		.amdhsa_user_sgpr_kernarg_preload_offset 0
		.amdhsa_user_sgpr_private_segment_size 0
		.amdhsa_uses_dynamic_stack 0
		.amdhsa_system_sgpr_private_segment_wavefront_offset 0
		.amdhsa_system_sgpr_workgroup_id_x 1
		.amdhsa_system_sgpr_workgroup_id_y 0
		.amdhsa_system_sgpr_workgroup_id_z 0
		.amdhsa_system_sgpr_workgroup_info 0
		.amdhsa_system_vgpr_workitem_id 0
		.amdhsa_next_free_vgpr 125
		.amdhsa_next_free_sgpr 82
		.amdhsa_accum_offset 128
		.amdhsa_reserve_vcc 1
		.amdhsa_reserve_flat_scratch 0
		.amdhsa_float_round_mode_32 0
		.amdhsa_float_round_mode_16_64 0
		.amdhsa_float_denorm_mode_32 3
		.amdhsa_float_denorm_mode_16_64 3
		.amdhsa_dx10_clamp 1
		.amdhsa_ieee_mode 1
		.amdhsa_fp16_overflow 0
		.amdhsa_tg_split 0
		.amdhsa_exception_fp_ieee_invalid_op 0
		.amdhsa_exception_fp_denorm_src 0
		.amdhsa_exception_fp_ieee_div_zero 0
		.amdhsa_exception_fp_ieee_overflow 0
		.amdhsa_exception_fp_ieee_underflow 0
		.amdhsa_exception_fp_ieee_inexact 0
		.amdhsa_exception_int_div_zero 0
	.end_amdhsa_kernel
	.section	.text._ZN7rocprim17ROCPRIM_400000_NS6detail17trampoline_kernelINS0_14default_configENS1_25partition_config_selectorILNS1_17partition_subalgoE8EbNS0_10empty_typeEbEEZZNS1_14partition_implILS5_8ELb0ES3_jN6hipcub16HIPCUB_304000_NS22TransformInputIteratorIbN2at6native8internal12_GLOBAL__N_110LoadBoolOpEPKhlEEPS6_PKS6_NS0_5tupleIJPbS6_EEENSN_IJSK_SK_EEENS0_18inequality_wrapperINSA_8EqualityEEEPlJS6_EEE10hipError_tPvRmT3_T4_T5_T6_T7_T9_mT8_P12ihipStream_tbDpT10_ENKUlT_T0_E_clISt17integral_constantIbLb1EES1D_IbLb0EEEEDaS19_S1A_EUlS19_E_NS1_11comp_targetILNS1_3genE4ELNS1_11target_archE910ELNS1_3gpuE8ELNS1_3repE0EEENS1_30default_config_static_selectorELNS0_4arch9wavefront6targetE1EEEvT1_,"axG",@progbits,_ZN7rocprim17ROCPRIM_400000_NS6detail17trampoline_kernelINS0_14default_configENS1_25partition_config_selectorILNS1_17partition_subalgoE8EbNS0_10empty_typeEbEEZZNS1_14partition_implILS5_8ELb0ES3_jN6hipcub16HIPCUB_304000_NS22TransformInputIteratorIbN2at6native8internal12_GLOBAL__N_110LoadBoolOpEPKhlEEPS6_PKS6_NS0_5tupleIJPbS6_EEENSN_IJSK_SK_EEENS0_18inequality_wrapperINSA_8EqualityEEEPlJS6_EEE10hipError_tPvRmT3_T4_T5_T6_T7_T9_mT8_P12ihipStream_tbDpT10_ENKUlT_T0_E_clISt17integral_constantIbLb1EES1D_IbLb0EEEEDaS19_S1A_EUlS19_E_NS1_11comp_targetILNS1_3genE4ELNS1_11target_archE910ELNS1_3gpuE8ELNS1_3repE0EEENS1_30default_config_static_selectorELNS0_4arch9wavefront6targetE1EEEvT1_,comdat
.Lfunc_end33:
	.size	_ZN7rocprim17ROCPRIM_400000_NS6detail17trampoline_kernelINS0_14default_configENS1_25partition_config_selectorILNS1_17partition_subalgoE8EbNS0_10empty_typeEbEEZZNS1_14partition_implILS5_8ELb0ES3_jN6hipcub16HIPCUB_304000_NS22TransformInputIteratorIbN2at6native8internal12_GLOBAL__N_110LoadBoolOpEPKhlEEPS6_PKS6_NS0_5tupleIJPbS6_EEENSN_IJSK_SK_EEENS0_18inequality_wrapperINSA_8EqualityEEEPlJS6_EEE10hipError_tPvRmT3_T4_T5_T6_T7_T9_mT8_P12ihipStream_tbDpT10_ENKUlT_T0_E_clISt17integral_constantIbLb1EES1D_IbLb0EEEEDaS19_S1A_EUlS19_E_NS1_11comp_targetILNS1_3genE4ELNS1_11target_archE910ELNS1_3gpuE8ELNS1_3repE0EEENS1_30default_config_static_selectorELNS0_4arch9wavefront6targetE1EEEvT1_, .Lfunc_end33-_ZN7rocprim17ROCPRIM_400000_NS6detail17trampoline_kernelINS0_14default_configENS1_25partition_config_selectorILNS1_17partition_subalgoE8EbNS0_10empty_typeEbEEZZNS1_14partition_implILS5_8ELb0ES3_jN6hipcub16HIPCUB_304000_NS22TransformInputIteratorIbN2at6native8internal12_GLOBAL__N_110LoadBoolOpEPKhlEEPS6_PKS6_NS0_5tupleIJPbS6_EEENSN_IJSK_SK_EEENS0_18inequality_wrapperINSA_8EqualityEEEPlJS6_EEE10hipError_tPvRmT3_T4_T5_T6_T7_T9_mT8_P12ihipStream_tbDpT10_ENKUlT_T0_E_clISt17integral_constantIbLb1EES1D_IbLb0EEEEDaS19_S1A_EUlS19_E_NS1_11comp_targetILNS1_3genE4ELNS1_11target_archE910ELNS1_3gpuE8ELNS1_3repE0EEENS1_30default_config_static_selectorELNS0_4arch9wavefront6targetE1EEEvT1_
                                        ; -- End function
	.section	.AMDGPU.csdata,"",@progbits
; Kernel info:
; codeLenInByte = 13668
; NumSgprs: 86
; NumVgprs: 125
; NumAgprs: 0
; TotalNumVgprs: 125
; ScratchSize: 0
; MemoryBound: 0
; FloatMode: 240
; IeeeMode: 1
; LDSByteSize: 4236 bytes/workgroup (compile time only)
; SGPRBlocks: 10
; VGPRBlocks: 15
; NumSGPRsForWavesPerEU: 86
; NumVGPRsForWavesPerEU: 125
; AccumOffset: 128
; Occupancy: 4
; WaveLimiterHint : 1
; COMPUTE_PGM_RSRC2:SCRATCH_EN: 0
; COMPUTE_PGM_RSRC2:USER_SGPR: 6
; COMPUTE_PGM_RSRC2:TRAP_HANDLER: 0
; COMPUTE_PGM_RSRC2:TGID_X_EN: 1
; COMPUTE_PGM_RSRC2:TGID_Y_EN: 0
; COMPUTE_PGM_RSRC2:TGID_Z_EN: 0
; COMPUTE_PGM_RSRC2:TIDIG_COMP_CNT: 0
; COMPUTE_PGM_RSRC3_GFX90A:ACCUM_OFFSET: 31
; COMPUTE_PGM_RSRC3_GFX90A:TG_SPLIT: 0
	.section	.text._ZN7rocprim17ROCPRIM_400000_NS6detail17trampoline_kernelINS0_14default_configENS1_25partition_config_selectorILNS1_17partition_subalgoE8EbNS0_10empty_typeEbEEZZNS1_14partition_implILS5_8ELb0ES3_jN6hipcub16HIPCUB_304000_NS22TransformInputIteratorIbN2at6native8internal12_GLOBAL__N_110LoadBoolOpEPKhlEEPS6_PKS6_NS0_5tupleIJPbS6_EEENSN_IJSK_SK_EEENS0_18inequality_wrapperINSA_8EqualityEEEPlJS6_EEE10hipError_tPvRmT3_T4_T5_T6_T7_T9_mT8_P12ihipStream_tbDpT10_ENKUlT_T0_E_clISt17integral_constantIbLb1EES1D_IbLb0EEEEDaS19_S1A_EUlS19_E_NS1_11comp_targetILNS1_3genE3ELNS1_11target_archE908ELNS1_3gpuE7ELNS1_3repE0EEENS1_30default_config_static_selectorELNS0_4arch9wavefront6targetE1EEEvT1_,"axG",@progbits,_ZN7rocprim17ROCPRIM_400000_NS6detail17trampoline_kernelINS0_14default_configENS1_25partition_config_selectorILNS1_17partition_subalgoE8EbNS0_10empty_typeEbEEZZNS1_14partition_implILS5_8ELb0ES3_jN6hipcub16HIPCUB_304000_NS22TransformInputIteratorIbN2at6native8internal12_GLOBAL__N_110LoadBoolOpEPKhlEEPS6_PKS6_NS0_5tupleIJPbS6_EEENSN_IJSK_SK_EEENS0_18inequality_wrapperINSA_8EqualityEEEPlJS6_EEE10hipError_tPvRmT3_T4_T5_T6_T7_T9_mT8_P12ihipStream_tbDpT10_ENKUlT_T0_E_clISt17integral_constantIbLb1EES1D_IbLb0EEEEDaS19_S1A_EUlS19_E_NS1_11comp_targetILNS1_3genE3ELNS1_11target_archE908ELNS1_3gpuE7ELNS1_3repE0EEENS1_30default_config_static_selectorELNS0_4arch9wavefront6targetE1EEEvT1_,comdat
	.globl	_ZN7rocprim17ROCPRIM_400000_NS6detail17trampoline_kernelINS0_14default_configENS1_25partition_config_selectorILNS1_17partition_subalgoE8EbNS0_10empty_typeEbEEZZNS1_14partition_implILS5_8ELb0ES3_jN6hipcub16HIPCUB_304000_NS22TransformInputIteratorIbN2at6native8internal12_GLOBAL__N_110LoadBoolOpEPKhlEEPS6_PKS6_NS0_5tupleIJPbS6_EEENSN_IJSK_SK_EEENS0_18inequality_wrapperINSA_8EqualityEEEPlJS6_EEE10hipError_tPvRmT3_T4_T5_T6_T7_T9_mT8_P12ihipStream_tbDpT10_ENKUlT_T0_E_clISt17integral_constantIbLb1EES1D_IbLb0EEEEDaS19_S1A_EUlS19_E_NS1_11comp_targetILNS1_3genE3ELNS1_11target_archE908ELNS1_3gpuE7ELNS1_3repE0EEENS1_30default_config_static_selectorELNS0_4arch9wavefront6targetE1EEEvT1_ ; -- Begin function _ZN7rocprim17ROCPRIM_400000_NS6detail17trampoline_kernelINS0_14default_configENS1_25partition_config_selectorILNS1_17partition_subalgoE8EbNS0_10empty_typeEbEEZZNS1_14partition_implILS5_8ELb0ES3_jN6hipcub16HIPCUB_304000_NS22TransformInputIteratorIbN2at6native8internal12_GLOBAL__N_110LoadBoolOpEPKhlEEPS6_PKS6_NS0_5tupleIJPbS6_EEENSN_IJSK_SK_EEENS0_18inequality_wrapperINSA_8EqualityEEEPlJS6_EEE10hipError_tPvRmT3_T4_T5_T6_T7_T9_mT8_P12ihipStream_tbDpT10_ENKUlT_T0_E_clISt17integral_constantIbLb1EES1D_IbLb0EEEEDaS19_S1A_EUlS19_E_NS1_11comp_targetILNS1_3genE3ELNS1_11target_archE908ELNS1_3gpuE7ELNS1_3repE0EEENS1_30default_config_static_selectorELNS0_4arch9wavefront6targetE1EEEvT1_
	.p2align	8
	.type	_ZN7rocprim17ROCPRIM_400000_NS6detail17trampoline_kernelINS0_14default_configENS1_25partition_config_selectorILNS1_17partition_subalgoE8EbNS0_10empty_typeEbEEZZNS1_14partition_implILS5_8ELb0ES3_jN6hipcub16HIPCUB_304000_NS22TransformInputIteratorIbN2at6native8internal12_GLOBAL__N_110LoadBoolOpEPKhlEEPS6_PKS6_NS0_5tupleIJPbS6_EEENSN_IJSK_SK_EEENS0_18inequality_wrapperINSA_8EqualityEEEPlJS6_EEE10hipError_tPvRmT3_T4_T5_T6_T7_T9_mT8_P12ihipStream_tbDpT10_ENKUlT_T0_E_clISt17integral_constantIbLb1EES1D_IbLb0EEEEDaS19_S1A_EUlS19_E_NS1_11comp_targetILNS1_3genE3ELNS1_11target_archE908ELNS1_3gpuE7ELNS1_3repE0EEENS1_30default_config_static_selectorELNS0_4arch9wavefront6targetE1EEEvT1_,@function
_ZN7rocprim17ROCPRIM_400000_NS6detail17trampoline_kernelINS0_14default_configENS1_25partition_config_selectorILNS1_17partition_subalgoE8EbNS0_10empty_typeEbEEZZNS1_14partition_implILS5_8ELb0ES3_jN6hipcub16HIPCUB_304000_NS22TransformInputIteratorIbN2at6native8internal12_GLOBAL__N_110LoadBoolOpEPKhlEEPS6_PKS6_NS0_5tupleIJPbS6_EEENSN_IJSK_SK_EEENS0_18inequality_wrapperINSA_8EqualityEEEPlJS6_EEE10hipError_tPvRmT3_T4_T5_T6_T7_T9_mT8_P12ihipStream_tbDpT10_ENKUlT_T0_E_clISt17integral_constantIbLb1EES1D_IbLb0EEEEDaS19_S1A_EUlS19_E_NS1_11comp_targetILNS1_3genE3ELNS1_11target_archE908ELNS1_3gpuE7ELNS1_3repE0EEENS1_30default_config_static_selectorELNS0_4arch9wavefront6targetE1EEEvT1_: ; @_ZN7rocprim17ROCPRIM_400000_NS6detail17trampoline_kernelINS0_14default_configENS1_25partition_config_selectorILNS1_17partition_subalgoE8EbNS0_10empty_typeEbEEZZNS1_14partition_implILS5_8ELb0ES3_jN6hipcub16HIPCUB_304000_NS22TransformInputIteratorIbN2at6native8internal12_GLOBAL__N_110LoadBoolOpEPKhlEEPS6_PKS6_NS0_5tupleIJPbS6_EEENSN_IJSK_SK_EEENS0_18inequality_wrapperINSA_8EqualityEEEPlJS6_EEE10hipError_tPvRmT3_T4_T5_T6_T7_T9_mT8_P12ihipStream_tbDpT10_ENKUlT_T0_E_clISt17integral_constantIbLb1EES1D_IbLb0EEEEDaS19_S1A_EUlS19_E_NS1_11comp_targetILNS1_3genE3ELNS1_11target_archE908ELNS1_3gpuE7ELNS1_3repE0EEENS1_30default_config_static_selectorELNS0_4arch9wavefront6targetE1EEEvT1_
; %bb.0:
	.section	.rodata,"a",@progbits
	.p2align	6, 0x0
	.amdhsa_kernel _ZN7rocprim17ROCPRIM_400000_NS6detail17trampoline_kernelINS0_14default_configENS1_25partition_config_selectorILNS1_17partition_subalgoE8EbNS0_10empty_typeEbEEZZNS1_14partition_implILS5_8ELb0ES3_jN6hipcub16HIPCUB_304000_NS22TransformInputIteratorIbN2at6native8internal12_GLOBAL__N_110LoadBoolOpEPKhlEEPS6_PKS6_NS0_5tupleIJPbS6_EEENSN_IJSK_SK_EEENS0_18inequality_wrapperINSA_8EqualityEEEPlJS6_EEE10hipError_tPvRmT3_T4_T5_T6_T7_T9_mT8_P12ihipStream_tbDpT10_ENKUlT_T0_E_clISt17integral_constantIbLb1EES1D_IbLb0EEEEDaS19_S1A_EUlS19_E_NS1_11comp_targetILNS1_3genE3ELNS1_11target_archE908ELNS1_3gpuE7ELNS1_3repE0EEENS1_30default_config_static_selectorELNS0_4arch9wavefront6targetE1EEEvT1_
		.amdhsa_group_segment_fixed_size 0
		.amdhsa_private_segment_fixed_size 0
		.amdhsa_kernarg_size 120
		.amdhsa_user_sgpr_count 6
		.amdhsa_user_sgpr_private_segment_buffer 1
		.amdhsa_user_sgpr_dispatch_ptr 0
		.amdhsa_user_sgpr_queue_ptr 0
		.amdhsa_user_sgpr_kernarg_segment_ptr 1
		.amdhsa_user_sgpr_dispatch_id 0
		.amdhsa_user_sgpr_flat_scratch_init 0
		.amdhsa_user_sgpr_kernarg_preload_length 0
		.amdhsa_user_sgpr_kernarg_preload_offset 0
		.amdhsa_user_sgpr_private_segment_size 0
		.amdhsa_uses_dynamic_stack 0
		.amdhsa_system_sgpr_private_segment_wavefront_offset 0
		.amdhsa_system_sgpr_workgroup_id_x 1
		.amdhsa_system_sgpr_workgroup_id_y 0
		.amdhsa_system_sgpr_workgroup_id_z 0
		.amdhsa_system_sgpr_workgroup_info 0
		.amdhsa_system_vgpr_workitem_id 0
		.amdhsa_next_free_vgpr 1
		.amdhsa_next_free_sgpr 0
		.amdhsa_accum_offset 4
		.amdhsa_reserve_vcc 0
		.amdhsa_reserve_flat_scratch 0
		.amdhsa_float_round_mode_32 0
		.amdhsa_float_round_mode_16_64 0
		.amdhsa_float_denorm_mode_32 3
		.amdhsa_float_denorm_mode_16_64 3
		.amdhsa_dx10_clamp 1
		.amdhsa_ieee_mode 1
		.amdhsa_fp16_overflow 0
		.amdhsa_tg_split 0
		.amdhsa_exception_fp_ieee_invalid_op 0
		.amdhsa_exception_fp_denorm_src 0
		.amdhsa_exception_fp_ieee_div_zero 0
		.amdhsa_exception_fp_ieee_overflow 0
		.amdhsa_exception_fp_ieee_underflow 0
		.amdhsa_exception_fp_ieee_inexact 0
		.amdhsa_exception_int_div_zero 0
	.end_amdhsa_kernel
	.section	.text._ZN7rocprim17ROCPRIM_400000_NS6detail17trampoline_kernelINS0_14default_configENS1_25partition_config_selectorILNS1_17partition_subalgoE8EbNS0_10empty_typeEbEEZZNS1_14partition_implILS5_8ELb0ES3_jN6hipcub16HIPCUB_304000_NS22TransformInputIteratorIbN2at6native8internal12_GLOBAL__N_110LoadBoolOpEPKhlEEPS6_PKS6_NS0_5tupleIJPbS6_EEENSN_IJSK_SK_EEENS0_18inequality_wrapperINSA_8EqualityEEEPlJS6_EEE10hipError_tPvRmT3_T4_T5_T6_T7_T9_mT8_P12ihipStream_tbDpT10_ENKUlT_T0_E_clISt17integral_constantIbLb1EES1D_IbLb0EEEEDaS19_S1A_EUlS19_E_NS1_11comp_targetILNS1_3genE3ELNS1_11target_archE908ELNS1_3gpuE7ELNS1_3repE0EEENS1_30default_config_static_selectorELNS0_4arch9wavefront6targetE1EEEvT1_,"axG",@progbits,_ZN7rocprim17ROCPRIM_400000_NS6detail17trampoline_kernelINS0_14default_configENS1_25partition_config_selectorILNS1_17partition_subalgoE8EbNS0_10empty_typeEbEEZZNS1_14partition_implILS5_8ELb0ES3_jN6hipcub16HIPCUB_304000_NS22TransformInputIteratorIbN2at6native8internal12_GLOBAL__N_110LoadBoolOpEPKhlEEPS6_PKS6_NS0_5tupleIJPbS6_EEENSN_IJSK_SK_EEENS0_18inequality_wrapperINSA_8EqualityEEEPlJS6_EEE10hipError_tPvRmT3_T4_T5_T6_T7_T9_mT8_P12ihipStream_tbDpT10_ENKUlT_T0_E_clISt17integral_constantIbLb1EES1D_IbLb0EEEEDaS19_S1A_EUlS19_E_NS1_11comp_targetILNS1_3genE3ELNS1_11target_archE908ELNS1_3gpuE7ELNS1_3repE0EEENS1_30default_config_static_selectorELNS0_4arch9wavefront6targetE1EEEvT1_,comdat
.Lfunc_end34:
	.size	_ZN7rocprim17ROCPRIM_400000_NS6detail17trampoline_kernelINS0_14default_configENS1_25partition_config_selectorILNS1_17partition_subalgoE8EbNS0_10empty_typeEbEEZZNS1_14partition_implILS5_8ELb0ES3_jN6hipcub16HIPCUB_304000_NS22TransformInputIteratorIbN2at6native8internal12_GLOBAL__N_110LoadBoolOpEPKhlEEPS6_PKS6_NS0_5tupleIJPbS6_EEENSN_IJSK_SK_EEENS0_18inequality_wrapperINSA_8EqualityEEEPlJS6_EEE10hipError_tPvRmT3_T4_T5_T6_T7_T9_mT8_P12ihipStream_tbDpT10_ENKUlT_T0_E_clISt17integral_constantIbLb1EES1D_IbLb0EEEEDaS19_S1A_EUlS19_E_NS1_11comp_targetILNS1_3genE3ELNS1_11target_archE908ELNS1_3gpuE7ELNS1_3repE0EEENS1_30default_config_static_selectorELNS0_4arch9wavefront6targetE1EEEvT1_, .Lfunc_end34-_ZN7rocprim17ROCPRIM_400000_NS6detail17trampoline_kernelINS0_14default_configENS1_25partition_config_selectorILNS1_17partition_subalgoE8EbNS0_10empty_typeEbEEZZNS1_14partition_implILS5_8ELb0ES3_jN6hipcub16HIPCUB_304000_NS22TransformInputIteratorIbN2at6native8internal12_GLOBAL__N_110LoadBoolOpEPKhlEEPS6_PKS6_NS0_5tupleIJPbS6_EEENSN_IJSK_SK_EEENS0_18inequality_wrapperINSA_8EqualityEEEPlJS6_EEE10hipError_tPvRmT3_T4_T5_T6_T7_T9_mT8_P12ihipStream_tbDpT10_ENKUlT_T0_E_clISt17integral_constantIbLb1EES1D_IbLb0EEEEDaS19_S1A_EUlS19_E_NS1_11comp_targetILNS1_3genE3ELNS1_11target_archE908ELNS1_3gpuE7ELNS1_3repE0EEENS1_30default_config_static_selectorELNS0_4arch9wavefront6targetE1EEEvT1_
                                        ; -- End function
	.section	.AMDGPU.csdata,"",@progbits
; Kernel info:
; codeLenInByte = 0
; NumSgprs: 4
; NumVgprs: 0
; NumAgprs: 0
; TotalNumVgprs: 0
; ScratchSize: 0
; MemoryBound: 0
; FloatMode: 240
; IeeeMode: 1
; LDSByteSize: 0 bytes/workgroup (compile time only)
; SGPRBlocks: 0
; VGPRBlocks: 0
; NumSGPRsForWavesPerEU: 4
; NumVGPRsForWavesPerEU: 1
; AccumOffset: 4
; Occupancy: 8
; WaveLimiterHint : 0
; COMPUTE_PGM_RSRC2:SCRATCH_EN: 0
; COMPUTE_PGM_RSRC2:USER_SGPR: 6
; COMPUTE_PGM_RSRC2:TRAP_HANDLER: 0
; COMPUTE_PGM_RSRC2:TGID_X_EN: 1
; COMPUTE_PGM_RSRC2:TGID_Y_EN: 0
; COMPUTE_PGM_RSRC2:TGID_Z_EN: 0
; COMPUTE_PGM_RSRC2:TIDIG_COMP_CNT: 0
; COMPUTE_PGM_RSRC3_GFX90A:ACCUM_OFFSET: 0
; COMPUTE_PGM_RSRC3_GFX90A:TG_SPLIT: 0
	.section	.text._ZN7rocprim17ROCPRIM_400000_NS6detail17trampoline_kernelINS0_14default_configENS1_25partition_config_selectorILNS1_17partition_subalgoE8EbNS0_10empty_typeEbEEZZNS1_14partition_implILS5_8ELb0ES3_jN6hipcub16HIPCUB_304000_NS22TransformInputIteratorIbN2at6native8internal12_GLOBAL__N_110LoadBoolOpEPKhlEEPS6_PKS6_NS0_5tupleIJPbS6_EEENSN_IJSK_SK_EEENS0_18inequality_wrapperINSA_8EqualityEEEPlJS6_EEE10hipError_tPvRmT3_T4_T5_T6_T7_T9_mT8_P12ihipStream_tbDpT10_ENKUlT_T0_E_clISt17integral_constantIbLb1EES1D_IbLb0EEEEDaS19_S1A_EUlS19_E_NS1_11comp_targetILNS1_3genE2ELNS1_11target_archE906ELNS1_3gpuE6ELNS1_3repE0EEENS1_30default_config_static_selectorELNS0_4arch9wavefront6targetE1EEEvT1_,"axG",@progbits,_ZN7rocprim17ROCPRIM_400000_NS6detail17trampoline_kernelINS0_14default_configENS1_25partition_config_selectorILNS1_17partition_subalgoE8EbNS0_10empty_typeEbEEZZNS1_14partition_implILS5_8ELb0ES3_jN6hipcub16HIPCUB_304000_NS22TransformInputIteratorIbN2at6native8internal12_GLOBAL__N_110LoadBoolOpEPKhlEEPS6_PKS6_NS0_5tupleIJPbS6_EEENSN_IJSK_SK_EEENS0_18inequality_wrapperINSA_8EqualityEEEPlJS6_EEE10hipError_tPvRmT3_T4_T5_T6_T7_T9_mT8_P12ihipStream_tbDpT10_ENKUlT_T0_E_clISt17integral_constantIbLb1EES1D_IbLb0EEEEDaS19_S1A_EUlS19_E_NS1_11comp_targetILNS1_3genE2ELNS1_11target_archE906ELNS1_3gpuE6ELNS1_3repE0EEENS1_30default_config_static_selectorELNS0_4arch9wavefront6targetE1EEEvT1_,comdat
	.globl	_ZN7rocprim17ROCPRIM_400000_NS6detail17trampoline_kernelINS0_14default_configENS1_25partition_config_selectorILNS1_17partition_subalgoE8EbNS0_10empty_typeEbEEZZNS1_14partition_implILS5_8ELb0ES3_jN6hipcub16HIPCUB_304000_NS22TransformInputIteratorIbN2at6native8internal12_GLOBAL__N_110LoadBoolOpEPKhlEEPS6_PKS6_NS0_5tupleIJPbS6_EEENSN_IJSK_SK_EEENS0_18inequality_wrapperINSA_8EqualityEEEPlJS6_EEE10hipError_tPvRmT3_T4_T5_T6_T7_T9_mT8_P12ihipStream_tbDpT10_ENKUlT_T0_E_clISt17integral_constantIbLb1EES1D_IbLb0EEEEDaS19_S1A_EUlS19_E_NS1_11comp_targetILNS1_3genE2ELNS1_11target_archE906ELNS1_3gpuE6ELNS1_3repE0EEENS1_30default_config_static_selectorELNS0_4arch9wavefront6targetE1EEEvT1_ ; -- Begin function _ZN7rocprim17ROCPRIM_400000_NS6detail17trampoline_kernelINS0_14default_configENS1_25partition_config_selectorILNS1_17partition_subalgoE8EbNS0_10empty_typeEbEEZZNS1_14partition_implILS5_8ELb0ES3_jN6hipcub16HIPCUB_304000_NS22TransformInputIteratorIbN2at6native8internal12_GLOBAL__N_110LoadBoolOpEPKhlEEPS6_PKS6_NS0_5tupleIJPbS6_EEENSN_IJSK_SK_EEENS0_18inequality_wrapperINSA_8EqualityEEEPlJS6_EEE10hipError_tPvRmT3_T4_T5_T6_T7_T9_mT8_P12ihipStream_tbDpT10_ENKUlT_T0_E_clISt17integral_constantIbLb1EES1D_IbLb0EEEEDaS19_S1A_EUlS19_E_NS1_11comp_targetILNS1_3genE2ELNS1_11target_archE906ELNS1_3gpuE6ELNS1_3repE0EEENS1_30default_config_static_selectorELNS0_4arch9wavefront6targetE1EEEvT1_
	.p2align	8
	.type	_ZN7rocprim17ROCPRIM_400000_NS6detail17trampoline_kernelINS0_14default_configENS1_25partition_config_selectorILNS1_17partition_subalgoE8EbNS0_10empty_typeEbEEZZNS1_14partition_implILS5_8ELb0ES3_jN6hipcub16HIPCUB_304000_NS22TransformInputIteratorIbN2at6native8internal12_GLOBAL__N_110LoadBoolOpEPKhlEEPS6_PKS6_NS0_5tupleIJPbS6_EEENSN_IJSK_SK_EEENS0_18inequality_wrapperINSA_8EqualityEEEPlJS6_EEE10hipError_tPvRmT3_T4_T5_T6_T7_T9_mT8_P12ihipStream_tbDpT10_ENKUlT_T0_E_clISt17integral_constantIbLb1EES1D_IbLb0EEEEDaS19_S1A_EUlS19_E_NS1_11comp_targetILNS1_3genE2ELNS1_11target_archE906ELNS1_3gpuE6ELNS1_3repE0EEENS1_30default_config_static_selectorELNS0_4arch9wavefront6targetE1EEEvT1_,@function
_ZN7rocprim17ROCPRIM_400000_NS6detail17trampoline_kernelINS0_14default_configENS1_25partition_config_selectorILNS1_17partition_subalgoE8EbNS0_10empty_typeEbEEZZNS1_14partition_implILS5_8ELb0ES3_jN6hipcub16HIPCUB_304000_NS22TransformInputIteratorIbN2at6native8internal12_GLOBAL__N_110LoadBoolOpEPKhlEEPS6_PKS6_NS0_5tupleIJPbS6_EEENSN_IJSK_SK_EEENS0_18inequality_wrapperINSA_8EqualityEEEPlJS6_EEE10hipError_tPvRmT3_T4_T5_T6_T7_T9_mT8_P12ihipStream_tbDpT10_ENKUlT_T0_E_clISt17integral_constantIbLb1EES1D_IbLb0EEEEDaS19_S1A_EUlS19_E_NS1_11comp_targetILNS1_3genE2ELNS1_11target_archE906ELNS1_3gpuE6ELNS1_3repE0EEENS1_30default_config_static_selectorELNS0_4arch9wavefront6targetE1EEEvT1_: ; @_ZN7rocprim17ROCPRIM_400000_NS6detail17trampoline_kernelINS0_14default_configENS1_25partition_config_selectorILNS1_17partition_subalgoE8EbNS0_10empty_typeEbEEZZNS1_14partition_implILS5_8ELb0ES3_jN6hipcub16HIPCUB_304000_NS22TransformInputIteratorIbN2at6native8internal12_GLOBAL__N_110LoadBoolOpEPKhlEEPS6_PKS6_NS0_5tupleIJPbS6_EEENSN_IJSK_SK_EEENS0_18inequality_wrapperINSA_8EqualityEEEPlJS6_EEE10hipError_tPvRmT3_T4_T5_T6_T7_T9_mT8_P12ihipStream_tbDpT10_ENKUlT_T0_E_clISt17integral_constantIbLb1EES1D_IbLb0EEEEDaS19_S1A_EUlS19_E_NS1_11comp_targetILNS1_3genE2ELNS1_11target_archE906ELNS1_3gpuE6ELNS1_3repE0EEENS1_30default_config_static_selectorELNS0_4arch9wavefront6targetE1EEEvT1_
; %bb.0:
	.section	.rodata,"a",@progbits
	.p2align	6, 0x0
	.amdhsa_kernel _ZN7rocprim17ROCPRIM_400000_NS6detail17trampoline_kernelINS0_14default_configENS1_25partition_config_selectorILNS1_17partition_subalgoE8EbNS0_10empty_typeEbEEZZNS1_14partition_implILS5_8ELb0ES3_jN6hipcub16HIPCUB_304000_NS22TransformInputIteratorIbN2at6native8internal12_GLOBAL__N_110LoadBoolOpEPKhlEEPS6_PKS6_NS0_5tupleIJPbS6_EEENSN_IJSK_SK_EEENS0_18inequality_wrapperINSA_8EqualityEEEPlJS6_EEE10hipError_tPvRmT3_T4_T5_T6_T7_T9_mT8_P12ihipStream_tbDpT10_ENKUlT_T0_E_clISt17integral_constantIbLb1EES1D_IbLb0EEEEDaS19_S1A_EUlS19_E_NS1_11comp_targetILNS1_3genE2ELNS1_11target_archE906ELNS1_3gpuE6ELNS1_3repE0EEENS1_30default_config_static_selectorELNS0_4arch9wavefront6targetE1EEEvT1_
		.amdhsa_group_segment_fixed_size 0
		.amdhsa_private_segment_fixed_size 0
		.amdhsa_kernarg_size 120
		.amdhsa_user_sgpr_count 6
		.amdhsa_user_sgpr_private_segment_buffer 1
		.amdhsa_user_sgpr_dispatch_ptr 0
		.amdhsa_user_sgpr_queue_ptr 0
		.amdhsa_user_sgpr_kernarg_segment_ptr 1
		.amdhsa_user_sgpr_dispatch_id 0
		.amdhsa_user_sgpr_flat_scratch_init 0
		.amdhsa_user_sgpr_kernarg_preload_length 0
		.amdhsa_user_sgpr_kernarg_preload_offset 0
		.amdhsa_user_sgpr_private_segment_size 0
		.amdhsa_uses_dynamic_stack 0
		.amdhsa_system_sgpr_private_segment_wavefront_offset 0
		.amdhsa_system_sgpr_workgroup_id_x 1
		.amdhsa_system_sgpr_workgroup_id_y 0
		.amdhsa_system_sgpr_workgroup_id_z 0
		.amdhsa_system_sgpr_workgroup_info 0
		.amdhsa_system_vgpr_workitem_id 0
		.amdhsa_next_free_vgpr 1
		.amdhsa_next_free_sgpr 0
		.amdhsa_accum_offset 4
		.amdhsa_reserve_vcc 0
		.amdhsa_reserve_flat_scratch 0
		.amdhsa_float_round_mode_32 0
		.amdhsa_float_round_mode_16_64 0
		.amdhsa_float_denorm_mode_32 3
		.amdhsa_float_denorm_mode_16_64 3
		.amdhsa_dx10_clamp 1
		.amdhsa_ieee_mode 1
		.amdhsa_fp16_overflow 0
		.amdhsa_tg_split 0
		.amdhsa_exception_fp_ieee_invalid_op 0
		.amdhsa_exception_fp_denorm_src 0
		.amdhsa_exception_fp_ieee_div_zero 0
		.amdhsa_exception_fp_ieee_overflow 0
		.amdhsa_exception_fp_ieee_underflow 0
		.amdhsa_exception_fp_ieee_inexact 0
		.amdhsa_exception_int_div_zero 0
	.end_amdhsa_kernel
	.section	.text._ZN7rocprim17ROCPRIM_400000_NS6detail17trampoline_kernelINS0_14default_configENS1_25partition_config_selectorILNS1_17partition_subalgoE8EbNS0_10empty_typeEbEEZZNS1_14partition_implILS5_8ELb0ES3_jN6hipcub16HIPCUB_304000_NS22TransformInputIteratorIbN2at6native8internal12_GLOBAL__N_110LoadBoolOpEPKhlEEPS6_PKS6_NS0_5tupleIJPbS6_EEENSN_IJSK_SK_EEENS0_18inequality_wrapperINSA_8EqualityEEEPlJS6_EEE10hipError_tPvRmT3_T4_T5_T6_T7_T9_mT8_P12ihipStream_tbDpT10_ENKUlT_T0_E_clISt17integral_constantIbLb1EES1D_IbLb0EEEEDaS19_S1A_EUlS19_E_NS1_11comp_targetILNS1_3genE2ELNS1_11target_archE906ELNS1_3gpuE6ELNS1_3repE0EEENS1_30default_config_static_selectorELNS0_4arch9wavefront6targetE1EEEvT1_,"axG",@progbits,_ZN7rocprim17ROCPRIM_400000_NS6detail17trampoline_kernelINS0_14default_configENS1_25partition_config_selectorILNS1_17partition_subalgoE8EbNS0_10empty_typeEbEEZZNS1_14partition_implILS5_8ELb0ES3_jN6hipcub16HIPCUB_304000_NS22TransformInputIteratorIbN2at6native8internal12_GLOBAL__N_110LoadBoolOpEPKhlEEPS6_PKS6_NS0_5tupleIJPbS6_EEENSN_IJSK_SK_EEENS0_18inequality_wrapperINSA_8EqualityEEEPlJS6_EEE10hipError_tPvRmT3_T4_T5_T6_T7_T9_mT8_P12ihipStream_tbDpT10_ENKUlT_T0_E_clISt17integral_constantIbLb1EES1D_IbLb0EEEEDaS19_S1A_EUlS19_E_NS1_11comp_targetILNS1_3genE2ELNS1_11target_archE906ELNS1_3gpuE6ELNS1_3repE0EEENS1_30default_config_static_selectorELNS0_4arch9wavefront6targetE1EEEvT1_,comdat
.Lfunc_end35:
	.size	_ZN7rocprim17ROCPRIM_400000_NS6detail17trampoline_kernelINS0_14default_configENS1_25partition_config_selectorILNS1_17partition_subalgoE8EbNS0_10empty_typeEbEEZZNS1_14partition_implILS5_8ELb0ES3_jN6hipcub16HIPCUB_304000_NS22TransformInputIteratorIbN2at6native8internal12_GLOBAL__N_110LoadBoolOpEPKhlEEPS6_PKS6_NS0_5tupleIJPbS6_EEENSN_IJSK_SK_EEENS0_18inequality_wrapperINSA_8EqualityEEEPlJS6_EEE10hipError_tPvRmT3_T4_T5_T6_T7_T9_mT8_P12ihipStream_tbDpT10_ENKUlT_T0_E_clISt17integral_constantIbLb1EES1D_IbLb0EEEEDaS19_S1A_EUlS19_E_NS1_11comp_targetILNS1_3genE2ELNS1_11target_archE906ELNS1_3gpuE6ELNS1_3repE0EEENS1_30default_config_static_selectorELNS0_4arch9wavefront6targetE1EEEvT1_, .Lfunc_end35-_ZN7rocprim17ROCPRIM_400000_NS6detail17trampoline_kernelINS0_14default_configENS1_25partition_config_selectorILNS1_17partition_subalgoE8EbNS0_10empty_typeEbEEZZNS1_14partition_implILS5_8ELb0ES3_jN6hipcub16HIPCUB_304000_NS22TransformInputIteratorIbN2at6native8internal12_GLOBAL__N_110LoadBoolOpEPKhlEEPS6_PKS6_NS0_5tupleIJPbS6_EEENSN_IJSK_SK_EEENS0_18inequality_wrapperINSA_8EqualityEEEPlJS6_EEE10hipError_tPvRmT3_T4_T5_T6_T7_T9_mT8_P12ihipStream_tbDpT10_ENKUlT_T0_E_clISt17integral_constantIbLb1EES1D_IbLb0EEEEDaS19_S1A_EUlS19_E_NS1_11comp_targetILNS1_3genE2ELNS1_11target_archE906ELNS1_3gpuE6ELNS1_3repE0EEENS1_30default_config_static_selectorELNS0_4arch9wavefront6targetE1EEEvT1_
                                        ; -- End function
	.section	.AMDGPU.csdata,"",@progbits
; Kernel info:
; codeLenInByte = 0
; NumSgprs: 4
; NumVgprs: 0
; NumAgprs: 0
; TotalNumVgprs: 0
; ScratchSize: 0
; MemoryBound: 0
; FloatMode: 240
; IeeeMode: 1
; LDSByteSize: 0 bytes/workgroup (compile time only)
; SGPRBlocks: 0
; VGPRBlocks: 0
; NumSGPRsForWavesPerEU: 4
; NumVGPRsForWavesPerEU: 1
; AccumOffset: 4
; Occupancy: 8
; WaveLimiterHint : 0
; COMPUTE_PGM_RSRC2:SCRATCH_EN: 0
; COMPUTE_PGM_RSRC2:USER_SGPR: 6
; COMPUTE_PGM_RSRC2:TRAP_HANDLER: 0
; COMPUTE_PGM_RSRC2:TGID_X_EN: 1
; COMPUTE_PGM_RSRC2:TGID_Y_EN: 0
; COMPUTE_PGM_RSRC2:TGID_Z_EN: 0
; COMPUTE_PGM_RSRC2:TIDIG_COMP_CNT: 0
; COMPUTE_PGM_RSRC3_GFX90A:ACCUM_OFFSET: 0
; COMPUTE_PGM_RSRC3_GFX90A:TG_SPLIT: 0
	.section	.text._ZN7rocprim17ROCPRIM_400000_NS6detail17trampoline_kernelINS0_14default_configENS1_25partition_config_selectorILNS1_17partition_subalgoE8EbNS0_10empty_typeEbEEZZNS1_14partition_implILS5_8ELb0ES3_jN6hipcub16HIPCUB_304000_NS22TransformInputIteratorIbN2at6native8internal12_GLOBAL__N_110LoadBoolOpEPKhlEEPS6_PKS6_NS0_5tupleIJPbS6_EEENSN_IJSK_SK_EEENS0_18inequality_wrapperINSA_8EqualityEEEPlJS6_EEE10hipError_tPvRmT3_T4_T5_T6_T7_T9_mT8_P12ihipStream_tbDpT10_ENKUlT_T0_E_clISt17integral_constantIbLb1EES1D_IbLb0EEEEDaS19_S1A_EUlS19_E_NS1_11comp_targetILNS1_3genE10ELNS1_11target_archE1200ELNS1_3gpuE4ELNS1_3repE0EEENS1_30default_config_static_selectorELNS0_4arch9wavefront6targetE1EEEvT1_,"axG",@progbits,_ZN7rocprim17ROCPRIM_400000_NS6detail17trampoline_kernelINS0_14default_configENS1_25partition_config_selectorILNS1_17partition_subalgoE8EbNS0_10empty_typeEbEEZZNS1_14partition_implILS5_8ELb0ES3_jN6hipcub16HIPCUB_304000_NS22TransformInputIteratorIbN2at6native8internal12_GLOBAL__N_110LoadBoolOpEPKhlEEPS6_PKS6_NS0_5tupleIJPbS6_EEENSN_IJSK_SK_EEENS0_18inequality_wrapperINSA_8EqualityEEEPlJS6_EEE10hipError_tPvRmT3_T4_T5_T6_T7_T9_mT8_P12ihipStream_tbDpT10_ENKUlT_T0_E_clISt17integral_constantIbLb1EES1D_IbLb0EEEEDaS19_S1A_EUlS19_E_NS1_11comp_targetILNS1_3genE10ELNS1_11target_archE1200ELNS1_3gpuE4ELNS1_3repE0EEENS1_30default_config_static_selectorELNS0_4arch9wavefront6targetE1EEEvT1_,comdat
	.globl	_ZN7rocprim17ROCPRIM_400000_NS6detail17trampoline_kernelINS0_14default_configENS1_25partition_config_selectorILNS1_17partition_subalgoE8EbNS0_10empty_typeEbEEZZNS1_14partition_implILS5_8ELb0ES3_jN6hipcub16HIPCUB_304000_NS22TransformInputIteratorIbN2at6native8internal12_GLOBAL__N_110LoadBoolOpEPKhlEEPS6_PKS6_NS0_5tupleIJPbS6_EEENSN_IJSK_SK_EEENS0_18inequality_wrapperINSA_8EqualityEEEPlJS6_EEE10hipError_tPvRmT3_T4_T5_T6_T7_T9_mT8_P12ihipStream_tbDpT10_ENKUlT_T0_E_clISt17integral_constantIbLb1EES1D_IbLb0EEEEDaS19_S1A_EUlS19_E_NS1_11comp_targetILNS1_3genE10ELNS1_11target_archE1200ELNS1_3gpuE4ELNS1_3repE0EEENS1_30default_config_static_selectorELNS0_4arch9wavefront6targetE1EEEvT1_ ; -- Begin function _ZN7rocprim17ROCPRIM_400000_NS6detail17trampoline_kernelINS0_14default_configENS1_25partition_config_selectorILNS1_17partition_subalgoE8EbNS0_10empty_typeEbEEZZNS1_14partition_implILS5_8ELb0ES3_jN6hipcub16HIPCUB_304000_NS22TransformInputIteratorIbN2at6native8internal12_GLOBAL__N_110LoadBoolOpEPKhlEEPS6_PKS6_NS0_5tupleIJPbS6_EEENSN_IJSK_SK_EEENS0_18inequality_wrapperINSA_8EqualityEEEPlJS6_EEE10hipError_tPvRmT3_T4_T5_T6_T7_T9_mT8_P12ihipStream_tbDpT10_ENKUlT_T0_E_clISt17integral_constantIbLb1EES1D_IbLb0EEEEDaS19_S1A_EUlS19_E_NS1_11comp_targetILNS1_3genE10ELNS1_11target_archE1200ELNS1_3gpuE4ELNS1_3repE0EEENS1_30default_config_static_selectorELNS0_4arch9wavefront6targetE1EEEvT1_
	.p2align	8
	.type	_ZN7rocprim17ROCPRIM_400000_NS6detail17trampoline_kernelINS0_14default_configENS1_25partition_config_selectorILNS1_17partition_subalgoE8EbNS0_10empty_typeEbEEZZNS1_14partition_implILS5_8ELb0ES3_jN6hipcub16HIPCUB_304000_NS22TransformInputIteratorIbN2at6native8internal12_GLOBAL__N_110LoadBoolOpEPKhlEEPS6_PKS6_NS0_5tupleIJPbS6_EEENSN_IJSK_SK_EEENS0_18inequality_wrapperINSA_8EqualityEEEPlJS6_EEE10hipError_tPvRmT3_T4_T5_T6_T7_T9_mT8_P12ihipStream_tbDpT10_ENKUlT_T0_E_clISt17integral_constantIbLb1EES1D_IbLb0EEEEDaS19_S1A_EUlS19_E_NS1_11comp_targetILNS1_3genE10ELNS1_11target_archE1200ELNS1_3gpuE4ELNS1_3repE0EEENS1_30default_config_static_selectorELNS0_4arch9wavefront6targetE1EEEvT1_,@function
_ZN7rocprim17ROCPRIM_400000_NS6detail17trampoline_kernelINS0_14default_configENS1_25partition_config_selectorILNS1_17partition_subalgoE8EbNS0_10empty_typeEbEEZZNS1_14partition_implILS5_8ELb0ES3_jN6hipcub16HIPCUB_304000_NS22TransformInputIteratorIbN2at6native8internal12_GLOBAL__N_110LoadBoolOpEPKhlEEPS6_PKS6_NS0_5tupleIJPbS6_EEENSN_IJSK_SK_EEENS0_18inequality_wrapperINSA_8EqualityEEEPlJS6_EEE10hipError_tPvRmT3_T4_T5_T6_T7_T9_mT8_P12ihipStream_tbDpT10_ENKUlT_T0_E_clISt17integral_constantIbLb1EES1D_IbLb0EEEEDaS19_S1A_EUlS19_E_NS1_11comp_targetILNS1_3genE10ELNS1_11target_archE1200ELNS1_3gpuE4ELNS1_3repE0EEENS1_30default_config_static_selectorELNS0_4arch9wavefront6targetE1EEEvT1_: ; @_ZN7rocprim17ROCPRIM_400000_NS6detail17trampoline_kernelINS0_14default_configENS1_25partition_config_selectorILNS1_17partition_subalgoE8EbNS0_10empty_typeEbEEZZNS1_14partition_implILS5_8ELb0ES3_jN6hipcub16HIPCUB_304000_NS22TransformInputIteratorIbN2at6native8internal12_GLOBAL__N_110LoadBoolOpEPKhlEEPS6_PKS6_NS0_5tupleIJPbS6_EEENSN_IJSK_SK_EEENS0_18inequality_wrapperINSA_8EqualityEEEPlJS6_EEE10hipError_tPvRmT3_T4_T5_T6_T7_T9_mT8_P12ihipStream_tbDpT10_ENKUlT_T0_E_clISt17integral_constantIbLb1EES1D_IbLb0EEEEDaS19_S1A_EUlS19_E_NS1_11comp_targetILNS1_3genE10ELNS1_11target_archE1200ELNS1_3gpuE4ELNS1_3repE0EEENS1_30default_config_static_selectorELNS0_4arch9wavefront6targetE1EEEvT1_
; %bb.0:
	.section	.rodata,"a",@progbits
	.p2align	6, 0x0
	.amdhsa_kernel _ZN7rocprim17ROCPRIM_400000_NS6detail17trampoline_kernelINS0_14default_configENS1_25partition_config_selectorILNS1_17partition_subalgoE8EbNS0_10empty_typeEbEEZZNS1_14partition_implILS5_8ELb0ES3_jN6hipcub16HIPCUB_304000_NS22TransformInputIteratorIbN2at6native8internal12_GLOBAL__N_110LoadBoolOpEPKhlEEPS6_PKS6_NS0_5tupleIJPbS6_EEENSN_IJSK_SK_EEENS0_18inequality_wrapperINSA_8EqualityEEEPlJS6_EEE10hipError_tPvRmT3_T4_T5_T6_T7_T9_mT8_P12ihipStream_tbDpT10_ENKUlT_T0_E_clISt17integral_constantIbLb1EES1D_IbLb0EEEEDaS19_S1A_EUlS19_E_NS1_11comp_targetILNS1_3genE10ELNS1_11target_archE1200ELNS1_3gpuE4ELNS1_3repE0EEENS1_30default_config_static_selectorELNS0_4arch9wavefront6targetE1EEEvT1_
		.amdhsa_group_segment_fixed_size 0
		.amdhsa_private_segment_fixed_size 0
		.amdhsa_kernarg_size 120
		.amdhsa_user_sgpr_count 6
		.amdhsa_user_sgpr_private_segment_buffer 1
		.amdhsa_user_sgpr_dispatch_ptr 0
		.amdhsa_user_sgpr_queue_ptr 0
		.amdhsa_user_sgpr_kernarg_segment_ptr 1
		.amdhsa_user_sgpr_dispatch_id 0
		.amdhsa_user_sgpr_flat_scratch_init 0
		.amdhsa_user_sgpr_kernarg_preload_length 0
		.amdhsa_user_sgpr_kernarg_preload_offset 0
		.amdhsa_user_sgpr_private_segment_size 0
		.amdhsa_uses_dynamic_stack 0
		.amdhsa_system_sgpr_private_segment_wavefront_offset 0
		.amdhsa_system_sgpr_workgroup_id_x 1
		.amdhsa_system_sgpr_workgroup_id_y 0
		.amdhsa_system_sgpr_workgroup_id_z 0
		.amdhsa_system_sgpr_workgroup_info 0
		.amdhsa_system_vgpr_workitem_id 0
		.amdhsa_next_free_vgpr 1
		.amdhsa_next_free_sgpr 0
		.amdhsa_accum_offset 4
		.amdhsa_reserve_vcc 0
		.amdhsa_reserve_flat_scratch 0
		.amdhsa_float_round_mode_32 0
		.amdhsa_float_round_mode_16_64 0
		.amdhsa_float_denorm_mode_32 3
		.amdhsa_float_denorm_mode_16_64 3
		.amdhsa_dx10_clamp 1
		.amdhsa_ieee_mode 1
		.amdhsa_fp16_overflow 0
		.amdhsa_tg_split 0
		.amdhsa_exception_fp_ieee_invalid_op 0
		.amdhsa_exception_fp_denorm_src 0
		.amdhsa_exception_fp_ieee_div_zero 0
		.amdhsa_exception_fp_ieee_overflow 0
		.amdhsa_exception_fp_ieee_underflow 0
		.amdhsa_exception_fp_ieee_inexact 0
		.amdhsa_exception_int_div_zero 0
	.end_amdhsa_kernel
	.section	.text._ZN7rocprim17ROCPRIM_400000_NS6detail17trampoline_kernelINS0_14default_configENS1_25partition_config_selectorILNS1_17partition_subalgoE8EbNS0_10empty_typeEbEEZZNS1_14partition_implILS5_8ELb0ES3_jN6hipcub16HIPCUB_304000_NS22TransformInputIteratorIbN2at6native8internal12_GLOBAL__N_110LoadBoolOpEPKhlEEPS6_PKS6_NS0_5tupleIJPbS6_EEENSN_IJSK_SK_EEENS0_18inequality_wrapperINSA_8EqualityEEEPlJS6_EEE10hipError_tPvRmT3_T4_T5_T6_T7_T9_mT8_P12ihipStream_tbDpT10_ENKUlT_T0_E_clISt17integral_constantIbLb1EES1D_IbLb0EEEEDaS19_S1A_EUlS19_E_NS1_11comp_targetILNS1_3genE10ELNS1_11target_archE1200ELNS1_3gpuE4ELNS1_3repE0EEENS1_30default_config_static_selectorELNS0_4arch9wavefront6targetE1EEEvT1_,"axG",@progbits,_ZN7rocprim17ROCPRIM_400000_NS6detail17trampoline_kernelINS0_14default_configENS1_25partition_config_selectorILNS1_17partition_subalgoE8EbNS0_10empty_typeEbEEZZNS1_14partition_implILS5_8ELb0ES3_jN6hipcub16HIPCUB_304000_NS22TransformInputIteratorIbN2at6native8internal12_GLOBAL__N_110LoadBoolOpEPKhlEEPS6_PKS6_NS0_5tupleIJPbS6_EEENSN_IJSK_SK_EEENS0_18inequality_wrapperINSA_8EqualityEEEPlJS6_EEE10hipError_tPvRmT3_T4_T5_T6_T7_T9_mT8_P12ihipStream_tbDpT10_ENKUlT_T0_E_clISt17integral_constantIbLb1EES1D_IbLb0EEEEDaS19_S1A_EUlS19_E_NS1_11comp_targetILNS1_3genE10ELNS1_11target_archE1200ELNS1_3gpuE4ELNS1_3repE0EEENS1_30default_config_static_selectorELNS0_4arch9wavefront6targetE1EEEvT1_,comdat
.Lfunc_end36:
	.size	_ZN7rocprim17ROCPRIM_400000_NS6detail17trampoline_kernelINS0_14default_configENS1_25partition_config_selectorILNS1_17partition_subalgoE8EbNS0_10empty_typeEbEEZZNS1_14partition_implILS5_8ELb0ES3_jN6hipcub16HIPCUB_304000_NS22TransformInputIteratorIbN2at6native8internal12_GLOBAL__N_110LoadBoolOpEPKhlEEPS6_PKS6_NS0_5tupleIJPbS6_EEENSN_IJSK_SK_EEENS0_18inequality_wrapperINSA_8EqualityEEEPlJS6_EEE10hipError_tPvRmT3_T4_T5_T6_T7_T9_mT8_P12ihipStream_tbDpT10_ENKUlT_T0_E_clISt17integral_constantIbLb1EES1D_IbLb0EEEEDaS19_S1A_EUlS19_E_NS1_11comp_targetILNS1_3genE10ELNS1_11target_archE1200ELNS1_3gpuE4ELNS1_3repE0EEENS1_30default_config_static_selectorELNS0_4arch9wavefront6targetE1EEEvT1_, .Lfunc_end36-_ZN7rocprim17ROCPRIM_400000_NS6detail17trampoline_kernelINS0_14default_configENS1_25partition_config_selectorILNS1_17partition_subalgoE8EbNS0_10empty_typeEbEEZZNS1_14partition_implILS5_8ELb0ES3_jN6hipcub16HIPCUB_304000_NS22TransformInputIteratorIbN2at6native8internal12_GLOBAL__N_110LoadBoolOpEPKhlEEPS6_PKS6_NS0_5tupleIJPbS6_EEENSN_IJSK_SK_EEENS0_18inequality_wrapperINSA_8EqualityEEEPlJS6_EEE10hipError_tPvRmT3_T4_T5_T6_T7_T9_mT8_P12ihipStream_tbDpT10_ENKUlT_T0_E_clISt17integral_constantIbLb1EES1D_IbLb0EEEEDaS19_S1A_EUlS19_E_NS1_11comp_targetILNS1_3genE10ELNS1_11target_archE1200ELNS1_3gpuE4ELNS1_3repE0EEENS1_30default_config_static_selectorELNS0_4arch9wavefront6targetE1EEEvT1_
                                        ; -- End function
	.section	.AMDGPU.csdata,"",@progbits
; Kernel info:
; codeLenInByte = 0
; NumSgprs: 4
; NumVgprs: 0
; NumAgprs: 0
; TotalNumVgprs: 0
; ScratchSize: 0
; MemoryBound: 0
; FloatMode: 240
; IeeeMode: 1
; LDSByteSize: 0 bytes/workgroup (compile time only)
; SGPRBlocks: 0
; VGPRBlocks: 0
; NumSGPRsForWavesPerEU: 4
; NumVGPRsForWavesPerEU: 1
; AccumOffset: 4
; Occupancy: 8
; WaveLimiterHint : 0
; COMPUTE_PGM_RSRC2:SCRATCH_EN: 0
; COMPUTE_PGM_RSRC2:USER_SGPR: 6
; COMPUTE_PGM_RSRC2:TRAP_HANDLER: 0
; COMPUTE_PGM_RSRC2:TGID_X_EN: 1
; COMPUTE_PGM_RSRC2:TGID_Y_EN: 0
; COMPUTE_PGM_RSRC2:TGID_Z_EN: 0
; COMPUTE_PGM_RSRC2:TIDIG_COMP_CNT: 0
; COMPUTE_PGM_RSRC3_GFX90A:ACCUM_OFFSET: 0
; COMPUTE_PGM_RSRC3_GFX90A:TG_SPLIT: 0
	.section	.text._ZN7rocprim17ROCPRIM_400000_NS6detail17trampoline_kernelINS0_14default_configENS1_25partition_config_selectorILNS1_17partition_subalgoE8EbNS0_10empty_typeEbEEZZNS1_14partition_implILS5_8ELb0ES3_jN6hipcub16HIPCUB_304000_NS22TransformInputIteratorIbN2at6native8internal12_GLOBAL__N_110LoadBoolOpEPKhlEEPS6_PKS6_NS0_5tupleIJPbS6_EEENSN_IJSK_SK_EEENS0_18inequality_wrapperINSA_8EqualityEEEPlJS6_EEE10hipError_tPvRmT3_T4_T5_T6_T7_T9_mT8_P12ihipStream_tbDpT10_ENKUlT_T0_E_clISt17integral_constantIbLb1EES1D_IbLb0EEEEDaS19_S1A_EUlS19_E_NS1_11comp_targetILNS1_3genE9ELNS1_11target_archE1100ELNS1_3gpuE3ELNS1_3repE0EEENS1_30default_config_static_selectorELNS0_4arch9wavefront6targetE1EEEvT1_,"axG",@progbits,_ZN7rocprim17ROCPRIM_400000_NS6detail17trampoline_kernelINS0_14default_configENS1_25partition_config_selectorILNS1_17partition_subalgoE8EbNS0_10empty_typeEbEEZZNS1_14partition_implILS5_8ELb0ES3_jN6hipcub16HIPCUB_304000_NS22TransformInputIteratorIbN2at6native8internal12_GLOBAL__N_110LoadBoolOpEPKhlEEPS6_PKS6_NS0_5tupleIJPbS6_EEENSN_IJSK_SK_EEENS0_18inequality_wrapperINSA_8EqualityEEEPlJS6_EEE10hipError_tPvRmT3_T4_T5_T6_T7_T9_mT8_P12ihipStream_tbDpT10_ENKUlT_T0_E_clISt17integral_constantIbLb1EES1D_IbLb0EEEEDaS19_S1A_EUlS19_E_NS1_11comp_targetILNS1_3genE9ELNS1_11target_archE1100ELNS1_3gpuE3ELNS1_3repE0EEENS1_30default_config_static_selectorELNS0_4arch9wavefront6targetE1EEEvT1_,comdat
	.globl	_ZN7rocprim17ROCPRIM_400000_NS6detail17trampoline_kernelINS0_14default_configENS1_25partition_config_selectorILNS1_17partition_subalgoE8EbNS0_10empty_typeEbEEZZNS1_14partition_implILS5_8ELb0ES3_jN6hipcub16HIPCUB_304000_NS22TransformInputIteratorIbN2at6native8internal12_GLOBAL__N_110LoadBoolOpEPKhlEEPS6_PKS6_NS0_5tupleIJPbS6_EEENSN_IJSK_SK_EEENS0_18inequality_wrapperINSA_8EqualityEEEPlJS6_EEE10hipError_tPvRmT3_T4_T5_T6_T7_T9_mT8_P12ihipStream_tbDpT10_ENKUlT_T0_E_clISt17integral_constantIbLb1EES1D_IbLb0EEEEDaS19_S1A_EUlS19_E_NS1_11comp_targetILNS1_3genE9ELNS1_11target_archE1100ELNS1_3gpuE3ELNS1_3repE0EEENS1_30default_config_static_selectorELNS0_4arch9wavefront6targetE1EEEvT1_ ; -- Begin function _ZN7rocprim17ROCPRIM_400000_NS6detail17trampoline_kernelINS0_14default_configENS1_25partition_config_selectorILNS1_17partition_subalgoE8EbNS0_10empty_typeEbEEZZNS1_14partition_implILS5_8ELb0ES3_jN6hipcub16HIPCUB_304000_NS22TransformInputIteratorIbN2at6native8internal12_GLOBAL__N_110LoadBoolOpEPKhlEEPS6_PKS6_NS0_5tupleIJPbS6_EEENSN_IJSK_SK_EEENS0_18inequality_wrapperINSA_8EqualityEEEPlJS6_EEE10hipError_tPvRmT3_T4_T5_T6_T7_T9_mT8_P12ihipStream_tbDpT10_ENKUlT_T0_E_clISt17integral_constantIbLb1EES1D_IbLb0EEEEDaS19_S1A_EUlS19_E_NS1_11comp_targetILNS1_3genE9ELNS1_11target_archE1100ELNS1_3gpuE3ELNS1_3repE0EEENS1_30default_config_static_selectorELNS0_4arch9wavefront6targetE1EEEvT1_
	.p2align	8
	.type	_ZN7rocprim17ROCPRIM_400000_NS6detail17trampoline_kernelINS0_14default_configENS1_25partition_config_selectorILNS1_17partition_subalgoE8EbNS0_10empty_typeEbEEZZNS1_14partition_implILS5_8ELb0ES3_jN6hipcub16HIPCUB_304000_NS22TransformInputIteratorIbN2at6native8internal12_GLOBAL__N_110LoadBoolOpEPKhlEEPS6_PKS6_NS0_5tupleIJPbS6_EEENSN_IJSK_SK_EEENS0_18inequality_wrapperINSA_8EqualityEEEPlJS6_EEE10hipError_tPvRmT3_T4_T5_T6_T7_T9_mT8_P12ihipStream_tbDpT10_ENKUlT_T0_E_clISt17integral_constantIbLb1EES1D_IbLb0EEEEDaS19_S1A_EUlS19_E_NS1_11comp_targetILNS1_3genE9ELNS1_11target_archE1100ELNS1_3gpuE3ELNS1_3repE0EEENS1_30default_config_static_selectorELNS0_4arch9wavefront6targetE1EEEvT1_,@function
_ZN7rocprim17ROCPRIM_400000_NS6detail17trampoline_kernelINS0_14default_configENS1_25partition_config_selectorILNS1_17partition_subalgoE8EbNS0_10empty_typeEbEEZZNS1_14partition_implILS5_8ELb0ES3_jN6hipcub16HIPCUB_304000_NS22TransformInputIteratorIbN2at6native8internal12_GLOBAL__N_110LoadBoolOpEPKhlEEPS6_PKS6_NS0_5tupleIJPbS6_EEENSN_IJSK_SK_EEENS0_18inequality_wrapperINSA_8EqualityEEEPlJS6_EEE10hipError_tPvRmT3_T4_T5_T6_T7_T9_mT8_P12ihipStream_tbDpT10_ENKUlT_T0_E_clISt17integral_constantIbLb1EES1D_IbLb0EEEEDaS19_S1A_EUlS19_E_NS1_11comp_targetILNS1_3genE9ELNS1_11target_archE1100ELNS1_3gpuE3ELNS1_3repE0EEENS1_30default_config_static_selectorELNS0_4arch9wavefront6targetE1EEEvT1_: ; @_ZN7rocprim17ROCPRIM_400000_NS6detail17trampoline_kernelINS0_14default_configENS1_25partition_config_selectorILNS1_17partition_subalgoE8EbNS0_10empty_typeEbEEZZNS1_14partition_implILS5_8ELb0ES3_jN6hipcub16HIPCUB_304000_NS22TransformInputIteratorIbN2at6native8internal12_GLOBAL__N_110LoadBoolOpEPKhlEEPS6_PKS6_NS0_5tupleIJPbS6_EEENSN_IJSK_SK_EEENS0_18inequality_wrapperINSA_8EqualityEEEPlJS6_EEE10hipError_tPvRmT3_T4_T5_T6_T7_T9_mT8_P12ihipStream_tbDpT10_ENKUlT_T0_E_clISt17integral_constantIbLb1EES1D_IbLb0EEEEDaS19_S1A_EUlS19_E_NS1_11comp_targetILNS1_3genE9ELNS1_11target_archE1100ELNS1_3gpuE3ELNS1_3repE0EEENS1_30default_config_static_selectorELNS0_4arch9wavefront6targetE1EEEvT1_
; %bb.0:
	.section	.rodata,"a",@progbits
	.p2align	6, 0x0
	.amdhsa_kernel _ZN7rocprim17ROCPRIM_400000_NS6detail17trampoline_kernelINS0_14default_configENS1_25partition_config_selectorILNS1_17partition_subalgoE8EbNS0_10empty_typeEbEEZZNS1_14partition_implILS5_8ELb0ES3_jN6hipcub16HIPCUB_304000_NS22TransformInputIteratorIbN2at6native8internal12_GLOBAL__N_110LoadBoolOpEPKhlEEPS6_PKS6_NS0_5tupleIJPbS6_EEENSN_IJSK_SK_EEENS0_18inequality_wrapperINSA_8EqualityEEEPlJS6_EEE10hipError_tPvRmT3_T4_T5_T6_T7_T9_mT8_P12ihipStream_tbDpT10_ENKUlT_T0_E_clISt17integral_constantIbLb1EES1D_IbLb0EEEEDaS19_S1A_EUlS19_E_NS1_11comp_targetILNS1_3genE9ELNS1_11target_archE1100ELNS1_3gpuE3ELNS1_3repE0EEENS1_30default_config_static_selectorELNS0_4arch9wavefront6targetE1EEEvT1_
		.amdhsa_group_segment_fixed_size 0
		.amdhsa_private_segment_fixed_size 0
		.amdhsa_kernarg_size 120
		.amdhsa_user_sgpr_count 6
		.amdhsa_user_sgpr_private_segment_buffer 1
		.amdhsa_user_sgpr_dispatch_ptr 0
		.amdhsa_user_sgpr_queue_ptr 0
		.amdhsa_user_sgpr_kernarg_segment_ptr 1
		.amdhsa_user_sgpr_dispatch_id 0
		.amdhsa_user_sgpr_flat_scratch_init 0
		.amdhsa_user_sgpr_kernarg_preload_length 0
		.amdhsa_user_sgpr_kernarg_preload_offset 0
		.amdhsa_user_sgpr_private_segment_size 0
		.amdhsa_uses_dynamic_stack 0
		.amdhsa_system_sgpr_private_segment_wavefront_offset 0
		.amdhsa_system_sgpr_workgroup_id_x 1
		.amdhsa_system_sgpr_workgroup_id_y 0
		.amdhsa_system_sgpr_workgroup_id_z 0
		.amdhsa_system_sgpr_workgroup_info 0
		.amdhsa_system_vgpr_workitem_id 0
		.amdhsa_next_free_vgpr 1
		.amdhsa_next_free_sgpr 0
		.amdhsa_accum_offset 4
		.amdhsa_reserve_vcc 0
		.amdhsa_reserve_flat_scratch 0
		.amdhsa_float_round_mode_32 0
		.amdhsa_float_round_mode_16_64 0
		.amdhsa_float_denorm_mode_32 3
		.amdhsa_float_denorm_mode_16_64 3
		.amdhsa_dx10_clamp 1
		.amdhsa_ieee_mode 1
		.amdhsa_fp16_overflow 0
		.amdhsa_tg_split 0
		.amdhsa_exception_fp_ieee_invalid_op 0
		.amdhsa_exception_fp_denorm_src 0
		.amdhsa_exception_fp_ieee_div_zero 0
		.amdhsa_exception_fp_ieee_overflow 0
		.amdhsa_exception_fp_ieee_underflow 0
		.amdhsa_exception_fp_ieee_inexact 0
		.amdhsa_exception_int_div_zero 0
	.end_amdhsa_kernel
	.section	.text._ZN7rocprim17ROCPRIM_400000_NS6detail17trampoline_kernelINS0_14default_configENS1_25partition_config_selectorILNS1_17partition_subalgoE8EbNS0_10empty_typeEbEEZZNS1_14partition_implILS5_8ELb0ES3_jN6hipcub16HIPCUB_304000_NS22TransformInputIteratorIbN2at6native8internal12_GLOBAL__N_110LoadBoolOpEPKhlEEPS6_PKS6_NS0_5tupleIJPbS6_EEENSN_IJSK_SK_EEENS0_18inequality_wrapperINSA_8EqualityEEEPlJS6_EEE10hipError_tPvRmT3_T4_T5_T6_T7_T9_mT8_P12ihipStream_tbDpT10_ENKUlT_T0_E_clISt17integral_constantIbLb1EES1D_IbLb0EEEEDaS19_S1A_EUlS19_E_NS1_11comp_targetILNS1_3genE9ELNS1_11target_archE1100ELNS1_3gpuE3ELNS1_3repE0EEENS1_30default_config_static_selectorELNS0_4arch9wavefront6targetE1EEEvT1_,"axG",@progbits,_ZN7rocprim17ROCPRIM_400000_NS6detail17trampoline_kernelINS0_14default_configENS1_25partition_config_selectorILNS1_17partition_subalgoE8EbNS0_10empty_typeEbEEZZNS1_14partition_implILS5_8ELb0ES3_jN6hipcub16HIPCUB_304000_NS22TransformInputIteratorIbN2at6native8internal12_GLOBAL__N_110LoadBoolOpEPKhlEEPS6_PKS6_NS0_5tupleIJPbS6_EEENSN_IJSK_SK_EEENS0_18inequality_wrapperINSA_8EqualityEEEPlJS6_EEE10hipError_tPvRmT3_T4_T5_T6_T7_T9_mT8_P12ihipStream_tbDpT10_ENKUlT_T0_E_clISt17integral_constantIbLb1EES1D_IbLb0EEEEDaS19_S1A_EUlS19_E_NS1_11comp_targetILNS1_3genE9ELNS1_11target_archE1100ELNS1_3gpuE3ELNS1_3repE0EEENS1_30default_config_static_selectorELNS0_4arch9wavefront6targetE1EEEvT1_,comdat
.Lfunc_end37:
	.size	_ZN7rocprim17ROCPRIM_400000_NS6detail17trampoline_kernelINS0_14default_configENS1_25partition_config_selectorILNS1_17partition_subalgoE8EbNS0_10empty_typeEbEEZZNS1_14partition_implILS5_8ELb0ES3_jN6hipcub16HIPCUB_304000_NS22TransformInputIteratorIbN2at6native8internal12_GLOBAL__N_110LoadBoolOpEPKhlEEPS6_PKS6_NS0_5tupleIJPbS6_EEENSN_IJSK_SK_EEENS0_18inequality_wrapperINSA_8EqualityEEEPlJS6_EEE10hipError_tPvRmT3_T4_T5_T6_T7_T9_mT8_P12ihipStream_tbDpT10_ENKUlT_T0_E_clISt17integral_constantIbLb1EES1D_IbLb0EEEEDaS19_S1A_EUlS19_E_NS1_11comp_targetILNS1_3genE9ELNS1_11target_archE1100ELNS1_3gpuE3ELNS1_3repE0EEENS1_30default_config_static_selectorELNS0_4arch9wavefront6targetE1EEEvT1_, .Lfunc_end37-_ZN7rocprim17ROCPRIM_400000_NS6detail17trampoline_kernelINS0_14default_configENS1_25partition_config_selectorILNS1_17partition_subalgoE8EbNS0_10empty_typeEbEEZZNS1_14partition_implILS5_8ELb0ES3_jN6hipcub16HIPCUB_304000_NS22TransformInputIteratorIbN2at6native8internal12_GLOBAL__N_110LoadBoolOpEPKhlEEPS6_PKS6_NS0_5tupleIJPbS6_EEENSN_IJSK_SK_EEENS0_18inequality_wrapperINSA_8EqualityEEEPlJS6_EEE10hipError_tPvRmT3_T4_T5_T6_T7_T9_mT8_P12ihipStream_tbDpT10_ENKUlT_T0_E_clISt17integral_constantIbLb1EES1D_IbLb0EEEEDaS19_S1A_EUlS19_E_NS1_11comp_targetILNS1_3genE9ELNS1_11target_archE1100ELNS1_3gpuE3ELNS1_3repE0EEENS1_30default_config_static_selectorELNS0_4arch9wavefront6targetE1EEEvT1_
                                        ; -- End function
	.section	.AMDGPU.csdata,"",@progbits
; Kernel info:
; codeLenInByte = 0
; NumSgprs: 4
; NumVgprs: 0
; NumAgprs: 0
; TotalNumVgprs: 0
; ScratchSize: 0
; MemoryBound: 0
; FloatMode: 240
; IeeeMode: 1
; LDSByteSize: 0 bytes/workgroup (compile time only)
; SGPRBlocks: 0
; VGPRBlocks: 0
; NumSGPRsForWavesPerEU: 4
; NumVGPRsForWavesPerEU: 1
; AccumOffset: 4
; Occupancy: 8
; WaveLimiterHint : 0
; COMPUTE_PGM_RSRC2:SCRATCH_EN: 0
; COMPUTE_PGM_RSRC2:USER_SGPR: 6
; COMPUTE_PGM_RSRC2:TRAP_HANDLER: 0
; COMPUTE_PGM_RSRC2:TGID_X_EN: 1
; COMPUTE_PGM_RSRC2:TGID_Y_EN: 0
; COMPUTE_PGM_RSRC2:TGID_Z_EN: 0
; COMPUTE_PGM_RSRC2:TIDIG_COMP_CNT: 0
; COMPUTE_PGM_RSRC3_GFX90A:ACCUM_OFFSET: 0
; COMPUTE_PGM_RSRC3_GFX90A:TG_SPLIT: 0
	.section	.text._ZN7rocprim17ROCPRIM_400000_NS6detail17trampoline_kernelINS0_14default_configENS1_25partition_config_selectorILNS1_17partition_subalgoE8EbNS0_10empty_typeEbEEZZNS1_14partition_implILS5_8ELb0ES3_jN6hipcub16HIPCUB_304000_NS22TransformInputIteratorIbN2at6native8internal12_GLOBAL__N_110LoadBoolOpEPKhlEEPS6_PKS6_NS0_5tupleIJPbS6_EEENSN_IJSK_SK_EEENS0_18inequality_wrapperINSA_8EqualityEEEPlJS6_EEE10hipError_tPvRmT3_T4_T5_T6_T7_T9_mT8_P12ihipStream_tbDpT10_ENKUlT_T0_E_clISt17integral_constantIbLb1EES1D_IbLb0EEEEDaS19_S1A_EUlS19_E_NS1_11comp_targetILNS1_3genE8ELNS1_11target_archE1030ELNS1_3gpuE2ELNS1_3repE0EEENS1_30default_config_static_selectorELNS0_4arch9wavefront6targetE1EEEvT1_,"axG",@progbits,_ZN7rocprim17ROCPRIM_400000_NS6detail17trampoline_kernelINS0_14default_configENS1_25partition_config_selectorILNS1_17partition_subalgoE8EbNS0_10empty_typeEbEEZZNS1_14partition_implILS5_8ELb0ES3_jN6hipcub16HIPCUB_304000_NS22TransformInputIteratorIbN2at6native8internal12_GLOBAL__N_110LoadBoolOpEPKhlEEPS6_PKS6_NS0_5tupleIJPbS6_EEENSN_IJSK_SK_EEENS0_18inequality_wrapperINSA_8EqualityEEEPlJS6_EEE10hipError_tPvRmT3_T4_T5_T6_T7_T9_mT8_P12ihipStream_tbDpT10_ENKUlT_T0_E_clISt17integral_constantIbLb1EES1D_IbLb0EEEEDaS19_S1A_EUlS19_E_NS1_11comp_targetILNS1_3genE8ELNS1_11target_archE1030ELNS1_3gpuE2ELNS1_3repE0EEENS1_30default_config_static_selectorELNS0_4arch9wavefront6targetE1EEEvT1_,comdat
	.globl	_ZN7rocprim17ROCPRIM_400000_NS6detail17trampoline_kernelINS0_14default_configENS1_25partition_config_selectorILNS1_17partition_subalgoE8EbNS0_10empty_typeEbEEZZNS1_14partition_implILS5_8ELb0ES3_jN6hipcub16HIPCUB_304000_NS22TransformInputIteratorIbN2at6native8internal12_GLOBAL__N_110LoadBoolOpEPKhlEEPS6_PKS6_NS0_5tupleIJPbS6_EEENSN_IJSK_SK_EEENS0_18inequality_wrapperINSA_8EqualityEEEPlJS6_EEE10hipError_tPvRmT3_T4_T5_T6_T7_T9_mT8_P12ihipStream_tbDpT10_ENKUlT_T0_E_clISt17integral_constantIbLb1EES1D_IbLb0EEEEDaS19_S1A_EUlS19_E_NS1_11comp_targetILNS1_3genE8ELNS1_11target_archE1030ELNS1_3gpuE2ELNS1_3repE0EEENS1_30default_config_static_selectorELNS0_4arch9wavefront6targetE1EEEvT1_ ; -- Begin function _ZN7rocprim17ROCPRIM_400000_NS6detail17trampoline_kernelINS0_14default_configENS1_25partition_config_selectorILNS1_17partition_subalgoE8EbNS0_10empty_typeEbEEZZNS1_14partition_implILS5_8ELb0ES3_jN6hipcub16HIPCUB_304000_NS22TransformInputIteratorIbN2at6native8internal12_GLOBAL__N_110LoadBoolOpEPKhlEEPS6_PKS6_NS0_5tupleIJPbS6_EEENSN_IJSK_SK_EEENS0_18inequality_wrapperINSA_8EqualityEEEPlJS6_EEE10hipError_tPvRmT3_T4_T5_T6_T7_T9_mT8_P12ihipStream_tbDpT10_ENKUlT_T0_E_clISt17integral_constantIbLb1EES1D_IbLb0EEEEDaS19_S1A_EUlS19_E_NS1_11comp_targetILNS1_3genE8ELNS1_11target_archE1030ELNS1_3gpuE2ELNS1_3repE0EEENS1_30default_config_static_selectorELNS0_4arch9wavefront6targetE1EEEvT1_
	.p2align	8
	.type	_ZN7rocprim17ROCPRIM_400000_NS6detail17trampoline_kernelINS0_14default_configENS1_25partition_config_selectorILNS1_17partition_subalgoE8EbNS0_10empty_typeEbEEZZNS1_14partition_implILS5_8ELb0ES3_jN6hipcub16HIPCUB_304000_NS22TransformInputIteratorIbN2at6native8internal12_GLOBAL__N_110LoadBoolOpEPKhlEEPS6_PKS6_NS0_5tupleIJPbS6_EEENSN_IJSK_SK_EEENS0_18inequality_wrapperINSA_8EqualityEEEPlJS6_EEE10hipError_tPvRmT3_T4_T5_T6_T7_T9_mT8_P12ihipStream_tbDpT10_ENKUlT_T0_E_clISt17integral_constantIbLb1EES1D_IbLb0EEEEDaS19_S1A_EUlS19_E_NS1_11comp_targetILNS1_3genE8ELNS1_11target_archE1030ELNS1_3gpuE2ELNS1_3repE0EEENS1_30default_config_static_selectorELNS0_4arch9wavefront6targetE1EEEvT1_,@function
_ZN7rocprim17ROCPRIM_400000_NS6detail17trampoline_kernelINS0_14default_configENS1_25partition_config_selectorILNS1_17partition_subalgoE8EbNS0_10empty_typeEbEEZZNS1_14partition_implILS5_8ELb0ES3_jN6hipcub16HIPCUB_304000_NS22TransformInputIteratorIbN2at6native8internal12_GLOBAL__N_110LoadBoolOpEPKhlEEPS6_PKS6_NS0_5tupleIJPbS6_EEENSN_IJSK_SK_EEENS0_18inequality_wrapperINSA_8EqualityEEEPlJS6_EEE10hipError_tPvRmT3_T4_T5_T6_T7_T9_mT8_P12ihipStream_tbDpT10_ENKUlT_T0_E_clISt17integral_constantIbLb1EES1D_IbLb0EEEEDaS19_S1A_EUlS19_E_NS1_11comp_targetILNS1_3genE8ELNS1_11target_archE1030ELNS1_3gpuE2ELNS1_3repE0EEENS1_30default_config_static_selectorELNS0_4arch9wavefront6targetE1EEEvT1_: ; @_ZN7rocprim17ROCPRIM_400000_NS6detail17trampoline_kernelINS0_14default_configENS1_25partition_config_selectorILNS1_17partition_subalgoE8EbNS0_10empty_typeEbEEZZNS1_14partition_implILS5_8ELb0ES3_jN6hipcub16HIPCUB_304000_NS22TransformInputIteratorIbN2at6native8internal12_GLOBAL__N_110LoadBoolOpEPKhlEEPS6_PKS6_NS0_5tupleIJPbS6_EEENSN_IJSK_SK_EEENS0_18inequality_wrapperINSA_8EqualityEEEPlJS6_EEE10hipError_tPvRmT3_T4_T5_T6_T7_T9_mT8_P12ihipStream_tbDpT10_ENKUlT_T0_E_clISt17integral_constantIbLb1EES1D_IbLb0EEEEDaS19_S1A_EUlS19_E_NS1_11comp_targetILNS1_3genE8ELNS1_11target_archE1030ELNS1_3gpuE2ELNS1_3repE0EEENS1_30default_config_static_selectorELNS0_4arch9wavefront6targetE1EEEvT1_
; %bb.0:
	.section	.rodata,"a",@progbits
	.p2align	6, 0x0
	.amdhsa_kernel _ZN7rocprim17ROCPRIM_400000_NS6detail17trampoline_kernelINS0_14default_configENS1_25partition_config_selectorILNS1_17partition_subalgoE8EbNS0_10empty_typeEbEEZZNS1_14partition_implILS5_8ELb0ES3_jN6hipcub16HIPCUB_304000_NS22TransformInputIteratorIbN2at6native8internal12_GLOBAL__N_110LoadBoolOpEPKhlEEPS6_PKS6_NS0_5tupleIJPbS6_EEENSN_IJSK_SK_EEENS0_18inequality_wrapperINSA_8EqualityEEEPlJS6_EEE10hipError_tPvRmT3_T4_T5_T6_T7_T9_mT8_P12ihipStream_tbDpT10_ENKUlT_T0_E_clISt17integral_constantIbLb1EES1D_IbLb0EEEEDaS19_S1A_EUlS19_E_NS1_11comp_targetILNS1_3genE8ELNS1_11target_archE1030ELNS1_3gpuE2ELNS1_3repE0EEENS1_30default_config_static_selectorELNS0_4arch9wavefront6targetE1EEEvT1_
		.amdhsa_group_segment_fixed_size 0
		.amdhsa_private_segment_fixed_size 0
		.amdhsa_kernarg_size 120
		.amdhsa_user_sgpr_count 6
		.amdhsa_user_sgpr_private_segment_buffer 1
		.amdhsa_user_sgpr_dispatch_ptr 0
		.amdhsa_user_sgpr_queue_ptr 0
		.amdhsa_user_sgpr_kernarg_segment_ptr 1
		.amdhsa_user_sgpr_dispatch_id 0
		.amdhsa_user_sgpr_flat_scratch_init 0
		.amdhsa_user_sgpr_kernarg_preload_length 0
		.amdhsa_user_sgpr_kernarg_preload_offset 0
		.amdhsa_user_sgpr_private_segment_size 0
		.amdhsa_uses_dynamic_stack 0
		.amdhsa_system_sgpr_private_segment_wavefront_offset 0
		.amdhsa_system_sgpr_workgroup_id_x 1
		.amdhsa_system_sgpr_workgroup_id_y 0
		.amdhsa_system_sgpr_workgroup_id_z 0
		.amdhsa_system_sgpr_workgroup_info 0
		.amdhsa_system_vgpr_workitem_id 0
		.amdhsa_next_free_vgpr 1
		.amdhsa_next_free_sgpr 0
		.amdhsa_accum_offset 4
		.amdhsa_reserve_vcc 0
		.amdhsa_reserve_flat_scratch 0
		.amdhsa_float_round_mode_32 0
		.amdhsa_float_round_mode_16_64 0
		.amdhsa_float_denorm_mode_32 3
		.amdhsa_float_denorm_mode_16_64 3
		.amdhsa_dx10_clamp 1
		.amdhsa_ieee_mode 1
		.amdhsa_fp16_overflow 0
		.amdhsa_tg_split 0
		.amdhsa_exception_fp_ieee_invalid_op 0
		.amdhsa_exception_fp_denorm_src 0
		.amdhsa_exception_fp_ieee_div_zero 0
		.amdhsa_exception_fp_ieee_overflow 0
		.amdhsa_exception_fp_ieee_underflow 0
		.amdhsa_exception_fp_ieee_inexact 0
		.amdhsa_exception_int_div_zero 0
	.end_amdhsa_kernel
	.section	.text._ZN7rocprim17ROCPRIM_400000_NS6detail17trampoline_kernelINS0_14default_configENS1_25partition_config_selectorILNS1_17partition_subalgoE8EbNS0_10empty_typeEbEEZZNS1_14partition_implILS5_8ELb0ES3_jN6hipcub16HIPCUB_304000_NS22TransformInputIteratorIbN2at6native8internal12_GLOBAL__N_110LoadBoolOpEPKhlEEPS6_PKS6_NS0_5tupleIJPbS6_EEENSN_IJSK_SK_EEENS0_18inequality_wrapperINSA_8EqualityEEEPlJS6_EEE10hipError_tPvRmT3_T4_T5_T6_T7_T9_mT8_P12ihipStream_tbDpT10_ENKUlT_T0_E_clISt17integral_constantIbLb1EES1D_IbLb0EEEEDaS19_S1A_EUlS19_E_NS1_11comp_targetILNS1_3genE8ELNS1_11target_archE1030ELNS1_3gpuE2ELNS1_3repE0EEENS1_30default_config_static_selectorELNS0_4arch9wavefront6targetE1EEEvT1_,"axG",@progbits,_ZN7rocprim17ROCPRIM_400000_NS6detail17trampoline_kernelINS0_14default_configENS1_25partition_config_selectorILNS1_17partition_subalgoE8EbNS0_10empty_typeEbEEZZNS1_14partition_implILS5_8ELb0ES3_jN6hipcub16HIPCUB_304000_NS22TransformInputIteratorIbN2at6native8internal12_GLOBAL__N_110LoadBoolOpEPKhlEEPS6_PKS6_NS0_5tupleIJPbS6_EEENSN_IJSK_SK_EEENS0_18inequality_wrapperINSA_8EqualityEEEPlJS6_EEE10hipError_tPvRmT3_T4_T5_T6_T7_T9_mT8_P12ihipStream_tbDpT10_ENKUlT_T0_E_clISt17integral_constantIbLb1EES1D_IbLb0EEEEDaS19_S1A_EUlS19_E_NS1_11comp_targetILNS1_3genE8ELNS1_11target_archE1030ELNS1_3gpuE2ELNS1_3repE0EEENS1_30default_config_static_selectorELNS0_4arch9wavefront6targetE1EEEvT1_,comdat
.Lfunc_end38:
	.size	_ZN7rocprim17ROCPRIM_400000_NS6detail17trampoline_kernelINS0_14default_configENS1_25partition_config_selectorILNS1_17partition_subalgoE8EbNS0_10empty_typeEbEEZZNS1_14partition_implILS5_8ELb0ES3_jN6hipcub16HIPCUB_304000_NS22TransformInputIteratorIbN2at6native8internal12_GLOBAL__N_110LoadBoolOpEPKhlEEPS6_PKS6_NS0_5tupleIJPbS6_EEENSN_IJSK_SK_EEENS0_18inequality_wrapperINSA_8EqualityEEEPlJS6_EEE10hipError_tPvRmT3_T4_T5_T6_T7_T9_mT8_P12ihipStream_tbDpT10_ENKUlT_T0_E_clISt17integral_constantIbLb1EES1D_IbLb0EEEEDaS19_S1A_EUlS19_E_NS1_11comp_targetILNS1_3genE8ELNS1_11target_archE1030ELNS1_3gpuE2ELNS1_3repE0EEENS1_30default_config_static_selectorELNS0_4arch9wavefront6targetE1EEEvT1_, .Lfunc_end38-_ZN7rocprim17ROCPRIM_400000_NS6detail17trampoline_kernelINS0_14default_configENS1_25partition_config_selectorILNS1_17partition_subalgoE8EbNS0_10empty_typeEbEEZZNS1_14partition_implILS5_8ELb0ES3_jN6hipcub16HIPCUB_304000_NS22TransformInputIteratorIbN2at6native8internal12_GLOBAL__N_110LoadBoolOpEPKhlEEPS6_PKS6_NS0_5tupleIJPbS6_EEENSN_IJSK_SK_EEENS0_18inequality_wrapperINSA_8EqualityEEEPlJS6_EEE10hipError_tPvRmT3_T4_T5_T6_T7_T9_mT8_P12ihipStream_tbDpT10_ENKUlT_T0_E_clISt17integral_constantIbLb1EES1D_IbLb0EEEEDaS19_S1A_EUlS19_E_NS1_11comp_targetILNS1_3genE8ELNS1_11target_archE1030ELNS1_3gpuE2ELNS1_3repE0EEENS1_30default_config_static_selectorELNS0_4arch9wavefront6targetE1EEEvT1_
                                        ; -- End function
	.section	.AMDGPU.csdata,"",@progbits
; Kernel info:
; codeLenInByte = 0
; NumSgprs: 4
; NumVgprs: 0
; NumAgprs: 0
; TotalNumVgprs: 0
; ScratchSize: 0
; MemoryBound: 0
; FloatMode: 240
; IeeeMode: 1
; LDSByteSize: 0 bytes/workgroup (compile time only)
; SGPRBlocks: 0
; VGPRBlocks: 0
; NumSGPRsForWavesPerEU: 4
; NumVGPRsForWavesPerEU: 1
; AccumOffset: 4
; Occupancy: 8
; WaveLimiterHint : 0
; COMPUTE_PGM_RSRC2:SCRATCH_EN: 0
; COMPUTE_PGM_RSRC2:USER_SGPR: 6
; COMPUTE_PGM_RSRC2:TRAP_HANDLER: 0
; COMPUTE_PGM_RSRC2:TGID_X_EN: 1
; COMPUTE_PGM_RSRC2:TGID_Y_EN: 0
; COMPUTE_PGM_RSRC2:TGID_Z_EN: 0
; COMPUTE_PGM_RSRC2:TIDIG_COMP_CNT: 0
; COMPUTE_PGM_RSRC3_GFX90A:ACCUM_OFFSET: 0
; COMPUTE_PGM_RSRC3_GFX90A:TG_SPLIT: 0
	.section	.text._ZN7rocprim17ROCPRIM_400000_NS6detail31init_lookback_scan_state_kernelINS1_19lookback_scan_stateIjLb0ELb1EEENS1_16block_id_wrapperIjLb1EEEEEvT_jT0_jPNS7_10value_typeE,"axG",@progbits,_ZN7rocprim17ROCPRIM_400000_NS6detail31init_lookback_scan_state_kernelINS1_19lookback_scan_stateIjLb0ELb1EEENS1_16block_id_wrapperIjLb1EEEEEvT_jT0_jPNS7_10value_typeE,comdat
	.protected	_ZN7rocprim17ROCPRIM_400000_NS6detail31init_lookback_scan_state_kernelINS1_19lookback_scan_stateIjLb0ELb1EEENS1_16block_id_wrapperIjLb1EEEEEvT_jT0_jPNS7_10value_typeE ; -- Begin function _ZN7rocprim17ROCPRIM_400000_NS6detail31init_lookback_scan_state_kernelINS1_19lookback_scan_stateIjLb0ELb1EEENS1_16block_id_wrapperIjLb1EEEEEvT_jT0_jPNS7_10value_typeE
	.globl	_ZN7rocprim17ROCPRIM_400000_NS6detail31init_lookback_scan_state_kernelINS1_19lookback_scan_stateIjLb0ELb1EEENS1_16block_id_wrapperIjLb1EEEEEvT_jT0_jPNS7_10value_typeE
	.p2align	8
	.type	_ZN7rocprim17ROCPRIM_400000_NS6detail31init_lookback_scan_state_kernelINS1_19lookback_scan_stateIjLb0ELb1EEENS1_16block_id_wrapperIjLb1EEEEEvT_jT0_jPNS7_10value_typeE,@function
_ZN7rocprim17ROCPRIM_400000_NS6detail31init_lookback_scan_state_kernelINS1_19lookback_scan_stateIjLb0ELb1EEENS1_16block_id_wrapperIjLb1EEEEEvT_jT0_jPNS7_10value_typeE: ; @_ZN7rocprim17ROCPRIM_400000_NS6detail31init_lookback_scan_state_kernelINS1_19lookback_scan_stateIjLb0ELb1EEENS1_16block_id_wrapperIjLb1EEEEEvT_jT0_jPNS7_10value_typeE
; %bb.0:
	s_load_dword s7, s[4:5], 0x34
	s_load_dwordx2 s[2:3], s[4:5], 0x20
	s_load_dwordx2 s[0:1], s[4:5], 0x0
	s_load_dword s10, s[4:5], 0x8
	s_waitcnt lgkmcnt(0)
	s_and_b32 s7, s7, 0xffff
	s_mul_i32 s6, s6, s7
	s_cmp_eq_u64 s[2:3], 0
	v_add_u32_e32 v0, s6, v0
	s_cbranch_scc1 .LBB39_6
; %bb.1:
	s_load_dword s8, s[4:5], 0x18
	s_mov_b32 s9, 0
	s_waitcnt lgkmcnt(0)
	s_cmp_lt_u32 s8, s10
	s_cselect_b32 s6, s8, 0
	v_cmp_eq_u32_e32 vcc, s6, v0
	s_and_saveexec_b64 s[6:7], vcc
	s_cbranch_execz .LBB39_5
; %bb.2:
	s_add_i32 s8, s8, 64
	s_lshl_b64 s[8:9], s[8:9], 3
	s_add_u32 s8, s0, s8
	s_addc_u32 s9, s1, s9
	v_mov_b32_e32 v4, 0
	global_load_dwordx2 v[2:3], v4, s[8:9] glc
	s_waitcnt vmcnt(0)
	v_and_b32_e32 v5, 0xff, v3
	v_cmp_ne_u64_e32 vcc, 0, v[4:5]
	s_cbranch_vccnz .LBB39_4
.LBB39_3:                               ; =>This Inner Loop Header: Depth=1
	global_load_dwordx2 v[2:3], v4, s[8:9] glc
	s_waitcnt vmcnt(0)
	v_and_b32_e32 v5, 0xff, v3
	v_cmp_eq_u64_e32 vcc, 0, v[4:5]
	s_cbranch_vccnz .LBB39_3
.LBB39_4:
	v_mov_b32_e32 v1, 0
	global_store_dword v1, v2, s[2:3]
.LBB39_5:
	s_or_b64 exec, exec, s[6:7]
.LBB39_6:
	v_cmp_eq_u32_e32 vcc, 0, v0
	s_and_saveexec_b64 s[2:3], vcc
	s_cbranch_execnz .LBB39_10
; %bb.7:
	s_or_b64 exec, exec, s[2:3]
	v_cmp_gt_u32_e32 vcc, s10, v0
	s_and_saveexec_b64 s[2:3], vcc
	s_cbranch_execnz .LBB39_11
.LBB39_8:
	s_or_b64 exec, exec, s[2:3]
	v_cmp_gt_u32_e32 vcc, 64, v0
	s_and_saveexec_b64 s[2:3], vcc
	s_cbranch_execnz .LBB39_12
.LBB39_9:
	s_endpgm
.LBB39_10:
	s_load_dwordx2 s[4:5], s[4:5], 0x10
	v_mov_b32_e32 v1, 0
	s_waitcnt lgkmcnt(0)
	global_store_dword v1, v1, s[4:5]
	s_or_b64 exec, exec, s[2:3]
	v_cmp_gt_u32_e32 vcc, s10, v0
	s_and_saveexec_b64 s[2:3], vcc
	s_cbranch_execz .LBB39_8
.LBB39_11:
	v_add_u32_e32 v2, 64, v0
	v_mov_b32_e32 v3, 0
	v_lshlrev_b64 v[4:5], 3, v[2:3]
	v_mov_b32_e32 v1, s1
	v_add_co_u32_e32 v4, vcc, s0, v4
	v_addc_co_u32_e32 v5, vcc, v1, v5, vcc
	v_mov_b32_e32 v2, v3
	global_store_dwordx2 v[4:5], v[2:3], off
	s_or_b64 exec, exec, s[2:3]
	v_cmp_gt_u32_e32 vcc, 64, v0
	s_and_saveexec_b64 s[2:3], vcc
	s_cbranch_execz .LBB39_9
.LBB39_12:
	v_mov_b32_e32 v1, 0
	v_lshlrev_b64 v[2:3], 3, v[0:1]
	v_mov_b32_e32 v0, s1
	v_add_co_u32_e32 v2, vcc, s0, v2
	v_addc_co_u32_e32 v3, vcc, v0, v3, vcc
	v_mov_b32_e32 v5, 0xff
	v_mov_b32_e32 v4, v1
	global_store_dwordx2 v[2:3], v[4:5], off
	s_endpgm
	.section	.rodata,"a",@progbits
	.p2align	6, 0x0
	.amdhsa_kernel _ZN7rocprim17ROCPRIM_400000_NS6detail31init_lookback_scan_state_kernelINS1_19lookback_scan_stateIjLb0ELb1EEENS1_16block_id_wrapperIjLb1EEEEEvT_jT0_jPNS7_10value_typeE
		.amdhsa_group_segment_fixed_size 0
		.amdhsa_private_segment_fixed_size 0
		.amdhsa_kernarg_size 296
		.amdhsa_user_sgpr_count 6
		.amdhsa_user_sgpr_private_segment_buffer 1
		.amdhsa_user_sgpr_dispatch_ptr 0
		.amdhsa_user_sgpr_queue_ptr 0
		.amdhsa_user_sgpr_kernarg_segment_ptr 1
		.amdhsa_user_sgpr_dispatch_id 0
		.amdhsa_user_sgpr_flat_scratch_init 0
		.amdhsa_user_sgpr_kernarg_preload_length 0
		.amdhsa_user_sgpr_kernarg_preload_offset 0
		.amdhsa_user_sgpr_private_segment_size 0
		.amdhsa_uses_dynamic_stack 0
		.amdhsa_system_sgpr_private_segment_wavefront_offset 0
		.amdhsa_system_sgpr_workgroup_id_x 1
		.amdhsa_system_sgpr_workgroup_id_y 0
		.amdhsa_system_sgpr_workgroup_id_z 0
		.amdhsa_system_sgpr_workgroup_info 0
		.amdhsa_system_vgpr_workitem_id 0
		.amdhsa_next_free_vgpr 6
		.amdhsa_next_free_sgpr 11
		.amdhsa_accum_offset 8
		.amdhsa_reserve_vcc 1
		.amdhsa_reserve_flat_scratch 0
		.amdhsa_float_round_mode_32 0
		.amdhsa_float_round_mode_16_64 0
		.amdhsa_float_denorm_mode_32 3
		.amdhsa_float_denorm_mode_16_64 3
		.amdhsa_dx10_clamp 1
		.amdhsa_ieee_mode 1
		.amdhsa_fp16_overflow 0
		.amdhsa_tg_split 0
		.amdhsa_exception_fp_ieee_invalid_op 0
		.amdhsa_exception_fp_denorm_src 0
		.amdhsa_exception_fp_ieee_div_zero 0
		.amdhsa_exception_fp_ieee_overflow 0
		.amdhsa_exception_fp_ieee_underflow 0
		.amdhsa_exception_fp_ieee_inexact 0
		.amdhsa_exception_int_div_zero 0
	.end_amdhsa_kernel
	.section	.text._ZN7rocprim17ROCPRIM_400000_NS6detail31init_lookback_scan_state_kernelINS1_19lookback_scan_stateIjLb0ELb1EEENS1_16block_id_wrapperIjLb1EEEEEvT_jT0_jPNS7_10value_typeE,"axG",@progbits,_ZN7rocprim17ROCPRIM_400000_NS6detail31init_lookback_scan_state_kernelINS1_19lookback_scan_stateIjLb0ELb1EEENS1_16block_id_wrapperIjLb1EEEEEvT_jT0_jPNS7_10value_typeE,comdat
.Lfunc_end39:
	.size	_ZN7rocprim17ROCPRIM_400000_NS6detail31init_lookback_scan_state_kernelINS1_19lookback_scan_stateIjLb0ELb1EEENS1_16block_id_wrapperIjLb1EEEEEvT_jT0_jPNS7_10value_typeE, .Lfunc_end39-_ZN7rocprim17ROCPRIM_400000_NS6detail31init_lookback_scan_state_kernelINS1_19lookback_scan_stateIjLb0ELb1EEENS1_16block_id_wrapperIjLb1EEEEEvT_jT0_jPNS7_10value_typeE
                                        ; -- End function
	.section	.AMDGPU.csdata,"",@progbits
; Kernel info:
; codeLenInByte = 380
; NumSgprs: 15
; NumVgprs: 6
; NumAgprs: 0
; TotalNumVgprs: 6
; ScratchSize: 0
; MemoryBound: 0
; FloatMode: 240
; IeeeMode: 1
; LDSByteSize: 0 bytes/workgroup (compile time only)
; SGPRBlocks: 1
; VGPRBlocks: 0
; NumSGPRsForWavesPerEU: 15
; NumVGPRsForWavesPerEU: 6
; AccumOffset: 8
; Occupancy: 8
; WaveLimiterHint : 0
; COMPUTE_PGM_RSRC2:SCRATCH_EN: 0
; COMPUTE_PGM_RSRC2:USER_SGPR: 6
; COMPUTE_PGM_RSRC2:TRAP_HANDLER: 0
; COMPUTE_PGM_RSRC2:TGID_X_EN: 1
; COMPUTE_PGM_RSRC2:TGID_Y_EN: 0
; COMPUTE_PGM_RSRC2:TGID_Z_EN: 0
; COMPUTE_PGM_RSRC2:TIDIG_COMP_CNT: 0
; COMPUTE_PGM_RSRC3_GFX90A:ACCUM_OFFSET: 1
; COMPUTE_PGM_RSRC3_GFX90A:TG_SPLIT: 0
	.section	.text._ZN7rocprim17ROCPRIM_400000_NS6detail17trampoline_kernelINS0_14default_configENS1_25partition_config_selectorILNS1_17partition_subalgoE8EbNS0_10empty_typeEbEEZZNS1_14partition_implILS5_8ELb0ES3_jN6hipcub16HIPCUB_304000_NS22TransformInputIteratorIbN2at6native8internal12_GLOBAL__N_110LoadBoolOpEPKhlEEPS6_PKS6_NS0_5tupleIJPbS6_EEENSN_IJSK_SK_EEENS0_18inequality_wrapperINSA_8EqualityEEEPlJS6_EEE10hipError_tPvRmT3_T4_T5_T6_T7_T9_mT8_P12ihipStream_tbDpT10_ENKUlT_T0_E_clISt17integral_constantIbLb0EES1D_IbLb1EEEEDaS19_S1A_EUlS19_E_NS1_11comp_targetILNS1_3genE0ELNS1_11target_archE4294967295ELNS1_3gpuE0ELNS1_3repE0EEENS1_30default_config_static_selectorELNS0_4arch9wavefront6targetE1EEEvT1_,"axG",@progbits,_ZN7rocprim17ROCPRIM_400000_NS6detail17trampoline_kernelINS0_14default_configENS1_25partition_config_selectorILNS1_17partition_subalgoE8EbNS0_10empty_typeEbEEZZNS1_14partition_implILS5_8ELb0ES3_jN6hipcub16HIPCUB_304000_NS22TransformInputIteratorIbN2at6native8internal12_GLOBAL__N_110LoadBoolOpEPKhlEEPS6_PKS6_NS0_5tupleIJPbS6_EEENSN_IJSK_SK_EEENS0_18inequality_wrapperINSA_8EqualityEEEPlJS6_EEE10hipError_tPvRmT3_T4_T5_T6_T7_T9_mT8_P12ihipStream_tbDpT10_ENKUlT_T0_E_clISt17integral_constantIbLb0EES1D_IbLb1EEEEDaS19_S1A_EUlS19_E_NS1_11comp_targetILNS1_3genE0ELNS1_11target_archE4294967295ELNS1_3gpuE0ELNS1_3repE0EEENS1_30default_config_static_selectorELNS0_4arch9wavefront6targetE1EEEvT1_,comdat
	.globl	_ZN7rocprim17ROCPRIM_400000_NS6detail17trampoline_kernelINS0_14default_configENS1_25partition_config_selectorILNS1_17partition_subalgoE8EbNS0_10empty_typeEbEEZZNS1_14partition_implILS5_8ELb0ES3_jN6hipcub16HIPCUB_304000_NS22TransformInputIteratorIbN2at6native8internal12_GLOBAL__N_110LoadBoolOpEPKhlEEPS6_PKS6_NS0_5tupleIJPbS6_EEENSN_IJSK_SK_EEENS0_18inequality_wrapperINSA_8EqualityEEEPlJS6_EEE10hipError_tPvRmT3_T4_T5_T6_T7_T9_mT8_P12ihipStream_tbDpT10_ENKUlT_T0_E_clISt17integral_constantIbLb0EES1D_IbLb1EEEEDaS19_S1A_EUlS19_E_NS1_11comp_targetILNS1_3genE0ELNS1_11target_archE4294967295ELNS1_3gpuE0ELNS1_3repE0EEENS1_30default_config_static_selectorELNS0_4arch9wavefront6targetE1EEEvT1_ ; -- Begin function _ZN7rocprim17ROCPRIM_400000_NS6detail17trampoline_kernelINS0_14default_configENS1_25partition_config_selectorILNS1_17partition_subalgoE8EbNS0_10empty_typeEbEEZZNS1_14partition_implILS5_8ELb0ES3_jN6hipcub16HIPCUB_304000_NS22TransformInputIteratorIbN2at6native8internal12_GLOBAL__N_110LoadBoolOpEPKhlEEPS6_PKS6_NS0_5tupleIJPbS6_EEENSN_IJSK_SK_EEENS0_18inequality_wrapperINSA_8EqualityEEEPlJS6_EEE10hipError_tPvRmT3_T4_T5_T6_T7_T9_mT8_P12ihipStream_tbDpT10_ENKUlT_T0_E_clISt17integral_constantIbLb0EES1D_IbLb1EEEEDaS19_S1A_EUlS19_E_NS1_11comp_targetILNS1_3genE0ELNS1_11target_archE4294967295ELNS1_3gpuE0ELNS1_3repE0EEENS1_30default_config_static_selectorELNS0_4arch9wavefront6targetE1EEEvT1_
	.p2align	8
	.type	_ZN7rocprim17ROCPRIM_400000_NS6detail17trampoline_kernelINS0_14default_configENS1_25partition_config_selectorILNS1_17partition_subalgoE8EbNS0_10empty_typeEbEEZZNS1_14partition_implILS5_8ELb0ES3_jN6hipcub16HIPCUB_304000_NS22TransformInputIteratorIbN2at6native8internal12_GLOBAL__N_110LoadBoolOpEPKhlEEPS6_PKS6_NS0_5tupleIJPbS6_EEENSN_IJSK_SK_EEENS0_18inequality_wrapperINSA_8EqualityEEEPlJS6_EEE10hipError_tPvRmT3_T4_T5_T6_T7_T9_mT8_P12ihipStream_tbDpT10_ENKUlT_T0_E_clISt17integral_constantIbLb0EES1D_IbLb1EEEEDaS19_S1A_EUlS19_E_NS1_11comp_targetILNS1_3genE0ELNS1_11target_archE4294967295ELNS1_3gpuE0ELNS1_3repE0EEENS1_30default_config_static_selectorELNS0_4arch9wavefront6targetE1EEEvT1_,@function
_ZN7rocprim17ROCPRIM_400000_NS6detail17trampoline_kernelINS0_14default_configENS1_25partition_config_selectorILNS1_17partition_subalgoE8EbNS0_10empty_typeEbEEZZNS1_14partition_implILS5_8ELb0ES3_jN6hipcub16HIPCUB_304000_NS22TransformInputIteratorIbN2at6native8internal12_GLOBAL__N_110LoadBoolOpEPKhlEEPS6_PKS6_NS0_5tupleIJPbS6_EEENSN_IJSK_SK_EEENS0_18inequality_wrapperINSA_8EqualityEEEPlJS6_EEE10hipError_tPvRmT3_T4_T5_T6_T7_T9_mT8_P12ihipStream_tbDpT10_ENKUlT_T0_E_clISt17integral_constantIbLb0EES1D_IbLb1EEEEDaS19_S1A_EUlS19_E_NS1_11comp_targetILNS1_3genE0ELNS1_11target_archE4294967295ELNS1_3gpuE0ELNS1_3repE0EEENS1_30default_config_static_selectorELNS0_4arch9wavefront6targetE1EEEvT1_: ; @_ZN7rocprim17ROCPRIM_400000_NS6detail17trampoline_kernelINS0_14default_configENS1_25partition_config_selectorILNS1_17partition_subalgoE8EbNS0_10empty_typeEbEEZZNS1_14partition_implILS5_8ELb0ES3_jN6hipcub16HIPCUB_304000_NS22TransformInputIteratorIbN2at6native8internal12_GLOBAL__N_110LoadBoolOpEPKhlEEPS6_PKS6_NS0_5tupleIJPbS6_EEENSN_IJSK_SK_EEENS0_18inequality_wrapperINSA_8EqualityEEEPlJS6_EEE10hipError_tPvRmT3_T4_T5_T6_T7_T9_mT8_P12ihipStream_tbDpT10_ENKUlT_T0_E_clISt17integral_constantIbLb0EES1D_IbLb1EEEEDaS19_S1A_EUlS19_E_NS1_11comp_targetILNS1_3genE0ELNS1_11target_archE4294967295ELNS1_3gpuE0ELNS1_3repE0EEENS1_30default_config_static_selectorELNS0_4arch9wavefront6targetE1EEEvT1_
; %bb.0:
	.section	.rodata,"a",@progbits
	.p2align	6, 0x0
	.amdhsa_kernel _ZN7rocprim17ROCPRIM_400000_NS6detail17trampoline_kernelINS0_14default_configENS1_25partition_config_selectorILNS1_17partition_subalgoE8EbNS0_10empty_typeEbEEZZNS1_14partition_implILS5_8ELb0ES3_jN6hipcub16HIPCUB_304000_NS22TransformInputIteratorIbN2at6native8internal12_GLOBAL__N_110LoadBoolOpEPKhlEEPS6_PKS6_NS0_5tupleIJPbS6_EEENSN_IJSK_SK_EEENS0_18inequality_wrapperINSA_8EqualityEEEPlJS6_EEE10hipError_tPvRmT3_T4_T5_T6_T7_T9_mT8_P12ihipStream_tbDpT10_ENKUlT_T0_E_clISt17integral_constantIbLb0EES1D_IbLb1EEEEDaS19_S1A_EUlS19_E_NS1_11comp_targetILNS1_3genE0ELNS1_11target_archE4294967295ELNS1_3gpuE0ELNS1_3repE0EEENS1_30default_config_static_selectorELNS0_4arch9wavefront6targetE1EEEvT1_
		.amdhsa_group_segment_fixed_size 0
		.amdhsa_private_segment_fixed_size 0
		.amdhsa_kernarg_size 136
		.amdhsa_user_sgpr_count 6
		.amdhsa_user_sgpr_private_segment_buffer 1
		.amdhsa_user_sgpr_dispatch_ptr 0
		.amdhsa_user_sgpr_queue_ptr 0
		.amdhsa_user_sgpr_kernarg_segment_ptr 1
		.amdhsa_user_sgpr_dispatch_id 0
		.amdhsa_user_sgpr_flat_scratch_init 0
		.amdhsa_user_sgpr_kernarg_preload_length 0
		.amdhsa_user_sgpr_kernarg_preload_offset 0
		.amdhsa_user_sgpr_private_segment_size 0
		.amdhsa_uses_dynamic_stack 0
		.amdhsa_system_sgpr_private_segment_wavefront_offset 0
		.amdhsa_system_sgpr_workgroup_id_x 1
		.amdhsa_system_sgpr_workgroup_id_y 0
		.amdhsa_system_sgpr_workgroup_id_z 0
		.amdhsa_system_sgpr_workgroup_info 0
		.amdhsa_system_vgpr_workitem_id 0
		.amdhsa_next_free_vgpr 1
		.amdhsa_next_free_sgpr 0
		.amdhsa_accum_offset 4
		.amdhsa_reserve_vcc 0
		.amdhsa_reserve_flat_scratch 0
		.amdhsa_float_round_mode_32 0
		.amdhsa_float_round_mode_16_64 0
		.amdhsa_float_denorm_mode_32 3
		.amdhsa_float_denorm_mode_16_64 3
		.amdhsa_dx10_clamp 1
		.amdhsa_ieee_mode 1
		.amdhsa_fp16_overflow 0
		.amdhsa_tg_split 0
		.amdhsa_exception_fp_ieee_invalid_op 0
		.amdhsa_exception_fp_denorm_src 0
		.amdhsa_exception_fp_ieee_div_zero 0
		.amdhsa_exception_fp_ieee_overflow 0
		.amdhsa_exception_fp_ieee_underflow 0
		.amdhsa_exception_fp_ieee_inexact 0
		.amdhsa_exception_int_div_zero 0
	.end_amdhsa_kernel
	.section	.text._ZN7rocprim17ROCPRIM_400000_NS6detail17trampoline_kernelINS0_14default_configENS1_25partition_config_selectorILNS1_17partition_subalgoE8EbNS0_10empty_typeEbEEZZNS1_14partition_implILS5_8ELb0ES3_jN6hipcub16HIPCUB_304000_NS22TransformInputIteratorIbN2at6native8internal12_GLOBAL__N_110LoadBoolOpEPKhlEEPS6_PKS6_NS0_5tupleIJPbS6_EEENSN_IJSK_SK_EEENS0_18inequality_wrapperINSA_8EqualityEEEPlJS6_EEE10hipError_tPvRmT3_T4_T5_T6_T7_T9_mT8_P12ihipStream_tbDpT10_ENKUlT_T0_E_clISt17integral_constantIbLb0EES1D_IbLb1EEEEDaS19_S1A_EUlS19_E_NS1_11comp_targetILNS1_3genE0ELNS1_11target_archE4294967295ELNS1_3gpuE0ELNS1_3repE0EEENS1_30default_config_static_selectorELNS0_4arch9wavefront6targetE1EEEvT1_,"axG",@progbits,_ZN7rocprim17ROCPRIM_400000_NS6detail17trampoline_kernelINS0_14default_configENS1_25partition_config_selectorILNS1_17partition_subalgoE8EbNS0_10empty_typeEbEEZZNS1_14partition_implILS5_8ELb0ES3_jN6hipcub16HIPCUB_304000_NS22TransformInputIteratorIbN2at6native8internal12_GLOBAL__N_110LoadBoolOpEPKhlEEPS6_PKS6_NS0_5tupleIJPbS6_EEENSN_IJSK_SK_EEENS0_18inequality_wrapperINSA_8EqualityEEEPlJS6_EEE10hipError_tPvRmT3_T4_T5_T6_T7_T9_mT8_P12ihipStream_tbDpT10_ENKUlT_T0_E_clISt17integral_constantIbLb0EES1D_IbLb1EEEEDaS19_S1A_EUlS19_E_NS1_11comp_targetILNS1_3genE0ELNS1_11target_archE4294967295ELNS1_3gpuE0ELNS1_3repE0EEENS1_30default_config_static_selectorELNS0_4arch9wavefront6targetE1EEEvT1_,comdat
.Lfunc_end40:
	.size	_ZN7rocprim17ROCPRIM_400000_NS6detail17trampoline_kernelINS0_14default_configENS1_25partition_config_selectorILNS1_17partition_subalgoE8EbNS0_10empty_typeEbEEZZNS1_14partition_implILS5_8ELb0ES3_jN6hipcub16HIPCUB_304000_NS22TransformInputIteratorIbN2at6native8internal12_GLOBAL__N_110LoadBoolOpEPKhlEEPS6_PKS6_NS0_5tupleIJPbS6_EEENSN_IJSK_SK_EEENS0_18inequality_wrapperINSA_8EqualityEEEPlJS6_EEE10hipError_tPvRmT3_T4_T5_T6_T7_T9_mT8_P12ihipStream_tbDpT10_ENKUlT_T0_E_clISt17integral_constantIbLb0EES1D_IbLb1EEEEDaS19_S1A_EUlS19_E_NS1_11comp_targetILNS1_3genE0ELNS1_11target_archE4294967295ELNS1_3gpuE0ELNS1_3repE0EEENS1_30default_config_static_selectorELNS0_4arch9wavefront6targetE1EEEvT1_, .Lfunc_end40-_ZN7rocprim17ROCPRIM_400000_NS6detail17trampoline_kernelINS0_14default_configENS1_25partition_config_selectorILNS1_17partition_subalgoE8EbNS0_10empty_typeEbEEZZNS1_14partition_implILS5_8ELb0ES3_jN6hipcub16HIPCUB_304000_NS22TransformInputIteratorIbN2at6native8internal12_GLOBAL__N_110LoadBoolOpEPKhlEEPS6_PKS6_NS0_5tupleIJPbS6_EEENSN_IJSK_SK_EEENS0_18inequality_wrapperINSA_8EqualityEEEPlJS6_EEE10hipError_tPvRmT3_T4_T5_T6_T7_T9_mT8_P12ihipStream_tbDpT10_ENKUlT_T0_E_clISt17integral_constantIbLb0EES1D_IbLb1EEEEDaS19_S1A_EUlS19_E_NS1_11comp_targetILNS1_3genE0ELNS1_11target_archE4294967295ELNS1_3gpuE0ELNS1_3repE0EEENS1_30default_config_static_selectorELNS0_4arch9wavefront6targetE1EEEvT1_
                                        ; -- End function
	.section	.AMDGPU.csdata,"",@progbits
; Kernel info:
; codeLenInByte = 0
; NumSgprs: 4
; NumVgprs: 0
; NumAgprs: 0
; TotalNumVgprs: 0
; ScratchSize: 0
; MemoryBound: 0
; FloatMode: 240
; IeeeMode: 1
; LDSByteSize: 0 bytes/workgroup (compile time only)
; SGPRBlocks: 0
; VGPRBlocks: 0
; NumSGPRsForWavesPerEU: 4
; NumVGPRsForWavesPerEU: 1
; AccumOffset: 4
; Occupancy: 8
; WaveLimiterHint : 0
; COMPUTE_PGM_RSRC2:SCRATCH_EN: 0
; COMPUTE_PGM_RSRC2:USER_SGPR: 6
; COMPUTE_PGM_RSRC2:TRAP_HANDLER: 0
; COMPUTE_PGM_RSRC2:TGID_X_EN: 1
; COMPUTE_PGM_RSRC2:TGID_Y_EN: 0
; COMPUTE_PGM_RSRC2:TGID_Z_EN: 0
; COMPUTE_PGM_RSRC2:TIDIG_COMP_CNT: 0
; COMPUTE_PGM_RSRC3_GFX90A:ACCUM_OFFSET: 0
; COMPUTE_PGM_RSRC3_GFX90A:TG_SPLIT: 0
	.section	.text._ZN7rocprim17ROCPRIM_400000_NS6detail17trampoline_kernelINS0_14default_configENS1_25partition_config_selectorILNS1_17partition_subalgoE8EbNS0_10empty_typeEbEEZZNS1_14partition_implILS5_8ELb0ES3_jN6hipcub16HIPCUB_304000_NS22TransformInputIteratorIbN2at6native8internal12_GLOBAL__N_110LoadBoolOpEPKhlEEPS6_PKS6_NS0_5tupleIJPbS6_EEENSN_IJSK_SK_EEENS0_18inequality_wrapperINSA_8EqualityEEEPlJS6_EEE10hipError_tPvRmT3_T4_T5_T6_T7_T9_mT8_P12ihipStream_tbDpT10_ENKUlT_T0_E_clISt17integral_constantIbLb0EES1D_IbLb1EEEEDaS19_S1A_EUlS19_E_NS1_11comp_targetILNS1_3genE5ELNS1_11target_archE942ELNS1_3gpuE9ELNS1_3repE0EEENS1_30default_config_static_selectorELNS0_4arch9wavefront6targetE1EEEvT1_,"axG",@progbits,_ZN7rocprim17ROCPRIM_400000_NS6detail17trampoline_kernelINS0_14default_configENS1_25partition_config_selectorILNS1_17partition_subalgoE8EbNS0_10empty_typeEbEEZZNS1_14partition_implILS5_8ELb0ES3_jN6hipcub16HIPCUB_304000_NS22TransformInputIteratorIbN2at6native8internal12_GLOBAL__N_110LoadBoolOpEPKhlEEPS6_PKS6_NS0_5tupleIJPbS6_EEENSN_IJSK_SK_EEENS0_18inequality_wrapperINSA_8EqualityEEEPlJS6_EEE10hipError_tPvRmT3_T4_T5_T6_T7_T9_mT8_P12ihipStream_tbDpT10_ENKUlT_T0_E_clISt17integral_constantIbLb0EES1D_IbLb1EEEEDaS19_S1A_EUlS19_E_NS1_11comp_targetILNS1_3genE5ELNS1_11target_archE942ELNS1_3gpuE9ELNS1_3repE0EEENS1_30default_config_static_selectorELNS0_4arch9wavefront6targetE1EEEvT1_,comdat
	.globl	_ZN7rocprim17ROCPRIM_400000_NS6detail17trampoline_kernelINS0_14default_configENS1_25partition_config_selectorILNS1_17partition_subalgoE8EbNS0_10empty_typeEbEEZZNS1_14partition_implILS5_8ELb0ES3_jN6hipcub16HIPCUB_304000_NS22TransformInputIteratorIbN2at6native8internal12_GLOBAL__N_110LoadBoolOpEPKhlEEPS6_PKS6_NS0_5tupleIJPbS6_EEENSN_IJSK_SK_EEENS0_18inequality_wrapperINSA_8EqualityEEEPlJS6_EEE10hipError_tPvRmT3_T4_T5_T6_T7_T9_mT8_P12ihipStream_tbDpT10_ENKUlT_T0_E_clISt17integral_constantIbLb0EES1D_IbLb1EEEEDaS19_S1A_EUlS19_E_NS1_11comp_targetILNS1_3genE5ELNS1_11target_archE942ELNS1_3gpuE9ELNS1_3repE0EEENS1_30default_config_static_selectorELNS0_4arch9wavefront6targetE1EEEvT1_ ; -- Begin function _ZN7rocprim17ROCPRIM_400000_NS6detail17trampoline_kernelINS0_14default_configENS1_25partition_config_selectorILNS1_17partition_subalgoE8EbNS0_10empty_typeEbEEZZNS1_14partition_implILS5_8ELb0ES3_jN6hipcub16HIPCUB_304000_NS22TransformInputIteratorIbN2at6native8internal12_GLOBAL__N_110LoadBoolOpEPKhlEEPS6_PKS6_NS0_5tupleIJPbS6_EEENSN_IJSK_SK_EEENS0_18inequality_wrapperINSA_8EqualityEEEPlJS6_EEE10hipError_tPvRmT3_T4_T5_T6_T7_T9_mT8_P12ihipStream_tbDpT10_ENKUlT_T0_E_clISt17integral_constantIbLb0EES1D_IbLb1EEEEDaS19_S1A_EUlS19_E_NS1_11comp_targetILNS1_3genE5ELNS1_11target_archE942ELNS1_3gpuE9ELNS1_3repE0EEENS1_30default_config_static_selectorELNS0_4arch9wavefront6targetE1EEEvT1_
	.p2align	8
	.type	_ZN7rocprim17ROCPRIM_400000_NS6detail17trampoline_kernelINS0_14default_configENS1_25partition_config_selectorILNS1_17partition_subalgoE8EbNS0_10empty_typeEbEEZZNS1_14partition_implILS5_8ELb0ES3_jN6hipcub16HIPCUB_304000_NS22TransformInputIteratorIbN2at6native8internal12_GLOBAL__N_110LoadBoolOpEPKhlEEPS6_PKS6_NS0_5tupleIJPbS6_EEENSN_IJSK_SK_EEENS0_18inequality_wrapperINSA_8EqualityEEEPlJS6_EEE10hipError_tPvRmT3_T4_T5_T6_T7_T9_mT8_P12ihipStream_tbDpT10_ENKUlT_T0_E_clISt17integral_constantIbLb0EES1D_IbLb1EEEEDaS19_S1A_EUlS19_E_NS1_11comp_targetILNS1_3genE5ELNS1_11target_archE942ELNS1_3gpuE9ELNS1_3repE0EEENS1_30default_config_static_selectorELNS0_4arch9wavefront6targetE1EEEvT1_,@function
_ZN7rocprim17ROCPRIM_400000_NS6detail17trampoline_kernelINS0_14default_configENS1_25partition_config_selectorILNS1_17partition_subalgoE8EbNS0_10empty_typeEbEEZZNS1_14partition_implILS5_8ELb0ES3_jN6hipcub16HIPCUB_304000_NS22TransformInputIteratorIbN2at6native8internal12_GLOBAL__N_110LoadBoolOpEPKhlEEPS6_PKS6_NS0_5tupleIJPbS6_EEENSN_IJSK_SK_EEENS0_18inequality_wrapperINSA_8EqualityEEEPlJS6_EEE10hipError_tPvRmT3_T4_T5_T6_T7_T9_mT8_P12ihipStream_tbDpT10_ENKUlT_T0_E_clISt17integral_constantIbLb0EES1D_IbLb1EEEEDaS19_S1A_EUlS19_E_NS1_11comp_targetILNS1_3genE5ELNS1_11target_archE942ELNS1_3gpuE9ELNS1_3repE0EEENS1_30default_config_static_selectorELNS0_4arch9wavefront6targetE1EEEvT1_: ; @_ZN7rocprim17ROCPRIM_400000_NS6detail17trampoline_kernelINS0_14default_configENS1_25partition_config_selectorILNS1_17partition_subalgoE8EbNS0_10empty_typeEbEEZZNS1_14partition_implILS5_8ELb0ES3_jN6hipcub16HIPCUB_304000_NS22TransformInputIteratorIbN2at6native8internal12_GLOBAL__N_110LoadBoolOpEPKhlEEPS6_PKS6_NS0_5tupleIJPbS6_EEENSN_IJSK_SK_EEENS0_18inequality_wrapperINSA_8EqualityEEEPlJS6_EEE10hipError_tPvRmT3_T4_T5_T6_T7_T9_mT8_P12ihipStream_tbDpT10_ENKUlT_T0_E_clISt17integral_constantIbLb0EES1D_IbLb1EEEEDaS19_S1A_EUlS19_E_NS1_11comp_targetILNS1_3genE5ELNS1_11target_archE942ELNS1_3gpuE9ELNS1_3repE0EEENS1_30default_config_static_selectorELNS0_4arch9wavefront6targetE1EEEvT1_
; %bb.0:
	.section	.rodata,"a",@progbits
	.p2align	6, 0x0
	.amdhsa_kernel _ZN7rocprim17ROCPRIM_400000_NS6detail17trampoline_kernelINS0_14default_configENS1_25partition_config_selectorILNS1_17partition_subalgoE8EbNS0_10empty_typeEbEEZZNS1_14partition_implILS5_8ELb0ES3_jN6hipcub16HIPCUB_304000_NS22TransformInputIteratorIbN2at6native8internal12_GLOBAL__N_110LoadBoolOpEPKhlEEPS6_PKS6_NS0_5tupleIJPbS6_EEENSN_IJSK_SK_EEENS0_18inequality_wrapperINSA_8EqualityEEEPlJS6_EEE10hipError_tPvRmT3_T4_T5_T6_T7_T9_mT8_P12ihipStream_tbDpT10_ENKUlT_T0_E_clISt17integral_constantIbLb0EES1D_IbLb1EEEEDaS19_S1A_EUlS19_E_NS1_11comp_targetILNS1_3genE5ELNS1_11target_archE942ELNS1_3gpuE9ELNS1_3repE0EEENS1_30default_config_static_selectorELNS0_4arch9wavefront6targetE1EEEvT1_
		.amdhsa_group_segment_fixed_size 0
		.amdhsa_private_segment_fixed_size 0
		.amdhsa_kernarg_size 136
		.amdhsa_user_sgpr_count 6
		.amdhsa_user_sgpr_private_segment_buffer 1
		.amdhsa_user_sgpr_dispatch_ptr 0
		.amdhsa_user_sgpr_queue_ptr 0
		.amdhsa_user_sgpr_kernarg_segment_ptr 1
		.amdhsa_user_sgpr_dispatch_id 0
		.amdhsa_user_sgpr_flat_scratch_init 0
		.amdhsa_user_sgpr_kernarg_preload_length 0
		.amdhsa_user_sgpr_kernarg_preload_offset 0
		.amdhsa_user_sgpr_private_segment_size 0
		.amdhsa_uses_dynamic_stack 0
		.amdhsa_system_sgpr_private_segment_wavefront_offset 0
		.amdhsa_system_sgpr_workgroup_id_x 1
		.amdhsa_system_sgpr_workgroup_id_y 0
		.amdhsa_system_sgpr_workgroup_id_z 0
		.amdhsa_system_sgpr_workgroup_info 0
		.amdhsa_system_vgpr_workitem_id 0
		.amdhsa_next_free_vgpr 1
		.amdhsa_next_free_sgpr 0
		.amdhsa_accum_offset 4
		.amdhsa_reserve_vcc 0
		.amdhsa_reserve_flat_scratch 0
		.amdhsa_float_round_mode_32 0
		.amdhsa_float_round_mode_16_64 0
		.amdhsa_float_denorm_mode_32 3
		.amdhsa_float_denorm_mode_16_64 3
		.amdhsa_dx10_clamp 1
		.amdhsa_ieee_mode 1
		.amdhsa_fp16_overflow 0
		.amdhsa_tg_split 0
		.amdhsa_exception_fp_ieee_invalid_op 0
		.amdhsa_exception_fp_denorm_src 0
		.amdhsa_exception_fp_ieee_div_zero 0
		.amdhsa_exception_fp_ieee_overflow 0
		.amdhsa_exception_fp_ieee_underflow 0
		.amdhsa_exception_fp_ieee_inexact 0
		.amdhsa_exception_int_div_zero 0
	.end_amdhsa_kernel
	.section	.text._ZN7rocprim17ROCPRIM_400000_NS6detail17trampoline_kernelINS0_14default_configENS1_25partition_config_selectorILNS1_17partition_subalgoE8EbNS0_10empty_typeEbEEZZNS1_14partition_implILS5_8ELb0ES3_jN6hipcub16HIPCUB_304000_NS22TransformInputIteratorIbN2at6native8internal12_GLOBAL__N_110LoadBoolOpEPKhlEEPS6_PKS6_NS0_5tupleIJPbS6_EEENSN_IJSK_SK_EEENS0_18inequality_wrapperINSA_8EqualityEEEPlJS6_EEE10hipError_tPvRmT3_T4_T5_T6_T7_T9_mT8_P12ihipStream_tbDpT10_ENKUlT_T0_E_clISt17integral_constantIbLb0EES1D_IbLb1EEEEDaS19_S1A_EUlS19_E_NS1_11comp_targetILNS1_3genE5ELNS1_11target_archE942ELNS1_3gpuE9ELNS1_3repE0EEENS1_30default_config_static_selectorELNS0_4arch9wavefront6targetE1EEEvT1_,"axG",@progbits,_ZN7rocprim17ROCPRIM_400000_NS6detail17trampoline_kernelINS0_14default_configENS1_25partition_config_selectorILNS1_17partition_subalgoE8EbNS0_10empty_typeEbEEZZNS1_14partition_implILS5_8ELb0ES3_jN6hipcub16HIPCUB_304000_NS22TransformInputIteratorIbN2at6native8internal12_GLOBAL__N_110LoadBoolOpEPKhlEEPS6_PKS6_NS0_5tupleIJPbS6_EEENSN_IJSK_SK_EEENS0_18inequality_wrapperINSA_8EqualityEEEPlJS6_EEE10hipError_tPvRmT3_T4_T5_T6_T7_T9_mT8_P12ihipStream_tbDpT10_ENKUlT_T0_E_clISt17integral_constantIbLb0EES1D_IbLb1EEEEDaS19_S1A_EUlS19_E_NS1_11comp_targetILNS1_3genE5ELNS1_11target_archE942ELNS1_3gpuE9ELNS1_3repE0EEENS1_30default_config_static_selectorELNS0_4arch9wavefront6targetE1EEEvT1_,comdat
.Lfunc_end41:
	.size	_ZN7rocprim17ROCPRIM_400000_NS6detail17trampoline_kernelINS0_14default_configENS1_25partition_config_selectorILNS1_17partition_subalgoE8EbNS0_10empty_typeEbEEZZNS1_14partition_implILS5_8ELb0ES3_jN6hipcub16HIPCUB_304000_NS22TransformInputIteratorIbN2at6native8internal12_GLOBAL__N_110LoadBoolOpEPKhlEEPS6_PKS6_NS0_5tupleIJPbS6_EEENSN_IJSK_SK_EEENS0_18inequality_wrapperINSA_8EqualityEEEPlJS6_EEE10hipError_tPvRmT3_T4_T5_T6_T7_T9_mT8_P12ihipStream_tbDpT10_ENKUlT_T0_E_clISt17integral_constantIbLb0EES1D_IbLb1EEEEDaS19_S1A_EUlS19_E_NS1_11comp_targetILNS1_3genE5ELNS1_11target_archE942ELNS1_3gpuE9ELNS1_3repE0EEENS1_30default_config_static_selectorELNS0_4arch9wavefront6targetE1EEEvT1_, .Lfunc_end41-_ZN7rocprim17ROCPRIM_400000_NS6detail17trampoline_kernelINS0_14default_configENS1_25partition_config_selectorILNS1_17partition_subalgoE8EbNS0_10empty_typeEbEEZZNS1_14partition_implILS5_8ELb0ES3_jN6hipcub16HIPCUB_304000_NS22TransformInputIteratorIbN2at6native8internal12_GLOBAL__N_110LoadBoolOpEPKhlEEPS6_PKS6_NS0_5tupleIJPbS6_EEENSN_IJSK_SK_EEENS0_18inequality_wrapperINSA_8EqualityEEEPlJS6_EEE10hipError_tPvRmT3_T4_T5_T6_T7_T9_mT8_P12ihipStream_tbDpT10_ENKUlT_T0_E_clISt17integral_constantIbLb0EES1D_IbLb1EEEEDaS19_S1A_EUlS19_E_NS1_11comp_targetILNS1_3genE5ELNS1_11target_archE942ELNS1_3gpuE9ELNS1_3repE0EEENS1_30default_config_static_selectorELNS0_4arch9wavefront6targetE1EEEvT1_
                                        ; -- End function
	.section	.AMDGPU.csdata,"",@progbits
; Kernel info:
; codeLenInByte = 0
; NumSgprs: 4
; NumVgprs: 0
; NumAgprs: 0
; TotalNumVgprs: 0
; ScratchSize: 0
; MemoryBound: 0
; FloatMode: 240
; IeeeMode: 1
; LDSByteSize: 0 bytes/workgroup (compile time only)
; SGPRBlocks: 0
; VGPRBlocks: 0
; NumSGPRsForWavesPerEU: 4
; NumVGPRsForWavesPerEU: 1
; AccumOffset: 4
; Occupancy: 8
; WaveLimiterHint : 0
; COMPUTE_PGM_RSRC2:SCRATCH_EN: 0
; COMPUTE_PGM_RSRC2:USER_SGPR: 6
; COMPUTE_PGM_RSRC2:TRAP_HANDLER: 0
; COMPUTE_PGM_RSRC2:TGID_X_EN: 1
; COMPUTE_PGM_RSRC2:TGID_Y_EN: 0
; COMPUTE_PGM_RSRC2:TGID_Z_EN: 0
; COMPUTE_PGM_RSRC2:TIDIG_COMP_CNT: 0
; COMPUTE_PGM_RSRC3_GFX90A:ACCUM_OFFSET: 0
; COMPUTE_PGM_RSRC3_GFX90A:TG_SPLIT: 0
	.section	.text._ZN7rocprim17ROCPRIM_400000_NS6detail17trampoline_kernelINS0_14default_configENS1_25partition_config_selectorILNS1_17partition_subalgoE8EbNS0_10empty_typeEbEEZZNS1_14partition_implILS5_8ELb0ES3_jN6hipcub16HIPCUB_304000_NS22TransformInputIteratorIbN2at6native8internal12_GLOBAL__N_110LoadBoolOpEPKhlEEPS6_PKS6_NS0_5tupleIJPbS6_EEENSN_IJSK_SK_EEENS0_18inequality_wrapperINSA_8EqualityEEEPlJS6_EEE10hipError_tPvRmT3_T4_T5_T6_T7_T9_mT8_P12ihipStream_tbDpT10_ENKUlT_T0_E_clISt17integral_constantIbLb0EES1D_IbLb1EEEEDaS19_S1A_EUlS19_E_NS1_11comp_targetILNS1_3genE4ELNS1_11target_archE910ELNS1_3gpuE8ELNS1_3repE0EEENS1_30default_config_static_selectorELNS0_4arch9wavefront6targetE1EEEvT1_,"axG",@progbits,_ZN7rocprim17ROCPRIM_400000_NS6detail17trampoline_kernelINS0_14default_configENS1_25partition_config_selectorILNS1_17partition_subalgoE8EbNS0_10empty_typeEbEEZZNS1_14partition_implILS5_8ELb0ES3_jN6hipcub16HIPCUB_304000_NS22TransformInputIteratorIbN2at6native8internal12_GLOBAL__N_110LoadBoolOpEPKhlEEPS6_PKS6_NS0_5tupleIJPbS6_EEENSN_IJSK_SK_EEENS0_18inequality_wrapperINSA_8EqualityEEEPlJS6_EEE10hipError_tPvRmT3_T4_T5_T6_T7_T9_mT8_P12ihipStream_tbDpT10_ENKUlT_T0_E_clISt17integral_constantIbLb0EES1D_IbLb1EEEEDaS19_S1A_EUlS19_E_NS1_11comp_targetILNS1_3genE4ELNS1_11target_archE910ELNS1_3gpuE8ELNS1_3repE0EEENS1_30default_config_static_selectorELNS0_4arch9wavefront6targetE1EEEvT1_,comdat
	.globl	_ZN7rocprim17ROCPRIM_400000_NS6detail17trampoline_kernelINS0_14default_configENS1_25partition_config_selectorILNS1_17partition_subalgoE8EbNS0_10empty_typeEbEEZZNS1_14partition_implILS5_8ELb0ES3_jN6hipcub16HIPCUB_304000_NS22TransformInputIteratorIbN2at6native8internal12_GLOBAL__N_110LoadBoolOpEPKhlEEPS6_PKS6_NS0_5tupleIJPbS6_EEENSN_IJSK_SK_EEENS0_18inequality_wrapperINSA_8EqualityEEEPlJS6_EEE10hipError_tPvRmT3_T4_T5_T6_T7_T9_mT8_P12ihipStream_tbDpT10_ENKUlT_T0_E_clISt17integral_constantIbLb0EES1D_IbLb1EEEEDaS19_S1A_EUlS19_E_NS1_11comp_targetILNS1_3genE4ELNS1_11target_archE910ELNS1_3gpuE8ELNS1_3repE0EEENS1_30default_config_static_selectorELNS0_4arch9wavefront6targetE1EEEvT1_ ; -- Begin function _ZN7rocprim17ROCPRIM_400000_NS6detail17trampoline_kernelINS0_14default_configENS1_25partition_config_selectorILNS1_17partition_subalgoE8EbNS0_10empty_typeEbEEZZNS1_14partition_implILS5_8ELb0ES3_jN6hipcub16HIPCUB_304000_NS22TransformInputIteratorIbN2at6native8internal12_GLOBAL__N_110LoadBoolOpEPKhlEEPS6_PKS6_NS0_5tupleIJPbS6_EEENSN_IJSK_SK_EEENS0_18inequality_wrapperINSA_8EqualityEEEPlJS6_EEE10hipError_tPvRmT3_T4_T5_T6_T7_T9_mT8_P12ihipStream_tbDpT10_ENKUlT_T0_E_clISt17integral_constantIbLb0EES1D_IbLb1EEEEDaS19_S1A_EUlS19_E_NS1_11comp_targetILNS1_3genE4ELNS1_11target_archE910ELNS1_3gpuE8ELNS1_3repE0EEENS1_30default_config_static_selectorELNS0_4arch9wavefront6targetE1EEEvT1_
	.p2align	8
	.type	_ZN7rocprim17ROCPRIM_400000_NS6detail17trampoline_kernelINS0_14default_configENS1_25partition_config_selectorILNS1_17partition_subalgoE8EbNS0_10empty_typeEbEEZZNS1_14partition_implILS5_8ELb0ES3_jN6hipcub16HIPCUB_304000_NS22TransformInputIteratorIbN2at6native8internal12_GLOBAL__N_110LoadBoolOpEPKhlEEPS6_PKS6_NS0_5tupleIJPbS6_EEENSN_IJSK_SK_EEENS0_18inequality_wrapperINSA_8EqualityEEEPlJS6_EEE10hipError_tPvRmT3_T4_T5_T6_T7_T9_mT8_P12ihipStream_tbDpT10_ENKUlT_T0_E_clISt17integral_constantIbLb0EES1D_IbLb1EEEEDaS19_S1A_EUlS19_E_NS1_11comp_targetILNS1_3genE4ELNS1_11target_archE910ELNS1_3gpuE8ELNS1_3repE0EEENS1_30default_config_static_selectorELNS0_4arch9wavefront6targetE1EEEvT1_,@function
_ZN7rocprim17ROCPRIM_400000_NS6detail17trampoline_kernelINS0_14default_configENS1_25partition_config_selectorILNS1_17partition_subalgoE8EbNS0_10empty_typeEbEEZZNS1_14partition_implILS5_8ELb0ES3_jN6hipcub16HIPCUB_304000_NS22TransformInputIteratorIbN2at6native8internal12_GLOBAL__N_110LoadBoolOpEPKhlEEPS6_PKS6_NS0_5tupleIJPbS6_EEENSN_IJSK_SK_EEENS0_18inequality_wrapperINSA_8EqualityEEEPlJS6_EEE10hipError_tPvRmT3_T4_T5_T6_T7_T9_mT8_P12ihipStream_tbDpT10_ENKUlT_T0_E_clISt17integral_constantIbLb0EES1D_IbLb1EEEEDaS19_S1A_EUlS19_E_NS1_11comp_targetILNS1_3genE4ELNS1_11target_archE910ELNS1_3gpuE8ELNS1_3repE0EEENS1_30default_config_static_selectorELNS0_4arch9wavefront6targetE1EEEvT1_: ; @_ZN7rocprim17ROCPRIM_400000_NS6detail17trampoline_kernelINS0_14default_configENS1_25partition_config_selectorILNS1_17partition_subalgoE8EbNS0_10empty_typeEbEEZZNS1_14partition_implILS5_8ELb0ES3_jN6hipcub16HIPCUB_304000_NS22TransformInputIteratorIbN2at6native8internal12_GLOBAL__N_110LoadBoolOpEPKhlEEPS6_PKS6_NS0_5tupleIJPbS6_EEENSN_IJSK_SK_EEENS0_18inequality_wrapperINSA_8EqualityEEEPlJS6_EEE10hipError_tPvRmT3_T4_T5_T6_T7_T9_mT8_P12ihipStream_tbDpT10_ENKUlT_T0_E_clISt17integral_constantIbLb0EES1D_IbLb1EEEEDaS19_S1A_EUlS19_E_NS1_11comp_targetILNS1_3genE4ELNS1_11target_archE910ELNS1_3gpuE8ELNS1_3repE0EEENS1_30default_config_static_selectorELNS0_4arch9wavefront6targetE1EEEvT1_
; %bb.0:
	s_load_dwordx2 s[6:7], s[4:5], 0x8
	s_load_dwordx2 s[8:9], s[4:5], 0x18
	;; [unrolled: 1-line block ×4, first 2 shown]
	s_load_dwordx4 s[20:23], s[4:5], 0x48
	s_load_dwordx2 s[26:27], s[4:5], 0x68
	v_cmp_ne_u32_e64 s[2:3], 0, v0
	v_cmp_eq_u32_e64 s[0:1], 0, v0
	s_and_saveexec_b64 s[12:13], s[0:1]
	s_cbranch_execz .LBB42_4
; %bb.1:
	s_mov_b64 s[16:17], exec
	v_mbcnt_lo_u32_b32 v1, s16, 0
	v_mbcnt_hi_u32_b32 v1, s17, v1
	v_cmp_eq_u32_e32 vcc, 0, v1
                                        ; implicit-def: $vgpr2
	s_and_saveexec_b64 s[14:15], vcc
	s_cbranch_execz .LBB42_3
; %bb.2:
	s_load_dwordx2 s[18:19], s[4:5], 0x78
	s_bcnt1_i32_b64 s16, s[16:17]
	v_mov_b32_e32 v2, 0
	v_mov_b32_e32 v3, s16
	s_waitcnt lgkmcnt(0)
	global_atomic_add v2, v2, v3, s[18:19] glc
.LBB42_3:
	s_or_b64 exec, exec, s[14:15]
	s_waitcnt vmcnt(0)
	v_readfirstlane_b32 s14, v2
	v_add_u32_e32 v1, s14, v1
	v_mov_b32_e32 v2, 0
	ds_write_b32 v2, v1
.LBB42_4:
	s_or_b64 exec, exec, s[12:13]
	v_mov_b32_e32 v1, 0
	s_waitcnt lgkmcnt(0)
	s_barrier
	ds_read_b32 v4, v1
	s_waitcnt lgkmcnt(0)
	s_barrier
	global_load_dwordx2 v[16:17], v1, s[22:23]
	s_load_dword s4, s[4:5], 0x70
	s_add_u32 s12, s6, s8
	s_addc_u32 s13, s7, s9
	v_mov_b32_e32 v3, s11
	v_readfirstlane_b32 s33, v4
	s_waitcnt lgkmcnt(0)
	s_add_i32 s6, s4, -1
	s_lshl_b32 s5, s6, 12
	s_add_i32 s11, s8, s5
	s_lshl_b32 s4, s4, 12
	s_add_u32 s4, s8, s4
	s_addc_u32 s5, s9, 0
	v_mov_b32_e32 v2, s10
	s_cmp_eq_u32 s33, s6
	v_lshlrev_b32_e32 v1, 12, v4
	v_cmp_ge_u64_e32 vcc, s[4:5], v[2:3]
	s_cselect_b64 s[18:19], -1, 0
	s_and_b64 s[6:7], vcc, s[18:19]
	v_mov_b32_e32 v2, s13
	v_add_co_u32_e32 v10, vcc, s12, v1
	s_xor_b64 s[22:23], s[6:7], -1
	v_addc_co_u32_e32 v11, vcc, 0, v2, vcc
	s_mov_b64 s[4:5], -1
	s_and_b64 vcc, exec, s[22:23]
	s_cbranch_vccz .LBB42_6
; %bb.5:
	v_readfirstlane_b32 s4, v10
	v_readfirstlane_b32 s5, v11
	s_nop 4
	global_load_ubyte v1, v0, s[4:5]
	global_load_ubyte v2, v0, s[4:5] offset:128
	global_load_ubyte v3, v0, s[4:5] offset:256
	;; [unrolled: 1-line block ×31, first 2 shown]
	s_mov_b64 s[4:5], 0
	s_waitcnt vmcnt(31)
	v_cmp_ne_u16_e32 vcc, 0, v1
	v_cndmask_b32_e64 v1, 0, 1, vcc
	s_waitcnt vmcnt(30)
	v_cmp_ne_u16_e32 vcc, 0, v2
	v_cndmask_b32_e64 v2, 0, 1, vcc
	;; [unrolled: 3-line block ×32, first 2 shown]
	ds_write_b8 v0, v1
	ds_write_b8 v0, v2 offset:132
	ds_write_b8 v0, v3 offset:264
	;; [unrolled: 1-line block ×31, first 2 shown]
	s_waitcnt lgkmcnt(0)
	s_barrier
.LBB42_6:
	s_andn2_b64 vcc, exec, s[4:5]
	s_sub_i32 s84, s10, s11
	s_cbranch_vccnz .LBB42_72
; %bb.7:
	v_cmp_gt_u32_e32 vcc, s84, v0
                                        ; implicit-def: $vgpr1
	s_and_saveexec_b64 s[4:5], vcc
	s_cbranch_execz .LBB42_9
; %bb.8:
	v_readfirstlane_b32 s10, v10
	v_readfirstlane_b32 s11, v11
	s_nop 4
	global_load_ubyte v1, v0, s[10:11]
	s_waitcnt vmcnt(0)
	v_cmp_ne_u16_e32 vcc, 0, v1
	v_cndmask_b32_e64 v1, 0, 1, vcc
.LBB42_9:
	s_or_b64 exec, exec, s[4:5]
	v_or_b32_e32 v2, 0x80, v0
	v_cmp_gt_u32_e32 vcc, s84, v2
                                        ; implicit-def: $vgpr3
	s_and_saveexec_b64 s[4:5], vcc
	s_cbranch_execz .LBB42_11
; %bb.10:
	v_readfirstlane_b32 s10, v10
	v_readfirstlane_b32 s11, v11
	s_nop 4
	global_load_ubyte v3, v0, s[10:11] offset:128
	s_waitcnt vmcnt(0)
	v_cmp_ne_u16_e32 vcc, 0, v3
	v_cndmask_b32_e64 v3, 0, 1, vcc
.LBB42_11:
	s_or_b64 exec, exec, s[4:5]
	v_or_b32_e32 v4, 0x100, v0
	v_cmp_gt_u32_e32 vcc, s84, v4
                                        ; implicit-def: $vgpr5
	s_and_saveexec_b64 s[4:5], vcc
	s_cbranch_execz .LBB42_13
; %bb.12:
	v_readfirstlane_b32 s10, v10
	v_readfirstlane_b32 s11, v11
	s_nop 4
	global_load_ubyte v5, v0, s[10:11] offset:256
	s_waitcnt vmcnt(0)
	v_cmp_ne_u16_e32 vcc, 0, v5
	v_cndmask_b32_e64 v5, 0, 1, vcc
.LBB42_13:
	s_or_b64 exec, exec, s[4:5]
	v_or_b32_e32 v6, 0x180, v0
	v_cmp_gt_u32_e32 vcc, s84, v6
                                        ; implicit-def: $vgpr7
	s_and_saveexec_b64 s[4:5], vcc
	s_cbranch_execz .LBB42_15
; %bb.14:
	v_readfirstlane_b32 s10, v10
	v_readfirstlane_b32 s11, v11
	s_nop 4
	global_load_ubyte v7, v0, s[10:11] offset:384
	s_waitcnt vmcnt(0)
	v_cmp_ne_u16_e32 vcc, 0, v7
	v_cndmask_b32_e64 v7, 0, 1, vcc
.LBB42_15:
	s_or_b64 exec, exec, s[4:5]
	v_or_b32_e32 v8, 0x200, v0
	v_cmp_gt_u32_e32 vcc, s84, v8
                                        ; implicit-def: $vgpr9
	s_and_saveexec_b64 s[4:5], vcc
	s_cbranch_execz .LBB42_17
; %bb.16:
	v_readfirstlane_b32 s10, v10
	v_readfirstlane_b32 s11, v11
	s_nop 4
	global_load_ubyte v9, v0, s[10:11] offset:512
	s_waitcnt vmcnt(0)
	v_cmp_ne_u16_e32 vcc, 0, v9
	v_cndmask_b32_e64 v9, 0, 1, vcc
.LBB42_17:
	s_or_b64 exec, exec, s[4:5]
	v_or_b32_e32 v12, 0x280, v0
	v_cmp_gt_u32_e32 vcc, s84, v12
                                        ; implicit-def: $vgpr13
	s_and_saveexec_b64 s[4:5], vcc
	s_cbranch_execz .LBB42_19
; %bb.18:
	v_readfirstlane_b32 s10, v10
	v_readfirstlane_b32 s11, v11
	s_nop 4
	global_load_ubyte v13, v0, s[10:11] offset:640
	s_waitcnt vmcnt(0)
	v_cmp_ne_u16_e32 vcc, 0, v13
	v_cndmask_b32_e64 v13, 0, 1, vcc
.LBB42_19:
	s_or_b64 exec, exec, s[4:5]
	v_or_b32_e32 v14, 0x300, v0
	v_cmp_gt_u32_e32 vcc, s84, v14
                                        ; implicit-def: $vgpr15
	s_and_saveexec_b64 s[4:5], vcc
	s_cbranch_execz .LBB42_21
; %bb.20:
	v_readfirstlane_b32 s10, v10
	v_readfirstlane_b32 s11, v11
	s_nop 4
	global_load_ubyte v15, v0, s[10:11] offset:768
	s_waitcnt vmcnt(0)
	v_cmp_ne_u16_e32 vcc, 0, v15
	v_cndmask_b32_e64 v15, 0, 1, vcc
.LBB42_21:
	s_or_b64 exec, exec, s[4:5]
	v_or_b32_e32 v18, 0x380, v0
	v_cmp_gt_u32_e32 vcc, s84, v18
                                        ; implicit-def: $vgpr19
	s_and_saveexec_b64 s[4:5], vcc
	s_cbranch_execz .LBB42_23
; %bb.22:
	v_readfirstlane_b32 s10, v10
	v_readfirstlane_b32 s11, v11
	s_nop 4
	global_load_ubyte v19, v0, s[10:11] offset:896
	s_waitcnt vmcnt(0)
	v_cmp_ne_u16_e32 vcc, 0, v19
	v_cndmask_b32_e64 v19, 0, 1, vcc
.LBB42_23:
	s_or_b64 exec, exec, s[4:5]
	v_or_b32_e32 v20, 0x400, v0
	v_cmp_gt_u32_e32 vcc, s84, v20
                                        ; implicit-def: $vgpr21
	s_and_saveexec_b64 s[4:5], vcc
	s_cbranch_execz .LBB42_25
; %bb.24:
	v_readfirstlane_b32 s10, v10
	v_readfirstlane_b32 s11, v11
	s_nop 4
	global_load_ubyte v21, v0, s[10:11] offset:1024
	s_waitcnt vmcnt(0)
	v_cmp_ne_u16_e32 vcc, 0, v21
	v_cndmask_b32_e64 v21, 0, 1, vcc
.LBB42_25:
	s_or_b64 exec, exec, s[4:5]
	v_or_b32_e32 v22, 0x480, v0
	v_cmp_gt_u32_e32 vcc, s84, v22
                                        ; implicit-def: $vgpr23
	s_and_saveexec_b64 s[4:5], vcc
	s_cbranch_execz .LBB42_27
; %bb.26:
	v_readfirstlane_b32 s10, v10
	v_readfirstlane_b32 s11, v11
	s_nop 4
	global_load_ubyte v23, v0, s[10:11] offset:1152
	s_waitcnt vmcnt(0)
	v_cmp_ne_u16_e32 vcc, 0, v23
	v_cndmask_b32_e64 v23, 0, 1, vcc
.LBB42_27:
	s_or_b64 exec, exec, s[4:5]
	v_or_b32_e32 v24, 0x500, v0
	v_cmp_gt_u32_e32 vcc, s84, v24
                                        ; implicit-def: $vgpr25
	s_and_saveexec_b64 s[4:5], vcc
	s_cbranch_execz .LBB42_29
; %bb.28:
	v_readfirstlane_b32 s10, v10
	v_readfirstlane_b32 s11, v11
	s_nop 4
	global_load_ubyte v25, v0, s[10:11] offset:1280
	s_waitcnt vmcnt(0)
	v_cmp_ne_u16_e32 vcc, 0, v25
	v_cndmask_b32_e64 v25, 0, 1, vcc
.LBB42_29:
	s_or_b64 exec, exec, s[4:5]
	v_or_b32_e32 v26, 0x580, v0
	v_cmp_gt_u32_e32 vcc, s84, v26
                                        ; implicit-def: $vgpr27
	s_and_saveexec_b64 s[4:5], vcc
	s_cbranch_execz .LBB42_31
; %bb.30:
	v_readfirstlane_b32 s10, v10
	v_readfirstlane_b32 s11, v11
	s_nop 4
	global_load_ubyte v27, v0, s[10:11] offset:1408
	s_waitcnt vmcnt(0)
	v_cmp_ne_u16_e32 vcc, 0, v27
	v_cndmask_b32_e64 v27, 0, 1, vcc
.LBB42_31:
	s_or_b64 exec, exec, s[4:5]
	v_or_b32_e32 v28, 0x600, v0
	v_cmp_gt_u32_e32 vcc, s84, v28
                                        ; implicit-def: $vgpr29
	s_and_saveexec_b64 s[4:5], vcc
	s_cbranch_execz .LBB42_33
; %bb.32:
	v_readfirstlane_b32 s10, v10
	v_readfirstlane_b32 s11, v11
	s_nop 4
	global_load_ubyte v29, v0, s[10:11] offset:1536
	s_waitcnt vmcnt(0)
	v_cmp_ne_u16_e32 vcc, 0, v29
	v_cndmask_b32_e64 v29, 0, 1, vcc
.LBB42_33:
	s_or_b64 exec, exec, s[4:5]
	v_or_b32_e32 v30, 0x680, v0
	v_cmp_gt_u32_e32 vcc, s84, v30
                                        ; implicit-def: $vgpr31
	s_and_saveexec_b64 s[4:5], vcc
	s_cbranch_execz .LBB42_35
; %bb.34:
	v_readfirstlane_b32 s10, v10
	v_readfirstlane_b32 s11, v11
	s_nop 4
	global_load_ubyte v31, v0, s[10:11] offset:1664
	s_waitcnt vmcnt(0)
	v_cmp_ne_u16_e32 vcc, 0, v31
	v_cndmask_b32_e64 v31, 0, 1, vcc
.LBB42_35:
	s_or_b64 exec, exec, s[4:5]
	v_or_b32_e32 v32, 0x700, v0
	v_cmp_gt_u32_e32 vcc, s84, v32
                                        ; implicit-def: $vgpr33
	s_and_saveexec_b64 s[4:5], vcc
	s_cbranch_execz .LBB42_37
; %bb.36:
	v_readfirstlane_b32 s10, v10
	v_readfirstlane_b32 s11, v11
	s_nop 4
	global_load_ubyte v33, v0, s[10:11] offset:1792
	s_waitcnt vmcnt(0)
	v_cmp_ne_u16_e32 vcc, 0, v33
	v_cndmask_b32_e64 v33, 0, 1, vcc
.LBB42_37:
	s_or_b64 exec, exec, s[4:5]
	v_or_b32_e32 v34, 0x780, v0
	v_cmp_gt_u32_e32 vcc, s84, v34
                                        ; implicit-def: $vgpr35
	s_and_saveexec_b64 s[4:5], vcc
	s_cbranch_execz .LBB42_39
; %bb.38:
	v_readfirstlane_b32 s10, v10
	v_readfirstlane_b32 s11, v11
	s_nop 4
	global_load_ubyte v35, v0, s[10:11] offset:1920
	s_waitcnt vmcnt(0)
	v_cmp_ne_u16_e32 vcc, 0, v35
	v_cndmask_b32_e64 v35, 0, 1, vcc
.LBB42_39:
	s_or_b64 exec, exec, s[4:5]
	v_or_b32_e32 v36, 0x800, v0
	v_cmp_gt_u32_e32 vcc, s84, v36
                                        ; implicit-def: $vgpr37
	s_and_saveexec_b64 s[4:5], vcc
	s_cbranch_execz .LBB42_41
; %bb.40:
	v_readfirstlane_b32 s10, v10
	v_readfirstlane_b32 s11, v11
	s_nop 4
	global_load_ubyte v37, v0, s[10:11] offset:2048
	s_waitcnt vmcnt(0)
	v_cmp_ne_u16_e32 vcc, 0, v37
	v_cndmask_b32_e64 v37, 0, 1, vcc
.LBB42_41:
	s_or_b64 exec, exec, s[4:5]
	v_or_b32_e32 v38, 0x880, v0
	v_cmp_gt_u32_e32 vcc, s84, v38
                                        ; implicit-def: $vgpr39
	s_and_saveexec_b64 s[4:5], vcc
	s_cbranch_execz .LBB42_43
; %bb.42:
	v_readfirstlane_b32 s10, v10
	v_readfirstlane_b32 s11, v11
	s_nop 4
	global_load_ubyte v39, v0, s[10:11] offset:2176
	s_waitcnt vmcnt(0)
	v_cmp_ne_u16_e32 vcc, 0, v39
	v_cndmask_b32_e64 v39, 0, 1, vcc
.LBB42_43:
	s_or_b64 exec, exec, s[4:5]
	v_or_b32_e32 v40, 0x900, v0
	v_cmp_gt_u32_e32 vcc, s84, v40
                                        ; implicit-def: $vgpr41
	s_and_saveexec_b64 s[4:5], vcc
	s_cbranch_execz .LBB42_45
; %bb.44:
	v_readfirstlane_b32 s10, v10
	v_readfirstlane_b32 s11, v11
	s_nop 4
	global_load_ubyte v41, v0, s[10:11] offset:2304
	s_waitcnt vmcnt(0)
	v_cmp_ne_u16_e32 vcc, 0, v41
	v_cndmask_b32_e64 v41, 0, 1, vcc
.LBB42_45:
	s_or_b64 exec, exec, s[4:5]
	v_or_b32_e32 v42, 0x980, v0
	v_cmp_gt_u32_e32 vcc, s84, v42
                                        ; implicit-def: $vgpr43
	s_and_saveexec_b64 s[4:5], vcc
	s_cbranch_execz .LBB42_47
; %bb.46:
	v_readfirstlane_b32 s10, v10
	v_readfirstlane_b32 s11, v11
	s_nop 4
	global_load_ubyte v43, v0, s[10:11] offset:2432
	s_waitcnt vmcnt(0)
	v_cmp_ne_u16_e32 vcc, 0, v43
	v_cndmask_b32_e64 v43, 0, 1, vcc
.LBB42_47:
	s_or_b64 exec, exec, s[4:5]
	v_or_b32_e32 v44, 0xa00, v0
	v_cmp_gt_u32_e32 vcc, s84, v44
                                        ; implicit-def: $vgpr45
	s_and_saveexec_b64 s[4:5], vcc
	s_cbranch_execz .LBB42_49
; %bb.48:
	v_readfirstlane_b32 s10, v10
	v_readfirstlane_b32 s11, v11
	s_nop 4
	global_load_ubyte v45, v0, s[10:11] offset:2560
	s_waitcnt vmcnt(0)
	v_cmp_ne_u16_e32 vcc, 0, v45
	v_cndmask_b32_e64 v45, 0, 1, vcc
.LBB42_49:
	s_or_b64 exec, exec, s[4:5]
	v_or_b32_e32 v46, 0xa80, v0
	v_cmp_gt_u32_e32 vcc, s84, v46
                                        ; implicit-def: $vgpr47
	s_and_saveexec_b64 s[4:5], vcc
	s_cbranch_execz .LBB42_51
; %bb.50:
	v_readfirstlane_b32 s10, v10
	v_readfirstlane_b32 s11, v11
	s_nop 4
	global_load_ubyte v47, v0, s[10:11] offset:2688
	s_waitcnt vmcnt(0)
	v_cmp_ne_u16_e32 vcc, 0, v47
	v_cndmask_b32_e64 v47, 0, 1, vcc
.LBB42_51:
	s_or_b64 exec, exec, s[4:5]
	v_or_b32_e32 v48, 0xb00, v0
	v_cmp_gt_u32_e32 vcc, s84, v48
                                        ; implicit-def: $vgpr49
	s_and_saveexec_b64 s[4:5], vcc
	s_cbranch_execz .LBB42_53
; %bb.52:
	v_readfirstlane_b32 s10, v10
	v_readfirstlane_b32 s11, v11
	s_nop 4
	global_load_ubyte v49, v0, s[10:11] offset:2816
	s_waitcnt vmcnt(0)
	v_cmp_ne_u16_e32 vcc, 0, v49
	v_cndmask_b32_e64 v49, 0, 1, vcc
.LBB42_53:
	s_or_b64 exec, exec, s[4:5]
	v_or_b32_e32 v50, 0xb80, v0
	v_cmp_gt_u32_e32 vcc, s84, v50
                                        ; implicit-def: $vgpr51
	s_and_saveexec_b64 s[4:5], vcc
	s_cbranch_execz .LBB42_55
; %bb.54:
	v_readfirstlane_b32 s10, v10
	v_readfirstlane_b32 s11, v11
	s_nop 4
	global_load_ubyte v51, v0, s[10:11] offset:2944
	s_waitcnt vmcnt(0)
	v_cmp_ne_u16_e32 vcc, 0, v51
	v_cndmask_b32_e64 v51, 0, 1, vcc
.LBB42_55:
	s_or_b64 exec, exec, s[4:5]
	v_or_b32_e32 v52, 0xc00, v0
	v_cmp_gt_u32_e32 vcc, s84, v52
                                        ; implicit-def: $vgpr53
	s_and_saveexec_b64 s[4:5], vcc
	s_cbranch_execz .LBB42_57
; %bb.56:
	v_readfirstlane_b32 s10, v10
	v_readfirstlane_b32 s11, v11
	s_nop 4
	global_load_ubyte v53, v0, s[10:11] offset:3072
	s_waitcnt vmcnt(0)
	v_cmp_ne_u16_e32 vcc, 0, v53
	v_cndmask_b32_e64 v53, 0, 1, vcc
.LBB42_57:
	s_or_b64 exec, exec, s[4:5]
	v_or_b32_e32 v54, 0xc80, v0
	v_cmp_gt_u32_e32 vcc, s84, v54
                                        ; implicit-def: $vgpr55
	s_and_saveexec_b64 s[4:5], vcc
	s_cbranch_execz .LBB42_59
; %bb.58:
	v_readfirstlane_b32 s10, v10
	v_readfirstlane_b32 s11, v11
	s_nop 4
	global_load_ubyte v55, v0, s[10:11] offset:3200
	s_waitcnt vmcnt(0)
	v_cmp_ne_u16_e32 vcc, 0, v55
	v_cndmask_b32_e64 v55, 0, 1, vcc
.LBB42_59:
	s_or_b64 exec, exec, s[4:5]
	v_or_b32_e32 v56, 0xd00, v0
	v_cmp_gt_u32_e32 vcc, s84, v56
                                        ; implicit-def: $vgpr57
	s_and_saveexec_b64 s[4:5], vcc
	s_cbranch_execz .LBB42_61
; %bb.60:
	v_readfirstlane_b32 s10, v10
	v_readfirstlane_b32 s11, v11
	s_nop 4
	global_load_ubyte v57, v0, s[10:11] offset:3328
	s_waitcnt vmcnt(0)
	v_cmp_ne_u16_e32 vcc, 0, v57
	v_cndmask_b32_e64 v57, 0, 1, vcc
.LBB42_61:
	s_or_b64 exec, exec, s[4:5]
	v_or_b32_e32 v58, 0xd80, v0
	v_cmp_gt_u32_e32 vcc, s84, v58
                                        ; implicit-def: $vgpr59
	s_and_saveexec_b64 s[4:5], vcc
	s_cbranch_execz .LBB42_63
; %bb.62:
	v_readfirstlane_b32 s10, v10
	v_readfirstlane_b32 s11, v11
	s_nop 4
	global_load_ubyte v59, v0, s[10:11] offset:3456
	s_waitcnt vmcnt(0)
	v_cmp_ne_u16_e32 vcc, 0, v59
	v_cndmask_b32_e64 v59, 0, 1, vcc
.LBB42_63:
	s_or_b64 exec, exec, s[4:5]
	v_or_b32_e32 v60, 0xe00, v0
	v_cmp_gt_u32_e32 vcc, s84, v60
                                        ; implicit-def: $vgpr61
	s_and_saveexec_b64 s[4:5], vcc
	s_cbranch_execz .LBB42_65
; %bb.64:
	v_readfirstlane_b32 s10, v10
	v_readfirstlane_b32 s11, v11
	s_nop 4
	global_load_ubyte v61, v0, s[10:11] offset:3584
	s_waitcnt vmcnt(0)
	v_cmp_ne_u16_e32 vcc, 0, v61
	v_cndmask_b32_e64 v61, 0, 1, vcc
.LBB42_65:
	s_or_b64 exec, exec, s[4:5]
	v_or_b32_e32 v62, 0xe80, v0
	v_cmp_gt_u32_e32 vcc, s84, v62
                                        ; implicit-def: $vgpr63
	s_and_saveexec_b64 s[4:5], vcc
	s_cbranch_execz .LBB42_67
; %bb.66:
	v_readfirstlane_b32 s10, v10
	v_readfirstlane_b32 s11, v11
	s_nop 4
	global_load_ubyte v63, v0, s[10:11] offset:3712
	s_waitcnt vmcnt(0)
	v_cmp_ne_u16_e32 vcc, 0, v63
	v_cndmask_b32_e64 v63, 0, 1, vcc
.LBB42_67:
	s_or_b64 exec, exec, s[4:5]
	v_or_b32_e32 v64, 0xf00, v0
	v_cmp_gt_u32_e32 vcc, s84, v64
                                        ; implicit-def: $vgpr65
	s_and_saveexec_b64 s[4:5], vcc
	s_cbranch_execz .LBB42_69
; %bb.68:
	v_readfirstlane_b32 s10, v10
	v_readfirstlane_b32 s11, v11
	s_nop 4
	global_load_ubyte v65, v0, s[10:11] offset:3840
	s_waitcnt vmcnt(0)
	v_cmp_ne_u16_e32 vcc, 0, v65
	v_cndmask_b32_e64 v65, 0, 1, vcc
.LBB42_69:
	s_or_b64 exec, exec, s[4:5]
	v_or_b32_e32 v66, 0xf80, v0
	v_cmp_gt_u32_e32 vcc, s84, v66
                                        ; implicit-def: $vgpr67
	s_and_saveexec_b64 s[4:5], vcc
	s_cbranch_execz .LBB42_71
; %bb.70:
	v_readfirstlane_b32 s10, v10
	v_readfirstlane_b32 s11, v11
	s_nop 4
	global_load_ubyte v67, v0, s[10:11] offset:3968
	s_waitcnt vmcnt(0)
	v_cmp_ne_u16_e32 vcc, 0, v67
	v_cndmask_b32_e64 v67, 0, 1, vcc
.LBB42_71:
	s_or_b64 exec, exec, s[4:5]
	v_lshrrev_b32_e32 v2, 5, v2
	v_and_b32_e32 v2, 4, v2
	v_add_u32_e32 v2, v0, v2
	ds_write_b8 v2, v3 offset:128
	ds_write_b8 v0, v1
	v_lshrrev_b32_e32 v1, 5, v4
	v_and_b32_e32 v1, 12, v1
	v_add_u32_e32 v1, v0, v1
	ds_write_b8 v1, v5 offset:256
	v_lshrrev_b32_e32 v1, 5, v6
	v_and_b32_e32 v1, 12, v1
	v_add_u32_e32 v1, v0, v1
	ds_write_b8 v1, v7 offset:384
	;; [unrolled: 4-line block ×30, first 2 shown]
	s_waitcnt lgkmcnt(0)
	s_barrier
.LBB42_72:
	v_lshlrev_b32_e32 v1, 5, v0
	v_and_b32_e32 v2, 0x7c, v0
	v_add_u32_e32 v8, v2, v1
	ds_read2_b32 v[2:3], v8 offset0:6 offset1:7
	ds_read2_b32 v[4:5], v8 offset0:4 offset1:5
	;; [unrolled: 1-line block ×3, first 2 shown]
	ds_read2_b32 v[8:9], v8 offset1:1
	s_cmp_lg_u32 s33, 0
	s_cselect_b64 s[16:17], -1, 0
	s_cmp_lg_u64 s[8:9], 0
	s_cselect_b64 s[8:9], -1, 0
	s_or_b64 s[8:9], s[8:9], s[16:17]
	s_waitcnt lgkmcnt(3)
	v_lshrrev_b32_e32 v27, 8, v2
	v_lshrrev_b32_e32 v26, 16, v2
	v_lshrrev_b32_e32 v25, 24, v2
	v_lshrrev_b32_e32 v24, 8, v3
	v_lshrrev_b32_e32 v23, 16, v3
	v_lshrrev_b32_e32 v22, 24, v3
	s_waitcnt lgkmcnt(2)
	v_lshrrev_b32_e32 v33, 8, v4
	v_lshrrev_b32_e32 v32, 16, v4
	v_lshrrev_b32_e32 v31, 24, v4
	v_lshrrev_b32_e32 v30, 8, v5
	v_lshrrev_b32_e32 v29, 16, v5
	v_lshrrev_b32_e32 v28, 24, v5
	;; [unrolled: 7-line block ×4, first 2 shown]
	s_mov_b64 s[4:5], 0
	s_and_b64 vcc, exec, s[8:9]
	s_barrier
	s_cbranch_vccz .LBB42_77
; %bb.73:
	global_load_ubyte v10, v[10:11], off offset:-1
	s_and_b64 vcc, exec, s[22:23]
	ds_write_b8 v0, v22
	s_waitcnt vmcnt(0)
	v_cmp_ne_u16_e64 s[4:5], 0, v10
	v_cndmask_b32_e64 v10, 0, 1, s[4:5]
	s_cbranch_vccz .LBB42_79
; %bb.74:
	v_cndmask_b32_e64 v11, 0, 1, s[4:5]
	s_waitcnt lgkmcnt(0)
	s_barrier
	s_and_saveexec_b64 s[4:5], s[2:3]
	s_cbranch_execz .LBB42_76
; %bb.75:
	v_add_u32_e32 v11, -1, v0
	ds_read_u8 v11, v11
.LBB42_76:
	s_or_b64 exec, exec, s[4:5]
	v_cmp_ne_u16_sdwa s[4:5], v23, v22 src0_sel:BYTE_0 src1_sel:DWORD
	v_cndmask_b32_e64 v37, 0, 1, s[4:5]
	v_cmp_ne_u16_sdwa s[4:5], v24, v23 src0_sel:BYTE_0 src1_sel:BYTE_0
	v_cndmask_b32_e64 v39, 0, 1, s[4:5]
	v_cmp_ne_u16_sdwa s[4:5], v3, v24 src0_sel:BYTE_0 src1_sel:BYTE_0
	v_cndmask_b32_e64 v42, 0, 1, s[4:5]
	v_cmp_ne_u16_sdwa s[4:5], v25, v3 src0_sel:DWORD src1_sel:BYTE_0
	v_cndmask_b32_e64 v43, 0, 1, s[4:5]
	v_cmp_ne_u16_sdwa s[4:5], v26, v25 src0_sel:BYTE_0 src1_sel:DWORD
	v_cndmask_b32_e64 v46, 0, 1, s[4:5]
	v_cmp_ne_u16_sdwa s[4:5], v27, v26 src0_sel:BYTE_0 src1_sel:BYTE_0
	v_cndmask_b32_e64 v48, 0, 1, s[4:5]
	v_cmp_ne_u16_sdwa s[4:5], v2, v27 src0_sel:BYTE_0 src1_sel:BYTE_0
	v_cndmask_b32_e64 v51, 0, 1, s[4:5]
	v_cmp_ne_u16_sdwa s[4:5], v28, v2 src0_sel:DWORD src1_sel:BYTE_0
	v_cndmask_b32_e64 v53, 0, 1, s[4:5]
	;; [unrolled: 8-line block ×7, first 2 shown]
	v_cmp_ne_u16_sdwa s[4:5], v50, v49 src0_sel:BYTE_0 src1_sel:DWORD
	v_cndmask_b32_e64 v74, 0, 1, s[4:5]
	v_cmp_ne_u16_sdwa s[4:5], v52, v50 src0_sel:BYTE_0 src1_sel:BYTE_0
	v_cndmask_b32_e64 v75, 0, 1, s[4:5]
	v_cmp_ne_u16_sdwa s[4:5], v8, v52 src0_sel:BYTE_0 src1_sel:BYTE_0
	v_cndmask_b32_e64 v76, 0, 1, s[4:5]
	s_waitcnt lgkmcnt(0)
	v_cmp_ne_u16_sdwa s[8:9], v11, v8 src0_sel:BYTE_0 src1_sel:BYTE_0
	s_branch .LBB42_83
.LBB42_77:
                                        ; implicit-def: $sgpr8_sgpr9
                                        ; implicit-def: $vgpr76
                                        ; implicit-def: $vgpr75
                                        ; implicit-def: $vgpr74
                                        ; implicit-def: $vgpr73
                                        ; implicit-def: $vgpr72
                                        ; implicit-def: $vgpr71
                                        ; implicit-def: $vgpr70
                                        ; implicit-def: $vgpr69
                                        ; implicit-def: $vgpr68
                                        ; implicit-def: $vgpr67
                                        ; implicit-def: $vgpr66
                                        ; implicit-def: $vgpr65
                                        ; implicit-def: $vgpr64
                                        ; implicit-def: $vgpr63
                                        ; implicit-def: $vgpr62
                                        ; implicit-def: $vgpr61
                                        ; implicit-def: $vgpr60
                                        ; implicit-def: $vgpr59
                                        ; implicit-def: $vgpr58
                                        ; implicit-def: $vgpr57
                                        ; implicit-def: $vgpr56
                                        ; implicit-def: $vgpr55
                                        ; implicit-def: $vgpr54
                                        ; implicit-def: $vgpr53
                                        ; implicit-def: $vgpr51
                                        ; implicit-def: $vgpr48
                                        ; implicit-def: $vgpr46
                                        ; implicit-def: $vgpr43
                                        ; implicit-def: $vgpr42
                                        ; implicit-def: $vgpr39
                                        ; implicit-def: $vgpr37
	s_branch .LBB42_84
.LBB42_78:
                                        ; implicit-def: $sgpr12
	v_mov_b32_e32 v77, s12
	s_and_saveexec_b64 s[2:3], s[4:5]
	s_cbranch_execnz .LBB42_92
	s_branch .LBB42_93
.LBB42_79:
                                        ; implicit-def: $sgpr8_sgpr9
                                        ; implicit-def: $vgpr76
                                        ; implicit-def: $vgpr75
                                        ; implicit-def: $vgpr74
                                        ; implicit-def: $vgpr73
                                        ; implicit-def: $vgpr72
                                        ; implicit-def: $vgpr71
                                        ; implicit-def: $vgpr70
                                        ; implicit-def: $vgpr69
                                        ; implicit-def: $vgpr68
                                        ; implicit-def: $vgpr67
                                        ; implicit-def: $vgpr66
                                        ; implicit-def: $vgpr65
                                        ; implicit-def: $vgpr64
                                        ; implicit-def: $vgpr63
                                        ; implicit-def: $vgpr62
                                        ; implicit-def: $vgpr61
                                        ; implicit-def: $vgpr60
                                        ; implicit-def: $vgpr59
                                        ; implicit-def: $vgpr58
                                        ; implicit-def: $vgpr57
                                        ; implicit-def: $vgpr56
                                        ; implicit-def: $vgpr55
                                        ; implicit-def: $vgpr54
                                        ; implicit-def: $vgpr53
                                        ; implicit-def: $vgpr51
                                        ; implicit-def: $vgpr48
                                        ; implicit-def: $vgpr46
                                        ; implicit-def: $vgpr43
                                        ; implicit-def: $vgpr42
                                        ; implicit-def: $vgpr39
                                        ; implicit-def: $vgpr37
	s_cbranch_execz .LBB42_83
; %bb.80:
	s_waitcnt lgkmcnt(0)
	s_barrier
	s_and_saveexec_b64 s[4:5], s[2:3]
	s_cbranch_execz .LBB42_82
; %bb.81:
	v_add_u32_e32 v10, -1, v0
	ds_read_u8 v10, v10
.LBB42_82:
	s_or_b64 exec, exec, s[4:5]
	v_or_b32_e32 v11, 31, v1
	v_cmp_gt_u32_e32 vcc, s84, v11
	v_cmp_ne_u16_sdwa s[4:5], v23, v22 src0_sel:BYTE_0 src1_sel:DWORD
	s_and_b64 s[4:5], vcc, s[4:5]
	v_or_b32_e32 v11, 30, v1
	v_cndmask_b32_e64 v37, 0, 1, s[4:5]
	v_cmp_gt_u32_e32 vcc, s84, v11
	v_cmp_ne_u16_sdwa s[4:5], v24, v23 src0_sel:BYTE_0 src1_sel:BYTE_0
	s_and_b64 s[4:5], vcc, s[4:5]
	v_or_b32_e32 v11, 29, v1
	v_cndmask_b32_e64 v39, 0, 1, s[4:5]
	v_cmp_gt_u32_e32 vcc, s84, v11
	v_cmp_ne_u16_sdwa s[4:5], v3, v24 src0_sel:BYTE_0 src1_sel:BYTE_0
	s_and_b64 s[4:5], vcc, s[4:5]
	v_or_b32_e32 v11, 28, v1
	v_cndmask_b32_e64 v42, 0, 1, s[4:5]
	v_cmp_gt_u32_e32 vcc, s84, v11
	v_cmp_ne_u16_sdwa s[4:5], v25, v3 src0_sel:DWORD src1_sel:BYTE_0
	s_and_b64 s[4:5], vcc, s[4:5]
	v_or_b32_e32 v11, 27, v1
	v_cndmask_b32_e64 v43, 0, 1, s[4:5]
	v_cmp_gt_u32_e32 vcc, s84, v11
	v_cmp_ne_u16_sdwa s[4:5], v26, v25 src0_sel:BYTE_0 src1_sel:DWORD
	s_and_b64 s[4:5], vcc, s[4:5]
	v_or_b32_e32 v11, 26, v1
	v_cndmask_b32_e64 v46, 0, 1, s[4:5]
	v_cmp_gt_u32_e32 vcc, s84, v11
	v_cmp_ne_u16_sdwa s[4:5], v27, v26 src0_sel:BYTE_0 src1_sel:BYTE_0
	s_and_b64 s[4:5], vcc, s[4:5]
	v_or_b32_e32 v11, 25, v1
	v_cndmask_b32_e64 v48, 0, 1, s[4:5]
	v_cmp_gt_u32_e32 vcc, s84, v11
	v_cmp_ne_u16_sdwa s[4:5], v2, v27 src0_sel:BYTE_0 src1_sel:BYTE_0
	s_and_b64 s[4:5], vcc, s[4:5]
	v_or_b32_e32 v11, 24, v1
	v_cndmask_b32_e64 v51, 0, 1, s[4:5]
	v_cmp_gt_u32_e32 vcc, s84, v11
	v_cmp_ne_u16_sdwa s[4:5], v28, v2 src0_sel:DWORD src1_sel:BYTE_0
	s_and_b64 s[4:5], vcc, s[4:5]
	v_or_b32_e32 v11, 23, v1
	v_cndmask_b32_e64 v53, 0, 1, s[4:5]
	;; [unrolled: 20-line block ×7, first 2 shown]
	v_cmp_gt_u32_e32 vcc, s84, v11
	v_cmp_ne_u16_sdwa s[4:5], v50, v49 src0_sel:BYTE_0 src1_sel:DWORD
	s_and_b64 s[4:5], vcc, s[4:5]
	v_or_b32_e32 v11, 2, v1
	v_cndmask_b32_e64 v74, 0, 1, s[4:5]
	v_cmp_gt_u32_e32 vcc, s84, v11
	v_cmp_ne_u16_sdwa s[4:5], v52, v50 src0_sel:BYTE_0 src1_sel:BYTE_0
	s_and_b64 s[4:5], vcc, s[4:5]
	v_or_b32_e32 v11, 1, v1
	v_cndmask_b32_e64 v75, 0, 1, s[4:5]
	v_cmp_gt_u32_e32 vcc, s84, v11
	v_cmp_ne_u16_sdwa s[4:5], v8, v52 src0_sel:BYTE_0 src1_sel:BYTE_0
	s_and_b64 s[4:5], vcc, s[4:5]
	v_cndmask_b32_e64 v76, 0, 1, s[4:5]
	v_cmp_gt_u32_e32 vcc, s84, v1
	s_waitcnt lgkmcnt(0)
	v_cmp_ne_u16_sdwa s[4:5], v10, v8 src0_sel:BYTE_0 src1_sel:BYTE_0
	s_and_b64 s[8:9], vcc, s[4:5]
.LBB42_83:
	s_mov_b64 s[4:5], -1
	s_cbranch_execnz .LBB42_78
.LBB42_84:
	s_and_b64 vcc, exec, s[22:23]
	v_cmp_ne_u16_sdwa s[8:9], v23, v22 src0_sel:BYTE_0 src1_sel:DWORD
	v_cmp_ne_u16_sdwa s[10:11], v24, v23 src0_sel:BYTE_0 src1_sel:BYTE_0
	v_cmp_ne_u16_sdwa s[12:13], v3, v24 src0_sel:BYTE_0 src1_sel:BYTE_0
	v_cmp_ne_u16_sdwa s[14:15], v25, v3 src0_sel:DWORD src1_sel:BYTE_0
	v_cmp_ne_u16_sdwa s[28:29], v26, v25 src0_sel:BYTE_0 src1_sel:DWORD
	v_cmp_ne_u16_sdwa s[30:31], v27, v26 src0_sel:BYTE_0 src1_sel:BYTE_0
	v_cmp_ne_u16_sdwa s[34:35], v2, v27 src0_sel:BYTE_0 src1_sel:BYTE_0
	v_cmp_ne_u16_sdwa s[36:37], v28, v2 src0_sel:DWORD src1_sel:BYTE_0
	;; [unrolled: 4-line block ×7, first 2 shown]
	v_cmp_ne_u16_sdwa s[78:79], v50, v49 src0_sel:BYTE_0 src1_sel:DWORD
	v_cmp_ne_u16_sdwa s[80:81], v52, v50 src0_sel:BYTE_0 src1_sel:BYTE_0
	v_cmp_ne_u16_sdwa s[82:83], v8, v52 src0_sel:BYTE_0 src1_sel:BYTE_0
	ds_write_b8 v0, v22
	s_cbranch_vccz .LBB42_88
; %bb.85:
	v_cndmask_b32_e64 v37, 0, 1, s[8:9]
	v_cndmask_b32_e64 v39, 0, 1, s[10:11]
	;; [unrolled: 1-line block ×31, first 2 shown]
	s_waitcnt lgkmcnt(0)
	s_barrier
	s_waitcnt lgkmcnt(0)
                                        ; implicit-def: $sgpr8_sgpr9
	s_and_saveexec_b64 s[10:11], s[2:3]
	s_xor_b64 s[10:11], exec, s[10:11]
	s_cbranch_execz .LBB42_87
; %bb.86:
	v_add_u32_e32 v10, -1, v0
	ds_read_u8 v10, v10
	s_or_b64 s[4:5], s[4:5], exec
	s_waitcnt lgkmcnt(0)
	v_cmp_ne_u16_sdwa s[8:9], v10, v8 src0_sel:DWORD src1_sel:BYTE_0
	s_and_b64 s[8:9], s[8:9], exec
.LBB42_87:
	s_or_b64 exec, exec, s[10:11]
	s_mov_b32 s12, 1
	s_branch .LBB42_91
.LBB42_88:
                                        ; implicit-def: $sgpr8_sgpr9
                                        ; implicit-def: $vgpr76
                                        ; implicit-def: $vgpr75
                                        ; implicit-def: $vgpr74
                                        ; implicit-def: $vgpr73
                                        ; implicit-def: $vgpr72
                                        ; implicit-def: $vgpr71
                                        ; implicit-def: $vgpr70
                                        ; implicit-def: $vgpr69
                                        ; implicit-def: $vgpr68
                                        ; implicit-def: $vgpr67
                                        ; implicit-def: $vgpr66
                                        ; implicit-def: $vgpr65
                                        ; implicit-def: $vgpr64
                                        ; implicit-def: $vgpr63
                                        ; implicit-def: $vgpr62
                                        ; implicit-def: $vgpr61
                                        ; implicit-def: $vgpr60
                                        ; implicit-def: $vgpr59
                                        ; implicit-def: $vgpr58
                                        ; implicit-def: $vgpr57
                                        ; implicit-def: $vgpr56
                                        ; implicit-def: $vgpr55
                                        ; implicit-def: $vgpr54
                                        ; implicit-def: $vgpr53
                                        ; implicit-def: $vgpr51
                                        ; implicit-def: $vgpr48
                                        ; implicit-def: $vgpr46
                                        ; implicit-def: $vgpr43
                                        ; implicit-def: $vgpr42
                                        ; implicit-def: $vgpr39
                                        ; implicit-def: $vgpr37
                                        ; implicit-def: $sgpr12
	s_cbranch_execz .LBB42_91
; %bb.89:
	v_or_b32_e32 v10, 31, v1
	v_cmp_gt_u32_e32 vcc, s84, v10
	v_cmp_ne_u16_sdwa s[8:9], v23, v22 src0_sel:BYTE_0 src1_sel:DWORD
	s_and_b64 s[8:9], vcc, s[8:9]
	v_or_b32_e32 v10, 30, v1
	v_cndmask_b32_e64 v37, 0, 1, s[8:9]
	v_cmp_gt_u32_e32 vcc, s84, v10
	v_cmp_ne_u16_sdwa s[8:9], v24, v23 src0_sel:BYTE_0 src1_sel:BYTE_0
	s_and_b64 s[8:9], vcc, s[8:9]
	v_or_b32_e32 v10, 29, v1
	v_cndmask_b32_e64 v39, 0, 1, s[8:9]
	v_cmp_gt_u32_e32 vcc, s84, v10
	v_cmp_ne_u16_sdwa s[8:9], v3, v24 src0_sel:BYTE_0 src1_sel:BYTE_0
	s_and_b64 s[8:9], vcc, s[8:9]
	v_or_b32_e32 v10, 28, v1
	v_cndmask_b32_e64 v42, 0, 1, s[8:9]
	v_cmp_gt_u32_e32 vcc, s84, v10
	v_cmp_ne_u16_sdwa s[8:9], v25, v3 src0_sel:DWORD src1_sel:BYTE_0
	s_and_b64 s[8:9], vcc, s[8:9]
	v_or_b32_e32 v10, 27, v1
	v_cndmask_b32_e64 v43, 0, 1, s[8:9]
	v_cmp_gt_u32_e32 vcc, s84, v10
	v_cmp_ne_u16_sdwa s[8:9], v26, v25 src0_sel:BYTE_0 src1_sel:DWORD
	s_and_b64 s[8:9], vcc, s[8:9]
	v_or_b32_e32 v10, 26, v1
	v_cndmask_b32_e64 v46, 0, 1, s[8:9]
	v_cmp_gt_u32_e32 vcc, s84, v10
	v_cmp_ne_u16_sdwa s[8:9], v27, v26 src0_sel:BYTE_0 src1_sel:BYTE_0
	s_and_b64 s[8:9], vcc, s[8:9]
	v_or_b32_e32 v10, 25, v1
	v_cndmask_b32_e64 v48, 0, 1, s[8:9]
	v_cmp_gt_u32_e32 vcc, s84, v10
	v_cmp_ne_u16_sdwa s[8:9], v2, v27 src0_sel:BYTE_0 src1_sel:BYTE_0
	s_and_b64 s[8:9], vcc, s[8:9]
	v_or_b32_e32 v10, 24, v1
	v_cndmask_b32_e64 v51, 0, 1, s[8:9]
	v_cmp_gt_u32_e32 vcc, s84, v10
	v_cmp_ne_u16_sdwa s[8:9], v28, v2 src0_sel:DWORD src1_sel:BYTE_0
	s_and_b64 s[8:9], vcc, s[8:9]
	v_or_b32_e32 v10, 23, v1
	v_cndmask_b32_e64 v53, 0, 1, s[8:9]
	;; [unrolled: 20-line block ×7, first 2 shown]
	v_cmp_gt_u32_e32 vcc, s84, v10
	v_cmp_ne_u16_sdwa s[8:9], v50, v49 src0_sel:BYTE_0 src1_sel:DWORD
	s_and_b64 s[8:9], vcc, s[8:9]
	v_or_b32_e32 v10, 2, v1
	v_cndmask_b32_e64 v74, 0, 1, s[8:9]
	v_cmp_gt_u32_e32 vcc, s84, v10
	v_cmp_ne_u16_sdwa s[8:9], v52, v50 src0_sel:BYTE_0 src1_sel:BYTE_0
	s_and_b64 s[8:9], vcc, s[8:9]
	v_or_b32_e32 v10, 1, v1
	v_cndmask_b32_e64 v75, 0, 1, s[8:9]
	v_cmp_gt_u32_e32 vcc, s84, v10
	v_cmp_ne_u16_sdwa s[8:9], v8, v52 src0_sel:BYTE_0 src1_sel:BYTE_0
	s_and_b64 s[8:9], vcc, s[8:9]
	s_mov_b32 s12, 1
	v_cndmask_b32_e64 v76, 0, 1, s[8:9]
	s_waitcnt lgkmcnt(0)
	s_barrier
	s_waitcnt lgkmcnt(0)
                                        ; implicit-def: $sgpr8_sgpr9
	s_and_saveexec_b64 s[10:11], s[2:3]
	s_cbranch_execz .LBB42_313
; %bb.90:
	v_add_u32_e32 v10, -1, v0
	ds_read_u8 v10, v10
	v_cmp_gt_u32_e32 vcc, s84, v1
	s_or_b64 s[4:5], s[4:5], exec
	s_waitcnt lgkmcnt(0)
	v_and_b32_e32 v10, 0xff, v10
	v_cmp_ne_u16_sdwa s[2:3], v10, v8 src0_sel:DWORD src1_sel:BYTE_0
	s_and_b64 s[2:3], vcc, s[2:3]
	s_and_b64 s[8:9], s[2:3], exec
	s_or_b64 exec, exec, s[10:11]
.LBB42_91:
	v_mov_b32_e32 v77, s12
	s_and_saveexec_b64 s[2:3], s[4:5]
.LBB42_92:
	v_cndmask_b32_e64 v77, 0, 1, s[8:9]
.LBB42_93:
	s_or_b64 exec, exec, s[2:3]
	s_andn2_b64 vcc, exec, s[6:7]
	s_cbranch_vccnz .LBB42_95
; %bb.94:
	v_cmp_gt_u32_e32 vcc, s84, v1
	v_or_b32_e32 v10, 1, v1
	v_cndmask_b32_e32 v77, 0, v77, vcc
	v_cmp_gt_u32_e32 vcc, s84, v10
	v_or_b32_e32 v10, 2, v1
	v_cndmask_b32_e32 v76, 0, v76, vcc
	;; [unrolled: 3-line block ×31, first 2 shown]
	v_cmp_gt_u32_e32 vcc, s84, v1
	v_cndmask_b32_e32 v37, 0, v37, vcc
.LBB42_95:
	v_mbcnt_lo_u32_b32 v10, -1, 0
	v_mbcnt_hi_u32_b32 v88, -1, v10
	v_and_b32_e32 v10, 15, v88
	v_cmp_eq_u32_e64 s[12:13], 0, v10
	v_cmp_lt_u32_e64 s[10:11], 1, v10
	v_cmp_lt_u32_e64 s[8:9], 3, v10
	;; [unrolled: 1-line block ×3, first 2 shown]
	v_and_b32_e32 v10, 16, v88
	v_cmp_eq_u32_e64 s[4:5], 0, v10
	v_or_b32_e32 v10, 63, v0
	v_and_b32_e32 v116, 0xff, v43
	v_and_b32_e32 v117, 0xff, v42
	v_cmp_eq_u32_e64 s[2:3], v10, v0
	v_add_u32_sdwa v10, v39, v37 dst_sel:DWORD dst_unused:UNUSED_PAD src0_sel:BYTE_0 src1_sel:BYTE_0
	v_and_b32_e32 v114, 0xff, v48
	v_and_b32_e32 v115, 0xff, v46
	v_add3_u32 v10, v10, v117, v116
	v_and_b32_e32 v112, 0xff, v53
	v_and_b32_e32 v113, 0xff, v51
	v_add3_u32 v10, v10, v115, v114
	;; [unrolled: 3-line block ×12, first 2 shown]
	v_add3_u32 v10, v10, v78, v1
	v_and_b32_e32 v89, 0xff, v75
	v_and_b32_e32 v90, 0xff, v74
	v_add3_u32 v10, v10, v90, v89
	v_and_b32_e32 v91, 0xff, v77
	v_and_b32_e32 v92, 0xff, v76
	v_add3_u32 v94, v10, v92, v91
	v_cmp_lt_u32_e64 s[14:15], 31, v88
	s_and_b64 vcc, exec, s[16:17]
	v_lshrrev_b32_e32 v93, 6, v0
	s_waitcnt lgkmcnt(0)
	s_barrier
	s_cbranch_vccz .LBB42_122
; %bb.96:
	v_mov_b32_dpp v10, v94 row_shr:1 row_mask:0xf bank_mask:0xf
	v_cndmask_b32_e64 v10, v10, 0, s[12:13]
	v_add_u32_e32 v10, v10, v94
	s_nop 1
	v_mov_b32_dpp v11, v10 row_shr:2 row_mask:0xf bank_mask:0xf
	v_cndmask_b32_e64 v11, 0, v11, s[10:11]
	v_add_u32_e32 v10, v10, v11
	s_nop 1
	v_mov_b32_dpp v11, v10 row_shr:4 row_mask:0xf bank_mask:0xf
	v_cndmask_b32_e64 v11, 0, v11, s[8:9]
	v_add_u32_e32 v10, v10, v11
	s_nop 1
	v_mov_b32_dpp v11, v10 row_shr:8 row_mask:0xf bank_mask:0xf
	v_cndmask_b32_e64 v11, 0, v11, s[6:7]
	v_add_u32_e32 v10, v10, v11
	s_nop 1
	v_mov_b32_dpp v11, v10 row_bcast:15 row_mask:0xf bank_mask:0xf
	v_cndmask_b32_e64 v11, v11, 0, s[4:5]
	v_add_u32_e32 v10, v10, v11
	s_nop 1
	v_mov_b32_dpp v11, v10 row_bcast:31 row_mask:0xf bank_mask:0xf
	v_cndmask_b32_e64 v11, 0, v11, s[14:15]
	v_add_u32_e32 v10, v10, v11
	s_and_saveexec_b64 s[16:17], s[2:3]
	s_cbranch_execz .LBB42_98
; %bb.97:
	v_lshlrev_b32_e32 v11, 2, v93
	ds_write_b32 v11, v10
.LBB42_98:
	s_or_b64 exec, exec, s[16:17]
	v_cmp_gt_u32_e32 vcc, 2, v0
	s_waitcnt lgkmcnt(0)
	s_barrier
	s_and_saveexec_b64 s[16:17], vcc
	s_cbranch_execz .LBB42_100
; %bb.99:
	v_lshlrev_b32_e32 v11, 2, v0
	ds_read_b32 v12, v11
	v_bfe_i32 v13, v88, 0, 1
	s_waitcnt lgkmcnt(0)
	v_mov_b32_dpp v14, v12 row_shr:1 row_mask:0xf bank_mask:0xf
	v_and_b32_e32 v13, v13, v14
	v_add_u32_e32 v12, v13, v12
	ds_write_b32 v11, v12
.LBB42_100:
	s_or_b64 exec, exec, s[16:17]
	v_cmp_gt_u32_e32 vcc, 64, v0
	v_cmp_lt_u32_e64 s[16:17], 63, v0
	s_waitcnt lgkmcnt(0)
	s_barrier
	s_waitcnt lgkmcnt(0)
                                        ; implicit-def: $vgpr95
	s_and_saveexec_b64 s[28:29], s[16:17]
	s_cbranch_execz .LBB42_102
; %bb.101:
	v_lshl_add_u32 v11, v93, 2, -4
	ds_read_b32 v95, v11
	s_waitcnt lgkmcnt(0)
	v_add_u32_e32 v10, v95, v10
.LBB42_102:
	s_or_b64 exec, exec, s[28:29]
	v_add_u32_e32 v11, -1, v88
	v_and_b32_e32 v12, 64, v88
	v_cmp_lt_i32_e64 s[16:17], v11, v12
	v_cndmask_b32_e64 v11, v11, v88, s[16:17]
	v_lshlrev_b32_e32 v11, 2, v11
	ds_bpermute_b32 v96, v11, v10
	v_cmp_eq_u32_e64 s[16:17], 0, v88
	s_and_saveexec_b64 s[28:29], vcc
	s_cbranch_execz .LBB42_121
; %bb.103:
	v_mov_b32_e32 v19, 0
	ds_read_b32 v10, v19 offset:4
	s_and_saveexec_b64 s[30:31], s[16:17]
	s_cbranch_execz .LBB42_105
; %bb.104:
	s_add_i32 s34, s33, 64
	s_mov_b32 s35, 0
	s_lshl_b64 s[34:35], s[34:35], 3
	s_add_u32 s34, s26, s34
	v_mov_b32_e32 v11, 1
	s_addc_u32 s35, s27, s35
	s_waitcnt lgkmcnt(0)
	global_store_dwordx2 v19, v[10:11], s[34:35]
.LBB42_105:
	s_or_b64 exec, exec, s[30:31]
	v_xad_u32 v12, v88, -1, s33
	v_add_u32_e32 v18, 64, v12
	v_lshlrev_b64 v[14:15], 3, v[18:19]
	v_mov_b32_e32 v11, s27
	v_add_co_u32_e32 v20, vcc, s26, v14
	v_addc_co_u32_e32 v21, vcc, v11, v15, vcc
	global_load_dwordx2 v[14:15], v[20:21], off glc
	s_waitcnt vmcnt(0)
	v_cmp_eq_u16_sdwa s[34:35], v15, v19 src0_sel:BYTE_0 src1_sel:DWORD
	s_and_saveexec_b64 s[30:31], s[34:35]
	s_cbranch_execz .LBB42_109
; %bb.106:
	s_mov_b64 s[34:35], 0
	v_mov_b32_e32 v11, 0
.LBB42_107:                             ; =>This Inner Loop Header: Depth=1
	global_load_dwordx2 v[14:15], v[20:21], off glc
	s_waitcnt vmcnt(0)
	v_cmp_ne_u16_sdwa s[36:37], v15, v11 src0_sel:BYTE_0 src1_sel:DWORD
	s_or_b64 s[34:35], s[36:37], s[34:35]
	s_andn2_b64 exec, exec, s[34:35]
	s_cbranch_execnz .LBB42_107
; %bb.108:
	s_or_b64 exec, exec, s[34:35]
.LBB42_109:
	s_or_b64 exec, exec, s[30:31]
	v_and_b32_e32 v97, 63, v88
	v_mov_b32_e32 v11, 2
	v_cmp_ne_u32_e32 vcc, 63, v97
	v_cmp_eq_u16_sdwa s[30:31], v15, v11 src0_sel:BYTE_0 src1_sel:DWORD
	v_lshlrev_b64 v[18:19], v88, -1
	v_addc_co_u32_e32 v21, vcc, 0, v88, vcc
	v_and_b32_e32 v13, s31, v19
	v_lshlrev_b32_e32 v98, 2, v21
	v_or_b32_e32 v13, 0x80000000, v13
	ds_bpermute_b32 v21, v98, v14
	v_and_b32_e32 v20, s30, v18
	v_ffbl_b32_e32 v13, v13
	v_add_u32_e32 v13, 32, v13
	v_ffbl_b32_e32 v20, v20
	v_min_u32_e32 v13, v20, v13
	v_cmp_lt_u32_e32 vcc, v97, v13
	s_waitcnt lgkmcnt(0)
	v_cndmask_b32_e32 v20, 0, v21, vcc
	v_cmp_gt_u32_e32 vcc, 62, v97
	v_add_u32_e32 v14, v20, v14
	v_cndmask_b32_e64 v20, 0, 1, vcc
	v_lshlrev_b32_e32 v20, 1, v20
	v_add_lshl_u32 v99, v20, v88, 2
	ds_bpermute_b32 v20, v99, v14
	v_add_u32_e32 v100, 2, v97
	v_cmp_le_u32_e32 vcc, v100, v13
	v_add_u32_e32 v102, 4, v97
	v_add_u32_e32 v119, 8, v97
	s_waitcnt lgkmcnt(0)
	v_cndmask_b32_e32 v20, 0, v20, vcc
	v_cmp_gt_u32_e32 vcc, 60, v97
	v_add_u32_e32 v14, v14, v20
	v_cndmask_b32_e64 v20, 0, 1, vcc
	v_lshlrev_b32_e32 v20, 2, v20
	v_add_lshl_u32 v101, v20, v88, 2
	ds_bpermute_b32 v20, v101, v14
	v_cmp_le_u32_e32 vcc, v102, v13
	v_add_u32_e32 v122, 16, v97
	v_add_u32_e32 v124, 32, v97
	s_waitcnt lgkmcnt(0)
	v_cndmask_b32_e32 v20, 0, v20, vcc
	v_cmp_gt_u32_e32 vcc, 56, v97
	v_add_u32_e32 v14, v14, v20
	v_cndmask_b32_e64 v20, 0, 1, vcc
	v_lshlrev_b32_e32 v20, 3, v20
	v_add_lshl_u32 v118, v20, v88, 2
	ds_bpermute_b32 v20, v118, v14
	v_cmp_le_u32_e32 vcc, v119, v13
	s_waitcnt lgkmcnt(0)
	v_cndmask_b32_e32 v20, 0, v20, vcc
	v_cmp_gt_u32_e32 vcc, 48, v97
	v_add_u32_e32 v14, v14, v20
	v_cndmask_b32_e64 v20, 0, 1, vcc
	v_lshlrev_b32_e32 v20, 4, v20
	v_add_lshl_u32 v121, v20, v88, 2
	ds_bpermute_b32 v20, v121, v14
	v_cmp_le_u32_e32 vcc, v122, v13
	;; [unrolled: 9-line block ×3, first 2 shown]
	s_waitcnt lgkmcnt(0)
	v_cndmask_b32_e32 v13, 0, v20, vcc
	v_add_u32_e32 v14, v14, v13
	v_mov_b32_e32 v13, 0
	s_branch .LBB42_111
.LBB42_110:                             ;   in Loop: Header=BB42_111 Depth=1
	s_or_b64 exec, exec, s[30:31]
	v_cmp_eq_u16_sdwa s[30:31], v15, v11 src0_sel:BYTE_0 src1_sel:DWORD
	v_and_b32_e32 v20, s31, v19
	v_or_b32_e32 v20, 0x80000000, v20
	ds_bpermute_b32 v125, v98, v14
	v_and_b32_e32 v21, s30, v18
	v_ffbl_b32_e32 v20, v20
	v_add_u32_e32 v20, 32, v20
	v_ffbl_b32_e32 v21, v21
	v_min_u32_e32 v20, v21, v20
	v_cmp_lt_u32_e32 vcc, v97, v20
	s_waitcnt lgkmcnt(0)
	v_cndmask_b32_e32 v21, 0, v125, vcc
	v_add_u32_e32 v14, v21, v14
	ds_bpermute_b32 v21, v99, v14
	v_cmp_le_u32_e32 vcc, v100, v20
	v_subrev_u32_e32 v12, 64, v12
	s_waitcnt lgkmcnt(0)
	v_cndmask_b32_e32 v21, 0, v21, vcc
	v_add_u32_e32 v14, v14, v21
	ds_bpermute_b32 v21, v101, v14
	v_cmp_le_u32_e32 vcc, v102, v20
	s_waitcnt lgkmcnt(0)
	v_cndmask_b32_e32 v21, 0, v21, vcc
	v_add_u32_e32 v14, v14, v21
	ds_bpermute_b32 v21, v118, v14
	v_cmp_le_u32_e32 vcc, v119, v20
	;; [unrolled: 5-line block ×4, first 2 shown]
	s_waitcnt lgkmcnt(0)
	v_cndmask_b32_e32 v20, 0, v21, vcc
	v_add3_u32 v14, v20, v120, v14
.LBB42_111:                             ; =>This Loop Header: Depth=1
                                        ;     Child Loop BB42_114 Depth 2
	v_cmp_ne_u16_sdwa s[30:31], v15, v11 src0_sel:BYTE_0 src1_sel:DWORD
	v_cndmask_b32_e64 v15, 0, 1, s[30:31]
	;;#ASMSTART
	;;#ASMEND
	v_cmp_ne_u32_e32 vcc, 0, v15
	s_cmp_lg_u64 vcc, exec
	v_mov_b32_e32 v120, v14
	s_cbranch_scc1 .LBB42_116
; %bb.112:                              ;   in Loop: Header=BB42_111 Depth=1
	v_lshlrev_b64 v[14:15], 3, v[12:13]
	v_mov_b32_e32 v21, s27
	v_add_co_u32_e32 v20, vcc, s26, v14
	v_addc_co_u32_e32 v21, vcc, v21, v15, vcc
	global_load_dwordx2 v[14:15], v[20:21], off glc
	s_waitcnt vmcnt(0)
	v_cmp_eq_u16_sdwa s[34:35], v15, v13 src0_sel:BYTE_0 src1_sel:DWORD
	s_and_saveexec_b64 s[30:31], s[34:35]
	s_cbranch_execz .LBB42_110
; %bb.113:                              ;   in Loop: Header=BB42_111 Depth=1
	s_mov_b64 s[34:35], 0
.LBB42_114:                             ;   Parent Loop BB42_111 Depth=1
                                        ; =>  This Inner Loop Header: Depth=2
	global_load_dwordx2 v[14:15], v[20:21], off glc
	s_waitcnt vmcnt(0)
	v_cmp_ne_u16_sdwa s[36:37], v15, v13 src0_sel:BYTE_0 src1_sel:DWORD
	s_or_b64 s[34:35], s[36:37], s[34:35]
	s_andn2_b64 exec, exec, s[34:35]
	s_cbranch_execnz .LBB42_114
; %bb.115:                              ;   in Loop: Header=BB42_111 Depth=1
	s_or_b64 exec, exec, s[34:35]
	s_branch .LBB42_110
.LBB42_116:                             ;   in Loop: Header=BB42_111 Depth=1
                                        ; implicit-def: $vgpr14
                                        ; implicit-def: $vgpr15
	s_cbranch_execz .LBB42_111
; %bb.117:
	s_and_saveexec_b64 s[30:31], s[16:17]
	s_cbranch_execz .LBB42_119
; %bb.118:
	s_add_i32 s34, s33, 64
	s_mov_b32 s35, 0
	s_lshl_b64 s[34:35], s[34:35], 3
	s_add_u32 s34, s26, s34
	v_add_u32_e32 v12, v120, v10
	v_mov_b32_e32 v13, 2
	s_addc_u32 s35, s27, s35
	v_mov_b32_e32 v11, 0
	s_movk_i32 s33, 0x1000
	global_store_dwordx2 v11, v[12:13], s[34:35]
	v_add_u32_e64 v11, s33, 0
	ds_write2_b32 v11, v10, v120 offset0:32 offset1:34
.LBB42_119:
	s_or_b64 exec, exec, s[30:31]
	s_and_b64 exec, exec, s[0:1]
	s_cbranch_execz .LBB42_121
; %bb.120:
	v_mov_b32_e32 v10, 0
	ds_write_b32 v10, v120 offset:4
.LBB42_121:
	s_or_b64 exec, exec, s[28:29]
	v_mov_b32_e32 v10, 0
	s_movk_i32 s28, 0x1000
	s_waitcnt lgkmcnt(0)
	s_barrier
	ds_read_b32 v10, v10 offset:4
	v_add_u32_e64 v11, s28, 0
	s_waitcnt lgkmcnt(0)
	s_barrier
	ds_read2_b32 v[18:19], v11 offset0:32 offset1:34
	v_cndmask_b32_e64 v11, v96, v95, s[16:17]
	v_cndmask_b32_e64 v11, v11, 0, s[0:1]
	v_add_u32_e32 v99, v10, v11
	s_branch .LBB42_132
.LBB42_122:
                                        ; implicit-def: $vgpr19
                                        ; implicit-def: $vgpr99
	s_cbranch_execz .LBB42_132
; %bb.123:
	v_mov_b32_dpp v10, v94 row_shr:1 row_mask:0xf bank_mask:0xf
	v_cndmask_b32_e64 v10, v10, 0, s[12:13]
	v_add_u32_e32 v10, v10, v94
	s_nop 1
	v_mov_b32_dpp v11, v10 row_shr:2 row_mask:0xf bank_mask:0xf
	v_cndmask_b32_e64 v11, 0, v11, s[10:11]
	v_add_u32_e32 v10, v10, v11
	s_nop 1
	;; [unrolled: 4-line block ×4, first 2 shown]
	v_mov_b32_dpp v11, v10 row_bcast:15 row_mask:0xf bank_mask:0xf
	v_cndmask_b32_e64 v11, v11, 0, s[4:5]
	v_add_u32_e32 v10, v10, v11
	s_nop 1
	v_mov_b32_dpp v11, v10 row_bcast:31 row_mask:0xf bank_mask:0xf
	v_cndmask_b32_e64 v11, 0, v11, s[14:15]
	v_add_u32_e32 v10, v10, v11
	s_and_saveexec_b64 s[4:5], s[2:3]
	s_cbranch_execz .LBB42_125
; %bb.124:
	v_lshlrev_b32_e32 v11, 2, v93
	ds_write_b32 v11, v10
.LBB42_125:
	s_or_b64 exec, exec, s[4:5]
	v_cmp_gt_u32_e32 vcc, 2, v0
	s_waitcnt lgkmcnt(0)
	s_barrier
	s_and_saveexec_b64 s[2:3], vcc
	s_cbranch_execz .LBB42_127
; %bb.126:
	v_lshlrev_b32_e32 v11, 2, v0
	ds_read_b32 v12, v11
	v_bfe_i32 v13, v88, 0, 1
	s_waitcnt lgkmcnt(0)
	v_mov_b32_dpp v14, v12 row_shr:1 row_mask:0xf bank_mask:0xf
	v_and_b32_e32 v13, v13, v14
	v_add_u32_e32 v12, v13, v12
	ds_write_b32 v11, v12
.LBB42_127:
	s_or_b64 exec, exec, s[2:3]
	v_cmp_lt_u32_e32 vcc, 63, v0
	v_mov_b32_e32 v12, 0
	v_mov_b32_e32 v11, 0
	s_waitcnt lgkmcnt(0)
	s_barrier
	s_and_saveexec_b64 s[2:3], vcc
	s_cbranch_execz .LBB42_129
; %bb.128:
	v_lshl_add_u32 v11, v93, 2, -4
	ds_read_b32 v11, v11
.LBB42_129:
	s_or_b64 exec, exec, s[2:3]
	v_add_u32_e32 v13, -1, v88
	v_and_b32_e32 v14, 64, v88
	v_cmp_lt_i32_e32 vcc, v13, v14
	v_cndmask_b32_e32 v13, v13, v88, vcc
	s_waitcnt lgkmcnt(0)
	v_add_u32_e32 v10, v11, v10
	v_lshlrev_b32_e32 v13, 2, v13
	ds_bpermute_b32 v10, v13, v10
	ds_read_b32 v18, v12 offset:4
	s_and_saveexec_b64 s[2:3], s[0:1]
	s_cbranch_execz .LBB42_131
; %bb.130:
	v_mov_b32_e32 v12, 0
	v_mov_b32_e32 v19, 2
	s_waitcnt lgkmcnt(0)
	global_store_dwordx2 v12, v[18:19], s[26:27] offset:512
.LBB42_131:
	s_or_b64 exec, exec, s[2:3]
	v_cmp_eq_u32_e32 vcc, 0, v88
	s_waitcnt lgkmcnt(1)
	v_cndmask_b32_e32 v10, v10, v11, vcc
	v_mov_b32_e32 v19, 0
	v_cndmask_b32_e64 v99, v10, 0, s[0:1]
	s_waitcnt lgkmcnt(0)
	s_barrier
.LBB42_132:
	v_add_u32_e32 v102, v99, v91
	v_add_u32_e32 v101, v102, v92
	;; [unrolled: 1-line block ×29, first 2 shown]
	s_movk_i32 s2, 0x81
	v_add_u32_e32 v12, v13, v117
	s_waitcnt lgkmcnt(0)
	v_cmp_gt_u32_e32 vcc, s2, v18
	v_add_u32_sdwa v11, v12, v39 dst_sel:DWORD dst_unused:UNUSED_PAD src0_sel:DWORD src1_sel:BYTE_0
	s_mov_b64 s[2:3], -1
	s_cbranch_vccnz .LBB42_136
; %bb.133:
	s_and_b64 vcc, exec, s[2:3]
	s_cbranch_vccnz .LBB42_233
.LBB42_134:
	s_and_b64 s[0:1], s[0:1], s[18:19]
	s_and_saveexec_b64 s[2:3], s[0:1]
	s_cbranch_execnz .LBB42_312
.LBB42_135:
	s_endpgm
.LBB42_136:
	v_mov_b32_e32 v1, s25
	s_waitcnt vmcnt(0)
	v_add_co_u32_e32 v10, vcc, s24, v16
	v_add_u32_e32 v103, v19, v18
	v_addc_co_u32_e32 v1, vcc, v1, v17, vcc
	v_cmp_lt_u32_e32 vcc, v99, v103
	s_or_b64 s[4:5], s[22:23], vcc
	s_and_saveexec_b64 s[2:3], s[4:5]
	s_cbranch_execz .LBB42_139
; %bb.137:
	v_and_b32_e32 v104, 1, v77
	v_cmp_eq_u32_e32 vcc, 1, v104
	s_and_b64 exec, exec, vcc
	s_cbranch_execz .LBB42_139
; %bb.138:
	v_readfirstlane_b32 s4, v10
	v_readfirstlane_b32 s5, v1
	s_nop 4
	global_store_byte v99, v8, s[4:5]
.LBB42_139:
	s_or_b64 exec, exec, s[2:3]
	v_cmp_lt_u32_e32 vcc, v102, v103
	s_or_b64 s[4:5], s[22:23], vcc
	s_and_saveexec_b64 s[2:3], s[4:5]
	s_cbranch_execz .LBB42_142
; %bb.140:
	v_and_b32_e32 v104, 1, v76
	v_cmp_eq_u32_e32 vcc, 1, v104
	s_and_b64 exec, exec, vcc
	s_cbranch_execz .LBB42_142
; %bb.141:
	v_readfirstlane_b32 s4, v10
	v_readfirstlane_b32 s5, v1
	s_nop 4
	global_store_byte v102, v52, s[4:5]
.LBB42_142:
	s_or_b64 exec, exec, s[2:3]
	;; [unrolled: 16-line block ×32, first 2 shown]
	s_branch .LBB42_134
.LBB42_233:
	v_and_b32_e32 v1, 1, v77
	v_cmp_eq_u32_e32 vcc, 1, v1
	s_and_saveexec_b64 s[2:3], vcc
	s_cbranch_execz .LBB42_235
; %bb.234:
	v_sub_u32_e32 v1, v99, v19
	ds_write_b8 v1, v8
.LBB42_235:
	s_or_b64 exec, exec, s[2:3]
	v_and_b32_e32 v1, 1, v76
	v_cmp_eq_u32_e32 vcc, 1, v1
	s_and_saveexec_b64 s[2:3], vcc
	s_cbranch_execz .LBB42_237
; %bb.236:
	v_sub_u32_e32 v1, v102, v19
	ds_write_b8 v1, v52
.LBB42_237:
	s_or_b64 exec, exec, s[2:3]
	;; [unrolled: 9-line block ×32, first 2 shown]
	v_cmp_lt_u32_e32 vcc, v0, v18
	s_waitcnt lgkmcnt(0)
	s_barrier
	s_and_saveexec_b64 s[4:5], vcc
	s_cbranch_execz .LBB42_311
; %bb.298:
	v_mov_b32_e32 v1, s25
	s_waitcnt vmcnt(0)
	v_add_co_u32_e32 v2, vcc, s24, v16
	v_addc_co_u32_e32 v1, vcc, v1, v17, vcc
	v_add_co_u32_e32 v20, vcc, v2, v19
	v_addc_co_u32_e32 v21, vcc, 0, v1, vcc
	v_xad_u32 v1, v0, -1, v18
	s_movk_i32 s2, 0xb80
	v_cmp_gt_u32_e32 vcc, s2, v1
	s_movk_i32 s2, 0xb7f
	v_cmp_lt_u32_e64 s[2:3], s2, v1
	s_and_saveexec_b64 s[6:7], s[2:3]
	s_cbranch_execz .LBB42_308
; %bb.299:
	v_sub_u32_e32 v2, v0, v18
	v_or_b32_e32 v2, 0x7f, v2
	v_cmp_ge_u32_e64 s[2:3], v2, v0
	s_mov_b64 s[10:11], -1
	s_and_saveexec_b64 s[8:9], s[2:3]
	s_cbranch_execz .LBB42_307
; %bb.300:
	v_lshrrev_b32_e32 v22, 7, v1
	v_or_b32_e32 v7, 0x380, v0
	v_or_b32_e32 v6, 0x300, v0
	;; [unrolled: 1-line block ×7, first 2 shown]
	v_add_u32_e32 v23, -7, v22
	v_pk_mov_b32 v[14:15], v[6:7], v[6:7] op_sel:[0,1]
	v_cmp_lt_u32_e64 s[2:3], 7, v23
	v_mov_b32_e32 v24, 0
	v_pk_mov_b32 v[12:13], v[4:5], v[4:5] op_sel:[0,1]
	v_pk_mov_b32 v[10:11], v[2:3], v[2:3] op_sel:[0,1]
	v_pk_mov_b32 v[8:9], v[0:1], v[0:1] op_sel:[0,1]
	s_and_saveexec_b64 s[10:11], s[2:3]
	s_cbranch_execz .LBB42_304
; %bb.301:
	v_lshrrev_b32_e32 v8, 3, v23
	v_add_u32_e32 v8, 1, v8
	v_and_b32_e32 v24, 0x3ffffffe, v8
	v_pk_mov_b32 v[14:15], v[6:7], v[6:7] op_sel:[0,1]
	s_mov_b32 s14, 0
	s_mov_b64 s[12:13], 0
	v_mov_b32_e32 v25, v0
	v_pk_mov_b32 v[12:13], v[4:5], v[4:5] op_sel:[0,1]
	v_pk_mov_b32 v[10:11], v[2:3], v[2:3] op_sel:[0,1]
	;; [unrolled: 1-line block ×3, first 2 shown]
.LBB42_302:                             ; =>This Inner Loop Header: Depth=1
	v_add_co_u32_e64 v2, s[2:3], v20, v8
	v_addc_co_u32_e64 v3, s[2:3], 0, v21, s[2:3]
	v_add_co_u32_e64 v4, s[2:3], v20, v9
	v_addc_co_u32_e64 v5, s[2:3], 0, v21, s[2:3]
	;; [unrolled: 2-line block ×8, first 2 shown]
	v_add_u32_e32 v36, 0x400, v8
	v_add_co_u32_e64 v36, s[2:3], v20, v36
	v_add_u32_e32 v38, 0x400, v9
	v_addc_co_u32_e64 v37, s[2:3], 0, v21, s[2:3]
	v_add_co_u32_e64 v38, s[2:3], v20, v38
	v_add_u32_e32 v40, 0x400, v10
	v_addc_co_u32_e64 v39, s[2:3], 0, v21, s[2:3]
	;; [unrolled: 3-line block ×6, first 2 shown]
	v_add_co_u32_e64 v48, s[2:3], v20, v48
	ds_read_u8 v52, v25
	ds_read_u8 v53, v25 offset:128
	ds_read_u8 v54, v25 offset:256
	;; [unrolled: 1-line block ×7, first 2 shown]
	v_add_u32_e32 v1, 0x400, v15
	ds_read_u8 v60, v25 offset:1024
	ds_read_u8 v61, v25 offset:1152
	ds_read_u8 v62, v25 offset:1280
	ds_read_u8 v63, v25 offset:1408
	ds_read_u8 v64, v25 offset:1536
	ds_read_u8 v65, v25 offset:1664
	ds_read_u8 v66, v25 offset:1792
	ds_read_u8 v67, v25 offset:1920
	v_addc_co_u32_e64 v49, s[2:3], 0, v21, s[2:3]
	v_add_co_u32_e64 v50, s[2:3], v20, v1
	v_add_u32_e32 v24, -2, v24
	v_addc_co_u32_e64 v51, s[2:3], 0, v21, s[2:3]
	s_add_i32 s14, s14, 16
	v_cmp_eq_u32_e64 s[2:3], 0, v24
	v_add_u32_e32 v15, 0x800, v15
	v_add_u32_e32 v14, 0x800, v14
	v_add_u32_e32 v13, 0x800, v13
	v_add_u32_e32 v12, 0x800, v12
	v_add_u32_e32 v11, 0x800, v11
	v_add_u32_e32 v10, 0x800, v10
	v_add_u32_e32 v9, 0x800, v9
	v_add_u32_e32 v8, 0x800, v8
	v_add_u32_e32 v25, 0x800, v25
	v_mov_b32_e32 v1, s14
	s_or_b64 s[12:13], s[2:3], s[12:13]
	s_waitcnt lgkmcnt(14)
	global_store_byte v[2:3], v52, off
	global_store_byte v[4:5], v53, off
	s_waitcnt lgkmcnt(13)
	global_store_byte v[6:7], v54, off
	s_waitcnt lgkmcnt(12)
	;; [unrolled: 2-line block ×14, first 2 shown]
	global_store_byte v[50:51], v67, off
	s_andn2_b64 exec, exec, s[12:13]
	s_cbranch_execnz .LBB42_302
; %bb.303:
	s_or_b64 exec, exec, s[12:13]
	v_lshlrev_b32_e32 v24, 7, v1
.LBB42_304:
	s_or_b64 exec, exec, s[10:11]
	v_and_b32_e32 v1, 8, v23
	v_cmp_eq_u32_e64 s[2:3], 0, v1
	s_and_saveexec_b64 s[10:11], s[2:3]
	s_cbranch_execz .LBB42_306
; %bb.305:
	v_add_co_u32_e64 v2, s[2:3], v20, v8
	v_addc_co_u32_e64 v3, s[2:3], 0, v21, s[2:3]
	v_add_co_u32_e64 v4, s[2:3], v20, v9
	v_addc_co_u32_e64 v5, s[2:3], 0, v21, s[2:3]
	;; [unrolled: 2-line block ×4, first 2 shown]
	v_add_co_u32_e64 v10, s[2:3], v20, v12
	v_or_b32_e32 v1, v0, v24
	v_addc_co_u32_e64 v11, s[2:3], 0, v21, s[2:3]
	ds_read_u8 v23, v1
	ds_read_u8 v26, v1 offset:128
	ds_read_u8 v27, v1 offset:256
	;; [unrolled: 1-line block ×7, first 2 shown]
	v_add_co_u32_e64 v12, s[2:3], v20, v13
	v_addc_co_u32_e64 v13, s[2:3], 0, v21, s[2:3]
	v_add_co_u32_e64 v24, s[2:3], v20, v14
	v_addc_co_u32_e64 v25, s[2:3], 0, v21, s[2:3]
	;; [unrolled: 2-line block ×3, first 2 shown]
	s_waitcnt lgkmcnt(7)
	global_store_byte v[2:3], v23, off
	s_waitcnt lgkmcnt(6)
	global_store_byte v[4:5], v26, off
	;; [unrolled: 2-line block ×8, first 2 shown]
.LBB42_306:
	s_or_b64 exec, exec, s[10:11]
	v_add_u32_e32 v1, 1, v22
	v_and_b32_e32 v2, 0x3fffff8, v1
	v_cmp_ne_u32_e64 s[2:3], v1, v2
	v_lshl_or_b32 v0, v2, 7, v0
	s_orn2_b64 s[10:11], s[2:3], exec
.LBB42_307:
	s_or_b64 exec, exec, s[8:9]
	s_andn2_b64 s[2:3], vcc, exec
	s_and_b64 s[8:9], s[10:11], exec
	s_or_b64 vcc, s[2:3], s[8:9]
.LBB42_308:
	s_or_b64 exec, exec, s[6:7]
	s_and_b64 exec, exec, vcc
	s_cbranch_execz .LBB42_311
; %bb.309:
	s_mov_b64 s[2:3], 0
.LBB42_310:                             ; =>This Inner Loop Header: Depth=1
	ds_read_u8 v1, v0
	v_readfirstlane_b32 s6, v20
	v_readfirstlane_b32 s7, v21
	s_waitcnt lgkmcnt(0)
	s_nop 3
	global_store_byte v0, v1, s[6:7]
	v_add_u32_e32 v0, 0x80, v0
	v_cmp_ge_u32_e32 vcc, v0, v18
	s_or_b64 s[2:3], vcc, s[2:3]
	s_andn2_b64 exec, exec, s[2:3]
	s_cbranch_execnz .LBB42_310
.LBB42_311:
	s_or_b64 exec, exec, s[4:5]
	s_and_b64 s[0:1], s[0:1], s[18:19]
	s_and_saveexec_b64 s[2:3], s[0:1]
	s_cbranch_execz .LBB42_135
.LBB42_312:
	s_waitcnt vmcnt(0)
	v_add_co_u32_e32 v0, vcc, v16, v18
	v_addc_co_u32_e32 v1, vcc, 0, v17, vcc
	v_add_co_u32_e32 v0, vcc, v0, v19
	v_mov_b32_e32 v2, 0
	v_addc_co_u32_e32 v1, vcc, 0, v1, vcc
	global_store_dwordx2 v2, v[0:1], s[20:21]
	s_endpgm
.LBB42_313:
	s_or_b64 exec, exec, s[10:11]
	v_mov_b32_e32 v77, s12
	s_and_saveexec_b64 s[2:3], s[4:5]
	s_cbranch_execnz .LBB42_92
	s_branch .LBB42_93
	.section	.rodata,"a",@progbits
	.p2align	6, 0x0
	.amdhsa_kernel _ZN7rocprim17ROCPRIM_400000_NS6detail17trampoline_kernelINS0_14default_configENS1_25partition_config_selectorILNS1_17partition_subalgoE8EbNS0_10empty_typeEbEEZZNS1_14partition_implILS5_8ELb0ES3_jN6hipcub16HIPCUB_304000_NS22TransformInputIteratorIbN2at6native8internal12_GLOBAL__N_110LoadBoolOpEPKhlEEPS6_PKS6_NS0_5tupleIJPbS6_EEENSN_IJSK_SK_EEENS0_18inequality_wrapperINSA_8EqualityEEEPlJS6_EEE10hipError_tPvRmT3_T4_T5_T6_T7_T9_mT8_P12ihipStream_tbDpT10_ENKUlT_T0_E_clISt17integral_constantIbLb0EES1D_IbLb1EEEEDaS19_S1A_EUlS19_E_NS1_11comp_targetILNS1_3genE4ELNS1_11target_archE910ELNS1_3gpuE8ELNS1_3repE0EEENS1_30default_config_static_selectorELNS0_4arch9wavefront6targetE1EEEvT1_
		.amdhsa_group_segment_fixed_size 4236
		.amdhsa_private_segment_fixed_size 0
		.amdhsa_kernarg_size 136
		.amdhsa_user_sgpr_count 6
		.amdhsa_user_sgpr_private_segment_buffer 1
		.amdhsa_user_sgpr_dispatch_ptr 0
		.amdhsa_user_sgpr_queue_ptr 0
		.amdhsa_user_sgpr_kernarg_segment_ptr 1
		.amdhsa_user_sgpr_dispatch_id 0
		.amdhsa_user_sgpr_flat_scratch_init 0
		.amdhsa_user_sgpr_kernarg_preload_length 0
		.amdhsa_user_sgpr_kernarg_preload_offset 0
		.amdhsa_user_sgpr_private_segment_size 0
		.amdhsa_uses_dynamic_stack 0
		.amdhsa_system_sgpr_private_segment_wavefront_offset 0
		.amdhsa_system_sgpr_workgroup_id_x 1
		.amdhsa_system_sgpr_workgroup_id_y 0
		.amdhsa_system_sgpr_workgroup_id_z 0
		.amdhsa_system_sgpr_workgroup_info 0
		.amdhsa_system_vgpr_workitem_id 0
		.amdhsa_next_free_vgpr 126
		.amdhsa_next_free_sgpr 85
		.amdhsa_accum_offset 128
		.amdhsa_reserve_vcc 1
		.amdhsa_reserve_flat_scratch 0
		.amdhsa_float_round_mode_32 0
		.amdhsa_float_round_mode_16_64 0
		.amdhsa_float_denorm_mode_32 3
		.amdhsa_float_denorm_mode_16_64 3
		.amdhsa_dx10_clamp 1
		.amdhsa_ieee_mode 1
		.amdhsa_fp16_overflow 0
		.amdhsa_tg_split 0
		.amdhsa_exception_fp_ieee_invalid_op 0
		.amdhsa_exception_fp_denorm_src 0
		.amdhsa_exception_fp_ieee_div_zero 0
		.amdhsa_exception_fp_ieee_overflow 0
		.amdhsa_exception_fp_ieee_underflow 0
		.amdhsa_exception_fp_ieee_inexact 0
		.amdhsa_exception_int_div_zero 0
	.end_amdhsa_kernel
	.section	.text._ZN7rocprim17ROCPRIM_400000_NS6detail17trampoline_kernelINS0_14default_configENS1_25partition_config_selectorILNS1_17partition_subalgoE8EbNS0_10empty_typeEbEEZZNS1_14partition_implILS5_8ELb0ES3_jN6hipcub16HIPCUB_304000_NS22TransformInputIteratorIbN2at6native8internal12_GLOBAL__N_110LoadBoolOpEPKhlEEPS6_PKS6_NS0_5tupleIJPbS6_EEENSN_IJSK_SK_EEENS0_18inequality_wrapperINSA_8EqualityEEEPlJS6_EEE10hipError_tPvRmT3_T4_T5_T6_T7_T9_mT8_P12ihipStream_tbDpT10_ENKUlT_T0_E_clISt17integral_constantIbLb0EES1D_IbLb1EEEEDaS19_S1A_EUlS19_E_NS1_11comp_targetILNS1_3genE4ELNS1_11target_archE910ELNS1_3gpuE8ELNS1_3repE0EEENS1_30default_config_static_selectorELNS0_4arch9wavefront6targetE1EEEvT1_,"axG",@progbits,_ZN7rocprim17ROCPRIM_400000_NS6detail17trampoline_kernelINS0_14default_configENS1_25partition_config_selectorILNS1_17partition_subalgoE8EbNS0_10empty_typeEbEEZZNS1_14partition_implILS5_8ELb0ES3_jN6hipcub16HIPCUB_304000_NS22TransformInputIteratorIbN2at6native8internal12_GLOBAL__N_110LoadBoolOpEPKhlEEPS6_PKS6_NS0_5tupleIJPbS6_EEENSN_IJSK_SK_EEENS0_18inequality_wrapperINSA_8EqualityEEEPlJS6_EEE10hipError_tPvRmT3_T4_T5_T6_T7_T9_mT8_P12ihipStream_tbDpT10_ENKUlT_T0_E_clISt17integral_constantIbLb0EES1D_IbLb1EEEEDaS19_S1A_EUlS19_E_NS1_11comp_targetILNS1_3genE4ELNS1_11target_archE910ELNS1_3gpuE8ELNS1_3repE0EEENS1_30default_config_static_selectorELNS0_4arch9wavefront6targetE1EEEvT1_,comdat
.Lfunc_end42:
	.size	_ZN7rocprim17ROCPRIM_400000_NS6detail17trampoline_kernelINS0_14default_configENS1_25partition_config_selectorILNS1_17partition_subalgoE8EbNS0_10empty_typeEbEEZZNS1_14partition_implILS5_8ELb0ES3_jN6hipcub16HIPCUB_304000_NS22TransformInputIteratorIbN2at6native8internal12_GLOBAL__N_110LoadBoolOpEPKhlEEPS6_PKS6_NS0_5tupleIJPbS6_EEENSN_IJSK_SK_EEENS0_18inequality_wrapperINSA_8EqualityEEEPlJS6_EEE10hipError_tPvRmT3_T4_T5_T6_T7_T9_mT8_P12ihipStream_tbDpT10_ENKUlT_T0_E_clISt17integral_constantIbLb0EES1D_IbLb1EEEEDaS19_S1A_EUlS19_E_NS1_11comp_targetILNS1_3genE4ELNS1_11target_archE910ELNS1_3gpuE8ELNS1_3repE0EEENS1_30default_config_static_selectorELNS0_4arch9wavefront6targetE1EEEvT1_, .Lfunc_end42-_ZN7rocprim17ROCPRIM_400000_NS6detail17trampoline_kernelINS0_14default_configENS1_25partition_config_selectorILNS1_17partition_subalgoE8EbNS0_10empty_typeEbEEZZNS1_14partition_implILS5_8ELb0ES3_jN6hipcub16HIPCUB_304000_NS22TransformInputIteratorIbN2at6native8internal12_GLOBAL__N_110LoadBoolOpEPKhlEEPS6_PKS6_NS0_5tupleIJPbS6_EEENSN_IJSK_SK_EEENS0_18inequality_wrapperINSA_8EqualityEEEPlJS6_EEE10hipError_tPvRmT3_T4_T5_T6_T7_T9_mT8_P12ihipStream_tbDpT10_ENKUlT_T0_E_clISt17integral_constantIbLb0EES1D_IbLb1EEEEDaS19_S1A_EUlS19_E_NS1_11comp_targetILNS1_3genE4ELNS1_11target_archE910ELNS1_3gpuE8ELNS1_3repE0EEENS1_30default_config_static_selectorELNS0_4arch9wavefront6targetE1EEEvT1_
                                        ; -- End function
	.section	.AMDGPU.csdata,"",@progbits
; Kernel info:
; codeLenInByte = 14456
; NumSgprs: 89
; NumVgprs: 126
; NumAgprs: 0
; TotalNumVgprs: 126
; ScratchSize: 0
; MemoryBound: 0
; FloatMode: 240
; IeeeMode: 1
; LDSByteSize: 4236 bytes/workgroup (compile time only)
; SGPRBlocks: 11
; VGPRBlocks: 15
; NumSGPRsForWavesPerEU: 89
; NumVGPRsForWavesPerEU: 126
; AccumOffset: 128
; Occupancy: 4
; WaveLimiterHint : 1
; COMPUTE_PGM_RSRC2:SCRATCH_EN: 0
; COMPUTE_PGM_RSRC2:USER_SGPR: 6
; COMPUTE_PGM_RSRC2:TRAP_HANDLER: 0
; COMPUTE_PGM_RSRC2:TGID_X_EN: 1
; COMPUTE_PGM_RSRC2:TGID_Y_EN: 0
; COMPUTE_PGM_RSRC2:TGID_Z_EN: 0
; COMPUTE_PGM_RSRC2:TIDIG_COMP_CNT: 0
; COMPUTE_PGM_RSRC3_GFX90A:ACCUM_OFFSET: 31
; COMPUTE_PGM_RSRC3_GFX90A:TG_SPLIT: 0
	.section	.text._ZN7rocprim17ROCPRIM_400000_NS6detail17trampoline_kernelINS0_14default_configENS1_25partition_config_selectorILNS1_17partition_subalgoE8EbNS0_10empty_typeEbEEZZNS1_14partition_implILS5_8ELb0ES3_jN6hipcub16HIPCUB_304000_NS22TransformInputIteratorIbN2at6native8internal12_GLOBAL__N_110LoadBoolOpEPKhlEEPS6_PKS6_NS0_5tupleIJPbS6_EEENSN_IJSK_SK_EEENS0_18inequality_wrapperINSA_8EqualityEEEPlJS6_EEE10hipError_tPvRmT3_T4_T5_T6_T7_T9_mT8_P12ihipStream_tbDpT10_ENKUlT_T0_E_clISt17integral_constantIbLb0EES1D_IbLb1EEEEDaS19_S1A_EUlS19_E_NS1_11comp_targetILNS1_3genE3ELNS1_11target_archE908ELNS1_3gpuE7ELNS1_3repE0EEENS1_30default_config_static_selectorELNS0_4arch9wavefront6targetE1EEEvT1_,"axG",@progbits,_ZN7rocprim17ROCPRIM_400000_NS6detail17trampoline_kernelINS0_14default_configENS1_25partition_config_selectorILNS1_17partition_subalgoE8EbNS0_10empty_typeEbEEZZNS1_14partition_implILS5_8ELb0ES3_jN6hipcub16HIPCUB_304000_NS22TransformInputIteratorIbN2at6native8internal12_GLOBAL__N_110LoadBoolOpEPKhlEEPS6_PKS6_NS0_5tupleIJPbS6_EEENSN_IJSK_SK_EEENS0_18inequality_wrapperINSA_8EqualityEEEPlJS6_EEE10hipError_tPvRmT3_T4_T5_T6_T7_T9_mT8_P12ihipStream_tbDpT10_ENKUlT_T0_E_clISt17integral_constantIbLb0EES1D_IbLb1EEEEDaS19_S1A_EUlS19_E_NS1_11comp_targetILNS1_3genE3ELNS1_11target_archE908ELNS1_3gpuE7ELNS1_3repE0EEENS1_30default_config_static_selectorELNS0_4arch9wavefront6targetE1EEEvT1_,comdat
	.globl	_ZN7rocprim17ROCPRIM_400000_NS6detail17trampoline_kernelINS0_14default_configENS1_25partition_config_selectorILNS1_17partition_subalgoE8EbNS0_10empty_typeEbEEZZNS1_14partition_implILS5_8ELb0ES3_jN6hipcub16HIPCUB_304000_NS22TransformInputIteratorIbN2at6native8internal12_GLOBAL__N_110LoadBoolOpEPKhlEEPS6_PKS6_NS0_5tupleIJPbS6_EEENSN_IJSK_SK_EEENS0_18inequality_wrapperINSA_8EqualityEEEPlJS6_EEE10hipError_tPvRmT3_T4_T5_T6_T7_T9_mT8_P12ihipStream_tbDpT10_ENKUlT_T0_E_clISt17integral_constantIbLb0EES1D_IbLb1EEEEDaS19_S1A_EUlS19_E_NS1_11comp_targetILNS1_3genE3ELNS1_11target_archE908ELNS1_3gpuE7ELNS1_3repE0EEENS1_30default_config_static_selectorELNS0_4arch9wavefront6targetE1EEEvT1_ ; -- Begin function _ZN7rocprim17ROCPRIM_400000_NS6detail17trampoline_kernelINS0_14default_configENS1_25partition_config_selectorILNS1_17partition_subalgoE8EbNS0_10empty_typeEbEEZZNS1_14partition_implILS5_8ELb0ES3_jN6hipcub16HIPCUB_304000_NS22TransformInputIteratorIbN2at6native8internal12_GLOBAL__N_110LoadBoolOpEPKhlEEPS6_PKS6_NS0_5tupleIJPbS6_EEENSN_IJSK_SK_EEENS0_18inequality_wrapperINSA_8EqualityEEEPlJS6_EEE10hipError_tPvRmT3_T4_T5_T6_T7_T9_mT8_P12ihipStream_tbDpT10_ENKUlT_T0_E_clISt17integral_constantIbLb0EES1D_IbLb1EEEEDaS19_S1A_EUlS19_E_NS1_11comp_targetILNS1_3genE3ELNS1_11target_archE908ELNS1_3gpuE7ELNS1_3repE0EEENS1_30default_config_static_selectorELNS0_4arch9wavefront6targetE1EEEvT1_
	.p2align	8
	.type	_ZN7rocprim17ROCPRIM_400000_NS6detail17trampoline_kernelINS0_14default_configENS1_25partition_config_selectorILNS1_17partition_subalgoE8EbNS0_10empty_typeEbEEZZNS1_14partition_implILS5_8ELb0ES3_jN6hipcub16HIPCUB_304000_NS22TransformInputIteratorIbN2at6native8internal12_GLOBAL__N_110LoadBoolOpEPKhlEEPS6_PKS6_NS0_5tupleIJPbS6_EEENSN_IJSK_SK_EEENS0_18inequality_wrapperINSA_8EqualityEEEPlJS6_EEE10hipError_tPvRmT3_T4_T5_T6_T7_T9_mT8_P12ihipStream_tbDpT10_ENKUlT_T0_E_clISt17integral_constantIbLb0EES1D_IbLb1EEEEDaS19_S1A_EUlS19_E_NS1_11comp_targetILNS1_3genE3ELNS1_11target_archE908ELNS1_3gpuE7ELNS1_3repE0EEENS1_30default_config_static_selectorELNS0_4arch9wavefront6targetE1EEEvT1_,@function
_ZN7rocprim17ROCPRIM_400000_NS6detail17trampoline_kernelINS0_14default_configENS1_25partition_config_selectorILNS1_17partition_subalgoE8EbNS0_10empty_typeEbEEZZNS1_14partition_implILS5_8ELb0ES3_jN6hipcub16HIPCUB_304000_NS22TransformInputIteratorIbN2at6native8internal12_GLOBAL__N_110LoadBoolOpEPKhlEEPS6_PKS6_NS0_5tupleIJPbS6_EEENSN_IJSK_SK_EEENS0_18inequality_wrapperINSA_8EqualityEEEPlJS6_EEE10hipError_tPvRmT3_T4_T5_T6_T7_T9_mT8_P12ihipStream_tbDpT10_ENKUlT_T0_E_clISt17integral_constantIbLb0EES1D_IbLb1EEEEDaS19_S1A_EUlS19_E_NS1_11comp_targetILNS1_3genE3ELNS1_11target_archE908ELNS1_3gpuE7ELNS1_3repE0EEENS1_30default_config_static_selectorELNS0_4arch9wavefront6targetE1EEEvT1_: ; @_ZN7rocprim17ROCPRIM_400000_NS6detail17trampoline_kernelINS0_14default_configENS1_25partition_config_selectorILNS1_17partition_subalgoE8EbNS0_10empty_typeEbEEZZNS1_14partition_implILS5_8ELb0ES3_jN6hipcub16HIPCUB_304000_NS22TransformInputIteratorIbN2at6native8internal12_GLOBAL__N_110LoadBoolOpEPKhlEEPS6_PKS6_NS0_5tupleIJPbS6_EEENSN_IJSK_SK_EEENS0_18inequality_wrapperINSA_8EqualityEEEPlJS6_EEE10hipError_tPvRmT3_T4_T5_T6_T7_T9_mT8_P12ihipStream_tbDpT10_ENKUlT_T0_E_clISt17integral_constantIbLb0EES1D_IbLb1EEEEDaS19_S1A_EUlS19_E_NS1_11comp_targetILNS1_3genE3ELNS1_11target_archE908ELNS1_3gpuE7ELNS1_3repE0EEENS1_30default_config_static_selectorELNS0_4arch9wavefront6targetE1EEEvT1_
; %bb.0:
	.section	.rodata,"a",@progbits
	.p2align	6, 0x0
	.amdhsa_kernel _ZN7rocprim17ROCPRIM_400000_NS6detail17trampoline_kernelINS0_14default_configENS1_25partition_config_selectorILNS1_17partition_subalgoE8EbNS0_10empty_typeEbEEZZNS1_14partition_implILS5_8ELb0ES3_jN6hipcub16HIPCUB_304000_NS22TransformInputIteratorIbN2at6native8internal12_GLOBAL__N_110LoadBoolOpEPKhlEEPS6_PKS6_NS0_5tupleIJPbS6_EEENSN_IJSK_SK_EEENS0_18inequality_wrapperINSA_8EqualityEEEPlJS6_EEE10hipError_tPvRmT3_T4_T5_T6_T7_T9_mT8_P12ihipStream_tbDpT10_ENKUlT_T0_E_clISt17integral_constantIbLb0EES1D_IbLb1EEEEDaS19_S1A_EUlS19_E_NS1_11comp_targetILNS1_3genE3ELNS1_11target_archE908ELNS1_3gpuE7ELNS1_3repE0EEENS1_30default_config_static_selectorELNS0_4arch9wavefront6targetE1EEEvT1_
		.amdhsa_group_segment_fixed_size 0
		.amdhsa_private_segment_fixed_size 0
		.amdhsa_kernarg_size 136
		.amdhsa_user_sgpr_count 6
		.amdhsa_user_sgpr_private_segment_buffer 1
		.amdhsa_user_sgpr_dispatch_ptr 0
		.amdhsa_user_sgpr_queue_ptr 0
		.amdhsa_user_sgpr_kernarg_segment_ptr 1
		.amdhsa_user_sgpr_dispatch_id 0
		.amdhsa_user_sgpr_flat_scratch_init 0
		.amdhsa_user_sgpr_kernarg_preload_length 0
		.amdhsa_user_sgpr_kernarg_preload_offset 0
		.amdhsa_user_sgpr_private_segment_size 0
		.amdhsa_uses_dynamic_stack 0
		.amdhsa_system_sgpr_private_segment_wavefront_offset 0
		.amdhsa_system_sgpr_workgroup_id_x 1
		.amdhsa_system_sgpr_workgroup_id_y 0
		.amdhsa_system_sgpr_workgroup_id_z 0
		.amdhsa_system_sgpr_workgroup_info 0
		.amdhsa_system_vgpr_workitem_id 0
		.amdhsa_next_free_vgpr 1
		.amdhsa_next_free_sgpr 0
		.amdhsa_accum_offset 4
		.amdhsa_reserve_vcc 0
		.amdhsa_reserve_flat_scratch 0
		.amdhsa_float_round_mode_32 0
		.amdhsa_float_round_mode_16_64 0
		.amdhsa_float_denorm_mode_32 3
		.amdhsa_float_denorm_mode_16_64 3
		.amdhsa_dx10_clamp 1
		.amdhsa_ieee_mode 1
		.amdhsa_fp16_overflow 0
		.amdhsa_tg_split 0
		.amdhsa_exception_fp_ieee_invalid_op 0
		.amdhsa_exception_fp_denorm_src 0
		.amdhsa_exception_fp_ieee_div_zero 0
		.amdhsa_exception_fp_ieee_overflow 0
		.amdhsa_exception_fp_ieee_underflow 0
		.amdhsa_exception_fp_ieee_inexact 0
		.amdhsa_exception_int_div_zero 0
	.end_amdhsa_kernel
	.section	.text._ZN7rocprim17ROCPRIM_400000_NS6detail17trampoline_kernelINS0_14default_configENS1_25partition_config_selectorILNS1_17partition_subalgoE8EbNS0_10empty_typeEbEEZZNS1_14partition_implILS5_8ELb0ES3_jN6hipcub16HIPCUB_304000_NS22TransformInputIteratorIbN2at6native8internal12_GLOBAL__N_110LoadBoolOpEPKhlEEPS6_PKS6_NS0_5tupleIJPbS6_EEENSN_IJSK_SK_EEENS0_18inequality_wrapperINSA_8EqualityEEEPlJS6_EEE10hipError_tPvRmT3_T4_T5_T6_T7_T9_mT8_P12ihipStream_tbDpT10_ENKUlT_T0_E_clISt17integral_constantIbLb0EES1D_IbLb1EEEEDaS19_S1A_EUlS19_E_NS1_11comp_targetILNS1_3genE3ELNS1_11target_archE908ELNS1_3gpuE7ELNS1_3repE0EEENS1_30default_config_static_selectorELNS0_4arch9wavefront6targetE1EEEvT1_,"axG",@progbits,_ZN7rocprim17ROCPRIM_400000_NS6detail17trampoline_kernelINS0_14default_configENS1_25partition_config_selectorILNS1_17partition_subalgoE8EbNS0_10empty_typeEbEEZZNS1_14partition_implILS5_8ELb0ES3_jN6hipcub16HIPCUB_304000_NS22TransformInputIteratorIbN2at6native8internal12_GLOBAL__N_110LoadBoolOpEPKhlEEPS6_PKS6_NS0_5tupleIJPbS6_EEENSN_IJSK_SK_EEENS0_18inequality_wrapperINSA_8EqualityEEEPlJS6_EEE10hipError_tPvRmT3_T4_T5_T6_T7_T9_mT8_P12ihipStream_tbDpT10_ENKUlT_T0_E_clISt17integral_constantIbLb0EES1D_IbLb1EEEEDaS19_S1A_EUlS19_E_NS1_11comp_targetILNS1_3genE3ELNS1_11target_archE908ELNS1_3gpuE7ELNS1_3repE0EEENS1_30default_config_static_selectorELNS0_4arch9wavefront6targetE1EEEvT1_,comdat
.Lfunc_end43:
	.size	_ZN7rocprim17ROCPRIM_400000_NS6detail17trampoline_kernelINS0_14default_configENS1_25partition_config_selectorILNS1_17partition_subalgoE8EbNS0_10empty_typeEbEEZZNS1_14partition_implILS5_8ELb0ES3_jN6hipcub16HIPCUB_304000_NS22TransformInputIteratorIbN2at6native8internal12_GLOBAL__N_110LoadBoolOpEPKhlEEPS6_PKS6_NS0_5tupleIJPbS6_EEENSN_IJSK_SK_EEENS0_18inequality_wrapperINSA_8EqualityEEEPlJS6_EEE10hipError_tPvRmT3_T4_T5_T6_T7_T9_mT8_P12ihipStream_tbDpT10_ENKUlT_T0_E_clISt17integral_constantIbLb0EES1D_IbLb1EEEEDaS19_S1A_EUlS19_E_NS1_11comp_targetILNS1_3genE3ELNS1_11target_archE908ELNS1_3gpuE7ELNS1_3repE0EEENS1_30default_config_static_selectorELNS0_4arch9wavefront6targetE1EEEvT1_, .Lfunc_end43-_ZN7rocprim17ROCPRIM_400000_NS6detail17trampoline_kernelINS0_14default_configENS1_25partition_config_selectorILNS1_17partition_subalgoE8EbNS0_10empty_typeEbEEZZNS1_14partition_implILS5_8ELb0ES3_jN6hipcub16HIPCUB_304000_NS22TransformInputIteratorIbN2at6native8internal12_GLOBAL__N_110LoadBoolOpEPKhlEEPS6_PKS6_NS0_5tupleIJPbS6_EEENSN_IJSK_SK_EEENS0_18inequality_wrapperINSA_8EqualityEEEPlJS6_EEE10hipError_tPvRmT3_T4_T5_T6_T7_T9_mT8_P12ihipStream_tbDpT10_ENKUlT_T0_E_clISt17integral_constantIbLb0EES1D_IbLb1EEEEDaS19_S1A_EUlS19_E_NS1_11comp_targetILNS1_3genE3ELNS1_11target_archE908ELNS1_3gpuE7ELNS1_3repE0EEENS1_30default_config_static_selectorELNS0_4arch9wavefront6targetE1EEEvT1_
                                        ; -- End function
	.section	.AMDGPU.csdata,"",@progbits
; Kernel info:
; codeLenInByte = 0
; NumSgprs: 4
; NumVgprs: 0
; NumAgprs: 0
; TotalNumVgprs: 0
; ScratchSize: 0
; MemoryBound: 0
; FloatMode: 240
; IeeeMode: 1
; LDSByteSize: 0 bytes/workgroup (compile time only)
; SGPRBlocks: 0
; VGPRBlocks: 0
; NumSGPRsForWavesPerEU: 4
; NumVGPRsForWavesPerEU: 1
; AccumOffset: 4
; Occupancy: 8
; WaveLimiterHint : 0
; COMPUTE_PGM_RSRC2:SCRATCH_EN: 0
; COMPUTE_PGM_RSRC2:USER_SGPR: 6
; COMPUTE_PGM_RSRC2:TRAP_HANDLER: 0
; COMPUTE_PGM_RSRC2:TGID_X_EN: 1
; COMPUTE_PGM_RSRC2:TGID_Y_EN: 0
; COMPUTE_PGM_RSRC2:TGID_Z_EN: 0
; COMPUTE_PGM_RSRC2:TIDIG_COMP_CNT: 0
; COMPUTE_PGM_RSRC3_GFX90A:ACCUM_OFFSET: 0
; COMPUTE_PGM_RSRC3_GFX90A:TG_SPLIT: 0
	.section	.text._ZN7rocprim17ROCPRIM_400000_NS6detail17trampoline_kernelINS0_14default_configENS1_25partition_config_selectorILNS1_17partition_subalgoE8EbNS0_10empty_typeEbEEZZNS1_14partition_implILS5_8ELb0ES3_jN6hipcub16HIPCUB_304000_NS22TransformInputIteratorIbN2at6native8internal12_GLOBAL__N_110LoadBoolOpEPKhlEEPS6_PKS6_NS0_5tupleIJPbS6_EEENSN_IJSK_SK_EEENS0_18inequality_wrapperINSA_8EqualityEEEPlJS6_EEE10hipError_tPvRmT3_T4_T5_T6_T7_T9_mT8_P12ihipStream_tbDpT10_ENKUlT_T0_E_clISt17integral_constantIbLb0EES1D_IbLb1EEEEDaS19_S1A_EUlS19_E_NS1_11comp_targetILNS1_3genE2ELNS1_11target_archE906ELNS1_3gpuE6ELNS1_3repE0EEENS1_30default_config_static_selectorELNS0_4arch9wavefront6targetE1EEEvT1_,"axG",@progbits,_ZN7rocprim17ROCPRIM_400000_NS6detail17trampoline_kernelINS0_14default_configENS1_25partition_config_selectorILNS1_17partition_subalgoE8EbNS0_10empty_typeEbEEZZNS1_14partition_implILS5_8ELb0ES3_jN6hipcub16HIPCUB_304000_NS22TransformInputIteratorIbN2at6native8internal12_GLOBAL__N_110LoadBoolOpEPKhlEEPS6_PKS6_NS0_5tupleIJPbS6_EEENSN_IJSK_SK_EEENS0_18inequality_wrapperINSA_8EqualityEEEPlJS6_EEE10hipError_tPvRmT3_T4_T5_T6_T7_T9_mT8_P12ihipStream_tbDpT10_ENKUlT_T0_E_clISt17integral_constantIbLb0EES1D_IbLb1EEEEDaS19_S1A_EUlS19_E_NS1_11comp_targetILNS1_3genE2ELNS1_11target_archE906ELNS1_3gpuE6ELNS1_3repE0EEENS1_30default_config_static_selectorELNS0_4arch9wavefront6targetE1EEEvT1_,comdat
	.globl	_ZN7rocprim17ROCPRIM_400000_NS6detail17trampoline_kernelINS0_14default_configENS1_25partition_config_selectorILNS1_17partition_subalgoE8EbNS0_10empty_typeEbEEZZNS1_14partition_implILS5_8ELb0ES3_jN6hipcub16HIPCUB_304000_NS22TransformInputIteratorIbN2at6native8internal12_GLOBAL__N_110LoadBoolOpEPKhlEEPS6_PKS6_NS0_5tupleIJPbS6_EEENSN_IJSK_SK_EEENS0_18inequality_wrapperINSA_8EqualityEEEPlJS6_EEE10hipError_tPvRmT3_T4_T5_T6_T7_T9_mT8_P12ihipStream_tbDpT10_ENKUlT_T0_E_clISt17integral_constantIbLb0EES1D_IbLb1EEEEDaS19_S1A_EUlS19_E_NS1_11comp_targetILNS1_3genE2ELNS1_11target_archE906ELNS1_3gpuE6ELNS1_3repE0EEENS1_30default_config_static_selectorELNS0_4arch9wavefront6targetE1EEEvT1_ ; -- Begin function _ZN7rocprim17ROCPRIM_400000_NS6detail17trampoline_kernelINS0_14default_configENS1_25partition_config_selectorILNS1_17partition_subalgoE8EbNS0_10empty_typeEbEEZZNS1_14partition_implILS5_8ELb0ES3_jN6hipcub16HIPCUB_304000_NS22TransformInputIteratorIbN2at6native8internal12_GLOBAL__N_110LoadBoolOpEPKhlEEPS6_PKS6_NS0_5tupleIJPbS6_EEENSN_IJSK_SK_EEENS0_18inequality_wrapperINSA_8EqualityEEEPlJS6_EEE10hipError_tPvRmT3_T4_T5_T6_T7_T9_mT8_P12ihipStream_tbDpT10_ENKUlT_T0_E_clISt17integral_constantIbLb0EES1D_IbLb1EEEEDaS19_S1A_EUlS19_E_NS1_11comp_targetILNS1_3genE2ELNS1_11target_archE906ELNS1_3gpuE6ELNS1_3repE0EEENS1_30default_config_static_selectorELNS0_4arch9wavefront6targetE1EEEvT1_
	.p2align	8
	.type	_ZN7rocprim17ROCPRIM_400000_NS6detail17trampoline_kernelINS0_14default_configENS1_25partition_config_selectorILNS1_17partition_subalgoE8EbNS0_10empty_typeEbEEZZNS1_14partition_implILS5_8ELb0ES3_jN6hipcub16HIPCUB_304000_NS22TransformInputIteratorIbN2at6native8internal12_GLOBAL__N_110LoadBoolOpEPKhlEEPS6_PKS6_NS0_5tupleIJPbS6_EEENSN_IJSK_SK_EEENS0_18inequality_wrapperINSA_8EqualityEEEPlJS6_EEE10hipError_tPvRmT3_T4_T5_T6_T7_T9_mT8_P12ihipStream_tbDpT10_ENKUlT_T0_E_clISt17integral_constantIbLb0EES1D_IbLb1EEEEDaS19_S1A_EUlS19_E_NS1_11comp_targetILNS1_3genE2ELNS1_11target_archE906ELNS1_3gpuE6ELNS1_3repE0EEENS1_30default_config_static_selectorELNS0_4arch9wavefront6targetE1EEEvT1_,@function
_ZN7rocprim17ROCPRIM_400000_NS6detail17trampoline_kernelINS0_14default_configENS1_25partition_config_selectorILNS1_17partition_subalgoE8EbNS0_10empty_typeEbEEZZNS1_14partition_implILS5_8ELb0ES3_jN6hipcub16HIPCUB_304000_NS22TransformInputIteratorIbN2at6native8internal12_GLOBAL__N_110LoadBoolOpEPKhlEEPS6_PKS6_NS0_5tupleIJPbS6_EEENSN_IJSK_SK_EEENS0_18inequality_wrapperINSA_8EqualityEEEPlJS6_EEE10hipError_tPvRmT3_T4_T5_T6_T7_T9_mT8_P12ihipStream_tbDpT10_ENKUlT_T0_E_clISt17integral_constantIbLb0EES1D_IbLb1EEEEDaS19_S1A_EUlS19_E_NS1_11comp_targetILNS1_3genE2ELNS1_11target_archE906ELNS1_3gpuE6ELNS1_3repE0EEENS1_30default_config_static_selectorELNS0_4arch9wavefront6targetE1EEEvT1_: ; @_ZN7rocprim17ROCPRIM_400000_NS6detail17trampoline_kernelINS0_14default_configENS1_25partition_config_selectorILNS1_17partition_subalgoE8EbNS0_10empty_typeEbEEZZNS1_14partition_implILS5_8ELb0ES3_jN6hipcub16HIPCUB_304000_NS22TransformInputIteratorIbN2at6native8internal12_GLOBAL__N_110LoadBoolOpEPKhlEEPS6_PKS6_NS0_5tupleIJPbS6_EEENSN_IJSK_SK_EEENS0_18inequality_wrapperINSA_8EqualityEEEPlJS6_EEE10hipError_tPvRmT3_T4_T5_T6_T7_T9_mT8_P12ihipStream_tbDpT10_ENKUlT_T0_E_clISt17integral_constantIbLb0EES1D_IbLb1EEEEDaS19_S1A_EUlS19_E_NS1_11comp_targetILNS1_3genE2ELNS1_11target_archE906ELNS1_3gpuE6ELNS1_3repE0EEENS1_30default_config_static_selectorELNS0_4arch9wavefront6targetE1EEEvT1_
; %bb.0:
	.section	.rodata,"a",@progbits
	.p2align	6, 0x0
	.amdhsa_kernel _ZN7rocprim17ROCPRIM_400000_NS6detail17trampoline_kernelINS0_14default_configENS1_25partition_config_selectorILNS1_17partition_subalgoE8EbNS0_10empty_typeEbEEZZNS1_14partition_implILS5_8ELb0ES3_jN6hipcub16HIPCUB_304000_NS22TransformInputIteratorIbN2at6native8internal12_GLOBAL__N_110LoadBoolOpEPKhlEEPS6_PKS6_NS0_5tupleIJPbS6_EEENSN_IJSK_SK_EEENS0_18inequality_wrapperINSA_8EqualityEEEPlJS6_EEE10hipError_tPvRmT3_T4_T5_T6_T7_T9_mT8_P12ihipStream_tbDpT10_ENKUlT_T0_E_clISt17integral_constantIbLb0EES1D_IbLb1EEEEDaS19_S1A_EUlS19_E_NS1_11comp_targetILNS1_3genE2ELNS1_11target_archE906ELNS1_3gpuE6ELNS1_3repE0EEENS1_30default_config_static_selectorELNS0_4arch9wavefront6targetE1EEEvT1_
		.amdhsa_group_segment_fixed_size 0
		.amdhsa_private_segment_fixed_size 0
		.amdhsa_kernarg_size 136
		.amdhsa_user_sgpr_count 6
		.amdhsa_user_sgpr_private_segment_buffer 1
		.amdhsa_user_sgpr_dispatch_ptr 0
		.amdhsa_user_sgpr_queue_ptr 0
		.amdhsa_user_sgpr_kernarg_segment_ptr 1
		.amdhsa_user_sgpr_dispatch_id 0
		.amdhsa_user_sgpr_flat_scratch_init 0
		.amdhsa_user_sgpr_kernarg_preload_length 0
		.amdhsa_user_sgpr_kernarg_preload_offset 0
		.amdhsa_user_sgpr_private_segment_size 0
		.amdhsa_uses_dynamic_stack 0
		.amdhsa_system_sgpr_private_segment_wavefront_offset 0
		.amdhsa_system_sgpr_workgroup_id_x 1
		.amdhsa_system_sgpr_workgroup_id_y 0
		.amdhsa_system_sgpr_workgroup_id_z 0
		.amdhsa_system_sgpr_workgroup_info 0
		.amdhsa_system_vgpr_workitem_id 0
		.amdhsa_next_free_vgpr 1
		.amdhsa_next_free_sgpr 0
		.amdhsa_accum_offset 4
		.amdhsa_reserve_vcc 0
		.amdhsa_reserve_flat_scratch 0
		.amdhsa_float_round_mode_32 0
		.amdhsa_float_round_mode_16_64 0
		.amdhsa_float_denorm_mode_32 3
		.amdhsa_float_denorm_mode_16_64 3
		.amdhsa_dx10_clamp 1
		.amdhsa_ieee_mode 1
		.amdhsa_fp16_overflow 0
		.amdhsa_tg_split 0
		.amdhsa_exception_fp_ieee_invalid_op 0
		.amdhsa_exception_fp_denorm_src 0
		.amdhsa_exception_fp_ieee_div_zero 0
		.amdhsa_exception_fp_ieee_overflow 0
		.amdhsa_exception_fp_ieee_underflow 0
		.amdhsa_exception_fp_ieee_inexact 0
		.amdhsa_exception_int_div_zero 0
	.end_amdhsa_kernel
	.section	.text._ZN7rocprim17ROCPRIM_400000_NS6detail17trampoline_kernelINS0_14default_configENS1_25partition_config_selectorILNS1_17partition_subalgoE8EbNS0_10empty_typeEbEEZZNS1_14partition_implILS5_8ELb0ES3_jN6hipcub16HIPCUB_304000_NS22TransformInputIteratorIbN2at6native8internal12_GLOBAL__N_110LoadBoolOpEPKhlEEPS6_PKS6_NS0_5tupleIJPbS6_EEENSN_IJSK_SK_EEENS0_18inequality_wrapperINSA_8EqualityEEEPlJS6_EEE10hipError_tPvRmT3_T4_T5_T6_T7_T9_mT8_P12ihipStream_tbDpT10_ENKUlT_T0_E_clISt17integral_constantIbLb0EES1D_IbLb1EEEEDaS19_S1A_EUlS19_E_NS1_11comp_targetILNS1_3genE2ELNS1_11target_archE906ELNS1_3gpuE6ELNS1_3repE0EEENS1_30default_config_static_selectorELNS0_4arch9wavefront6targetE1EEEvT1_,"axG",@progbits,_ZN7rocprim17ROCPRIM_400000_NS6detail17trampoline_kernelINS0_14default_configENS1_25partition_config_selectorILNS1_17partition_subalgoE8EbNS0_10empty_typeEbEEZZNS1_14partition_implILS5_8ELb0ES3_jN6hipcub16HIPCUB_304000_NS22TransformInputIteratorIbN2at6native8internal12_GLOBAL__N_110LoadBoolOpEPKhlEEPS6_PKS6_NS0_5tupleIJPbS6_EEENSN_IJSK_SK_EEENS0_18inequality_wrapperINSA_8EqualityEEEPlJS6_EEE10hipError_tPvRmT3_T4_T5_T6_T7_T9_mT8_P12ihipStream_tbDpT10_ENKUlT_T0_E_clISt17integral_constantIbLb0EES1D_IbLb1EEEEDaS19_S1A_EUlS19_E_NS1_11comp_targetILNS1_3genE2ELNS1_11target_archE906ELNS1_3gpuE6ELNS1_3repE0EEENS1_30default_config_static_selectorELNS0_4arch9wavefront6targetE1EEEvT1_,comdat
.Lfunc_end44:
	.size	_ZN7rocprim17ROCPRIM_400000_NS6detail17trampoline_kernelINS0_14default_configENS1_25partition_config_selectorILNS1_17partition_subalgoE8EbNS0_10empty_typeEbEEZZNS1_14partition_implILS5_8ELb0ES3_jN6hipcub16HIPCUB_304000_NS22TransformInputIteratorIbN2at6native8internal12_GLOBAL__N_110LoadBoolOpEPKhlEEPS6_PKS6_NS0_5tupleIJPbS6_EEENSN_IJSK_SK_EEENS0_18inequality_wrapperINSA_8EqualityEEEPlJS6_EEE10hipError_tPvRmT3_T4_T5_T6_T7_T9_mT8_P12ihipStream_tbDpT10_ENKUlT_T0_E_clISt17integral_constantIbLb0EES1D_IbLb1EEEEDaS19_S1A_EUlS19_E_NS1_11comp_targetILNS1_3genE2ELNS1_11target_archE906ELNS1_3gpuE6ELNS1_3repE0EEENS1_30default_config_static_selectorELNS0_4arch9wavefront6targetE1EEEvT1_, .Lfunc_end44-_ZN7rocprim17ROCPRIM_400000_NS6detail17trampoline_kernelINS0_14default_configENS1_25partition_config_selectorILNS1_17partition_subalgoE8EbNS0_10empty_typeEbEEZZNS1_14partition_implILS5_8ELb0ES3_jN6hipcub16HIPCUB_304000_NS22TransformInputIteratorIbN2at6native8internal12_GLOBAL__N_110LoadBoolOpEPKhlEEPS6_PKS6_NS0_5tupleIJPbS6_EEENSN_IJSK_SK_EEENS0_18inequality_wrapperINSA_8EqualityEEEPlJS6_EEE10hipError_tPvRmT3_T4_T5_T6_T7_T9_mT8_P12ihipStream_tbDpT10_ENKUlT_T0_E_clISt17integral_constantIbLb0EES1D_IbLb1EEEEDaS19_S1A_EUlS19_E_NS1_11comp_targetILNS1_3genE2ELNS1_11target_archE906ELNS1_3gpuE6ELNS1_3repE0EEENS1_30default_config_static_selectorELNS0_4arch9wavefront6targetE1EEEvT1_
                                        ; -- End function
	.section	.AMDGPU.csdata,"",@progbits
; Kernel info:
; codeLenInByte = 0
; NumSgprs: 4
; NumVgprs: 0
; NumAgprs: 0
; TotalNumVgprs: 0
; ScratchSize: 0
; MemoryBound: 0
; FloatMode: 240
; IeeeMode: 1
; LDSByteSize: 0 bytes/workgroup (compile time only)
; SGPRBlocks: 0
; VGPRBlocks: 0
; NumSGPRsForWavesPerEU: 4
; NumVGPRsForWavesPerEU: 1
; AccumOffset: 4
; Occupancy: 8
; WaveLimiterHint : 0
; COMPUTE_PGM_RSRC2:SCRATCH_EN: 0
; COMPUTE_PGM_RSRC2:USER_SGPR: 6
; COMPUTE_PGM_RSRC2:TRAP_HANDLER: 0
; COMPUTE_PGM_RSRC2:TGID_X_EN: 1
; COMPUTE_PGM_RSRC2:TGID_Y_EN: 0
; COMPUTE_PGM_RSRC2:TGID_Z_EN: 0
; COMPUTE_PGM_RSRC2:TIDIG_COMP_CNT: 0
; COMPUTE_PGM_RSRC3_GFX90A:ACCUM_OFFSET: 0
; COMPUTE_PGM_RSRC3_GFX90A:TG_SPLIT: 0
	.section	.text._ZN7rocprim17ROCPRIM_400000_NS6detail17trampoline_kernelINS0_14default_configENS1_25partition_config_selectorILNS1_17partition_subalgoE8EbNS0_10empty_typeEbEEZZNS1_14partition_implILS5_8ELb0ES3_jN6hipcub16HIPCUB_304000_NS22TransformInputIteratorIbN2at6native8internal12_GLOBAL__N_110LoadBoolOpEPKhlEEPS6_PKS6_NS0_5tupleIJPbS6_EEENSN_IJSK_SK_EEENS0_18inequality_wrapperINSA_8EqualityEEEPlJS6_EEE10hipError_tPvRmT3_T4_T5_T6_T7_T9_mT8_P12ihipStream_tbDpT10_ENKUlT_T0_E_clISt17integral_constantIbLb0EES1D_IbLb1EEEEDaS19_S1A_EUlS19_E_NS1_11comp_targetILNS1_3genE10ELNS1_11target_archE1200ELNS1_3gpuE4ELNS1_3repE0EEENS1_30default_config_static_selectorELNS0_4arch9wavefront6targetE1EEEvT1_,"axG",@progbits,_ZN7rocprim17ROCPRIM_400000_NS6detail17trampoline_kernelINS0_14default_configENS1_25partition_config_selectorILNS1_17partition_subalgoE8EbNS0_10empty_typeEbEEZZNS1_14partition_implILS5_8ELb0ES3_jN6hipcub16HIPCUB_304000_NS22TransformInputIteratorIbN2at6native8internal12_GLOBAL__N_110LoadBoolOpEPKhlEEPS6_PKS6_NS0_5tupleIJPbS6_EEENSN_IJSK_SK_EEENS0_18inequality_wrapperINSA_8EqualityEEEPlJS6_EEE10hipError_tPvRmT3_T4_T5_T6_T7_T9_mT8_P12ihipStream_tbDpT10_ENKUlT_T0_E_clISt17integral_constantIbLb0EES1D_IbLb1EEEEDaS19_S1A_EUlS19_E_NS1_11comp_targetILNS1_3genE10ELNS1_11target_archE1200ELNS1_3gpuE4ELNS1_3repE0EEENS1_30default_config_static_selectorELNS0_4arch9wavefront6targetE1EEEvT1_,comdat
	.globl	_ZN7rocprim17ROCPRIM_400000_NS6detail17trampoline_kernelINS0_14default_configENS1_25partition_config_selectorILNS1_17partition_subalgoE8EbNS0_10empty_typeEbEEZZNS1_14partition_implILS5_8ELb0ES3_jN6hipcub16HIPCUB_304000_NS22TransformInputIteratorIbN2at6native8internal12_GLOBAL__N_110LoadBoolOpEPKhlEEPS6_PKS6_NS0_5tupleIJPbS6_EEENSN_IJSK_SK_EEENS0_18inequality_wrapperINSA_8EqualityEEEPlJS6_EEE10hipError_tPvRmT3_T4_T5_T6_T7_T9_mT8_P12ihipStream_tbDpT10_ENKUlT_T0_E_clISt17integral_constantIbLb0EES1D_IbLb1EEEEDaS19_S1A_EUlS19_E_NS1_11comp_targetILNS1_3genE10ELNS1_11target_archE1200ELNS1_3gpuE4ELNS1_3repE0EEENS1_30default_config_static_selectorELNS0_4arch9wavefront6targetE1EEEvT1_ ; -- Begin function _ZN7rocprim17ROCPRIM_400000_NS6detail17trampoline_kernelINS0_14default_configENS1_25partition_config_selectorILNS1_17partition_subalgoE8EbNS0_10empty_typeEbEEZZNS1_14partition_implILS5_8ELb0ES3_jN6hipcub16HIPCUB_304000_NS22TransformInputIteratorIbN2at6native8internal12_GLOBAL__N_110LoadBoolOpEPKhlEEPS6_PKS6_NS0_5tupleIJPbS6_EEENSN_IJSK_SK_EEENS0_18inequality_wrapperINSA_8EqualityEEEPlJS6_EEE10hipError_tPvRmT3_T4_T5_T6_T7_T9_mT8_P12ihipStream_tbDpT10_ENKUlT_T0_E_clISt17integral_constantIbLb0EES1D_IbLb1EEEEDaS19_S1A_EUlS19_E_NS1_11comp_targetILNS1_3genE10ELNS1_11target_archE1200ELNS1_3gpuE4ELNS1_3repE0EEENS1_30default_config_static_selectorELNS0_4arch9wavefront6targetE1EEEvT1_
	.p2align	8
	.type	_ZN7rocprim17ROCPRIM_400000_NS6detail17trampoline_kernelINS0_14default_configENS1_25partition_config_selectorILNS1_17partition_subalgoE8EbNS0_10empty_typeEbEEZZNS1_14partition_implILS5_8ELb0ES3_jN6hipcub16HIPCUB_304000_NS22TransformInputIteratorIbN2at6native8internal12_GLOBAL__N_110LoadBoolOpEPKhlEEPS6_PKS6_NS0_5tupleIJPbS6_EEENSN_IJSK_SK_EEENS0_18inequality_wrapperINSA_8EqualityEEEPlJS6_EEE10hipError_tPvRmT3_T4_T5_T6_T7_T9_mT8_P12ihipStream_tbDpT10_ENKUlT_T0_E_clISt17integral_constantIbLb0EES1D_IbLb1EEEEDaS19_S1A_EUlS19_E_NS1_11comp_targetILNS1_3genE10ELNS1_11target_archE1200ELNS1_3gpuE4ELNS1_3repE0EEENS1_30default_config_static_selectorELNS0_4arch9wavefront6targetE1EEEvT1_,@function
_ZN7rocprim17ROCPRIM_400000_NS6detail17trampoline_kernelINS0_14default_configENS1_25partition_config_selectorILNS1_17partition_subalgoE8EbNS0_10empty_typeEbEEZZNS1_14partition_implILS5_8ELb0ES3_jN6hipcub16HIPCUB_304000_NS22TransformInputIteratorIbN2at6native8internal12_GLOBAL__N_110LoadBoolOpEPKhlEEPS6_PKS6_NS0_5tupleIJPbS6_EEENSN_IJSK_SK_EEENS0_18inequality_wrapperINSA_8EqualityEEEPlJS6_EEE10hipError_tPvRmT3_T4_T5_T6_T7_T9_mT8_P12ihipStream_tbDpT10_ENKUlT_T0_E_clISt17integral_constantIbLb0EES1D_IbLb1EEEEDaS19_S1A_EUlS19_E_NS1_11comp_targetILNS1_3genE10ELNS1_11target_archE1200ELNS1_3gpuE4ELNS1_3repE0EEENS1_30default_config_static_selectorELNS0_4arch9wavefront6targetE1EEEvT1_: ; @_ZN7rocprim17ROCPRIM_400000_NS6detail17trampoline_kernelINS0_14default_configENS1_25partition_config_selectorILNS1_17partition_subalgoE8EbNS0_10empty_typeEbEEZZNS1_14partition_implILS5_8ELb0ES3_jN6hipcub16HIPCUB_304000_NS22TransformInputIteratorIbN2at6native8internal12_GLOBAL__N_110LoadBoolOpEPKhlEEPS6_PKS6_NS0_5tupleIJPbS6_EEENSN_IJSK_SK_EEENS0_18inequality_wrapperINSA_8EqualityEEEPlJS6_EEE10hipError_tPvRmT3_T4_T5_T6_T7_T9_mT8_P12ihipStream_tbDpT10_ENKUlT_T0_E_clISt17integral_constantIbLb0EES1D_IbLb1EEEEDaS19_S1A_EUlS19_E_NS1_11comp_targetILNS1_3genE10ELNS1_11target_archE1200ELNS1_3gpuE4ELNS1_3repE0EEENS1_30default_config_static_selectorELNS0_4arch9wavefront6targetE1EEEvT1_
; %bb.0:
	.section	.rodata,"a",@progbits
	.p2align	6, 0x0
	.amdhsa_kernel _ZN7rocprim17ROCPRIM_400000_NS6detail17trampoline_kernelINS0_14default_configENS1_25partition_config_selectorILNS1_17partition_subalgoE8EbNS0_10empty_typeEbEEZZNS1_14partition_implILS5_8ELb0ES3_jN6hipcub16HIPCUB_304000_NS22TransformInputIteratorIbN2at6native8internal12_GLOBAL__N_110LoadBoolOpEPKhlEEPS6_PKS6_NS0_5tupleIJPbS6_EEENSN_IJSK_SK_EEENS0_18inequality_wrapperINSA_8EqualityEEEPlJS6_EEE10hipError_tPvRmT3_T4_T5_T6_T7_T9_mT8_P12ihipStream_tbDpT10_ENKUlT_T0_E_clISt17integral_constantIbLb0EES1D_IbLb1EEEEDaS19_S1A_EUlS19_E_NS1_11comp_targetILNS1_3genE10ELNS1_11target_archE1200ELNS1_3gpuE4ELNS1_3repE0EEENS1_30default_config_static_selectorELNS0_4arch9wavefront6targetE1EEEvT1_
		.amdhsa_group_segment_fixed_size 0
		.amdhsa_private_segment_fixed_size 0
		.amdhsa_kernarg_size 136
		.amdhsa_user_sgpr_count 6
		.amdhsa_user_sgpr_private_segment_buffer 1
		.amdhsa_user_sgpr_dispatch_ptr 0
		.amdhsa_user_sgpr_queue_ptr 0
		.amdhsa_user_sgpr_kernarg_segment_ptr 1
		.amdhsa_user_sgpr_dispatch_id 0
		.amdhsa_user_sgpr_flat_scratch_init 0
		.amdhsa_user_sgpr_kernarg_preload_length 0
		.amdhsa_user_sgpr_kernarg_preload_offset 0
		.amdhsa_user_sgpr_private_segment_size 0
		.amdhsa_uses_dynamic_stack 0
		.amdhsa_system_sgpr_private_segment_wavefront_offset 0
		.amdhsa_system_sgpr_workgroup_id_x 1
		.amdhsa_system_sgpr_workgroup_id_y 0
		.amdhsa_system_sgpr_workgroup_id_z 0
		.amdhsa_system_sgpr_workgroup_info 0
		.amdhsa_system_vgpr_workitem_id 0
		.amdhsa_next_free_vgpr 1
		.amdhsa_next_free_sgpr 0
		.amdhsa_accum_offset 4
		.amdhsa_reserve_vcc 0
		.amdhsa_reserve_flat_scratch 0
		.amdhsa_float_round_mode_32 0
		.amdhsa_float_round_mode_16_64 0
		.amdhsa_float_denorm_mode_32 3
		.amdhsa_float_denorm_mode_16_64 3
		.amdhsa_dx10_clamp 1
		.amdhsa_ieee_mode 1
		.amdhsa_fp16_overflow 0
		.amdhsa_tg_split 0
		.amdhsa_exception_fp_ieee_invalid_op 0
		.amdhsa_exception_fp_denorm_src 0
		.amdhsa_exception_fp_ieee_div_zero 0
		.amdhsa_exception_fp_ieee_overflow 0
		.amdhsa_exception_fp_ieee_underflow 0
		.amdhsa_exception_fp_ieee_inexact 0
		.amdhsa_exception_int_div_zero 0
	.end_amdhsa_kernel
	.section	.text._ZN7rocprim17ROCPRIM_400000_NS6detail17trampoline_kernelINS0_14default_configENS1_25partition_config_selectorILNS1_17partition_subalgoE8EbNS0_10empty_typeEbEEZZNS1_14partition_implILS5_8ELb0ES3_jN6hipcub16HIPCUB_304000_NS22TransformInputIteratorIbN2at6native8internal12_GLOBAL__N_110LoadBoolOpEPKhlEEPS6_PKS6_NS0_5tupleIJPbS6_EEENSN_IJSK_SK_EEENS0_18inequality_wrapperINSA_8EqualityEEEPlJS6_EEE10hipError_tPvRmT3_T4_T5_T6_T7_T9_mT8_P12ihipStream_tbDpT10_ENKUlT_T0_E_clISt17integral_constantIbLb0EES1D_IbLb1EEEEDaS19_S1A_EUlS19_E_NS1_11comp_targetILNS1_3genE10ELNS1_11target_archE1200ELNS1_3gpuE4ELNS1_3repE0EEENS1_30default_config_static_selectorELNS0_4arch9wavefront6targetE1EEEvT1_,"axG",@progbits,_ZN7rocprim17ROCPRIM_400000_NS6detail17trampoline_kernelINS0_14default_configENS1_25partition_config_selectorILNS1_17partition_subalgoE8EbNS0_10empty_typeEbEEZZNS1_14partition_implILS5_8ELb0ES3_jN6hipcub16HIPCUB_304000_NS22TransformInputIteratorIbN2at6native8internal12_GLOBAL__N_110LoadBoolOpEPKhlEEPS6_PKS6_NS0_5tupleIJPbS6_EEENSN_IJSK_SK_EEENS0_18inequality_wrapperINSA_8EqualityEEEPlJS6_EEE10hipError_tPvRmT3_T4_T5_T6_T7_T9_mT8_P12ihipStream_tbDpT10_ENKUlT_T0_E_clISt17integral_constantIbLb0EES1D_IbLb1EEEEDaS19_S1A_EUlS19_E_NS1_11comp_targetILNS1_3genE10ELNS1_11target_archE1200ELNS1_3gpuE4ELNS1_3repE0EEENS1_30default_config_static_selectorELNS0_4arch9wavefront6targetE1EEEvT1_,comdat
.Lfunc_end45:
	.size	_ZN7rocprim17ROCPRIM_400000_NS6detail17trampoline_kernelINS0_14default_configENS1_25partition_config_selectorILNS1_17partition_subalgoE8EbNS0_10empty_typeEbEEZZNS1_14partition_implILS5_8ELb0ES3_jN6hipcub16HIPCUB_304000_NS22TransformInputIteratorIbN2at6native8internal12_GLOBAL__N_110LoadBoolOpEPKhlEEPS6_PKS6_NS0_5tupleIJPbS6_EEENSN_IJSK_SK_EEENS0_18inequality_wrapperINSA_8EqualityEEEPlJS6_EEE10hipError_tPvRmT3_T4_T5_T6_T7_T9_mT8_P12ihipStream_tbDpT10_ENKUlT_T0_E_clISt17integral_constantIbLb0EES1D_IbLb1EEEEDaS19_S1A_EUlS19_E_NS1_11comp_targetILNS1_3genE10ELNS1_11target_archE1200ELNS1_3gpuE4ELNS1_3repE0EEENS1_30default_config_static_selectorELNS0_4arch9wavefront6targetE1EEEvT1_, .Lfunc_end45-_ZN7rocprim17ROCPRIM_400000_NS6detail17trampoline_kernelINS0_14default_configENS1_25partition_config_selectorILNS1_17partition_subalgoE8EbNS0_10empty_typeEbEEZZNS1_14partition_implILS5_8ELb0ES3_jN6hipcub16HIPCUB_304000_NS22TransformInputIteratorIbN2at6native8internal12_GLOBAL__N_110LoadBoolOpEPKhlEEPS6_PKS6_NS0_5tupleIJPbS6_EEENSN_IJSK_SK_EEENS0_18inequality_wrapperINSA_8EqualityEEEPlJS6_EEE10hipError_tPvRmT3_T4_T5_T6_T7_T9_mT8_P12ihipStream_tbDpT10_ENKUlT_T0_E_clISt17integral_constantIbLb0EES1D_IbLb1EEEEDaS19_S1A_EUlS19_E_NS1_11comp_targetILNS1_3genE10ELNS1_11target_archE1200ELNS1_3gpuE4ELNS1_3repE0EEENS1_30default_config_static_selectorELNS0_4arch9wavefront6targetE1EEEvT1_
                                        ; -- End function
	.section	.AMDGPU.csdata,"",@progbits
; Kernel info:
; codeLenInByte = 0
; NumSgprs: 4
; NumVgprs: 0
; NumAgprs: 0
; TotalNumVgprs: 0
; ScratchSize: 0
; MemoryBound: 0
; FloatMode: 240
; IeeeMode: 1
; LDSByteSize: 0 bytes/workgroup (compile time only)
; SGPRBlocks: 0
; VGPRBlocks: 0
; NumSGPRsForWavesPerEU: 4
; NumVGPRsForWavesPerEU: 1
; AccumOffset: 4
; Occupancy: 8
; WaveLimiterHint : 0
; COMPUTE_PGM_RSRC2:SCRATCH_EN: 0
; COMPUTE_PGM_RSRC2:USER_SGPR: 6
; COMPUTE_PGM_RSRC2:TRAP_HANDLER: 0
; COMPUTE_PGM_RSRC2:TGID_X_EN: 1
; COMPUTE_PGM_RSRC2:TGID_Y_EN: 0
; COMPUTE_PGM_RSRC2:TGID_Z_EN: 0
; COMPUTE_PGM_RSRC2:TIDIG_COMP_CNT: 0
; COMPUTE_PGM_RSRC3_GFX90A:ACCUM_OFFSET: 0
; COMPUTE_PGM_RSRC3_GFX90A:TG_SPLIT: 0
	.section	.text._ZN7rocprim17ROCPRIM_400000_NS6detail17trampoline_kernelINS0_14default_configENS1_25partition_config_selectorILNS1_17partition_subalgoE8EbNS0_10empty_typeEbEEZZNS1_14partition_implILS5_8ELb0ES3_jN6hipcub16HIPCUB_304000_NS22TransformInputIteratorIbN2at6native8internal12_GLOBAL__N_110LoadBoolOpEPKhlEEPS6_PKS6_NS0_5tupleIJPbS6_EEENSN_IJSK_SK_EEENS0_18inequality_wrapperINSA_8EqualityEEEPlJS6_EEE10hipError_tPvRmT3_T4_T5_T6_T7_T9_mT8_P12ihipStream_tbDpT10_ENKUlT_T0_E_clISt17integral_constantIbLb0EES1D_IbLb1EEEEDaS19_S1A_EUlS19_E_NS1_11comp_targetILNS1_3genE9ELNS1_11target_archE1100ELNS1_3gpuE3ELNS1_3repE0EEENS1_30default_config_static_selectorELNS0_4arch9wavefront6targetE1EEEvT1_,"axG",@progbits,_ZN7rocprim17ROCPRIM_400000_NS6detail17trampoline_kernelINS0_14default_configENS1_25partition_config_selectorILNS1_17partition_subalgoE8EbNS0_10empty_typeEbEEZZNS1_14partition_implILS5_8ELb0ES3_jN6hipcub16HIPCUB_304000_NS22TransformInputIteratorIbN2at6native8internal12_GLOBAL__N_110LoadBoolOpEPKhlEEPS6_PKS6_NS0_5tupleIJPbS6_EEENSN_IJSK_SK_EEENS0_18inequality_wrapperINSA_8EqualityEEEPlJS6_EEE10hipError_tPvRmT3_T4_T5_T6_T7_T9_mT8_P12ihipStream_tbDpT10_ENKUlT_T0_E_clISt17integral_constantIbLb0EES1D_IbLb1EEEEDaS19_S1A_EUlS19_E_NS1_11comp_targetILNS1_3genE9ELNS1_11target_archE1100ELNS1_3gpuE3ELNS1_3repE0EEENS1_30default_config_static_selectorELNS0_4arch9wavefront6targetE1EEEvT1_,comdat
	.globl	_ZN7rocprim17ROCPRIM_400000_NS6detail17trampoline_kernelINS0_14default_configENS1_25partition_config_selectorILNS1_17partition_subalgoE8EbNS0_10empty_typeEbEEZZNS1_14partition_implILS5_8ELb0ES3_jN6hipcub16HIPCUB_304000_NS22TransformInputIteratorIbN2at6native8internal12_GLOBAL__N_110LoadBoolOpEPKhlEEPS6_PKS6_NS0_5tupleIJPbS6_EEENSN_IJSK_SK_EEENS0_18inequality_wrapperINSA_8EqualityEEEPlJS6_EEE10hipError_tPvRmT3_T4_T5_T6_T7_T9_mT8_P12ihipStream_tbDpT10_ENKUlT_T0_E_clISt17integral_constantIbLb0EES1D_IbLb1EEEEDaS19_S1A_EUlS19_E_NS1_11comp_targetILNS1_3genE9ELNS1_11target_archE1100ELNS1_3gpuE3ELNS1_3repE0EEENS1_30default_config_static_selectorELNS0_4arch9wavefront6targetE1EEEvT1_ ; -- Begin function _ZN7rocprim17ROCPRIM_400000_NS6detail17trampoline_kernelINS0_14default_configENS1_25partition_config_selectorILNS1_17partition_subalgoE8EbNS0_10empty_typeEbEEZZNS1_14partition_implILS5_8ELb0ES3_jN6hipcub16HIPCUB_304000_NS22TransformInputIteratorIbN2at6native8internal12_GLOBAL__N_110LoadBoolOpEPKhlEEPS6_PKS6_NS0_5tupleIJPbS6_EEENSN_IJSK_SK_EEENS0_18inequality_wrapperINSA_8EqualityEEEPlJS6_EEE10hipError_tPvRmT3_T4_T5_T6_T7_T9_mT8_P12ihipStream_tbDpT10_ENKUlT_T0_E_clISt17integral_constantIbLb0EES1D_IbLb1EEEEDaS19_S1A_EUlS19_E_NS1_11comp_targetILNS1_3genE9ELNS1_11target_archE1100ELNS1_3gpuE3ELNS1_3repE0EEENS1_30default_config_static_selectorELNS0_4arch9wavefront6targetE1EEEvT1_
	.p2align	8
	.type	_ZN7rocprim17ROCPRIM_400000_NS6detail17trampoline_kernelINS0_14default_configENS1_25partition_config_selectorILNS1_17partition_subalgoE8EbNS0_10empty_typeEbEEZZNS1_14partition_implILS5_8ELb0ES3_jN6hipcub16HIPCUB_304000_NS22TransformInputIteratorIbN2at6native8internal12_GLOBAL__N_110LoadBoolOpEPKhlEEPS6_PKS6_NS0_5tupleIJPbS6_EEENSN_IJSK_SK_EEENS0_18inequality_wrapperINSA_8EqualityEEEPlJS6_EEE10hipError_tPvRmT3_T4_T5_T6_T7_T9_mT8_P12ihipStream_tbDpT10_ENKUlT_T0_E_clISt17integral_constantIbLb0EES1D_IbLb1EEEEDaS19_S1A_EUlS19_E_NS1_11comp_targetILNS1_3genE9ELNS1_11target_archE1100ELNS1_3gpuE3ELNS1_3repE0EEENS1_30default_config_static_selectorELNS0_4arch9wavefront6targetE1EEEvT1_,@function
_ZN7rocprim17ROCPRIM_400000_NS6detail17trampoline_kernelINS0_14default_configENS1_25partition_config_selectorILNS1_17partition_subalgoE8EbNS0_10empty_typeEbEEZZNS1_14partition_implILS5_8ELb0ES3_jN6hipcub16HIPCUB_304000_NS22TransformInputIteratorIbN2at6native8internal12_GLOBAL__N_110LoadBoolOpEPKhlEEPS6_PKS6_NS0_5tupleIJPbS6_EEENSN_IJSK_SK_EEENS0_18inequality_wrapperINSA_8EqualityEEEPlJS6_EEE10hipError_tPvRmT3_T4_T5_T6_T7_T9_mT8_P12ihipStream_tbDpT10_ENKUlT_T0_E_clISt17integral_constantIbLb0EES1D_IbLb1EEEEDaS19_S1A_EUlS19_E_NS1_11comp_targetILNS1_3genE9ELNS1_11target_archE1100ELNS1_3gpuE3ELNS1_3repE0EEENS1_30default_config_static_selectorELNS0_4arch9wavefront6targetE1EEEvT1_: ; @_ZN7rocprim17ROCPRIM_400000_NS6detail17trampoline_kernelINS0_14default_configENS1_25partition_config_selectorILNS1_17partition_subalgoE8EbNS0_10empty_typeEbEEZZNS1_14partition_implILS5_8ELb0ES3_jN6hipcub16HIPCUB_304000_NS22TransformInputIteratorIbN2at6native8internal12_GLOBAL__N_110LoadBoolOpEPKhlEEPS6_PKS6_NS0_5tupleIJPbS6_EEENSN_IJSK_SK_EEENS0_18inequality_wrapperINSA_8EqualityEEEPlJS6_EEE10hipError_tPvRmT3_T4_T5_T6_T7_T9_mT8_P12ihipStream_tbDpT10_ENKUlT_T0_E_clISt17integral_constantIbLb0EES1D_IbLb1EEEEDaS19_S1A_EUlS19_E_NS1_11comp_targetILNS1_3genE9ELNS1_11target_archE1100ELNS1_3gpuE3ELNS1_3repE0EEENS1_30default_config_static_selectorELNS0_4arch9wavefront6targetE1EEEvT1_
; %bb.0:
	.section	.rodata,"a",@progbits
	.p2align	6, 0x0
	.amdhsa_kernel _ZN7rocprim17ROCPRIM_400000_NS6detail17trampoline_kernelINS0_14default_configENS1_25partition_config_selectorILNS1_17partition_subalgoE8EbNS0_10empty_typeEbEEZZNS1_14partition_implILS5_8ELb0ES3_jN6hipcub16HIPCUB_304000_NS22TransformInputIteratorIbN2at6native8internal12_GLOBAL__N_110LoadBoolOpEPKhlEEPS6_PKS6_NS0_5tupleIJPbS6_EEENSN_IJSK_SK_EEENS0_18inequality_wrapperINSA_8EqualityEEEPlJS6_EEE10hipError_tPvRmT3_T4_T5_T6_T7_T9_mT8_P12ihipStream_tbDpT10_ENKUlT_T0_E_clISt17integral_constantIbLb0EES1D_IbLb1EEEEDaS19_S1A_EUlS19_E_NS1_11comp_targetILNS1_3genE9ELNS1_11target_archE1100ELNS1_3gpuE3ELNS1_3repE0EEENS1_30default_config_static_selectorELNS0_4arch9wavefront6targetE1EEEvT1_
		.amdhsa_group_segment_fixed_size 0
		.amdhsa_private_segment_fixed_size 0
		.amdhsa_kernarg_size 136
		.amdhsa_user_sgpr_count 6
		.amdhsa_user_sgpr_private_segment_buffer 1
		.amdhsa_user_sgpr_dispatch_ptr 0
		.amdhsa_user_sgpr_queue_ptr 0
		.amdhsa_user_sgpr_kernarg_segment_ptr 1
		.amdhsa_user_sgpr_dispatch_id 0
		.amdhsa_user_sgpr_flat_scratch_init 0
		.amdhsa_user_sgpr_kernarg_preload_length 0
		.amdhsa_user_sgpr_kernarg_preload_offset 0
		.amdhsa_user_sgpr_private_segment_size 0
		.amdhsa_uses_dynamic_stack 0
		.amdhsa_system_sgpr_private_segment_wavefront_offset 0
		.amdhsa_system_sgpr_workgroup_id_x 1
		.amdhsa_system_sgpr_workgroup_id_y 0
		.amdhsa_system_sgpr_workgroup_id_z 0
		.amdhsa_system_sgpr_workgroup_info 0
		.amdhsa_system_vgpr_workitem_id 0
		.amdhsa_next_free_vgpr 1
		.amdhsa_next_free_sgpr 0
		.amdhsa_accum_offset 4
		.amdhsa_reserve_vcc 0
		.amdhsa_reserve_flat_scratch 0
		.amdhsa_float_round_mode_32 0
		.amdhsa_float_round_mode_16_64 0
		.amdhsa_float_denorm_mode_32 3
		.amdhsa_float_denorm_mode_16_64 3
		.amdhsa_dx10_clamp 1
		.amdhsa_ieee_mode 1
		.amdhsa_fp16_overflow 0
		.amdhsa_tg_split 0
		.amdhsa_exception_fp_ieee_invalid_op 0
		.amdhsa_exception_fp_denorm_src 0
		.amdhsa_exception_fp_ieee_div_zero 0
		.amdhsa_exception_fp_ieee_overflow 0
		.amdhsa_exception_fp_ieee_underflow 0
		.amdhsa_exception_fp_ieee_inexact 0
		.amdhsa_exception_int_div_zero 0
	.end_amdhsa_kernel
	.section	.text._ZN7rocprim17ROCPRIM_400000_NS6detail17trampoline_kernelINS0_14default_configENS1_25partition_config_selectorILNS1_17partition_subalgoE8EbNS0_10empty_typeEbEEZZNS1_14partition_implILS5_8ELb0ES3_jN6hipcub16HIPCUB_304000_NS22TransformInputIteratorIbN2at6native8internal12_GLOBAL__N_110LoadBoolOpEPKhlEEPS6_PKS6_NS0_5tupleIJPbS6_EEENSN_IJSK_SK_EEENS0_18inequality_wrapperINSA_8EqualityEEEPlJS6_EEE10hipError_tPvRmT3_T4_T5_T6_T7_T9_mT8_P12ihipStream_tbDpT10_ENKUlT_T0_E_clISt17integral_constantIbLb0EES1D_IbLb1EEEEDaS19_S1A_EUlS19_E_NS1_11comp_targetILNS1_3genE9ELNS1_11target_archE1100ELNS1_3gpuE3ELNS1_3repE0EEENS1_30default_config_static_selectorELNS0_4arch9wavefront6targetE1EEEvT1_,"axG",@progbits,_ZN7rocprim17ROCPRIM_400000_NS6detail17trampoline_kernelINS0_14default_configENS1_25partition_config_selectorILNS1_17partition_subalgoE8EbNS0_10empty_typeEbEEZZNS1_14partition_implILS5_8ELb0ES3_jN6hipcub16HIPCUB_304000_NS22TransformInputIteratorIbN2at6native8internal12_GLOBAL__N_110LoadBoolOpEPKhlEEPS6_PKS6_NS0_5tupleIJPbS6_EEENSN_IJSK_SK_EEENS0_18inequality_wrapperINSA_8EqualityEEEPlJS6_EEE10hipError_tPvRmT3_T4_T5_T6_T7_T9_mT8_P12ihipStream_tbDpT10_ENKUlT_T0_E_clISt17integral_constantIbLb0EES1D_IbLb1EEEEDaS19_S1A_EUlS19_E_NS1_11comp_targetILNS1_3genE9ELNS1_11target_archE1100ELNS1_3gpuE3ELNS1_3repE0EEENS1_30default_config_static_selectorELNS0_4arch9wavefront6targetE1EEEvT1_,comdat
.Lfunc_end46:
	.size	_ZN7rocprim17ROCPRIM_400000_NS6detail17trampoline_kernelINS0_14default_configENS1_25partition_config_selectorILNS1_17partition_subalgoE8EbNS0_10empty_typeEbEEZZNS1_14partition_implILS5_8ELb0ES3_jN6hipcub16HIPCUB_304000_NS22TransformInputIteratorIbN2at6native8internal12_GLOBAL__N_110LoadBoolOpEPKhlEEPS6_PKS6_NS0_5tupleIJPbS6_EEENSN_IJSK_SK_EEENS0_18inequality_wrapperINSA_8EqualityEEEPlJS6_EEE10hipError_tPvRmT3_T4_T5_T6_T7_T9_mT8_P12ihipStream_tbDpT10_ENKUlT_T0_E_clISt17integral_constantIbLb0EES1D_IbLb1EEEEDaS19_S1A_EUlS19_E_NS1_11comp_targetILNS1_3genE9ELNS1_11target_archE1100ELNS1_3gpuE3ELNS1_3repE0EEENS1_30default_config_static_selectorELNS0_4arch9wavefront6targetE1EEEvT1_, .Lfunc_end46-_ZN7rocprim17ROCPRIM_400000_NS6detail17trampoline_kernelINS0_14default_configENS1_25partition_config_selectorILNS1_17partition_subalgoE8EbNS0_10empty_typeEbEEZZNS1_14partition_implILS5_8ELb0ES3_jN6hipcub16HIPCUB_304000_NS22TransformInputIteratorIbN2at6native8internal12_GLOBAL__N_110LoadBoolOpEPKhlEEPS6_PKS6_NS0_5tupleIJPbS6_EEENSN_IJSK_SK_EEENS0_18inequality_wrapperINSA_8EqualityEEEPlJS6_EEE10hipError_tPvRmT3_T4_T5_T6_T7_T9_mT8_P12ihipStream_tbDpT10_ENKUlT_T0_E_clISt17integral_constantIbLb0EES1D_IbLb1EEEEDaS19_S1A_EUlS19_E_NS1_11comp_targetILNS1_3genE9ELNS1_11target_archE1100ELNS1_3gpuE3ELNS1_3repE0EEENS1_30default_config_static_selectorELNS0_4arch9wavefront6targetE1EEEvT1_
                                        ; -- End function
	.section	.AMDGPU.csdata,"",@progbits
; Kernel info:
; codeLenInByte = 0
; NumSgprs: 4
; NumVgprs: 0
; NumAgprs: 0
; TotalNumVgprs: 0
; ScratchSize: 0
; MemoryBound: 0
; FloatMode: 240
; IeeeMode: 1
; LDSByteSize: 0 bytes/workgroup (compile time only)
; SGPRBlocks: 0
; VGPRBlocks: 0
; NumSGPRsForWavesPerEU: 4
; NumVGPRsForWavesPerEU: 1
; AccumOffset: 4
; Occupancy: 8
; WaveLimiterHint : 0
; COMPUTE_PGM_RSRC2:SCRATCH_EN: 0
; COMPUTE_PGM_RSRC2:USER_SGPR: 6
; COMPUTE_PGM_RSRC2:TRAP_HANDLER: 0
; COMPUTE_PGM_RSRC2:TGID_X_EN: 1
; COMPUTE_PGM_RSRC2:TGID_Y_EN: 0
; COMPUTE_PGM_RSRC2:TGID_Z_EN: 0
; COMPUTE_PGM_RSRC2:TIDIG_COMP_CNT: 0
; COMPUTE_PGM_RSRC3_GFX90A:ACCUM_OFFSET: 0
; COMPUTE_PGM_RSRC3_GFX90A:TG_SPLIT: 0
	.section	.text._ZN7rocprim17ROCPRIM_400000_NS6detail17trampoline_kernelINS0_14default_configENS1_25partition_config_selectorILNS1_17partition_subalgoE8EbNS0_10empty_typeEbEEZZNS1_14partition_implILS5_8ELb0ES3_jN6hipcub16HIPCUB_304000_NS22TransformInputIteratorIbN2at6native8internal12_GLOBAL__N_110LoadBoolOpEPKhlEEPS6_PKS6_NS0_5tupleIJPbS6_EEENSN_IJSK_SK_EEENS0_18inequality_wrapperINSA_8EqualityEEEPlJS6_EEE10hipError_tPvRmT3_T4_T5_T6_T7_T9_mT8_P12ihipStream_tbDpT10_ENKUlT_T0_E_clISt17integral_constantIbLb0EES1D_IbLb1EEEEDaS19_S1A_EUlS19_E_NS1_11comp_targetILNS1_3genE8ELNS1_11target_archE1030ELNS1_3gpuE2ELNS1_3repE0EEENS1_30default_config_static_selectorELNS0_4arch9wavefront6targetE1EEEvT1_,"axG",@progbits,_ZN7rocprim17ROCPRIM_400000_NS6detail17trampoline_kernelINS0_14default_configENS1_25partition_config_selectorILNS1_17partition_subalgoE8EbNS0_10empty_typeEbEEZZNS1_14partition_implILS5_8ELb0ES3_jN6hipcub16HIPCUB_304000_NS22TransformInputIteratorIbN2at6native8internal12_GLOBAL__N_110LoadBoolOpEPKhlEEPS6_PKS6_NS0_5tupleIJPbS6_EEENSN_IJSK_SK_EEENS0_18inequality_wrapperINSA_8EqualityEEEPlJS6_EEE10hipError_tPvRmT3_T4_T5_T6_T7_T9_mT8_P12ihipStream_tbDpT10_ENKUlT_T0_E_clISt17integral_constantIbLb0EES1D_IbLb1EEEEDaS19_S1A_EUlS19_E_NS1_11comp_targetILNS1_3genE8ELNS1_11target_archE1030ELNS1_3gpuE2ELNS1_3repE0EEENS1_30default_config_static_selectorELNS0_4arch9wavefront6targetE1EEEvT1_,comdat
	.globl	_ZN7rocprim17ROCPRIM_400000_NS6detail17trampoline_kernelINS0_14default_configENS1_25partition_config_selectorILNS1_17partition_subalgoE8EbNS0_10empty_typeEbEEZZNS1_14partition_implILS5_8ELb0ES3_jN6hipcub16HIPCUB_304000_NS22TransformInputIteratorIbN2at6native8internal12_GLOBAL__N_110LoadBoolOpEPKhlEEPS6_PKS6_NS0_5tupleIJPbS6_EEENSN_IJSK_SK_EEENS0_18inequality_wrapperINSA_8EqualityEEEPlJS6_EEE10hipError_tPvRmT3_T4_T5_T6_T7_T9_mT8_P12ihipStream_tbDpT10_ENKUlT_T0_E_clISt17integral_constantIbLb0EES1D_IbLb1EEEEDaS19_S1A_EUlS19_E_NS1_11comp_targetILNS1_3genE8ELNS1_11target_archE1030ELNS1_3gpuE2ELNS1_3repE0EEENS1_30default_config_static_selectorELNS0_4arch9wavefront6targetE1EEEvT1_ ; -- Begin function _ZN7rocprim17ROCPRIM_400000_NS6detail17trampoline_kernelINS0_14default_configENS1_25partition_config_selectorILNS1_17partition_subalgoE8EbNS0_10empty_typeEbEEZZNS1_14partition_implILS5_8ELb0ES3_jN6hipcub16HIPCUB_304000_NS22TransformInputIteratorIbN2at6native8internal12_GLOBAL__N_110LoadBoolOpEPKhlEEPS6_PKS6_NS0_5tupleIJPbS6_EEENSN_IJSK_SK_EEENS0_18inequality_wrapperINSA_8EqualityEEEPlJS6_EEE10hipError_tPvRmT3_T4_T5_T6_T7_T9_mT8_P12ihipStream_tbDpT10_ENKUlT_T0_E_clISt17integral_constantIbLb0EES1D_IbLb1EEEEDaS19_S1A_EUlS19_E_NS1_11comp_targetILNS1_3genE8ELNS1_11target_archE1030ELNS1_3gpuE2ELNS1_3repE0EEENS1_30default_config_static_selectorELNS0_4arch9wavefront6targetE1EEEvT1_
	.p2align	8
	.type	_ZN7rocprim17ROCPRIM_400000_NS6detail17trampoline_kernelINS0_14default_configENS1_25partition_config_selectorILNS1_17partition_subalgoE8EbNS0_10empty_typeEbEEZZNS1_14partition_implILS5_8ELb0ES3_jN6hipcub16HIPCUB_304000_NS22TransformInputIteratorIbN2at6native8internal12_GLOBAL__N_110LoadBoolOpEPKhlEEPS6_PKS6_NS0_5tupleIJPbS6_EEENSN_IJSK_SK_EEENS0_18inequality_wrapperINSA_8EqualityEEEPlJS6_EEE10hipError_tPvRmT3_T4_T5_T6_T7_T9_mT8_P12ihipStream_tbDpT10_ENKUlT_T0_E_clISt17integral_constantIbLb0EES1D_IbLb1EEEEDaS19_S1A_EUlS19_E_NS1_11comp_targetILNS1_3genE8ELNS1_11target_archE1030ELNS1_3gpuE2ELNS1_3repE0EEENS1_30default_config_static_selectorELNS0_4arch9wavefront6targetE1EEEvT1_,@function
_ZN7rocprim17ROCPRIM_400000_NS6detail17trampoline_kernelINS0_14default_configENS1_25partition_config_selectorILNS1_17partition_subalgoE8EbNS0_10empty_typeEbEEZZNS1_14partition_implILS5_8ELb0ES3_jN6hipcub16HIPCUB_304000_NS22TransformInputIteratorIbN2at6native8internal12_GLOBAL__N_110LoadBoolOpEPKhlEEPS6_PKS6_NS0_5tupleIJPbS6_EEENSN_IJSK_SK_EEENS0_18inequality_wrapperINSA_8EqualityEEEPlJS6_EEE10hipError_tPvRmT3_T4_T5_T6_T7_T9_mT8_P12ihipStream_tbDpT10_ENKUlT_T0_E_clISt17integral_constantIbLb0EES1D_IbLb1EEEEDaS19_S1A_EUlS19_E_NS1_11comp_targetILNS1_3genE8ELNS1_11target_archE1030ELNS1_3gpuE2ELNS1_3repE0EEENS1_30default_config_static_selectorELNS0_4arch9wavefront6targetE1EEEvT1_: ; @_ZN7rocprim17ROCPRIM_400000_NS6detail17trampoline_kernelINS0_14default_configENS1_25partition_config_selectorILNS1_17partition_subalgoE8EbNS0_10empty_typeEbEEZZNS1_14partition_implILS5_8ELb0ES3_jN6hipcub16HIPCUB_304000_NS22TransformInputIteratorIbN2at6native8internal12_GLOBAL__N_110LoadBoolOpEPKhlEEPS6_PKS6_NS0_5tupleIJPbS6_EEENSN_IJSK_SK_EEENS0_18inequality_wrapperINSA_8EqualityEEEPlJS6_EEE10hipError_tPvRmT3_T4_T5_T6_T7_T9_mT8_P12ihipStream_tbDpT10_ENKUlT_T0_E_clISt17integral_constantIbLb0EES1D_IbLb1EEEEDaS19_S1A_EUlS19_E_NS1_11comp_targetILNS1_3genE8ELNS1_11target_archE1030ELNS1_3gpuE2ELNS1_3repE0EEENS1_30default_config_static_selectorELNS0_4arch9wavefront6targetE1EEEvT1_
; %bb.0:
	.section	.rodata,"a",@progbits
	.p2align	6, 0x0
	.amdhsa_kernel _ZN7rocprim17ROCPRIM_400000_NS6detail17trampoline_kernelINS0_14default_configENS1_25partition_config_selectorILNS1_17partition_subalgoE8EbNS0_10empty_typeEbEEZZNS1_14partition_implILS5_8ELb0ES3_jN6hipcub16HIPCUB_304000_NS22TransformInputIteratorIbN2at6native8internal12_GLOBAL__N_110LoadBoolOpEPKhlEEPS6_PKS6_NS0_5tupleIJPbS6_EEENSN_IJSK_SK_EEENS0_18inequality_wrapperINSA_8EqualityEEEPlJS6_EEE10hipError_tPvRmT3_T4_T5_T6_T7_T9_mT8_P12ihipStream_tbDpT10_ENKUlT_T0_E_clISt17integral_constantIbLb0EES1D_IbLb1EEEEDaS19_S1A_EUlS19_E_NS1_11comp_targetILNS1_3genE8ELNS1_11target_archE1030ELNS1_3gpuE2ELNS1_3repE0EEENS1_30default_config_static_selectorELNS0_4arch9wavefront6targetE1EEEvT1_
		.amdhsa_group_segment_fixed_size 0
		.amdhsa_private_segment_fixed_size 0
		.amdhsa_kernarg_size 136
		.amdhsa_user_sgpr_count 6
		.amdhsa_user_sgpr_private_segment_buffer 1
		.amdhsa_user_sgpr_dispatch_ptr 0
		.amdhsa_user_sgpr_queue_ptr 0
		.amdhsa_user_sgpr_kernarg_segment_ptr 1
		.amdhsa_user_sgpr_dispatch_id 0
		.amdhsa_user_sgpr_flat_scratch_init 0
		.amdhsa_user_sgpr_kernarg_preload_length 0
		.amdhsa_user_sgpr_kernarg_preload_offset 0
		.amdhsa_user_sgpr_private_segment_size 0
		.amdhsa_uses_dynamic_stack 0
		.amdhsa_system_sgpr_private_segment_wavefront_offset 0
		.amdhsa_system_sgpr_workgroup_id_x 1
		.amdhsa_system_sgpr_workgroup_id_y 0
		.amdhsa_system_sgpr_workgroup_id_z 0
		.amdhsa_system_sgpr_workgroup_info 0
		.amdhsa_system_vgpr_workitem_id 0
		.amdhsa_next_free_vgpr 1
		.amdhsa_next_free_sgpr 0
		.amdhsa_accum_offset 4
		.amdhsa_reserve_vcc 0
		.amdhsa_reserve_flat_scratch 0
		.amdhsa_float_round_mode_32 0
		.amdhsa_float_round_mode_16_64 0
		.amdhsa_float_denorm_mode_32 3
		.amdhsa_float_denorm_mode_16_64 3
		.amdhsa_dx10_clamp 1
		.amdhsa_ieee_mode 1
		.amdhsa_fp16_overflow 0
		.amdhsa_tg_split 0
		.amdhsa_exception_fp_ieee_invalid_op 0
		.amdhsa_exception_fp_denorm_src 0
		.amdhsa_exception_fp_ieee_div_zero 0
		.amdhsa_exception_fp_ieee_overflow 0
		.amdhsa_exception_fp_ieee_underflow 0
		.amdhsa_exception_fp_ieee_inexact 0
		.amdhsa_exception_int_div_zero 0
	.end_amdhsa_kernel
	.section	.text._ZN7rocprim17ROCPRIM_400000_NS6detail17trampoline_kernelINS0_14default_configENS1_25partition_config_selectorILNS1_17partition_subalgoE8EbNS0_10empty_typeEbEEZZNS1_14partition_implILS5_8ELb0ES3_jN6hipcub16HIPCUB_304000_NS22TransformInputIteratorIbN2at6native8internal12_GLOBAL__N_110LoadBoolOpEPKhlEEPS6_PKS6_NS0_5tupleIJPbS6_EEENSN_IJSK_SK_EEENS0_18inequality_wrapperINSA_8EqualityEEEPlJS6_EEE10hipError_tPvRmT3_T4_T5_T6_T7_T9_mT8_P12ihipStream_tbDpT10_ENKUlT_T0_E_clISt17integral_constantIbLb0EES1D_IbLb1EEEEDaS19_S1A_EUlS19_E_NS1_11comp_targetILNS1_3genE8ELNS1_11target_archE1030ELNS1_3gpuE2ELNS1_3repE0EEENS1_30default_config_static_selectorELNS0_4arch9wavefront6targetE1EEEvT1_,"axG",@progbits,_ZN7rocprim17ROCPRIM_400000_NS6detail17trampoline_kernelINS0_14default_configENS1_25partition_config_selectorILNS1_17partition_subalgoE8EbNS0_10empty_typeEbEEZZNS1_14partition_implILS5_8ELb0ES3_jN6hipcub16HIPCUB_304000_NS22TransformInputIteratorIbN2at6native8internal12_GLOBAL__N_110LoadBoolOpEPKhlEEPS6_PKS6_NS0_5tupleIJPbS6_EEENSN_IJSK_SK_EEENS0_18inequality_wrapperINSA_8EqualityEEEPlJS6_EEE10hipError_tPvRmT3_T4_T5_T6_T7_T9_mT8_P12ihipStream_tbDpT10_ENKUlT_T0_E_clISt17integral_constantIbLb0EES1D_IbLb1EEEEDaS19_S1A_EUlS19_E_NS1_11comp_targetILNS1_3genE8ELNS1_11target_archE1030ELNS1_3gpuE2ELNS1_3repE0EEENS1_30default_config_static_selectorELNS0_4arch9wavefront6targetE1EEEvT1_,comdat
.Lfunc_end47:
	.size	_ZN7rocprim17ROCPRIM_400000_NS6detail17trampoline_kernelINS0_14default_configENS1_25partition_config_selectorILNS1_17partition_subalgoE8EbNS0_10empty_typeEbEEZZNS1_14partition_implILS5_8ELb0ES3_jN6hipcub16HIPCUB_304000_NS22TransformInputIteratorIbN2at6native8internal12_GLOBAL__N_110LoadBoolOpEPKhlEEPS6_PKS6_NS0_5tupleIJPbS6_EEENSN_IJSK_SK_EEENS0_18inequality_wrapperINSA_8EqualityEEEPlJS6_EEE10hipError_tPvRmT3_T4_T5_T6_T7_T9_mT8_P12ihipStream_tbDpT10_ENKUlT_T0_E_clISt17integral_constantIbLb0EES1D_IbLb1EEEEDaS19_S1A_EUlS19_E_NS1_11comp_targetILNS1_3genE8ELNS1_11target_archE1030ELNS1_3gpuE2ELNS1_3repE0EEENS1_30default_config_static_selectorELNS0_4arch9wavefront6targetE1EEEvT1_, .Lfunc_end47-_ZN7rocprim17ROCPRIM_400000_NS6detail17trampoline_kernelINS0_14default_configENS1_25partition_config_selectorILNS1_17partition_subalgoE8EbNS0_10empty_typeEbEEZZNS1_14partition_implILS5_8ELb0ES3_jN6hipcub16HIPCUB_304000_NS22TransformInputIteratorIbN2at6native8internal12_GLOBAL__N_110LoadBoolOpEPKhlEEPS6_PKS6_NS0_5tupleIJPbS6_EEENSN_IJSK_SK_EEENS0_18inequality_wrapperINSA_8EqualityEEEPlJS6_EEE10hipError_tPvRmT3_T4_T5_T6_T7_T9_mT8_P12ihipStream_tbDpT10_ENKUlT_T0_E_clISt17integral_constantIbLb0EES1D_IbLb1EEEEDaS19_S1A_EUlS19_E_NS1_11comp_targetILNS1_3genE8ELNS1_11target_archE1030ELNS1_3gpuE2ELNS1_3repE0EEENS1_30default_config_static_selectorELNS0_4arch9wavefront6targetE1EEEvT1_
                                        ; -- End function
	.section	.AMDGPU.csdata,"",@progbits
; Kernel info:
; codeLenInByte = 0
; NumSgprs: 4
; NumVgprs: 0
; NumAgprs: 0
; TotalNumVgprs: 0
; ScratchSize: 0
; MemoryBound: 0
; FloatMode: 240
; IeeeMode: 1
; LDSByteSize: 0 bytes/workgroup (compile time only)
; SGPRBlocks: 0
; VGPRBlocks: 0
; NumSGPRsForWavesPerEU: 4
; NumVGPRsForWavesPerEU: 1
; AccumOffset: 4
; Occupancy: 8
; WaveLimiterHint : 0
; COMPUTE_PGM_RSRC2:SCRATCH_EN: 0
; COMPUTE_PGM_RSRC2:USER_SGPR: 6
; COMPUTE_PGM_RSRC2:TRAP_HANDLER: 0
; COMPUTE_PGM_RSRC2:TGID_X_EN: 1
; COMPUTE_PGM_RSRC2:TGID_Y_EN: 0
; COMPUTE_PGM_RSRC2:TGID_Z_EN: 0
; COMPUTE_PGM_RSRC2:TIDIG_COMP_CNT: 0
; COMPUTE_PGM_RSRC3_GFX90A:ACCUM_OFFSET: 0
; COMPUTE_PGM_RSRC3_GFX90A:TG_SPLIT: 0
	.section	.text._ZN7rocprim17ROCPRIM_400000_NS6detail17trampoline_kernelINS0_14default_configENS1_25transform_config_selectorImLb0EEEZNS1_14transform_implILb0ES3_S5_NS0_17constant_iteratorImlEEPlNS0_8identityImEEEE10hipError_tT2_T3_mT4_P12ihipStream_tbEUlT_E_NS1_11comp_targetILNS1_3genE0ELNS1_11target_archE4294967295ELNS1_3gpuE0ELNS1_3repE0EEENS1_30default_config_static_selectorELNS0_4arch9wavefront6targetE1EEEvT1_,"axG",@progbits,_ZN7rocprim17ROCPRIM_400000_NS6detail17trampoline_kernelINS0_14default_configENS1_25transform_config_selectorImLb0EEEZNS1_14transform_implILb0ES3_S5_NS0_17constant_iteratorImlEEPlNS0_8identityImEEEE10hipError_tT2_T3_mT4_P12ihipStream_tbEUlT_E_NS1_11comp_targetILNS1_3genE0ELNS1_11target_archE4294967295ELNS1_3gpuE0ELNS1_3repE0EEENS1_30default_config_static_selectorELNS0_4arch9wavefront6targetE1EEEvT1_,comdat
	.protected	_ZN7rocprim17ROCPRIM_400000_NS6detail17trampoline_kernelINS0_14default_configENS1_25transform_config_selectorImLb0EEEZNS1_14transform_implILb0ES3_S5_NS0_17constant_iteratorImlEEPlNS0_8identityImEEEE10hipError_tT2_T3_mT4_P12ihipStream_tbEUlT_E_NS1_11comp_targetILNS1_3genE0ELNS1_11target_archE4294967295ELNS1_3gpuE0ELNS1_3repE0EEENS1_30default_config_static_selectorELNS0_4arch9wavefront6targetE1EEEvT1_ ; -- Begin function _ZN7rocprim17ROCPRIM_400000_NS6detail17trampoline_kernelINS0_14default_configENS1_25transform_config_selectorImLb0EEEZNS1_14transform_implILb0ES3_S5_NS0_17constant_iteratorImlEEPlNS0_8identityImEEEE10hipError_tT2_T3_mT4_P12ihipStream_tbEUlT_E_NS1_11comp_targetILNS1_3genE0ELNS1_11target_archE4294967295ELNS1_3gpuE0ELNS1_3repE0EEENS1_30default_config_static_selectorELNS0_4arch9wavefront6targetE1EEEvT1_
	.globl	_ZN7rocprim17ROCPRIM_400000_NS6detail17trampoline_kernelINS0_14default_configENS1_25transform_config_selectorImLb0EEEZNS1_14transform_implILb0ES3_S5_NS0_17constant_iteratorImlEEPlNS0_8identityImEEEE10hipError_tT2_T3_mT4_P12ihipStream_tbEUlT_E_NS1_11comp_targetILNS1_3genE0ELNS1_11target_archE4294967295ELNS1_3gpuE0ELNS1_3repE0EEENS1_30default_config_static_selectorELNS0_4arch9wavefront6targetE1EEEvT1_
	.p2align	8
	.type	_ZN7rocprim17ROCPRIM_400000_NS6detail17trampoline_kernelINS0_14default_configENS1_25transform_config_selectorImLb0EEEZNS1_14transform_implILb0ES3_S5_NS0_17constant_iteratorImlEEPlNS0_8identityImEEEE10hipError_tT2_T3_mT4_P12ihipStream_tbEUlT_E_NS1_11comp_targetILNS1_3genE0ELNS1_11target_archE4294967295ELNS1_3gpuE0ELNS1_3repE0EEENS1_30default_config_static_selectorELNS0_4arch9wavefront6targetE1EEEvT1_,@function
_ZN7rocprim17ROCPRIM_400000_NS6detail17trampoline_kernelINS0_14default_configENS1_25transform_config_selectorImLb0EEEZNS1_14transform_implILb0ES3_S5_NS0_17constant_iteratorImlEEPlNS0_8identityImEEEE10hipError_tT2_T3_mT4_P12ihipStream_tbEUlT_E_NS1_11comp_targetILNS1_3genE0ELNS1_11target_archE4294967295ELNS1_3gpuE0ELNS1_3repE0EEENS1_30default_config_static_selectorELNS0_4arch9wavefront6targetE1EEEvT1_: ; @_ZN7rocprim17ROCPRIM_400000_NS6detail17trampoline_kernelINS0_14default_configENS1_25transform_config_selectorImLb0EEEZNS1_14transform_implILb0ES3_S5_NS0_17constant_iteratorImlEEPlNS0_8identityImEEEE10hipError_tT2_T3_mT4_P12ihipStream_tbEUlT_E_NS1_11comp_targetILNS1_3genE0ELNS1_11target_archE4294967295ELNS1_3gpuE0ELNS1_3repE0EEENS1_30default_config_static_selectorELNS0_4arch9wavefront6targetE1EEEvT1_
; %bb.0:
	.section	.rodata,"a",@progbits
	.p2align	6, 0x0
	.amdhsa_kernel _ZN7rocprim17ROCPRIM_400000_NS6detail17trampoline_kernelINS0_14default_configENS1_25transform_config_selectorImLb0EEEZNS1_14transform_implILb0ES3_S5_NS0_17constant_iteratorImlEEPlNS0_8identityImEEEE10hipError_tT2_T3_mT4_P12ihipStream_tbEUlT_E_NS1_11comp_targetILNS1_3genE0ELNS1_11target_archE4294967295ELNS1_3gpuE0ELNS1_3repE0EEENS1_30default_config_static_selectorELNS0_4arch9wavefront6targetE1EEEvT1_
		.amdhsa_group_segment_fixed_size 0
		.amdhsa_private_segment_fixed_size 0
		.amdhsa_kernarg_size 48
		.amdhsa_user_sgpr_count 6
		.amdhsa_user_sgpr_private_segment_buffer 1
		.amdhsa_user_sgpr_dispatch_ptr 0
		.amdhsa_user_sgpr_queue_ptr 0
		.amdhsa_user_sgpr_kernarg_segment_ptr 1
		.amdhsa_user_sgpr_dispatch_id 0
		.amdhsa_user_sgpr_flat_scratch_init 0
		.amdhsa_user_sgpr_kernarg_preload_length 0
		.amdhsa_user_sgpr_kernarg_preload_offset 0
		.amdhsa_user_sgpr_private_segment_size 0
		.amdhsa_uses_dynamic_stack 0
		.amdhsa_system_sgpr_private_segment_wavefront_offset 0
		.amdhsa_system_sgpr_workgroup_id_x 1
		.amdhsa_system_sgpr_workgroup_id_y 0
		.amdhsa_system_sgpr_workgroup_id_z 0
		.amdhsa_system_sgpr_workgroup_info 0
		.amdhsa_system_vgpr_workitem_id 0
		.amdhsa_next_free_vgpr 1
		.amdhsa_next_free_sgpr 0
		.amdhsa_accum_offset 4
		.amdhsa_reserve_vcc 0
		.amdhsa_reserve_flat_scratch 0
		.amdhsa_float_round_mode_32 0
		.amdhsa_float_round_mode_16_64 0
		.amdhsa_float_denorm_mode_32 3
		.amdhsa_float_denorm_mode_16_64 3
		.amdhsa_dx10_clamp 1
		.amdhsa_ieee_mode 1
		.amdhsa_fp16_overflow 0
		.amdhsa_tg_split 0
		.amdhsa_exception_fp_ieee_invalid_op 0
		.amdhsa_exception_fp_denorm_src 0
		.amdhsa_exception_fp_ieee_div_zero 0
		.amdhsa_exception_fp_ieee_overflow 0
		.amdhsa_exception_fp_ieee_underflow 0
		.amdhsa_exception_fp_ieee_inexact 0
		.amdhsa_exception_int_div_zero 0
	.end_amdhsa_kernel
	.section	.text._ZN7rocprim17ROCPRIM_400000_NS6detail17trampoline_kernelINS0_14default_configENS1_25transform_config_selectorImLb0EEEZNS1_14transform_implILb0ES3_S5_NS0_17constant_iteratorImlEEPlNS0_8identityImEEEE10hipError_tT2_T3_mT4_P12ihipStream_tbEUlT_E_NS1_11comp_targetILNS1_3genE0ELNS1_11target_archE4294967295ELNS1_3gpuE0ELNS1_3repE0EEENS1_30default_config_static_selectorELNS0_4arch9wavefront6targetE1EEEvT1_,"axG",@progbits,_ZN7rocprim17ROCPRIM_400000_NS6detail17trampoline_kernelINS0_14default_configENS1_25transform_config_selectorImLb0EEEZNS1_14transform_implILb0ES3_S5_NS0_17constant_iteratorImlEEPlNS0_8identityImEEEE10hipError_tT2_T3_mT4_P12ihipStream_tbEUlT_E_NS1_11comp_targetILNS1_3genE0ELNS1_11target_archE4294967295ELNS1_3gpuE0ELNS1_3repE0EEENS1_30default_config_static_selectorELNS0_4arch9wavefront6targetE1EEEvT1_,comdat
.Lfunc_end48:
	.size	_ZN7rocprim17ROCPRIM_400000_NS6detail17trampoline_kernelINS0_14default_configENS1_25transform_config_selectorImLb0EEEZNS1_14transform_implILb0ES3_S5_NS0_17constant_iteratorImlEEPlNS0_8identityImEEEE10hipError_tT2_T3_mT4_P12ihipStream_tbEUlT_E_NS1_11comp_targetILNS1_3genE0ELNS1_11target_archE4294967295ELNS1_3gpuE0ELNS1_3repE0EEENS1_30default_config_static_selectorELNS0_4arch9wavefront6targetE1EEEvT1_, .Lfunc_end48-_ZN7rocprim17ROCPRIM_400000_NS6detail17trampoline_kernelINS0_14default_configENS1_25transform_config_selectorImLb0EEEZNS1_14transform_implILb0ES3_S5_NS0_17constant_iteratorImlEEPlNS0_8identityImEEEE10hipError_tT2_T3_mT4_P12ihipStream_tbEUlT_E_NS1_11comp_targetILNS1_3genE0ELNS1_11target_archE4294967295ELNS1_3gpuE0ELNS1_3repE0EEENS1_30default_config_static_selectorELNS0_4arch9wavefront6targetE1EEEvT1_
                                        ; -- End function
	.section	.AMDGPU.csdata,"",@progbits
; Kernel info:
; codeLenInByte = 0
; NumSgprs: 4
; NumVgprs: 0
; NumAgprs: 0
; TotalNumVgprs: 0
; ScratchSize: 0
; MemoryBound: 0
; FloatMode: 240
; IeeeMode: 1
; LDSByteSize: 0 bytes/workgroup (compile time only)
; SGPRBlocks: 0
; VGPRBlocks: 0
; NumSGPRsForWavesPerEU: 4
; NumVGPRsForWavesPerEU: 1
; AccumOffset: 4
; Occupancy: 8
; WaveLimiterHint : 0
; COMPUTE_PGM_RSRC2:SCRATCH_EN: 0
; COMPUTE_PGM_RSRC2:USER_SGPR: 6
; COMPUTE_PGM_RSRC2:TRAP_HANDLER: 0
; COMPUTE_PGM_RSRC2:TGID_X_EN: 1
; COMPUTE_PGM_RSRC2:TGID_Y_EN: 0
; COMPUTE_PGM_RSRC2:TGID_Z_EN: 0
; COMPUTE_PGM_RSRC2:TIDIG_COMP_CNT: 0
; COMPUTE_PGM_RSRC3_GFX90A:ACCUM_OFFSET: 0
; COMPUTE_PGM_RSRC3_GFX90A:TG_SPLIT: 0
	.section	.text._ZN7rocprim17ROCPRIM_400000_NS6detail17trampoline_kernelINS0_14default_configENS1_25transform_config_selectorImLb0EEEZNS1_14transform_implILb0ES3_S5_NS0_17constant_iteratorImlEEPlNS0_8identityImEEEE10hipError_tT2_T3_mT4_P12ihipStream_tbEUlT_E_NS1_11comp_targetILNS1_3genE5ELNS1_11target_archE942ELNS1_3gpuE9ELNS1_3repE0EEENS1_30default_config_static_selectorELNS0_4arch9wavefront6targetE1EEEvT1_,"axG",@progbits,_ZN7rocprim17ROCPRIM_400000_NS6detail17trampoline_kernelINS0_14default_configENS1_25transform_config_selectorImLb0EEEZNS1_14transform_implILb0ES3_S5_NS0_17constant_iteratorImlEEPlNS0_8identityImEEEE10hipError_tT2_T3_mT4_P12ihipStream_tbEUlT_E_NS1_11comp_targetILNS1_3genE5ELNS1_11target_archE942ELNS1_3gpuE9ELNS1_3repE0EEENS1_30default_config_static_selectorELNS0_4arch9wavefront6targetE1EEEvT1_,comdat
	.protected	_ZN7rocprim17ROCPRIM_400000_NS6detail17trampoline_kernelINS0_14default_configENS1_25transform_config_selectorImLb0EEEZNS1_14transform_implILb0ES3_S5_NS0_17constant_iteratorImlEEPlNS0_8identityImEEEE10hipError_tT2_T3_mT4_P12ihipStream_tbEUlT_E_NS1_11comp_targetILNS1_3genE5ELNS1_11target_archE942ELNS1_3gpuE9ELNS1_3repE0EEENS1_30default_config_static_selectorELNS0_4arch9wavefront6targetE1EEEvT1_ ; -- Begin function _ZN7rocprim17ROCPRIM_400000_NS6detail17trampoline_kernelINS0_14default_configENS1_25transform_config_selectorImLb0EEEZNS1_14transform_implILb0ES3_S5_NS0_17constant_iteratorImlEEPlNS0_8identityImEEEE10hipError_tT2_T3_mT4_P12ihipStream_tbEUlT_E_NS1_11comp_targetILNS1_3genE5ELNS1_11target_archE942ELNS1_3gpuE9ELNS1_3repE0EEENS1_30default_config_static_selectorELNS0_4arch9wavefront6targetE1EEEvT1_
	.globl	_ZN7rocprim17ROCPRIM_400000_NS6detail17trampoline_kernelINS0_14default_configENS1_25transform_config_selectorImLb0EEEZNS1_14transform_implILb0ES3_S5_NS0_17constant_iteratorImlEEPlNS0_8identityImEEEE10hipError_tT2_T3_mT4_P12ihipStream_tbEUlT_E_NS1_11comp_targetILNS1_3genE5ELNS1_11target_archE942ELNS1_3gpuE9ELNS1_3repE0EEENS1_30default_config_static_selectorELNS0_4arch9wavefront6targetE1EEEvT1_
	.p2align	8
	.type	_ZN7rocprim17ROCPRIM_400000_NS6detail17trampoline_kernelINS0_14default_configENS1_25transform_config_selectorImLb0EEEZNS1_14transform_implILb0ES3_S5_NS0_17constant_iteratorImlEEPlNS0_8identityImEEEE10hipError_tT2_T3_mT4_P12ihipStream_tbEUlT_E_NS1_11comp_targetILNS1_3genE5ELNS1_11target_archE942ELNS1_3gpuE9ELNS1_3repE0EEENS1_30default_config_static_selectorELNS0_4arch9wavefront6targetE1EEEvT1_,@function
_ZN7rocprim17ROCPRIM_400000_NS6detail17trampoline_kernelINS0_14default_configENS1_25transform_config_selectorImLb0EEEZNS1_14transform_implILb0ES3_S5_NS0_17constant_iteratorImlEEPlNS0_8identityImEEEE10hipError_tT2_T3_mT4_P12ihipStream_tbEUlT_E_NS1_11comp_targetILNS1_3genE5ELNS1_11target_archE942ELNS1_3gpuE9ELNS1_3repE0EEENS1_30default_config_static_selectorELNS0_4arch9wavefront6targetE1EEEvT1_: ; @_ZN7rocprim17ROCPRIM_400000_NS6detail17trampoline_kernelINS0_14default_configENS1_25transform_config_selectorImLb0EEEZNS1_14transform_implILb0ES3_S5_NS0_17constant_iteratorImlEEPlNS0_8identityImEEEE10hipError_tT2_T3_mT4_P12ihipStream_tbEUlT_E_NS1_11comp_targetILNS1_3genE5ELNS1_11target_archE942ELNS1_3gpuE9ELNS1_3repE0EEENS1_30default_config_static_selectorELNS0_4arch9wavefront6targetE1EEEvT1_
; %bb.0:
	.section	.rodata,"a",@progbits
	.p2align	6, 0x0
	.amdhsa_kernel _ZN7rocprim17ROCPRIM_400000_NS6detail17trampoline_kernelINS0_14default_configENS1_25transform_config_selectorImLb0EEEZNS1_14transform_implILb0ES3_S5_NS0_17constant_iteratorImlEEPlNS0_8identityImEEEE10hipError_tT2_T3_mT4_P12ihipStream_tbEUlT_E_NS1_11comp_targetILNS1_3genE5ELNS1_11target_archE942ELNS1_3gpuE9ELNS1_3repE0EEENS1_30default_config_static_selectorELNS0_4arch9wavefront6targetE1EEEvT1_
		.amdhsa_group_segment_fixed_size 0
		.amdhsa_private_segment_fixed_size 0
		.amdhsa_kernarg_size 48
		.amdhsa_user_sgpr_count 6
		.amdhsa_user_sgpr_private_segment_buffer 1
		.amdhsa_user_sgpr_dispatch_ptr 0
		.amdhsa_user_sgpr_queue_ptr 0
		.amdhsa_user_sgpr_kernarg_segment_ptr 1
		.amdhsa_user_sgpr_dispatch_id 0
		.amdhsa_user_sgpr_flat_scratch_init 0
		.amdhsa_user_sgpr_kernarg_preload_length 0
		.amdhsa_user_sgpr_kernarg_preload_offset 0
		.amdhsa_user_sgpr_private_segment_size 0
		.amdhsa_uses_dynamic_stack 0
		.amdhsa_system_sgpr_private_segment_wavefront_offset 0
		.amdhsa_system_sgpr_workgroup_id_x 1
		.amdhsa_system_sgpr_workgroup_id_y 0
		.amdhsa_system_sgpr_workgroup_id_z 0
		.amdhsa_system_sgpr_workgroup_info 0
		.amdhsa_system_vgpr_workitem_id 0
		.amdhsa_next_free_vgpr 1
		.amdhsa_next_free_sgpr 0
		.amdhsa_accum_offset 4
		.amdhsa_reserve_vcc 0
		.amdhsa_reserve_flat_scratch 0
		.amdhsa_float_round_mode_32 0
		.amdhsa_float_round_mode_16_64 0
		.amdhsa_float_denorm_mode_32 3
		.amdhsa_float_denorm_mode_16_64 3
		.amdhsa_dx10_clamp 1
		.amdhsa_ieee_mode 1
		.amdhsa_fp16_overflow 0
		.amdhsa_tg_split 0
		.amdhsa_exception_fp_ieee_invalid_op 0
		.amdhsa_exception_fp_denorm_src 0
		.amdhsa_exception_fp_ieee_div_zero 0
		.amdhsa_exception_fp_ieee_overflow 0
		.amdhsa_exception_fp_ieee_underflow 0
		.amdhsa_exception_fp_ieee_inexact 0
		.amdhsa_exception_int_div_zero 0
	.end_amdhsa_kernel
	.section	.text._ZN7rocprim17ROCPRIM_400000_NS6detail17trampoline_kernelINS0_14default_configENS1_25transform_config_selectorImLb0EEEZNS1_14transform_implILb0ES3_S5_NS0_17constant_iteratorImlEEPlNS0_8identityImEEEE10hipError_tT2_T3_mT4_P12ihipStream_tbEUlT_E_NS1_11comp_targetILNS1_3genE5ELNS1_11target_archE942ELNS1_3gpuE9ELNS1_3repE0EEENS1_30default_config_static_selectorELNS0_4arch9wavefront6targetE1EEEvT1_,"axG",@progbits,_ZN7rocprim17ROCPRIM_400000_NS6detail17trampoline_kernelINS0_14default_configENS1_25transform_config_selectorImLb0EEEZNS1_14transform_implILb0ES3_S5_NS0_17constant_iteratorImlEEPlNS0_8identityImEEEE10hipError_tT2_T3_mT4_P12ihipStream_tbEUlT_E_NS1_11comp_targetILNS1_3genE5ELNS1_11target_archE942ELNS1_3gpuE9ELNS1_3repE0EEENS1_30default_config_static_selectorELNS0_4arch9wavefront6targetE1EEEvT1_,comdat
.Lfunc_end49:
	.size	_ZN7rocprim17ROCPRIM_400000_NS6detail17trampoline_kernelINS0_14default_configENS1_25transform_config_selectorImLb0EEEZNS1_14transform_implILb0ES3_S5_NS0_17constant_iteratorImlEEPlNS0_8identityImEEEE10hipError_tT2_T3_mT4_P12ihipStream_tbEUlT_E_NS1_11comp_targetILNS1_3genE5ELNS1_11target_archE942ELNS1_3gpuE9ELNS1_3repE0EEENS1_30default_config_static_selectorELNS0_4arch9wavefront6targetE1EEEvT1_, .Lfunc_end49-_ZN7rocprim17ROCPRIM_400000_NS6detail17trampoline_kernelINS0_14default_configENS1_25transform_config_selectorImLb0EEEZNS1_14transform_implILb0ES3_S5_NS0_17constant_iteratorImlEEPlNS0_8identityImEEEE10hipError_tT2_T3_mT4_P12ihipStream_tbEUlT_E_NS1_11comp_targetILNS1_3genE5ELNS1_11target_archE942ELNS1_3gpuE9ELNS1_3repE0EEENS1_30default_config_static_selectorELNS0_4arch9wavefront6targetE1EEEvT1_
                                        ; -- End function
	.section	.AMDGPU.csdata,"",@progbits
; Kernel info:
; codeLenInByte = 0
; NumSgprs: 4
; NumVgprs: 0
; NumAgprs: 0
; TotalNumVgprs: 0
; ScratchSize: 0
; MemoryBound: 0
; FloatMode: 240
; IeeeMode: 1
; LDSByteSize: 0 bytes/workgroup (compile time only)
; SGPRBlocks: 0
; VGPRBlocks: 0
; NumSGPRsForWavesPerEU: 4
; NumVGPRsForWavesPerEU: 1
; AccumOffset: 4
; Occupancy: 8
; WaveLimiterHint : 0
; COMPUTE_PGM_RSRC2:SCRATCH_EN: 0
; COMPUTE_PGM_RSRC2:USER_SGPR: 6
; COMPUTE_PGM_RSRC2:TRAP_HANDLER: 0
; COMPUTE_PGM_RSRC2:TGID_X_EN: 1
; COMPUTE_PGM_RSRC2:TGID_Y_EN: 0
; COMPUTE_PGM_RSRC2:TGID_Z_EN: 0
; COMPUTE_PGM_RSRC2:TIDIG_COMP_CNT: 0
; COMPUTE_PGM_RSRC3_GFX90A:ACCUM_OFFSET: 0
; COMPUTE_PGM_RSRC3_GFX90A:TG_SPLIT: 0
	.section	.text._ZN7rocprim17ROCPRIM_400000_NS6detail17trampoline_kernelINS0_14default_configENS1_25transform_config_selectorImLb0EEEZNS1_14transform_implILb0ES3_S5_NS0_17constant_iteratorImlEEPlNS0_8identityImEEEE10hipError_tT2_T3_mT4_P12ihipStream_tbEUlT_E_NS1_11comp_targetILNS1_3genE4ELNS1_11target_archE910ELNS1_3gpuE8ELNS1_3repE0EEENS1_30default_config_static_selectorELNS0_4arch9wavefront6targetE1EEEvT1_,"axG",@progbits,_ZN7rocprim17ROCPRIM_400000_NS6detail17trampoline_kernelINS0_14default_configENS1_25transform_config_selectorImLb0EEEZNS1_14transform_implILb0ES3_S5_NS0_17constant_iteratorImlEEPlNS0_8identityImEEEE10hipError_tT2_T3_mT4_P12ihipStream_tbEUlT_E_NS1_11comp_targetILNS1_3genE4ELNS1_11target_archE910ELNS1_3gpuE8ELNS1_3repE0EEENS1_30default_config_static_selectorELNS0_4arch9wavefront6targetE1EEEvT1_,comdat
	.protected	_ZN7rocprim17ROCPRIM_400000_NS6detail17trampoline_kernelINS0_14default_configENS1_25transform_config_selectorImLb0EEEZNS1_14transform_implILb0ES3_S5_NS0_17constant_iteratorImlEEPlNS0_8identityImEEEE10hipError_tT2_T3_mT4_P12ihipStream_tbEUlT_E_NS1_11comp_targetILNS1_3genE4ELNS1_11target_archE910ELNS1_3gpuE8ELNS1_3repE0EEENS1_30default_config_static_selectorELNS0_4arch9wavefront6targetE1EEEvT1_ ; -- Begin function _ZN7rocprim17ROCPRIM_400000_NS6detail17trampoline_kernelINS0_14default_configENS1_25transform_config_selectorImLb0EEEZNS1_14transform_implILb0ES3_S5_NS0_17constant_iteratorImlEEPlNS0_8identityImEEEE10hipError_tT2_T3_mT4_P12ihipStream_tbEUlT_E_NS1_11comp_targetILNS1_3genE4ELNS1_11target_archE910ELNS1_3gpuE8ELNS1_3repE0EEENS1_30default_config_static_selectorELNS0_4arch9wavefront6targetE1EEEvT1_
	.globl	_ZN7rocprim17ROCPRIM_400000_NS6detail17trampoline_kernelINS0_14default_configENS1_25transform_config_selectorImLb0EEEZNS1_14transform_implILb0ES3_S5_NS0_17constant_iteratorImlEEPlNS0_8identityImEEEE10hipError_tT2_T3_mT4_P12ihipStream_tbEUlT_E_NS1_11comp_targetILNS1_3genE4ELNS1_11target_archE910ELNS1_3gpuE8ELNS1_3repE0EEENS1_30default_config_static_selectorELNS0_4arch9wavefront6targetE1EEEvT1_
	.p2align	8
	.type	_ZN7rocprim17ROCPRIM_400000_NS6detail17trampoline_kernelINS0_14default_configENS1_25transform_config_selectorImLb0EEEZNS1_14transform_implILb0ES3_S5_NS0_17constant_iteratorImlEEPlNS0_8identityImEEEE10hipError_tT2_T3_mT4_P12ihipStream_tbEUlT_E_NS1_11comp_targetILNS1_3genE4ELNS1_11target_archE910ELNS1_3gpuE8ELNS1_3repE0EEENS1_30default_config_static_selectorELNS0_4arch9wavefront6targetE1EEEvT1_,@function
_ZN7rocprim17ROCPRIM_400000_NS6detail17trampoline_kernelINS0_14default_configENS1_25transform_config_selectorImLb0EEEZNS1_14transform_implILb0ES3_S5_NS0_17constant_iteratorImlEEPlNS0_8identityImEEEE10hipError_tT2_T3_mT4_P12ihipStream_tbEUlT_E_NS1_11comp_targetILNS1_3genE4ELNS1_11target_archE910ELNS1_3gpuE8ELNS1_3repE0EEENS1_30default_config_static_selectorELNS0_4arch9wavefront6targetE1EEEvT1_: ; @_ZN7rocprim17ROCPRIM_400000_NS6detail17trampoline_kernelINS0_14default_configENS1_25transform_config_selectorImLb0EEEZNS1_14transform_implILb0ES3_S5_NS0_17constant_iteratorImlEEPlNS0_8identityImEEEE10hipError_tT2_T3_mT4_P12ihipStream_tbEUlT_E_NS1_11comp_targetILNS1_3genE4ELNS1_11target_archE910ELNS1_3gpuE8ELNS1_3repE0EEENS1_30default_config_static_selectorELNS0_4arch9wavefront6targetE1EEEvT1_
; %bb.0:
	s_load_dwordx2 s[0:1], s[4:5], 0x10
	s_load_dwordx2 s[2:3], s[4:5], 0x20
	;; [unrolled: 1-line block ×3, first 2 shown]
	s_load_dword s7, s[4:5], 0x30
	v_lshlrev_b32_e32 v8, 3, v0
	s_waitcnt lgkmcnt(0)
	s_lshl_b64 s[0:1], s[0:1], 3
	s_add_u32 s12, s2, s0
	s_addc_u32 s13, s3, s1
	s_lshl_b32 s2, s6, 9
	s_add_i32 s7, s7, -1
	s_mov_b32 s3, 0
	s_cmp_eq_u32 s6, s7
	s_cbranch_scc1 .LBB50_3
; %bb.1:
	s_lshl_b64 s[0:1], s[2:3], 3
	s_add_u32 s0, s12, s0
	s_addc_u32 s1, s13, s1
	v_mov_b32_e32 v1, s1
	v_add_co_u32_e32 v4, vcc, s0, v8
	v_pk_mov_b32 v[2:3], s[8:9], s[8:9] op_sel:[0,1]
	v_addc_co_u32_e32 v5, vcc, 0, v1, vcc
	global_store_dwordx2 v8, v[2:3], s[0:1]
	s_mov_b64 s[6:7], -1
	s_cbranch_execz .LBB50_4
; %bb.2:
	v_pk_mov_b32 v[6:7], s[8:9], s[8:9] op_sel:[0,1]
	s_and_saveexec_b64 s[0:1], s[6:7]
	s_cbranch_execnz .LBB50_9
	s_branch .LBB50_10
.LBB50_3:
	s_mov_b64 s[6:7], 0
                                        ; implicit-def: $vgpr4_vgpr5
.LBB50_4:
	s_load_dword s0, s[4:5], 0x18
	v_or_b32_e32 v1, 0x100, v0
	s_mov_b32 s10, s8
	s_mov_b32 s11, s9
	s_waitcnt lgkmcnt(0)
	s_sub_i32 s0, s0, s2
	s_lshl_b64 s[2:3], s[2:3], 3
	s_add_u32 s2, s12, s2
	s_addc_u32 s3, s13, s3
	v_cmp_gt_u32_e32 vcc, s0, v1
	v_cmp_gt_u32_e64 s[0:1], s0, v0
	v_pk_mov_b32 v[0:1], s[8:9], s[8:9] op_sel:[0,1]
	v_mov_b32_e32 v5, s3
	v_add_co_u32_e64 v4, s[2:3], s2, v8
	v_pk_mov_b32 v[2:3], s[10:11], s[10:11] op_sel:[0,1]
	v_addc_co_u32_e64 v5, s[2:3], 0, v5, s[2:3]
	s_and_saveexec_b64 s[2:3], s[0:1]
	s_cbranch_execz .LBB50_6
; %bb.5:
	global_store_dwordx2 v[4:5], v[0:1], off
.LBB50_6:
	s_or_b64 exec, exec, s[2:3]
                                        ; implicit-def: $vgpr6_vgpr7
	s_and_saveexec_b64 s[0:1], vcc
; %bb.7:
	v_mov_b32_e32 v0, s11
	v_cndmask_b32_e32 v7, v3, v0, vcc
	v_mov_b32_e32 v0, s10
	v_cndmask_b32_e32 v6, v2, v0, vcc
	s_or_b64 s[6:7], s[6:7], exec
; %bb.8:
	s_or_b64 exec, exec, s[0:1]
	s_and_saveexec_b64 s[0:1], s[6:7]
	s_cbranch_execz .LBB50_10
.LBB50_9:
	global_store_dwordx2 v[4:5], v[6:7], off offset:2048
.LBB50_10:
	s_endpgm
	.section	.rodata,"a",@progbits
	.p2align	6, 0x0
	.amdhsa_kernel _ZN7rocprim17ROCPRIM_400000_NS6detail17trampoline_kernelINS0_14default_configENS1_25transform_config_selectorImLb0EEEZNS1_14transform_implILb0ES3_S5_NS0_17constant_iteratorImlEEPlNS0_8identityImEEEE10hipError_tT2_T3_mT4_P12ihipStream_tbEUlT_E_NS1_11comp_targetILNS1_3genE4ELNS1_11target_archE910ELNS1_3gpuE8ELNS1_3repE0EEENS1_30default_config_static_selectorELNS0_4arch9wavefront6targetE1EEEvT1_
		.amdhsa_group_segment_fixed_size 0
		.amdhsa_private_segment_fixed_size 0
		.amdhsa_kernarg_size 304
		.amdhsa_user_sgpr_count 6
		.amdhsa_user_sgpr_private_segment_buffer 1
		.amdhsa_user_sgpr_dispatch_ptr 0
		.amdhsa_user_sgpr_queue_ptr 0
		.amdhsa_user_sgpr_kernarg_segment_ptr 1
		.amdhsa_user_sgpr_dispatch_id 0
		.amdhsa_user_sgpr_flat_scratch_init 0
		.amdhsa_user_sgpr_kernarg_preload_length 0
		.amdhsa_user_sgpr_kernarg_preload_offset 0
		.amdhsa_user_sgpr_private_segment_size 0
		.amdhsa_uses_dynamic_stack 0
		.amdhsa_system_sgpr_private_segment_wavefront_offset 0
		.amdhsa_system_sgpr_workgroup_id_x 1
		.amdhsa_system_sgpr_workgroup_id_y 0
		.amdhsa_system_sgpr_workgroup_id_z 0
		.amdhsa_system_sgpr_workgroup_info 0
		.amdhsa_system_vgpr_workitem_id 0
		.amdhsa_next_free_vgpr 9
		.amdhsa_next_free_sgpr 14
		.amdhsa_accum_offset 12
		.amdhsa_reserve_vcc 1
		.amdhsa_reserve_flat_scratch 0
		.amdhsa_float_round_mode_32 0
		.amdhsa_float_round_mode_16_64 0
		.amdhsa_float_denorm_mode_32 3
		.amdhsa_float_denorm_mode_16_64 3
		.amdhsa_dx10_clamp 1
		.amdhsa_ieee_mode 1
		.amdhsa_fp16_overflow 0
		.amdhsa_tg_split 0
		.amdhsa_exception_fp_ieee_invalid_op 0
		.amdhsa_exception_fp_denorm_src 0
		.amdhsa_exception_fp_ieee_div_zero 0
		.amdhsa_exception_fp_ieee_overflow 0
		.amdhsa_exception_fp_ieee_underflow 0
		.amdhsa_exception_fp_ieee_inexact 0
		.amdhsa_exception_int_div_zero 0
	.end_amdhsa_kernel
	.section	.text._ZN7rocprim17ROCPRIM_400000_NS6detail17trampoline_kernelINS0_14default_configENS1_25transform_config_selectorImLb0EEEZNS1_14transform_implILb0ES3_S5_NS0_17constant_iteratorImlEEPlNS0_8identityImEEEE10hipError_tT2_T3_mT4_P12ihipStream_tbEUlT_E_NS1_11comp_targetILNS1_3genE4ELNS1_11target_archE910ELNS1_3gpuE8ELNS1_3repE0EEENS1_30default_config_static_selectorELNS0_4arch9wavefront6targetE1EEEvT1_,"axG",@progbits,_ZN7rocprim17ROCPRIM_400000_NS6detail17trampoline_kernelINS0_14default_configENS1_25transform_config_selectorImLb0EEEZNS1_14transform_implILb0ES3_S5_NS0_17constant_iteratorImlEEPlNS0_8identityImEEEE10hipError_tT2_T3_mT4_P12ihipStream_tbEUlT_E_NS1_11comp_targetILNS1_3genE4ELNS1_11target_archE910ELNS1_3gpuE8ELNS1_3repE0EEENS1_30default_config_static_selectorELNS0_4arch9wavefront6targetE1EEEvT1_,comdat
.Lfunc_end50:
	.size	_ZN7rocprim17ROCPRIM_400000_NS6detail17trampoline_kernelINS0_14default_configENS1_25transform_config_selectorImLb0EEEZNS1_14transform_implILb0ES3_S5_NS0_17constant_iteratorImlEEPlNS0_8identityImEEEE10hipError_tT2_T3_mT4_P12ihipStream_tbEUlT_E_NS1_11comp_targetILNS1_3genE4ELNS1_11target_archE910ELNS1_3gpuE8ELNS1_3repE0EEENS1_30default_config_static_selectorELNS0_4arch9wavefront6targetE1EEEvT1_, .Lfunc_end50-_ZN7rocprim17ROCPRIM_400000_NS6detail17trampoline_kernelINS0_14default_configENS1_25transform_config_selectorImLb0EEEZNS1_14transform_implILb0ES3_S5_NS0_17constant_iteratorImlEEPlNS0_8identityImEEEE10hipError_tT2_T3_mT4_P12ihipStream_tbEUlT_E_NS1_11comp_targetILNS1_3genE4ELNS1_11target_archE910ELNS1_3gpuE8ELNS1_3repE0EEENS1_30default_config_static_selectorELNS0_4arch9wavefront6targetE1EEEvT1_
                                        ; -- End function
	.section	.AMDGPU.csdata,"",@progbits
; Kernel info:
; codeLenInByte = 304
; NumSgprs: 18
; NumVgprs: 9
; NumAgprs: 0
; TotalNumVgprs: 9
; ScratchSize: 0
; MemoryBound: 0
; FloatMode: 240
; IeeeMode: 1
; LDSByteSize: 0 bytes/workgroup (compile time only)
; SGPRBlocks: 2
; VGPRBlocks: 1
; NumSGPRsForWavesPerEU: 18
; NumVGPRsForWavesPerEU: 9
; AccumOffset: 12
; Occupancy: 8
; WaveLimiterHint : 0
; COMPUTE_PGM_RSRC2:SCRATCH_EN: 0
; COMPUTE_PGM_RSRC2:USER_SGPR: 6
; COMPUTE_PGM_RSRC2:TRAP_HANDLER: 0
; COMPUTE_PGM_RSRC2:TGID_X_EN: 1
; COMPUTE_PGM_RSRC2:TGID_Y_EN: 0
; COMPUTE_PGM_RSRC2:TGID_Z_EN: 0
; COMPUTE_PGM_RSRC2:TIDIG_COMP_CNT: 0
; COMPUTE_PGM_RSRC3_GFX90A:ACCUM_OFFSET: 2
; COMPUTE_PGM_RSRC3_GFX90A:TG_SPLIT: 0
	.section	.text._ZN7rocprim17ROCPRIM_400000_NS6detail17trampoline_kernelINS0_14default_configENS1_25transform_config_selectorImLb0EEEZNS1_14transform_implILb0ES3_S5_NS0_17constant_iteratorImlEEPlNS0_8identityImEEEE10hipError_tT2_T3_mT4_P12ihipStream_tbEUlT_E_NS1_11comp_targetILNS1_3genE3ELNS1_11target_archE908ELNS1_3gpuE7ELNS1_3repE0EEENS1_30default_config_static_selectorELNS0_4arch9wavefront6targetE1EEEvT1_,"axG",@progbits,_ZN7rocprim17ROCPRIM_400000_NS6detail17trampoline_kernelINS0_14default_configENS1_25transform_config_selectorImLb0EEEZNS1_14transform_implILb0ES3_S5_NS0_17constant_iteratorImlEEPlNS0_8identityImEEEE10hipError_tT2_T3_mT4_P12ihipStream_tbEUlT_E_NS1_11comp_targetILNS1_3genE3ELNS1_11target_archE908ELNS1_3gpuE7ELNS1_3repE0EEENS1_30default_config_static_selectorELNS0_4arch9wavefront6targetE1EEEvT1_,comdat
	.protected	_ZN7rocprim17ROCPRIM_400000_NS6detail17trampoline_kernelINS0_14default_configENS1_25transform_config_selectorImLb0EEEZNS1_14transform_implILb0ES3_S5_NS0_17constant_iteratorImlEEPlNS0_8identityImEEEE10hipError_tT2_T3_mT4_P12ihipStream_tbEUlT_E_NS1_11comp_targetILNS1_3genE3ELNS1_11target_archE908ELNS1_3gpuE7ELNS1_3repE0EEENS1_30default_config_static_selectorELNS0_4arch9wavefront6targetE1EEEvT1_ ; -- Begin function _ZN7rocprim17ROCPRIM_400000_NS6detail17trampoline_kernelINS0_14default_configENS1_25transform_config_selectorImLb0EEEZNS1_14transform_implILb0ES3_S5_NS0_17constant_iteratorImlEEPlNS0_8identityImEEEE10hipError_tT2_T3_mT4_P12ihipStream_tbEUlT_E_NS1_11comp_targetILNS1_3genE3ELNS1_11target_archE908ELNS1_3gpuE7ELNS1_3repE0EEENS1_30default_config_static_selectorELNS0_4arch9wavefront6targetE1EEEvT1_
	.globl	_ZN7rocprim17ROCPRIM_400000_NS6detail17trampoline_kernelINS0_14default_configENS1_25transform_config_selectorImLb0EEEZNS1_14transform_implILb0ES3_S5_NS0_17constant_iteratorImlEEPlNS0_8identityImEEEE10hipError_tT2_T3_mT4_P12ihipStream_tbEUlT_E_NS1_11comp_targetILNS1_3genE3ELNS1_11target_archE908ELNS1_3gpuE7ELNS1_3repE0EEENS1_30default_config_static_selectorELNS0_4arch9wavefront6targetE1EEEvT1_
	.p2align	8
	.type	_ZN7rocprim17ROCPRIM_400000_NS6detail17trampoline_kernelINS0_14default_configENS1_25transform_config_selectorImLb0EEEZNS1_14transform_implILb0ES3_S5_NS0_17constant_iteratorImlEEPlNS0_8identityImEEEE10hipError_tT2_T3_mT4_P12ihipStream_tbEUlT_E_NS1_11comp_targetILNS1_3genE3ELNS1_11target_archE908ELNS1_3gpuE7ELNS1_3repE0EEENS1_30default_config_static_selectorELNS0_4arch9wavefront6targetE1EEEvT1_,@function
_ZN7rocprim17ROCPRIM_400000_NS6detail17trampoline_kernelINS0_14default_configENS1_25transform_config_selectorImLb0EEEZNS1_14transform_implILb0ES3_S5_NS0_17constant_iteratorImlEEPlNS0_8identityImEEEE10hipError_tT2_T3_mT4_P12ihipStream_tbEUlT_E_NS1_11comp_targetILNS1_3genE3ELNS1_11target_archE908ELNS1_3gpuE7ELNS1_3repE0EEENS1_30default_config_static_selectorELNS0_4arch9wavefront6targetE1EEEvT1_: ; @_ZN7rocprim17ROCPRIM_400000_NS6detail17trampoline_kernelINS0_14default_configENS1_25transform_config_selectorImLb0EEEZNS1_14transform_implILb0ES3_S5_NS0_17constant_iteratorImlEEPlNS0_8identityImEEEE10hipError_tT2_T3_mT4_P12ihipStream_tbEUlT_E_NS1_11comp_targetILNS1_3genE3ELNS1_11target_archE908ELNS1_3gpuE7ELNS1_3repE0EEENS1_30default_config_static_selectorELNS0_4arch9wavefront6targetE1EEEvT1_
; %bb.0:
	.section	.rodata,"a",@progbits
	.p2align	6, 0x0
	.amdhsa_kernel _ZN7rocprim17ROCPRIM_400000_NS6detail17trampoline_kernelINS0_14default_configENS1_25transform_config_selectorImLb0EEEZNS1_14transform_implILb0ES3_S5_NS0_17constant_iteratorImlEEPlNS0_8identityImEEEE10hipError_tT2_T3_mT4_P12ihipStream_tbEUlT_E_NS1_11comp_targetILNS1_3genE3ELNS1_11target_archE908ELNS1_3gpuE7ELNS1_3repE0EEENS1_30default_config_static_selectorELNS0_4arch9wavefront6targetE1EEEvT1_
		.amdhsa_group_segment_fixed_size 0
		.amdhsa_private_segment_fixed_size 0
		.amdhsa_kernarg_size 48
		.amdhsa_user_sgpr_count 6
		.amdhsa_user_sgpr_private_segment_buffer 1
		.amdhsa_user_sgpr_dispatch_ptr 0
		.amdhsa_user_sgpr_queue_ptr 0
		.amdhsa_user_sgpr_kernarg_segment_ptr 1
		.amdhsa_user_sgpr_dispatch_id 0
		.amdhsa_user_sgpr_flat_scratch_init 0
		.amdhsa_user_sgpr_kernarg_preload_length 0
		.amdhsa_user_sgpr_kernarg_preload_offset 0
		.amdhsa_user_sgpr_private_segment_size 0
		.amdhsa_uses_dynamic_stack 0
		.amdhsa_system_sgpr_private_segment_wavefront_offset 0
		.amdhsa_system_sgpr_workgroup_id_x 1
		.amdhsa_system_sgpr_workgroup_id_y 0
		.amdhsa_system_sgpr_workgroup_id_z 0
		.amdhsa_system_sgpr_workgroup_info 0
		.amdhsa_system_vgpr_workitem_id 0
		.amdhsa_next_free_vgpr 1
		.amdhsa_next_free_sgpr 0
		.amdhsa_accum_offset 4
		.amdhsa_reserve_vcc 0
		.amdhsa_reserve_flat_scratch 0
		.amdhsa_float_round_mode_32 0
		.amdhsa_float_round_mode_16_64 0
		.amdhsa_float_denorm_mode_32 3
		.amdhsa_float_denorm_mode_16_64 3
		.amdhsa_dx10_clamp 1
		.amdhsa_ieee_mode 1
		.amdhsa_fp16_overflow 0
		.amdhsa_tg_split 0
		.amdhsa_exception_fp_ieee_invalid_op 0
		.amdhsa_exception_fp_denorm_src 0
		.amdhsa_exception_fp_ieee_div_zero 0
		.amdhsa_exception_fp_ieee_overflow 0
		.amdhsa_exception_fp_ieee_underflow 0
		.amdhsa_exception_fp_ieee_inexact 0
		.amdhsa_exception_int_div_zero 0
	.end_amdhsa_kernel
	.section	.text._ZN7rocprim17ROCPRIM_400000_NS6detail17trampoline_kernelINS0_14default_configENS1_25transform_config_selectorImLb0EEEZNS1_14transform_implILb0ES3_S5_NS0_17constant_iteratorImlEEPlNS0_8identityImEEEE10hipError_tT2_T3_mT4_P12ihipStream_tbEUlT_E_NS1_11comp_targetILNS1_3genE3ELNS1_11target_archE908ELNS1_3gpuE7ELNS1_3repE0EEENS1_30default_config_static_selectorELNS0_4arch9wavefront6targetE1EEEvT1_,"axG",@progbits,_ZN7rocprim17ROCPRIM_400000_NS6detail17trampoline_kernelINS0_14default_configENS1_25transform_config_selectorImLb0EEEZNS1_14transform_implILb0ES3_S5_NS0_17constant_iteratorImlEEPlNS0_8identityImEEEE10hipError_tT2_T3_mT4_P12ihipStream_tbEUlT_E_NS1_11comp_targetILNS1_3genE3ELNS1_11target_archE908ELNS1_3gpuE7ELNS1_3repE0EEENS1_30default_config_static_selectorELNS0_4arch9wavefront6targetE1EEEvT1_,comdat
.Lfunc_end51:
	.size	_ZN7rocprim17ROCPRIM_400000_NS6detail17trampoline_kernelINS0_14default_configENS1_25transform_config_selectorImLb0EEEZNS1_14transform_implILb0ES3_S5_NS0_17constant_iteratorImlEEPlNS0_8identityImEEEE10hipError_tT2_T3_mT4_P12ihipStream_tbEUlT_E_NS1_11comp_targetILNS1_3genE3ELNS1_11target_archE908ELNS1_3gpuE7ELNS1_3repE0EEENS1_30default_config_static_selectorELNS0_4arch9wavefront6targetE1EEEvT1_, .Lfunc_end51-_ZN7rocprim17ROCPRIM_400000_NS6detail17trampoline_kernelINS0_14default_configENS1_25transform_config_selectorImLb0EEEZNS1_14transform_implILb0ES3_S5_NS0_17constant_iteratorImlEEPlNS0_8identityImEEEE10hipError_tT2_T3_mT4_P12ihipStream_tbEUlT_E_NS1_11comp_targetILNS1_3genE3ELNS1_11target_archE908ELNS1_3gpuE7ELNS1_3repE0EEENS1_30default_config_static_selectorELNS0_4arch9wavefront6targetE1EEEvT1_
                                        ; -- End function
	.section	.AMDGPU.csdata,"",@progbits
; Kernel info:
; codeLenInByte = 0
; NumSgprs: 4
; NumVgprs: 0
; NumAgprs: 0
; TotalNumVgprs: 0
; ScratchSize: 0
; MemoryBound: 0
; FloatMode: 240
; IeeeMode: 1
; LDSByteSize: 0 bytes/workgroup (compile time only)
; SGPRBlocks: 0
; VGPRBlocks: 0
; NumSGPRsForWavesPerEU: 4
; NumVGPRsForWavesPerEU: 1
; AccumOffset: 4
; Occupancy: 8
; WaveLimiterHint : 0
; COMPUTE_PGM_RSRC2:SCRATCH_EN: 0
; COMPUTE_PGM_RSRC2:USER_SGPR: 6
; COMPUTE_PGM_RSRC2:TRAP_HANDLER: 0
; COMPUTE_PGM_RSRC2:TGID_X_EN: 1
; COMPUTE_PGM_RSRC2:TGID_Y_EN: 0
; COMPUTE_PGM_RSRC2:TGID_Z_EN: 0
; COMPUTE_PGM_RSRC2:TIDIG_COMP_CNT: 0
; COMPUTE_PGM_RSRC3_GFX90A:ACCUM_OFFSET: 0
; COMPUTE_PGM_RSRC3_GFX90A:TG_SPLIT: 0
	.section	.text._ZN7rocprim17ROCPRIM_400000_NS6detail17trampoline_kernelINS0_14default_configENS1_25transform_config_selectorImLb0EEEZNS1_14transform_implILb0ES3_S5_NS0_17constant_iteratorImlEEPlNS0_8identityImEEEE10hipError_tT2_T3_mT4_P12ihipStream_tbEUlT_E_NS1_11comp_targetILNS1_3genE2ELNS1_11target_archE906ELNS1_3gpuE6ELNS1_3repE0EEENS1_30default_config_static_selectorELNS0_4arch9wavefront6targetE1EEEvT1_,"axG",@progbits,_ZN7rocprim17ROCPRIM_400000_NS6detail17trampoline_kernelINS0_14default_configENS1_25transform_config_selectorImLb0EEEZNS1_14transform_implILb0ES3_S5_NS0_17constant_iteratorImlEEPlNS0_8identityImEEEE10hipError_tT2_T3_mT4_P12ihipStream_tbEUlT_E_NS1_11comp_targetILNS1_3genE2ELNS1_11target_archE906ELNS1_3gpuE6ELNS1_3repE0EEENS1_30default_config_static_selectorELNS0_4arch9wavefront6targetE1EEEvT1_,comdat
	.protected	_ZN7rocprim17ROCPRIM_400000_NS6detail17trampoline_kernelINS0_14default_configENS1_25transform_config_selectorImLb0EEEZNS1_14transform_implILb0ES3_S5_NS0_17constant_iteratorImlEEPlNS0_8identityImEEEE10hipError_tT2_T3_mT4_P12ihipStream_tbEUlT_E_NS1_11comp_targetILNS1_3genE2ELNS1_11target_archE906ELNS1_3gpuE6ELNS1_3repE0EEENS1_30default_config_static_selectorELNS0_4arch9wavefront6targetE1EEEvT1_ ; -- Begin function _ZN7rocprim17ROCPRIM_400000_NS6detail17trampoline_kernelINS0_14default_configENS1_25transform_config_selectorImLb0EEEZNS1_14transform_implILb0ES3_S5_NS0_17constant_iteratorImlEEPlNS0_8identityImEEEE10hipError_tT2_T3_mT4_P12ihipStream_tbEUlT_E_NS1_11comp_targetILNS1_3genE2ELNS1_11target_archE906ELNS1_3gpuE6ELNS1_3repE0EEENS1_30default_config_static_selectorELNS0_4arch9wavefront6targetE1EEEvT1_
	.globl	_ZN7rocprim17ROCPRIM_400000_NS6detail17trampoline_kernelINS0_14default_configENS1_25transform_config_selectorImLb0EEEZNS1_14transform_implILb0ES3_S5_NS0_17constant_iteratorImlEEPlNS0_8identityImEEEE10hipError_tT2_T3_mT4_P12ihipStream_tbEUlT_E_NS1_11comp_targetILNS1_3genE2ELNS1_11target_archE906ELNS1_3gpuE6ELNS1_3repE0EEENS1_30default_config_static_selectorELNS0_4arch9wavefront6targetE1EEEvT1_
	.p2align	8
	.type	_ZN7rocprim17ROCPRIM_400000_NS6detail17trampoline_kernelINS0_14default_configENS1_25transform_config_selectorImLb0EEEZNS1_14transform_implILb0ES3_S5_NS0_17constant_iteratorImlEEPlNS0_8identityImEEEE10hipError_tT2_T3_mT4_P12ihipStream_tbEUlT_E_NS1_11comp_targetILNS1_3genE2ELNS1_11target_archE906ELNS1_3gpuE6ELNS1_3repE0EEENS1_30default_config_static_selectorELNS0_4arch9wavefront6targetE1EEEvT1_,@function
_ZN7rocprim17ROCPRIM_400000_NS6detail17trampoline_kernelINS0_14default_configENS1_25transform_config_selectorImLb0EEEZNS1_14transform_implILb0ES3_S5_NS0_17constant_iteratorImlEEPlNS0_8identityImEEEE10hipError_tT2_T3_mT4_P12ihipStream_tbEUlT_E_NS1_11comp_targetILNS1_3genE2ELNS1_11target_archE906ELNS1_3gpuE6ELNS1_3repE0EEENS1_30default_config_static_selectorELNS0_4arch9wavefront6targetE1EEEvT1_: ; @_ZN7rocprim17ROCPRIM_400000_NS6detail17trampoline_kernelINS0_14default_configENS1_25transform_config_selectorImLb0EEEZNS1_14transform_implILb0ES3_S5_NS0_17constant_iteratorImlEEPlNS0_8identityImEEEE10hipError_tT2_T3_mT4_P12ihipStream_tbEUlT_E_NS1_11comp_targetILNS1_3genE2ELNS1_11target_archE906ELNS1_3gpuE6ELNS1_3repE0EEENS1_30default_config_static_selectorELNS0_4arch9wavefront6targetE1EEEvT1_
; %bb.0:
	.section	.rodata,"a",@progbits
	.p2align	6, 0x0
	.amdhsa_kernel _ZN7rocprim17ROCPRIM_400000_NS6detail17trampoline_kernelINS0_14default_configENS1_25transform_config_selectorImLb0EEEZNS1_14transform_implILb0ES3_S5_NS0_17constant_iteratorImlEEPlNS0_8identityImEEEE10hipError_tT2_T3_mT4_P12ihipStream_tbEUlT_E_NS1_11comp_targetILNS1_3genE2ELNS1_11target_archE906ELNS1_3gpuE6ELNS1_3repE0EEENS1_30default_config_static_selectorELNS0_4arch9wavefront6targetE1EEEvT1_
		.amdhsa_group_segment_fixed_size 0
		.amdhsa_private_segment_fixed_size 0
		.amdhsa_kernarg_size 48
		.amdhsa_user_sgpr_count 6
		.amdhsa_user_sgpr_private_segment_buffer 1
		.amdhsa_user_sgpr_dispatch_ptr 0
		.amdhsa_user_sgpr_queue_ptr 0
		.amdhsa_user_sgpr_kernarg_segment_ptr 1
		.amdhsa_user_sgpr_dispatch_id 0
		.amdhsa_user_sgpr_flat_scratch_init 0
		.amdhsa_user_sgpr_kernarg_preload_length 0
		.amdhsa_user_sgpr_kernarg_preload_offset 0
		.amdhsa_user_sgpr_private_segment_size 0
		.amdhsa_uses_dynamic_stack 0
		.amdhsa_system_sgpr_private_segment_wavefront_offset 0
		.amdhsa_system_sgpr_workgroup_id_x 1
		.amdhsa_system_sgpr_workgroup_id_y 0
		.amdhsa_system_sgpr_workgroup_id_z 0
		.amdhsa_system_sgpr_workgroup_info 0
		.amdhsa_system_vgpr_workitem_id 0
		.amdhsa_next_free_vgpr 1
		.amdhsa_next_free_sgpr 0
		.amdhsa_accum_offset 4
		.amdhsa_reserve_vcc 0
		.amdhsa_reserve_flat_scratch 0
		.amdhsa_float_round_mode_32 0
		.amdhsa_float_round_mode_16_64 0
		.amdhsa_float_denorm_mode_32 3
		.amdhsa_float_denorm_mode_16_64 3
		.amdhsa_dx10_clamp 1
		.amdhsa_ieee_mode 1
		.amdhsa_fp16_overflow 0
		.amdhsa_tg_split 0
		.amdhsa_exception_fp_ieee_invalid_op 0
		.amdhsa_exception_fp_denorm_src 0
		.amdhsa_exception_fp_ieee_div_zero 0
		.amdhsa_exception_fp_ieee_overflow 0
		.amdhsa_exception_fp_ieee_underflow 0
		.amdhsa_exception_fp_ieee_inexact 0
		.amdhsa_exception_int_div_zero 0
	.end_amdhsa_kernel
	.section	.text._ZN7rocprim17ROCPRIM_400000_NS6detail17trampoline_kernelINS0_14default_configENS1_25transform_config_selectorImLb0EEEZNS1_14transform_implILb0ES3_S5_NS0_17constant_iteratorImlEEPlNS0_8identityImEEEE10hipError_tT2_T3_mT4_P12ihipStream_tbEUlT_E_NS1_11comp_targetILNS1_3genE2ELNS1_11target_archE906ELNS1_3gpuE6ELNS1_3repE0EEENS1_30default_config_static_selectorELNS0_4arch9wavefront6targetE1EEEvT1_,"axG",@progbits,_ZN7rocprim17ROCPRIM_400000_NS6detail17trampoline_kernelINS0_14default_configENS1_25transform_config_selectorImLb0EEEZNS1_14transform_implILb0ES3_S5_NS0_17constant_iteratorImlEEPlNS0_8identityImEEEE10hipError_tT2_T3_mT4_P12ihipStream_tbEUlT_E_NS1_11comp_targetILNS1_3genE2ELNS1_11target_archE906ELNS1_3gpuE6ELNS1_3repE0EEENS1_30default_config_static_selectorELNS0_4arch9wavefront6targetE1EEEvT1_,comdat
.Lfunc_end52:
	.size	_ZN7rocprim17ROCPRIM_400000_NS6detail17trampoline_kernelINS0_14default_configENS1_25transform_config_selectorImLb0EEEZNS1_14transform_implILb0ES3_S5_NS0_17constant_iteratorImlEEPlNS0_8identityImEEEE10hipError_tT2_T3_mT4_P12ihipStream_tbEUlT_E_NS1_11comp_targetILNS1_3genE2ELNS1_11target_archE906ELNS1_3gpuE6ELNS1_3repE0EEENS1_30default_config_static_selectorELNS0_4arch9wavefront6targetE1EEEvT1_, .Lfunc_end52-_ZN7rocprim17ROCPRIM_400000_NS6detail17trampoline_kernelINS0_14default_configENS1_25transform_config_selectorImLb0EEEZNS1_14transform_implILb0ES3_S5_NS0_17constant_iteratorImlEEPlNS0_8identityImEEEE10hipError_tT2_T3_mT4_P12ihipStream_tbEUlT_E_NS1_11comp_targetILNS1_3genE2ELNS1_11target_archE906ELNS1_3gpuE6ELNS1_3repE0EEENS1_30default_config_static_selectorELNS0_4arch9wavefront6targetE1EEEvT1_
                                        ; -- End function
	.section	.AMDGPU.csdata,"",@progbits
; Kernel info:
; codeLenInByte = 0
; NumSgprs: 4
; NumVgprs: 0
; NumAgprs: 0
; TotalNumVgprs: 0
; ScratchSize: 0
; MemoryBound: 0
; FloatMode: 240
; IeeeMode: 1
; LDSByteSize: 0 bytes/workgroup (compile time only)
; SGPRBlocks: 0
; VGPRBlocks: 0
; NumSGPRsForWavesPerEU: 4
; NumVGPRsForWavesPerEU: 1
; AccumOffset: 4
; Occupancy: 8
; WaveLimiterHint : 0
; COMPUTE_PGM_RSRC2:SCRATCH_EN: 0
; COMPUTE_PGM_RSRC2:USER_SGPR: 6
; COMPUTE_PGM_RSRC2:TRAP_HANDLER: 0
; COMPUTE_PGM_RSRC2:TGID_X_EN: 1
; COMPUTE_PGM_RSRC2:TGID_Y_EN: 0
; COMPUTE_PGM_RSRC2:TGID_Z_EN: 0
; COMPUTE_PGM_RSRC2:TIDIG_COMP_CNT: 0
; COMPUTE_PGM_RSRC3_GFX90A:ACCUM_OFFSET: 0
; COMPUTE_PGM_RSRC3_GFX90A:TG_SPLIT: 0
	.section	.text._ZN7rocprim17ROCPRIM_400000_NS6detail17trampoline_kernelINS0_14default_configENS1_25transform_config_selectorImLb0EEEZNS1_14transform_implILb0ES3_S5_NS0_17constant_iteratorImlEEPlNS0_8identityImEEEE10hipError_tT2_T3_mT4_P12ihipStream_tbEUlT_E_NS1_11comp_targetILNS1_3genE10ELNS1_11target_archE1201ELNS1_3gpuE5ELNS1_3repE0EEENS1_30default_config_static_selectorELNS0_4arch9wavefront6targetE1EEEvT1_,"axG",@progbits,_ZN7rocprim17ROCPRIM_400000_NS6detail17trampoline_kernelINS0_14default_configENS1_25transform_config_selectorImLb0EEEZNS1_14transform_implILb0ES3_S5_NS0_17constant_iteratorImlEEPlNS0_8identityImEEEE10hipError_tT2_T3_mT4_P12ihipStream_tbEUlT_E_NS1_11comp_targetILNS1_3genE10ELNS1_11target_archE1201ELNS1_3gpuE5ELNS1_3repE0EEENS1_30default_config_static_selectorELNS0_4arch9wavefront6targetE1EEEvT1_,comdat
	.protected	_ZN7rocprim17ROCPRIM_400000_NS6detail17trampoline_kernelINS0_14default_configENS1_25transform_config_selectorImLb0EEEZNS1_14transform_implILb0ES3_S5_NS0_17constant_iteratorImlEEPlNS0_8identityImEEEE10hipError_tT2_T3_mT4_P12ihipStream_tbEUlT_E_NS1_11comp_targetILNS1_3genE10ELNS1_11target_archE1201ELNS1_3gpuE5ELNS1_3repE0EEENS1_30default_config_static_selectorELNS0_4arch9wavefront6targetE1EEEvT1_ ; -- Begin function _ZN7rocprim17ROCPRIM_400000_NS6detail17trampoline_kernelINS0_14default_configENS1_25transform_config_selectorImLb0EEEZNS1_14transform_implILb0ES3_S5_NS0_17constant_iteratorImlEEPlNS0_8identityImEEEE10hipError_tT2_T3_mT4_P12ihipStream_tbEUlT_E_NS1_11comp_targetILNS1_3genE10ELNS1_11target_archE1201ELNS1_3gpuE5ELNS1_3repE0EEENS1_30default_config_static_selectorELNS0_4arch9wavefront6targetE1EEEvT1_
	.globl	_ZN7rocprim17ROCPRIM_400000_NS6detail17trampoline_kernelINS0_14default_configENS1_25transform_config_selectorImLb0EEEZNS1_14transform_implILb0ES3_S5_NS0_17constant_iteratorImlEEPlNS0_8identityImEEEE10hipError_tT2_T3_mT4_P12ihipStream_tbEUlT_E_NS1_11comp_targetILNS1_3genE10ELNS1_11target_archE1201ELNS1_3gpuE5ELNS1_3repE0EEENS1_30default_config_static_selectorELNS0_4arch9wavefront6targetE1EEEvT1_
	.p2align	8
	.type	_ZN7rocprim17ROCPRIM_400000_NS6detail17trampoline_kernelINS0_14default_configENS1_25transform_config_selectorImLb0EEEZNS1_14transform_implILb0ES3_S5_NS0_17constant_iteratorImlEEPlNS0_8identityImEEEE10hipError_tT2_T3_mT4_P12ihipStream_tbEUlT_E_NS1_11comp_targetILNS1_3genE10ELNS1_11target_archE1201ELNS1_3gpuE5ELNS1_3repE0EEENS1_30default_config_static_selectorELNS0_4arch9wavefront6targetE1EEEvT1_,@function
_ZN7rocprim17ROCPRIM_400000_NS6detail17trampoline_kernelINS0_14default_configENS1_25transform_config_selectorImLb0EEEZNS1_14transform_implILb0ES3_S5_NS0_17constant_iteratorImlEEPlNS0_8identityImEEEE10hipError_tT2_T3_mT4_P12ihipStream_tbEUlT_E_NS1_11comp_targetILNS1_3genE10ELNS1_11target_archE1201ELNS1_3gpuE5ELNS1_3repE0EEENS1_30default_config_static_selectorELNS0_4arch9wavefront6targetE1EEEvT1_: ; @_ZN7rocprim17ROCPRIM_400000_NS6detail17trampoline_kernelINS0_14default_configENS1_25transform_config_selectorImLb0EEEZNS1_14transform_implILb0ES3_S5_NS0_17constant_iteratorImlEEPlNS0_8identityImEEEE10hipError_tT2_T3_mT4_P12ihipStream_tbEUlT_E_NS1_11comp_targetILNS1_3genE10ELNS1_11target_archE1201ELNS1_3gpuE5ELNS1_3repE0EEENS1_30default_config_static_selectorELNS0_4arch9wavefront6targetE1EEEvT1_
; %bb.0:
	.section	.rodata,"a",@progbits
	.p2align	6, 0x0
	.amdhsa_kernel _ZN7rocprim17ROCPRIM_400000_NS6detail17trampoline_kernelINS0_14default_configENS1_25transform_config_selectorImLb0EEEZNS1_14transform_implILb0ES3_S5_NS0_17constant_iteratorImlEEPlNS0_8identityImEEEE10hipError_tT2_T3_mT4_P12ihipStream_tbEUlT_E_NS1_11comp_targetILNS1_3genE10ELNS1_11target_archE1201ELNS1_3gpuE5ELNS1_3repE0EEENS1_30default_config_static_selectorELNS0_4arch9wavefront6targetE1EEEvT1_
		.amdhsa_group_segment_fixed_size 0
		.amdhsa_private_segment_fixed_size 0
		.amdhsa_kernarg_size 48
		.amdhsa_user_sgpr_count 6
		.amdhsa_user_sgpr_private_segment_buffer 1
		.amdhsa_user_sgpr_dispatch_ptr 0
		.amdhsa_user_sgpr_queue_ptr 0
		.amdhsa_user_sgpr_kernarg_segment_ptr 1
		.amdhsa_user_sgpr_dispatch_id 0
		.amdhsa_user_sgpr_flat_scratch_init 0
		.amdhsa_user_sgpr_kernarg_preload_length 0
		.amdhsa_user_sgpr_kernarg_preload_offset 0
		.amdhsa_user_sgpr_private_segment_size 0
		.amdhsa_uses_dynamic_stack 0
		.amdhsa_system_sgpr_private_segment_wavefront_offset 0
		.amdhsa_system_sgpr_workgroup_id_x 1
		.amdhsa_system_sgpr_workgroup_id_y 0
		.amdhsa_system_sgpr_workgroup_id_z 0
		.amdhsa_system_sgpr_workgroup_info 0
		.amdhsa_system_vgpr_workitem_id 0
		.amdhsa_next_free_vgpr 1
		.amdhsa_next_free_sgpr 0
		.amdhsa_accum_offset 4
		.amdhsa_reserve_vcc 0
		.amdhsa_reserve_flat_scratch 0
		.amdhsa_float_round_mode_32 0
		.amdhsa_float_round_mode_16_64 0
		.amdhsa_float_denorm_mode_32 3
		.amdhsa_float_denorm_mode_16_64 3
		.amdhsa_dx10_clamp 1
		.amdhsa_ieee_mode 1
		.amdhsa_fp16_overflow 0
		.amdhsa_tg_split 0
		.amdhsa_exception_fp_ieee_invalid_op 0
		.amdhsa_exception_fp_denorm_src 0
		.amdhsa_exception_fp_ieee_div_zero 0
		.amdhsa_exception_fp_ieee_overflow 0
		.amdhsa_exception_fp_ieee_underflow 0
		.amdhsa_exception_fp_ieee_inexact 0
		.amdhsa_exception_int_div_zero 0
	.end_amdhsa_kernel
	.section	.text._ZN7rocprim17ROCPRIM_400000_NS6detail17trampoline_kernelINS0_14default_configENS1_25transform_config_selectorImLb0EEEZNS1_14transform_implILb0ES3_S5_NS0_17constant_iteratorImlEEPlNS0_8identityImEEEE10hipError_tT2_T3_mT4_P12ihipStream_tbEUlT_E_NS1_11comp_targetILNS1_3genE10ELNS1_11target_archE1201ELNS1_3gpuE5ELNS1_3repE0EEENS1_30default_config_static_selectorELNS0_4arch9wavefront6targetE1EEEvT1_,"axG",@progbits,_ZN7rocprim17ROCPRIM_400000_NS6detail17trampoline_kernelINS0_14default_configENS1_25transform_config_selectorImLb0EEEZNS1_14transform_implILb0ES3_S5_NS0_17constant_iteratorImlEEPlNS0_8identityImEEEE10hipError_tT2_T3_mT4_P12ihipStream_tbEUlT_E_NS1_11comp_targetILNS1_3genE10ELNS1_11target_archE1201ELNS1_3gpuE5ELNS1_3repE0EEENS1_30default_config_static_selectorELNS0_4arch9wavefront6targetE1EEEvT1_,comdat
.Lfunc_end53:
	.size	_ZN7rocprim17ROCPRIM_400000_NS6detail17trampoline_kernelINS0_14default_configENS1_25transform_config_selectorImLb0EEEZNS1_14transform_implILb0ES3_S5_NS0_17constant_iteratorImlEEPlNS0_8identityImEEEE10hipError_tT2_T3_mT4_P12ihipStream_tbEUlT_E_NS1_11comp_targetILNS1_3genE10ELNS1_11target_archE1201ELNS1_3gpuE5ELNS1_3repE0EEENS1_30default_config_static_selectorELNS0_4arch9wavefront6targetE1EEEvT1_, .Lfunc_end53-_ZN7rocprim17ROCPRIM_400000_NS6detail17trampoline_kernelINS0_14default_configENS1_25transform_config_selectorImLb0EEEZNS1_14transform_implILb0ES3_S5_NS0_17constant_iteratorImlEEPlNS0_8identityImEEEE10hipError_tT2_T3_mT4_P12ihipStream_tbEUlT_E_NS1_11comp_targetILNS1_3genE10ELNS1_11target_archE1201ELNS1_3gpuE5ELNS1_3repE0EEENS1_30default_config_static_selectorELNS0_4arch9wavefront6targetE1EEEvT1_
                                        ; -- End function
	.section	.AMDGPU.csdata,"",@progbits
; Kernel info:
; codeLenInByte = 0
; NumSgprs: 4
; NumVgprs: 0
; NumAgprs: 0
; TotalNumVgprs: 0
; ScratchSize: 0
; MemoryBound: 0
; FloatMode: 240
; IeeeMode: 1
; LDSByteSize: 0 bytes/workgroup (compile time only)
; SGPRBlocks: 0
; VGPRBlocks: 0
; NumSGPRsForWavesPerEU: 4
; NumVGPRsForWavesPerEU: 1
; AccumOffset: 4
; Occupancy: 8
; WaveLimiterHint : 0
; COMPUTE_PGM_RSRC2:SCRATCH_EN: 0
; COMPUTE_PGM_RSRC2:USER_SGPR: 6
; COMPUTE_PGM_RSRC2:TRAP_HANDLER: 0
; COMPUTE_PGM_RSRC2:TGID_X_EN: 1
; COMPUTE_PGM_RSRC2:TGID_Y_EN: 0
; COMPUTE_PGM_RSRC2:TGID_Z_EN: 0
; COMPUTE_PGM_RSRC2:TIDIG_COMP_CNT: 0
; COMPUTE_PGM_RSRC3_GFX90A:ACCUM_OFFSET: 0
; COMPUTE_PGM_RSRC3_GFX90A:TG_SPLIT: 0
	.section	.text._ZN7rocprim17ROCPRIM_400000_NS6detail17trampoline_kernelINS0_14default_configENS1_25transform_config_selectorImLb0EEEZNS1_14transform_implILb0ES3_S5_NS0_17constant_iteratorImlEEPlNS0_8identityImEEEE10hipError_tT2_T3_mT4_P12ihipStream_tbEUlT_E_NS1_11comp_targetILNS1_3genE10ELNS1_11target_archE1200ELNS1_3gpuE4ELNS1_3repE0EEENS1_30default_config_static_selectorELNS0_4arch9wavefront6targetE1EEEvT1_,"axG",@progbits,_ZN7rocprim17ROCPRIM_400000_NS6detail17trampoline_kernelINS0_14default_configENS1_25transform_config_selectorImLb0EEEZNS1_14transform_implILb0ES3_S5_NS0_17constant_iteratorImlEEPlNS0_8identityImEEEE10hipError_tT2_T3_mT4_P12ihipStream_tbEUlT_E_NS1_11comp_targetILNS1_3genE10ELNS1_11target_archE1200ELNS1_3gpuE4ELNS1_3repE0EEENS1_30default_config_static_selectorELNS0_4arch9wavefront6targetE1EEEvT1_,comdat
	.protected	_ZN7rocprim17ROCPRIM_400000_NS6detail17trampoline_kernelINS0_14default_configENS1_25transform_config_selectorImLb0EEEZNS1_14transform_implILb0ES3_S5_NS0_17constant_iteratorImlEEPlNS0_8identityImEEEE10hipError_tT2_T3_mT4_P12ihipStream_tbEUlT_E_NS1_11comp_targetILNS1_3genE10ELNS1_11target_archE1200ELNS1_3gpuE4ELNS1_3repE0EEENS1_30default_config_static_selectorELNS0_4arch9wavefront6targetE1EEEvT1_ ; -- Begin function _ZN7rocprim17ROCPRIM_400000_NS6detail17trampoline_kernelINS0_14default_configENS1_25transform_config_selectorImLb0EEEZNS1_14transform_implILb0ES3_S5_NS0_17constant_iteratorImlEEPlNS0_8identityImEEEE10hipError_tT2_T3_mT4_P12ihipStream_tbEUlT_E_NS1_11comp_targetILNS1_3genE10ELNS1_11target_archE1200ELNS1_3gpuE4ELNS1_3repE0EEENS1_30default_config_static_selectorELNS0_4arch9wavefront6targetE1EEEvT1_
	.globl	_ZN7rocprim17ROCPRIM_400000_NS6detail17trampoline_kernelINS0_14default_configENS1_25transform_config_selectorImLb0EEEZNS1_14transform_implILb0ES3_S5_NS0_17constant_iteratorImlEEPlNS0_8identityImEEEE10hipError_tT2_T3_mT4_P12ihipStream_tbEUlT_E_NS1_11comp_targetILNS1_3genE10ELNS1_11target_archE1200ELNS1_3gpuE4ELNS1_3repE0EEENS1_30default_config_static_selectorELNS0_4arch9wavefront6targetE1EEEvT1_
	.p2align	8
	.type	_ZN7rocprim17ROCPRIM_400000_NS6detail17trampoline_kernelINS0_14default_configENS1_25transform_config_selectorImLb0EEEZNS1_14transform_implILb0ES3_S5_NS0_17constant_iteratorImlEEPlNS0_8identityImEEEE10hipError_tT2_T3_mT4_P12ihipStream_tbEUlT_E_NS1_11comp_targetILNS1_3genE10ELNS1_11target_archE1200ELNS1_3gpuE4ELNS1_3repE0EEENS1_30default_config_static_selectorELNS0_4arch9wavefront6targetE1EEEvT1_,@function
_ZN7rocprim17ROCPRIM_400000_NS6detail17trampoline_kernelINS0_14default_configENS1_25transform_config_selectorImLb0EEEZNS1_14transform_implILb0ES3_S5_NS0_17constant_iteratorImlEEPlNS0_8identityImEEEE10hipError_tT2_T3_mT4_P12ihipStream_tbEUlT_E_NS1_11comp_targetILNS1_3genE10ELNS1_11target_archE1200ELNS1_3gpuE4ELNS1_3repE0EEENS1_30default_config_static_selectorELNS0_4arch9wavefront6targetE1EEEvT1_: ; @_ZN7rocprim17ROCPRIM_400000_NS6detail17trampoline_kernelINS0_14default_configENS1_25transform_config_selectorImLb0EEEZNS1_14transform_implILb0ES3_S5_NS0_17constant_iteratorImlEEPlNS0_8identityImEEEE10hipError_tT2_T3_mT4_P12ihipStream_tbEUlT_E_NS1_11comp_targetILNS1_3genE10ELNS1_11target_archE1200ELNS1_3gpuE4ELNS1_3repE0EEENS1_30default_config_static_selectorELNS0_4arch9wavefront6targetE1EEEvT1_
; %bb.0:
	.section	.rodata,"a",@progbits
	.p2align	6, 0x0
	.amdhsa_kernel _ZN7rocprim17ROCPRIM_400000_NS6detail17trampoline_kernelINS0_14default_configENS1_25transform_config_selectorImLb0EEEZNS1_14transform_implILb0ES3_S5_NS0_17constant_iteratorImlEEPlNS0_8identityImEEEE10hipError_tT2_T3_mT4_P12ihipStream_tbEUlT_E_NS1_11comp_targetILNS1_3genE10ELNS1_11target_archE1200ELNS1_3gpuE4ELNS1_3repE0EEENS1_30default_config_static_selectorELNS0_4arch9wavefront6targetE1EEEvT1_
		.amdhsa_group_segment_fixed_size 0
		.amdhsa_private_segment_fixed_size 0
		.amdhsa_kernarg_size 48
		.amdhsa_user_sgpr_count 6
		.amdhsa_user_sgpr_private_segment_buffer 1
		.amdhsa_user_sgpr_dispatch_ptr 0
		.amdhsa_user_sgpr_queue_ptr 0
		.amdhsa_user_sgpr_kernarg_segment_ptr 1
		.amdhsa_user_sgpr_dispatch_id 0
		.amdhsa_user_sgpr_flat_scratch_init 0
		.amdhsa_user_sgpr_kernarg_preload_length 0
		.amdhsa_user_sgpr_kernarg_preload_offset 0
		.amdhsa_user_sgpr_private_segment_size 0
		.amdhsa_uses_dynamic_stack 0
		.amdhsa_system_sgpr_private_segment_wavefront_offset 0
		.amdhsa_system_sgpr_workgroup_id_x 1
		.amdhsa_system_sgpr_workgroup_id_y 0
		.amdhsa_system_sgpr_workgroup_id_z 0
		.amdhsa_system_sgpr_workgroup_info 0
		.amdhsa_system_vgpr_workitem_id 0
		.amdhsa_next_free_vgpr 1
		.amdhsa_next_free_sgpr 0
		.amdhsa_accum_offset 4
		.amdhsa_reserve_vcc 0
		.amdhsa_reserve_flat_scratch 0
		.amdhsa_float_round_mode_32 0
		.amdhsa_float_round_mode_16_64 0
		.amdhsa_float_denorm_mode_32 3
		.amdhsa_float_denorm_mode_16_64 3
		.amdhsa_dx10_clamp 1
		.amdhsa_ieee_mode 1
		.amdhsa_fp16_overflow 0
		.amdhsa_tg_split 0
		.amdhsa_exception_fp_ieee_invalid_op 0
		.amdhsa_exception_fp_denorm_src 0
		.amdhsa_exception_fp_ieee_div_zero 0
		.amdhsa_exception_fp_ieee_overflow 0
		.amdhsa_exception_fp_ieee_underflow 0
		.amdhsa_exception_fp_ieee_inexact 0
		.amdhsa_exception_int_div_zero 0
	.end_amdhsa_kernel
	.section	.text._ZN7rocprim17ROCPRIM_400000_NS6detail17trampoline_kernelINS0_14default_configENS1_25transform_config_selectorImLb0EEEZNS1_14transform_implILb0ES3_S5_NS0_17constant_iteratorImlEEPlNS0_8identityImEEEE10hipError_tT2_T3_mT4_P12ihipStream_tbEUlT_E_NS1_11comp_targetILNS1_3genE10ELNS1_11target_archE1200ELNS1_3gpuE4ELNS1_3repE0EEENS1_30default_config_static_selectorELNS0_4arch9wavefront6targetE1EEEvT1_,"axG",@progbits,_ZN7rocprim17ROCPRIM_400000_NS6detail17trampoline_kernelINS0_14default_configENS1_25transform_config_selectorImLb0EEEZNS1_14transform_implILb0ES3_S5_NS0_17constant_iteratorImlEEPlNS0_8identityImEEEE10hipError_tT2_T3_mT4_P12ihipStream_tbEUlT_E_NS1_11comp_targetILNS1_3genE10ELNS1_11target_archE1200ELNS1_3gpuE4ELNS1_3repE0EEENS1_30default_config_static_selectorELNS0_4arch9wavefront6targetE1EEEvT1_,comdat
.Lfunc_end54:
	.size	_ZN7rocprim17ROCPRIM_400000_NS6detail17trampoline_kernelINS0_14default_configENS1_25transform_config_selectorImLb0EEEZNS1_14transform_implILb0ES3_S5_NS0_17constant_iteratorImlEEPlNS0_8identityImEEEE10hipError_tT2_T3_mT4_P12ihipStream_tbEUlT_E_NS1_11comp_targetILNS1_3genE10ELNS1_11target_archE1200ELNS1_3gpuE4ELNS1_3repE0EEENS1_30default_config_static_selectorELNS0_4arch9wavefront6targetE1EEEvT1_, .Lfunc_end54-_ZN7rocprim17ROCPRIM_400000_NS6detail17trampoline_kernelINS0_14default_configENS1_25transform_config_selectorImLb0EEEZNS1_14transform_implILb0ES3_S5_NS0_17constant_iteratorImlEEPlNS0_8identityImEEEE10hipError_tT2_T3_mT4_P12ihipStream_tbEUlT_E_NS1_11comp_targetILNS1_3genE10ELNS1_11target_archE1200ELNS1_3gpuE4ELNS1_3repE0EEENS1_30default_config_static_selectorELNS0_4arch9wavefront6targetE1EEEvT1_
                                        ; -- End function
	.section	.AMDGPU.csdata,"",@progbits
; Kernel info:
; codeLenInByte = 0
; NumSgprs: 4
; NumVgprs: 0
; NumAgprs: 0
; TotalNumVgprs: 0
; ScratchSize: 0
; MemoryBound: 0
; FloatMode: 240
; IeeeMode: 1
; LDSByteSize: 0 bytes/workgroup (compile time only)
; SGPRBlocks: 0
; VGPRBlocks: 0
; NumSGPRsForWavesPerEU: 4
; NumVGPRsForWavesPerEU: 1
; AccumOffset: 4
; Occupancy: 8
; WaveLimiterHint : 0
; COMPUTE_PGM_RSRC2:SCRATCH_EN: 0
; COMPUTE_PGM_RSRC2:USER_SGPR: 6
; COMPUTE_PGM_RSRC2:TRAP_HANDLER: 0
; COMPUTE_PGM_RSRC2:TGID_X_EN: 1
; COMPUTE_PGM_RSRC2:TGID_Y_EN: 0
; COMPUTE_PGM_RSRC2:TGID_Z_EN: 0
; COMPUTE_PGM_RSRC2:TIDIG_COMP_CNT: 0
; COMPUTE_PGM_RSRC3_GFX90A:ACCUM_OFFSET: 0
; COMPUTE_PGM_RSRC3_GFX90A:TG_SPLIT: 0
	.section	.text._ZN7rocprim17ROCPRIM_400000_NS6detail17trampoline_kernelINS0_14default_configENS1_25transform_config_selectorImLb0EEEZNS1_14transform_implILb0ES3_S5_NS0_17constant_iteratorImlEEPlNS0_8identityImEEEE10hipError_tT2_T3_mT4_P12ihipStream_tbEUlT_E_NS1_11comp_targetILNS1_3genE9ELNS1_11target_archE1100ELNS1_3gpuE3ELNS1_3repE0EEENS1_30default_config_static_selectorELNS0_4arch9wavefront6targetE1EEEvT1_,"axG",@progbits,_ZN7rocprim17ROCPRIM_400000_NS6detail17trampoline_kernelINS0_14default_configENS1_25transform_config_selectorImLb0EEEZNS1_14transform_implILb0ES3_S5_NS0_17constant_iteratorImlEEPlNS0_8identityImEEEE10hipError_tT2_T3_mT4_P12ihipStream_tbEUlT_E_NS1_11comp_targetILNS1_3genE9ELNS1_11target_archE1100ELNS1_3gpuE3ELNS1_3repE0EEENS1_30default_config_static_selectorELNS0_4arch9wavefront6targetE1EEEvT1_,comdat
	.protected	_ZN7rocprim17ROCPRIM_400000_NS6detail17trampoline_kernelINS0_14default_configENS1_25transform_config_selectorImLb0EEEZNS1_14transform_implILb0ES3_S5_NS0_17constant_iteratorImlEEPlNS0_8identityImEEEE10hipError_tT2_T3_mT4_P12ihipStream_tbEUlT_E_NS1_11comp_targetILNS1_3genE9ELNS1_11target_archE1100ELNS1_3gpuE3ELNS1_3repE0EEENS1_30default_config_static_selectorELNS0_4arch9wavefront6targetE1EEEvT1_ ; -- Begin function _ZN7rocprim17ROCPRIM_400000_NS6detail17trampoline_kernelINS0_14default_configENS1_25transform_config_selectorImLb0EEEZNS1_14transform_implILb0ES3_S5_NS0_17constant_iteratorImlEEPlNS0_8identityImEEEE10hipError_tT2_T3_mT4_P12ihipStream_tbEUlT_E_NS1_11comp_targetILNS1_3genE9ELNS1_11target_archE1100ELNS1_3gpuE3ELNS1_3repE0EEENS1_30default_config_static_selectorELNS0_4arch9wavefront6targetE1EEEvT1_
	.globl	_ZN7rocprim17ROCPRIM_400000_NS6detail17trampoline_kernelINS0_14default_configENS1_25transform_config_selectorImLb0EEEZNS1_14transform_implILb0ES3_S5_NS0_17constant_iteratorImlEEPlNS0_8identityImEEEE10hipError_tT2_T3_mT4_P12ihipStream_tbEUlT_E_NS1_11comp_targetILNS1_3genE9ELNS1_11target_archE1100ELNS1_3gpuE3ELNS1_3repE0EEENS1_30default_config_static_selectorELNS0_4arch9wavefront6targetE1EEEvT1_
	.p2align	8
	.type	_ZN7rocprim17ROCPRIM_400000_NS6detail17trampoline_kernelINS0_14default_configENS1_25transform_config_selectorImLb0EEEZNS1_14transform_implILb0ES3_S5_NS0_17constant_iteratorImlEEPlNS0_8identityImEEEE10hipError_tT2_T3_mT4_P12ihipStream_tbEUlT_E_NS1_11comp_targetILNS1_3genE9ELNS1_11target_archE1100ELNS1_3gpuE3ELNS1_3repE0EEENS1_30default_config_static_selectorELNS0_4arch9wavefront6targetE1EEEvT1_,@function
_ZN7rocprim17ROCPRIM_400000_NS6detail17trampoline_kernelINS0_14default_configENS1_25transform_config_selectorImLb0EEEZNS1_14transform_implILb0ES3_S5_NS0_17constant_iteratorImlEEPlNS0_8identityImEEEE10hipError_tT2_T3_mT4_P12ihipStream_tbEUlT_E_NS1_11comp_targetILNS1_3genE9ELNS1_11target_archE1100ELNS1_3gpuE3ELNS1_3repE0EEENS1_30default_config_static_selectorELNS0_4arch9wavefront6targetE1EEEvT1_: ; @_ZN7rocprim17ROCPRIM_400000_NS6detail17trampoline_kernelINS0_14default_configENS1_25transform_config_selectorImLb0EEEZNS1_14transform_implILb0ES3_S5_NS0_17constant_iteratorImlEEPlNS0_8identityImEEEE10hipError_tT2_T3_mT4_P12ihipStream_tbEUlT_E_NS1_11comp_targetILNS1_3genE9ELNS1_11target_archE1100ELNS1_3gpuE3ELNS1_3repE0EEENS1_30default_config_static_selectorELNS0_4arch9wavefront6targetE1EEEvT1_
; %bb.0:
	.section	.rodata,"a",@progbits
	.p2align	6, 0x0
	.amdhsa_kernel _ZN7rocprim17ROCPRIM_400000_NS6detail17trampoline_kernelINS0_14default_configENS1_25transform_config_selectorImLb0EEEZNS1_14transform_implILb0ES3_S5_NS0_17constant_iteratorImlEEPlNS0_8identityImEEEE10hipError_tT2_T3_mT4_P12ihipStream_tbEUlT_E_NS1_11comp_targetILNS1_3genE9ELNS1_11target_archE1100ELNS1_3gpuE3ELNS1_3repE0EEENS1_30default_config_static_selectorELNS0_4arch9wavefront6targetE1EEEvT1_
		.amdhsa_group_segment_fixed_size 0
		.amdhsa_private_segment_fixed_size 0
		.amdhsa_kernarg_size 48
		.amdhsa_user_sgpr_count 6
		.amdhsa_user_sgpr_private_segment_buffer 1
		.amdhsa_user_sgpr_dispatch_ptr 0
		.amdhsa_user_sgpr_queue_ptr 0
		.amdhsa_user_sgpr_kernarg_segment_ptr 1
		.amdhsa_user_sgpr_dispatch_id 0
		.amdhsa_user_sgpr_flat_scratch_init 0
		.amdhsa_user_sgpr_kernarg_preload_length 0
		.amdhsa_user_sgpr_kernarg_preload_offset 0
		.amdhsa_user_sgpr_private_segment_size 0
		.amdhsa_uses_dynamic_stack 0
		.amdhsa_system_sgpr_private_segment_wavefront_offset 0
		.amdhsa_system_sgpr_workgroup_id_x 1
		.amdhsa_system_sgpr_workgroup_id_y 0
		.amdhsa_system_sgpr_workgroup_id_z 0
		.amdhsa_system_sgpr_workgroup_info 0
		.amdhsa_system_vgpr_workitem_id 0
		.amdhsa_next_free_vgpr 1
		.amdhsa_next_free_sgpr 0
		.amdhsa_accum_offset 4
		.amdhsa_reserve_vcc 0
		.amdhsa_reserve_flat_scratch 0
		.amdhsa_float_round_mode_32 0
		.amdhsa_float_round_mode_16_64 0
		.amdhsa_float_denorm_mode_32 3
		.amdhsa_float_denorm_mode_16_64 3
		.amdhsa_dx10_clamp 1
		.amdhsa_ieee_mode 1
		.amdhsa_fp16_overflow 0
		.amdhsa_tg_split 0
		.amdhsa_exception_fp_ieee_invalid_op 0
		.amdhsa_exception_fp_denorm_src 0
		.amdhsa_exception_fp_ieee_div_zero 0
		.amdhsa_exception_fp_ieee_overflow 0
		.amdhsa_exception_fp_ieee_underflow 0
		.amdhsa_exception_fp_ieee_inexact 0
		.amdhsa_exception_int_div_zero 0
	.end_amdhsa_kernel
	.section	.text._ZN7rocprim17ROCPRIM_400000_NS6detail17trampoline_kernelINS0_14default_configENS1_25transform_config_selectorImLb0EEEZNS1_14transform_implILb0ES3_S5_NS0_17constant_iteratorImlEEPlNS0_8identityImEEEE10hipError_tT2_T3_mT4_P12ihipStream_tbEUlT_E_NS1_11comp_targetILNS1_3genE9ELNS1_11target_archE1100ELNS1_3gpuE3ELNS1_3repE0EEENS1_30default_config_static_selectorELNS0_4arch9wavefront6targetE1EEEvT1_,"axG",@progbits,_ZN7rocprim17ROCPRIM_400000_NS6detail17trampoline_kernelINS0_14default_configENS1_25transform_config_selectorImLb0EEEZNS1_14transform_implILb0ES3_S5_NS0_17constant_iteratorImlEEPlNS0_8identityImEEEE10hipError_tT2_T3_mT4_P12ihipStream_tbEUlT_E_NS1_11comp_targetILNS1_3genE9ELNS1_11target_archE1100ELNS1_3gpuE3ELNS1_3repE0EEENS1_30default_config_static_selectorELNS0_4arch9wavefront6targetE1EEEvT1_,comdat
.Lfunc_end55:
	.size	_ZN7rocprim17ROCPRIM_400000_NS6detail17trampoline_kernelINS0_14default_configENS1_25transform_config_selectorImLb0EEEZNS1_14transform_implILb0ES3_S5_NS0_17constant_iteratorImlEEPlNS0_8identityImEEEE10hipError_tT2_T3_mT4_P12ihipStream_tbEUlT_E_NS1_11comp_targetILNS1_3genE9ELNS1_11target_archE1100ELNS1_3gpuE3ELNS1_3repE0EEENS1_30default_config_static_selectorELNS0_4arch9wavefront6targetE1EEEvT1_, .Lfunc_end55-_ZN7rocprim17ROCPRIM_400000_NS6detail17trampoline_kernelINS0_14default_configENS1_25transform_config_selectorImLb0EEEZNS1_14transform_implILb0ES3_S5_NS0_17constant_iteratorImlEEPlNS0_8identityImEEEE10hipError_tT2_T3_mT4_P12ihipStream_tbEUlT_E_NS1_11comp_targetILNS1_3genE9ELNS1_11target_archE1100ELNS1_3gpuE3ELNS1_3repE0EEENS1_30default_config_static_selectorELNS0_4arch9wavefront6targetE1EEEvT1_
                                        ; -- End function
	.section	.AMDGPU.csdata,"",@progbits
; Kernel info:
; codeLenInByte = 0
; NumSgprs: 4
; NumVgprs: 0
; NumAgprs: 0
; TotalNumVgprs: 0
; ScratchSize: 0
; MemoryBound: 0
; FloatMode: 240
; IeeeMode: 1
; LDSByteSize: 0 bytes/workgroup (compile time only)
; SGPRBlocks: 0
; VGPRBlocks: 0
; NumSGPRsForWavesPerEU: 4
; NumVGPRsForWavesPerEU: 1
; AccumOffset: 4
; Occupancy: 8
; WaveLimiterHint : 0
; COMPUTE_PGM_RSRC2:SCRATCH_EN: 0
; COMPUTE_PGM_RSRC2:USER_SGPR: 6
; COMPUTE_PGM_RSRC2:TRAP_HANDLER: 0
; COMPUTE_PGM_RSRC2:TGID_X_EN: 1
; COMPUTE_PGM_RSRC2:TGID_Y_EN: 0
; COMPUTE_PGM_RSRC2:TGID_Z_EN: 0
; COMPUTE_PGM_RSRC2:TIDIG_COMP_CNT: 0
; COMPUTE_PGM_RSRC3_GFX90A:ACCUM_OFFSET: 0
; COMPUTE_PGM_RSRC3_GFX90A:TG_SPLIT: 0
	.section	.text._ZN7rocprim17ROCPRIM_400000_NS6detail17trampoline_kernelINS0_14default_configENS1_25transform_config_selectorImLb0EEEZNS1_14transform_implILb0ES3_S5_NS0_17constant_iteratorImlEEPlNS0_8identityImEEEE10hipError_tT2_T3_mT4_P12ihipStream_tbEUlT_E_NS1_11comp_targetILNS1_3genE8ELNS1_11target_archE1030ELNS1_3gpuE2ELNS1_3repE0EEENS1_30default_config_static_selectorELNS0_4arch9wavefront6targetE1EEEvT1_,"axG",@progbits,_ZN7rocprim17ROCPRIM_400000_NS6detail17trampoline_kernelINS0_14default_configENS1_25transform_config_selectorImLb0EEEZNS1_14transform_implILb0ES3_S5_NS0_17constant_iteratorImlEEPlNS0_8identityImEEEE10hipError_tT2_T3_mT4_P12ihipStream_tbEUlT_E_NS1_11comp_targetILNS1_3genE8ELNS1_11target_archE1030ELNS1_3gpuE2ELNS1_3repE0EEENS1_30default_config_static_selectorELNS0_4arch9wavefront6targetE1EEEvT1_,comdat
	.protected	_ZN7rocprim17ROCPRIM_400000_NS6detail17trampoline_kernelINS0_14default_configENS1_25transform_config_selectorImLb0EEEZNS1_14transform_implILb0ES3_S5_NS0_17constant_iteratorImlEEPlNS0_8identityImEEEE10hipError_tT2_T3_mT4_P12ihipStream_tbEUlT_E_NS1_11comp_targetILNS1_3genE8ELNS1_11target_archE1030ELNS1_3gpuE2ELNS1_3repE0EEENS1_30default_config_static_selectorELNS0_4arch9wavefront6targetE1EEEvT1_ ; -- Begin function _ZN7rocprim17ROCPRIM_400000_NS6detail17trampoline_kernelINS0_14default_configENS1_25transform_config_selectorImLb0EEEZNS1_14transform_implILb0ES3_S5_NS0_17constant_iteratorImlEEPlNS0_8identityImEEEE10hipError_tT2_T3_mT4_P12ihipStream_tbEUlT_E_NS1_11comp_targetILNS1_3genE8ELNS1_11target_archE1030ELNS1_3gpuE2ELNS1_3repE0EEENS1_30default_config_static_selectorELNS0_4arch9wavefront6targetE1EEEvT1_
	.globl	_ZN7rocprim17ROCPRIM_400000_NS6detail17trampoline_kernelINS0_14default_configENS1_25transform_config_selectorImLb0EEEZNS1_14transform_implILb0ES3_S5_NS0_17constant_iteratorImlEEPlNS0_8identityImEEEE10hipError_tT2_T3_mT4_P12ihipStream_tbEUlT_E_NS1_11comp_targetILNS1_3genE8ELNS1_11target_archE1030ELNS1_3gpuE2ELNS1_3repE0EEENS1_30default_config_static_selectorELNS0_4arch9wavefront6targetE1EEEvT1_
	.p2align	8
	.type	_ZN7rocprim17ROCPRIM_400000_NS6detail17trampoline_kernelINS0_14default_configENS1_25transform_config_selectorImLb0EEEZNS1_14transform_implILb0ES3_S5_NS0_17constant_iteratorImlEEPlNS0_8identityImEEEE10hipError_tT2_T3_mT4_P12ihipStream_tbEUlT_E_NS1_11comp_targetILNS1_3genE8ELNS1_11target_archE1030ELNS1_3gpuE2ELNS1_3repE0EEENS1_30default_config_static_selectorELNS0_4arch9wavefront6targetE1EEEvT1_,@function
_ZN7rocprim17ROCPRIM_400000_NS6detail17trampoline_kernelINS0_14default_configENS1_25transform_config_selectorImLb0EEEZNS1_14transform_implILb0ES3_S5_NS0_17constant_iteratorImlEEPlNS0_8identityImEEEE10hipError_tT2_T3_mT4_P12ihipStream_tbEUlT_E_NS1_11comp_targetILNS1_3genE8ELNS1_11target_archE1030ELNS1_3gpuE2ELNS1_3repE0EEENS1_30default_config_static_selectorELNS0_4arch9wavefront6targetE1EEEvT1_: ; @_ZN7rocprim17ROCPRIM_400000_NS6detail17trampoline_kernelINS0_14default_configENS1_25transform_config_selectorImLb0EEEZNS1_14transform_implILb0ES3_S5_NS0_17constant_iteratorImlEEPlNS0_8identityImEEEE10hipError_tT2_T3_mT4_P12ihipStream_tbEUlT_E_NS1_11comp_targetILNS1_3genE8ELNS1_11target_archE1030ELNS1_3gpuE2ELNS1_3repE0EEENS1_30default_config_static_selectorELNS0_4arch9wavefront6targetE1EEEvT1_
; %bb.0:
	.section	.rodata,"a",@progbits
	.p2align	6, 0x0
	.amdhsa_kernel _ZN7rocprim17ROCPRIM_400000_NS6detail17trampoline_kernelINS0_14default_configENS1_25transform_config_selectorImLb0EEEZNS1_14transform_implILb0ES3_S5_NS0_17constant_iteratorImlEEPlNS0_8identityImEEEE10hipError_tT2_T3_mT4_P12ihipStream_tbEUlT_E_NS1_11comp_targetILNS1_3genE8ELNS1_11target_archE1030ELNS1_3gpuE2ELNS1_3repE0EEENS1_30default_config_static_selectorELNS0_4arch9wavefront6targetE1EEEvT1_
		.amdhsa_group_segment_fixed_size 0
		.amdhsa_private_segment_fixed_size 0
		.amdhsa_kernarg_size 48
		.amdhsa_user_sgpr_count 6
		.amdhsa_user_sgpr_private_segment_buffer 1
		.amdhsa_user_sgpr_dispatch_ptr 0
		.amdhsa_user_sgpr_queue_ptr 0
		.amdhsa_user_sgpr_kernarg_segment_ptr 1
		.amdhsa_user_sgpr_dispatch_id 0
		.amdhsa_user_sgpr_flat_scratch_init 0
		.amdhsa_user_sgpr_kernarg_preload_length 0
		.amdhsa_user_sgpr_kernarg_preload_offset 0
		.amdhsa_user_sgpr_private_segment_size 0
		.amdhsa_uses_dynamic_stack 0
		.amdhsa_system_sgpr_private_segment_wavefront_offset 0
		.amdhsa_system_sgpr_workgroup_id_x 1
		.amdhsa_system_sgpr_workgroup_id_y 0
		.amdhsa_system_sgpr_workgroup_id_z 0
		.amdhsa_system_sgpr_workgroup_info 0
		.amdhsa_system_vgpr_workitem_id 0
		.amdhsa_next_free_vgpr 1
		.amdhsa_next_free_sgpr 0
		.amdhsa_accum_offset 4
		.amdhsa_reserve_vcc 0
		.amdhsa_reserve_flat_scratch 0
		.amdhsa_float_round_mode_32 0
		.amdhsa_float_round_mode_16_64 0
		.amdhsa_float_denorm_mode_32 3
		.amdhsa_float_denorm_mode_16_64 3
		.amdhsa_dx10_clamp 1
		.amdhsa_ieee_mode 1
		.amdhsa_fp16_overflow 0
		.amdhsa_tg_split 0
		.amdhsa_exception_fp_ieee_invalid_op 0
		.amdhsa_exception_fp_denorm_src 0
		.amdhsa_exception_fp_ieee_div_zero 0
		.amdhsa_exception_fp_ieee_overflow 0
		.amdhsa_exception_fp_ieee_underflow 0
		.amdhsa_exception_fp_ieee_inexact 0
		.amdhsa_exception_int_div_zero 0
	.end_amdhsa_kernel
	.section	.text._ZN7rocprim17ROCPRIM_400000_NS6detail17trampoline_kernelINS0_14default_configENS1_25transform_config_selectorImLb0EEEZNS1_14transform_implILb0ES3_S5_NS0_17constant_iteratorImlEEPlNS0_8identityImEEEE10hipError_tT2_T3_mT4_P12ihipStream_tbEUlT_E_NS1_11comp_targetILNS1_3genE8ELNS1_11target_archE1030ELNS1_3gpuE2ELNS1_3repE0EEENS1_30default_config_static_selectorELNS0_4arch9wavefront6targetE1EEEvT1_,"axG",@progbits,_ZN7rocprim17ROCPRIM_400000_NS6detail17trampoline_kernelINS0_14default_configENS1_25transform_config_selectorImLb0EEEZNS1_14transform_implILb0ES3_S5_NS0_17constant_iteratorImlEEPlNS0_8identityImEEEE10hipError_tT2_T3_mT4_P12ihipStream_tbEUlT_E_NS1_11comp_targetILNS1_3genE8ELNS1_11target_archE1030ELNS1_3gpuE2ELNS1_3repE0EEENS1_30default_config_static_selectorELNS0_4arch9wavefront6targetE1EEEvT1_,comdat
.Lfunc_end56:
	.size	_ZN7rocprim17ROCPRIM_400000_NS6detail17trampoline_kernelINS0_14default_configENS1_25transform_config_selectorImLb0EEEZNS1_14transform_implILb0ES3_S5_NS0_17constant_iteratorImlEEPlNS0_8identityImEEEE10hipError_tT2_T3_mT4_P12ihipStream_tbEUlT_E_NS1_11comp_targetILNS1_3genE8ELNS1_11target_archE1030ELNS1_3gpuE2ELNS1_3repE0EEENS1_30default_config_static_selectorELNS0_4arch9wavefront6targetE1EEEvT1_, .Lfunc_end56-_ZN7rocprim17ROCPRIM_400000_NS6detail17trampoline_kernelINS0_14default_configENS1_25transform_config_selectorImLb0EEEZNS1_14transform_implILb0ES3_S5_NS0_17constant_iteratorImlEEPlNS0_8identityImEEEE10hipError_tT2_T3_mT4_P12ihipStream_tbEUlT_E_NS1_11comp_targetILNS1_3genE8ELNS1_11target_archE1030ELNS1_3gpuE2ELNS1_3repE0EEENS1_30default_config_static_selectorELNS0_4arch9wavefront6targetE1EEEvT1_
                                        ; -- End function
	.section	.AMDGPU.csdata,"",@progbits
; Kernel info:
; codeLenInByte = 0
; NumSgprs: 4
; NumVgprs: 0
; NumAgprs: 0
; TotalNumVgprs: 0
; ScratchSize: 0
; MemoryBound: 0
; FloatMode: 240
; IeeeMode: 1
; LDSByteSize: 0 bytes/workgroup (compile time only)
; SGPRBlocks: 0
; VGPRBlocks: 0
; NumSGPRsForWavesPerEU: 4
; NumVGPRsForWavesPerEU: 1
; AccumOffset: 4
; Occupancy: 8
; WaveLimiterHint : 0
; COMPUTE_PGM_RSRC2:SCRATCH_EN: 0
; COMPUTE_PGM_RSRC2:USER_SGPR: 6
; COMPUTE_PGM_RSRC2:TRAP_HANDLER: 0
; COMPUTE_PGM_RSRC2:TGID_X_EN: 1
; COMPUTE_PGM_RSRC2:TGID_Y_EN: 0
; COMPUTE_PGM_RSRC2:TGID_Z_EN: 0
; COMPUTE_PGM_RSRC2:TIDIG_COMP_CNT: 0
; COMPUTE_PGM_RSRC3_GFX90A:ACCUM_OFFSET: 0
; COMPUTE_PGM_RSRC3_GFX90A:TG_SPLIT: 0
	.section	.text._ZN7rocprim17ROCPRIM_400000_NS6detail25reduce_by_key_init_kernelINS1_19lookback_scan_stateINS0_5tupleIJjjEEELb0ELb1EEEjNS1_16block_id_wrapperIjLb0EEEEEvT_jbjPmPT0_T1_,"axG",@progbits,_ZN7rocprim17ROCPRIM_400000_NS6detail25reduce_by_key_init_kernelINS1_19lookback_scan_stateINS0_5tupleIJjjEEELb0ELb1EEEjNS1_16block_id_wrapperIjLb0EEEEEvT_jbjPmPT0_T1_,comdat
	.protected	_ZN7rocprim17ROCPRIM_400000_NS6detail25reduce_by_key_init_kernelINS1_19lookback_scan_stateINS0_5tupleIJjjEEELb0ELb1EEEjNS1_16block_id_wrapperIjLb0EEEEEvT_jbjPmPT0_T1_ ; -- Begin function _ZN7rocprim17ROCPRIM_400000_NS6detail25reduce_by_key_init_kernelINS1_19lookback_scan_stateINS0_5tupleIJjjEEELb0ELb1EEEjNS1_16block_id_wrapperIjLb0EEEEEvT_jbjPmPT0_T1_
	.globl	_ZN7rocprim17ROCPRIM_400000_NS6detail25reduce_by_key_init_kernelINS1_19lookback_scan_stateINS0_5tupleIJjjEEELb0ELb1EEEjNS1_16block_id_wrapperIjLb0EEEEEvT_jbjPmPT0_T1_
	.p2align	8
	.type	_ZN7rocprim17ROCPRIM_400000_NS6detail25reduce_by_key_init_kernelINS1_19lookback_scan_stateINS0_5tupleIJjjEEELb0ELb1EEEjNS1_16block_id_wrapperIjLb0EEEEEvT_jbjPmPT0_T1_,@function
_ZN7rocprim17ROCPRIM_400000_NS6detail25reduce_by_key_init_kernelINS1_19lookback_scan_stateINS0_5tupleIJjjEEELb0ELb1EEEjNS1_16block_id_wrapperIjLb0EEEEEvT_jbjPmPT0_T1_: ; @_ZN7rocprim17ROCPRIM_400000_NS6detail25reduce_by_key_init_kernelINS1_19lookback_scan_stateINS0_5tupleIJjjEEELb0ELb1EEEjNS1_16block_id_wrapperIjLb0EEEEEvT_jbjPmPT0_T1_
; %bb.0:
	s_load_dwordx8 s[8:15], s[4:5], 0x8
	s_load_dword s2, s[4:5], 0x3c
	s_load_dwordx2 s[0:1], s[4:5], 0x0
	s_waitcnt lgkmcnt(0)
	s_and_b32 s3, s9, 1
	s_and_b32 s2, s2, 0xffff
	s_mul_i32 s6, s6, s2
	s_cmp_eq_u32 s3, 0
	v_add_u32_e32 v0, s6, v0
	s_mov_b64 s[2:3], -1
	s_cbranch_scc1 .LBB57_5
; %bb.1:
	s_andn2_b64 vcc, exec, s[2:3]
	s_cbranch_vccz .LBB57_12
.LBB57_2:
	v_cmp_gt_u32_e32 vcc, s8, v0
	s_and_saveexec_b64 s[2:3], vcc
	s_cbranch_execnz .LBB57_15
.LBB57_3:
	s_or_b64 exec, exec, s[2:3]
	v_cmp_gt_u32_e32 vcc, 64, v0
	s_and_saveexec_b64 s[2:3], vcc
	s_cbranch_execnz .LBB57_16
.LBB57_4:
	s_endpgm
.LBB57_5:
	s_cmp_lt_u32 s10, s8
	s_cselect_b32 s2, s10, 0
	v_cmp_eq_u32_e32 vcc, s2, v0
	s_and_saveexec_b64 s[2:3], vcc
	s_cbranch_execz .LBB57_11
; %bb.6:
	s_add_i32 s4, s10, 64
	s_mov_b32 s5, 0
	s_lshl_b64 s[4:5], s[4:5], 4
	s_add_u32 s10, s0, s4
	s_addc_u32 s11, s1, s5
	v_pk_mov_b32 v[2:3], s[10:11], s[10:11] op_sel:[0,1]
	;;#ASMSTART
	global_load_dwordx4 v[2:5], v[2:3] off glc	
s_waitcnt vmcnt(0)
	;;#ASMEND
	v_mov_b32_e32 v7, 0
	v_and_b32_e32 v6, 0xff, v4
	s_mov_b64 s[6:7], 0
	v_cmp_eq_u64_e32 vcc, 0, v[6:7]
	s_and_saveexec_b64 s[4:5], vcc
	s_cbranch_execz .LBB57_10
; %bb.7:
	v_pk_mov_b32 v[8:9], s[10:11], s[10:11] op_sel:[0,1]
.LBB57_8:                               ; =>This Inner Loop Header: Depth=1
	;;#ASMSTART
	global_load_dwordx4 v[2:5], v[8:9] off glc	
s_waitcnt vmcnt(0)
	;;#ASMEND
	v_and_b32_e32 v6, 0xff, v4
	v_cmp_ne_u64_e32 vcc, 0, v[6:7]
	s_or_b64 s[6:7], vcc, s[6:7]
	s_andn2_b64 exec, exec, s[6:7]
	s_cbranch_execnz .LBB57_8
; %bb.9:
	s_or_b64 exec, exec, s[6:7]
.LBB57_10:
	s_or_b64 exec, exec, s[4:5]
	v_mov_b32_e32 v1, 0
	global_load_dwordx2 v[4:5], v1, s[12:13]
	s_waitcnt vmcnt(0)
	v_add_co_u32_e32 v4, vcc, v4, v2
	v_addc_co_u32_e32 v5, vcc, 0, v5, vcc
	global_store_dwordx2 v1, v[4:5], s[12:13]
	global_store_dword v1, v3, s[14:15]
.LBB57_11:
	s_or_b64 exec, exec, s[2:3]
	s_cbranch_execnz .LBB57_2
.LBB57_12:
	s_cmp_lg_u64 s[12:13], 0
	s_cselect_b64 s[2:3], -1, 0
	v_cmp_eq_u32_e32 vcc, 0, v0
	s_and_b64 s[4:5], s[2:3], vcc
	s_and_saveexec_b64 s[2:3], s[4:5]
	s_cbranch_execz .LBB57_14
; %bb.13:
	v_mov_b32_e32 v2, 0
	v_mov_b32_e32 v3, v2
	global_store_dwordx2 v2, v[2:3], s[12:13]
.LBB57_14:
	s_or_b64 exec, exec, s[2:3]
	v_cmp_gt_u32_e32 vcc, s8, v0
	s_and_saveexec_b64 s[2:3], vcc
	s_cbranch_execz .LBB57_3
.LBB57_15:
	v_add_u32_e32 v2, 64, v0
	v_mov_b32_e32 v3, 0
	v_lshlrev_b64 v[4:5], 4, v[2:3]
	v_mov_b32_e32 v1, s1
	v_add_co_u32_e32 v6, vcc, s0, v4
	v_addc_co_u32_e32 v7, vcc, v1, v5, vcc
	v_mov_b32_e32 v2, v3
	v_mov_b32_e32 v4, v3
	;; [unrolled: 1-line block ×3, first 2 shown]
	global_store_dwordx4 v[6:7], v[2:5], off
	s_or_b64 exec, exec, s[2:3]
	v_cmp_gt_u32_e32 vcc, 64, v0
	s_and_saveexec_b64 s[2:3], vcc
	s_cbranch_execz .LBB57_4
.LBB57_16:
	v_mov_b32_e32 v1, 0
	v_lshlrev_b64 v[2:3], 4, v[0:1]
	v_mov_b32_e32 v0, s1
	v_add_co_u32_e32 v4, vcc, s0, v2
	v_addc_co_u32_e32 v5, vcc, v0, v3, vcc
	v_mov_b32_e32 v2, 0xff
	v_mov_b32_e32 v0, v1
	;; [unrolled: 1-line block ×3, first 2 shown]
	global_store_dwordx4 v[4:5], v[0:3], off
	s_endpgm
	.section	.rodata,"a",@progbits
	.p2align	6, 0x0
	.amdhsa_kernel _ZN7rocprim17ROCPRIM_400000_NS6detail25reduce_by_key_init_kernelINS1_19lookback_scan_stateINS0_5tupleIJjjEEELb0ELb1EEEjNS1_16block_id_wrapperIjLb0EEEEEvT_jbjPmPT0_T1_
		.amdhsa_group_segment_fixed_size 0
		.amdhsa_private_segment_fixed_size 0
		.amdhsa_kernarg_size 304
		.amdhsa_user_sgpr_count 6
		.amdhsa_user_sgpr_private_segment_buffer 1
		.amdhsa_user_sgpr_dispatch_ptr 0
		.amdhsa_user_sgpr_queue_ptr 0
		.amdhsa_user_sgpr_kernarg_segment_ptr 1
		.amdhsa_user_sgpr_dispatch_id 0
		.amdhsa_user_sgpr_flat_scratch_init 0
		.amdhsa_user_sgpr_kernarg_preload_length 0
		.amdhsa_user_sgpr_kernarg_preload_offset 0
		.amdhsa_user_sgpr_private_segment_size 0
		.amdhsa_uses_dynamic_stack 0
		.amdhsa_system_sgpr_private_segment_wavefront_offset 0
		.amdhsa_system_sgpr_workgroup_id_x 1
		.amdhsa_system_sgpr_workgroup_id_y 0
		.amdhsa_system_sgpr_workgroup_id_z 0
		.amdhsa_system_sgpr_workgroup_info 0
		.amdhsa_system_vgpr_workitem_id 0
		.amdhsa_next_free_vgpr 10
		.amdhsa_next_free_sgpr 16
		.amdhsa_accum_offset 12
		.amdhsa_reserve_vcc 1
		.amdhsa_reserve_flat_scratch 0
		.amdhsa_float_round_mode_32 0
		.amdhsa_float_round_mode_16_64 0
		.amdhsa_float_denorm_mode_32 3
		.amdhsa_float_denorm_mode_16_64 3
		.amdhsa_dx10_clamp 1
		.amdhsa_ieee_mode 1
		.amdhsa_fp16_overflow 0
		.amdhsa_tg_split 0
		.amdhsa_exception_fp_ieee_invalid_op 0
		.amdhsa_exception_fp_denorm_src 0
		.amdhsa_exception_fp_ieee_div_zero 0
		.amdhsa_exception_fp_ieee_overflow 0
		.amdhsa_exception_fp_ieee_underflow 0
		.amdhsa_exception_fp_ieee_inexact 0
		.amdhsa_exception_int_div_zero 0
	.end_amdhsa_kernel
	.section	.text._ZN7rocprim17ROCPRIM_400000_NS6detail25reduce_by_key_init_kernelINS1_19lookback_scan_stateINS0_5tupleIJjjEEELb0ELb1EEEjNS1_16block_id_wrapperIjLb0EEEEEvT_jbjPmPT0_T1_,"axG",@progbits,_ZN7rocprim17ROCPRIM_400000_NS6detail25reduce_by_key_init_kernelINS1_19lookback_scan_stateINS0_5tupleIJjjEEELb0ELb1EEEjNS1_16block_id_wrapperIjLb0EEEEEvT_jbjPmPT0_T1_,comdat
.Lfunc_end57:
	.size	_ZN7rocprim17ROCPRIM_400000_NS6detail25reduce_by_key_init_kernelINS1_19lookback_scan_stateINS0_5tupleIJjjEEELb0ELb1EEEjNS1_16block_id_wrapperIjLb0EEEEEvT_jbjPmPT0_T1_, .Lfunc_end57-_ZN7rocprim17ROCPRIM_400000_NS6detail25reduce_by_key_init_kernelINS1_19lookback_scan_stateINS0_5tupleIJjjEEELb0ELb1EEEjNS1_16block_id_wrapperIjLb0EEEEEvT_jbjPmPT0_T1_
                                        ; -- End function
	.section	.AMDGPU.csdata,"",@progbits
; Kernel info:
; codeLenInByte = 468
; NumSgprs: 20
; NumVgprs: 10
; NumAgprs: 0
; TotalNumVgprs: 10
; ScratchSize: 0
; MemoryBound: 0
; FloatMode: 240
; IeeeMode: 1
; LDSByteSize: 0 bytes/workgroup (compile time only)
; SGPRBlocks: 2
; VGPRBlocks: 1
; NumSGPRsForWavesPerEU: 20
; NumVGPRsForWavesPerEU: 10
; AccumOffset: 12
; Occupancy: 8
; WaveLimiterHint : 0
; COMPUTE_PGM_RSRC2:SCRATCH_EN: 0
; COMPUTE_PGM_RSRC2:USER_SGPR: 6
; COMPUTE_PGM_RSRC2:TRAP_HANDLER: 0
; COMPUTE_PGM_RSRC2:TGID_X_EN: 1
; COMPUTE_PGM_RSRC2:TGID_Y_EN: 0
; COMPUTE_PGM_RSRC2:TGID_Z_EN: 0
; COMPUTE_PGM_RSRC2:TIDIG_COMP_CNT: 0
; COMPUTE_PGM_RSRC3_GFX90A:ACCUM_OFFSET: 2
; COMPUTE_PGM_RSRC3_GFX90A:TG_SPLIT: 0
	.section	.text._ZN7rocprim17ROCPRIM_400000_NS6detail17trampoline_kernelINS0_14default_configENS1_33run_length_encode_config_selectorIbjNS0_4plusIjEEEEZZNS1_33reduce_by_key_impl_wrapped_configILNS1_25lookback_scan_determinismE0ES3_S7_N6hipcub16HIPCUB_304000_NS22TransformInputIteratorIbN2at6native8internal12_GLOBAL__N_110LoadBoolOpEPKhlEENS0_17constant_iteratorIjlEEPbPlSO_S6_NS0_8equal_toIbEEEE10hipError_tPvRmT2_T3_mT4_T5_T6_T7_T8_P12ihipStream_tbENKUlT_T0_E_clISt17integral_constantIbLb0EES18_EEDaS13_S14_EUlS13_E_NS1_11comp_targetILNS1_3genE0ELNS1_11target_archE4294967295ELNS1_3gpuE0ELNS1_3repE0EEENS1_30default_config_static_selectorELNS0_4arch9wavefront6targetE1EEEvT1_,"axG",@progbits,_ZN7rocprim17ROCPRIM_400000_NS6detail17trampoline_kernelINS0_14default_configENS1_33run_length_encode_config_selectorIbjNS0_4plusIjEEEEZZNS1_33reduce_by_key_impl_wrapped_configILNS1_25lookback_scan_determinismE0ES3_S7_N6hipcub16HIPCUB_304000_NS22TransformInputIteratorIbN2at6native8internal12_GLOBAL__N_110LoadBoolOpEPKhlEENS0_17constant_iteratorIjlEEPbPlSO_S6_NS0_8equal_toIbEEEE10hipError_tPvRmT2_T3_mT4_T5_T6_T7_T8_P12ihipStream_tbENKUlT_T0_E_clISt17integral_constantIbLb0EES18_EEDaS13_S14_EUlS13_E_NS1_11comp_targetILNS1_3genE0ELNS1_11target_archE4294967295ELNS1_3gpuE0ELNS1_3repE0EEENS1_30default_config_static_selectorELNS0_4arch9wavefront6targetE1EEEvT1_,comdat
	.globl	_ZN7rocprim17ROCPRIM_400000_NS6detail17trampoline_kernelINS0_14default_configENS1_33run_length_encode_config_selectorIbjNS0_4plusIjEEEEZZNS1_33reduce_by_key_impl_wrapped_configILNS1_25lookback_scan_determinismE0ES3_S7_N6hipcub16HIPCUB_304000_NS22TransformInputIteratorIbN2at6native8internal12_GLOBAL__N_110LoadBoolOpEPKhlEENS0_17constant_iteratorIjlEEPbPlSO_S6_NS0_8equal_toIbEEEE10hipError_tPvRmT2_T3_mT4_T5_T6_T7_T8_P12ihipStream_tbENKUlT_T0_E_clISt17integral_constantIbLb0EES18_EEDaS13_S14_EUlS13_E_NS1_11comp_targetILNS1_3genE0ELNS1_11target_archE4294967295ELNS1_3gpuE0ELNS1_3repE0EEENS1_30default_config_static_selectorELNS0_4arch9wavefront6targetE1EEEvT1_ ; -- Begin function _ZN7rocprim17ROCPRIM_400000_NS6detail17trampoline_kernelINS0_14default_configENS1_33run_length_encode_config_selectorIbjNS0_4plusIjEEEEZZNS1_33reduce_by_key_impl_wrapped_configILNS1_25lookback_scan_determinismE0ES3_S7_N6hipcub16HIPCUB_304000_NS22TransformInputIteratorIbN2at6native8internal12_GLOBAL__N_110LoadBoolOpEPKhlEENS0_17constant_iteratorIjlEEPbPlSO_S6_NS0_8equal_toIbEEEE10hipError_tPvRmT2_T3_mT4_T5_T6_T7_T8_P12ihipStream_tbENKUlT_T0_E_clISt17integral_constantIbLb0EES18_EEDaS13_S14_EUlS13_E_NS1_11comp_targetILNS1_3genE0ELNS1_11target_archE4294967295ELNS1_3gpuE0ELNS1_3repE0EEENS1_30default_config_static_selectorELNS0_4arch9wavefront6targetE1EEEvT1_
	.p2align	8
	.type	_ZN7rocprim17ROCPRIM_400000_NS6detail17trampoline_kernelINS0_14default_configENS1_33run_length_encode_config_selectorIbjNS0_4plusIjEEEEZZNS1_33reduce_by_key_impl_wrapped_configILNS1_25lookback_scan_determinismE0ES3_S7_N6hipcub16HIPCUB_304000_NS22TransformInputIteratorIbN2at6native8internal12_GLOBAL__N_110LoadBoolOpEPKhlEENS0_17constant_iteratorIjlEEPbPlSO_S6_NS0_8equal_toIbEEEE10hipError_tPvRmT2_T3_mT4_T5_T6_T7_T8_P12ihipStream_tbENKUlT_T0_E_clISt17integral_constantIbLb0EES18_EEDaS13_S14_EUlS13_E_NS1_11comp_targetILNS1_3genE0ELNS1_11target_archE4294967295ELNS1_3gpuE0ELNS1_3repE0EEENS1_30default_config_static_selectorELNS0_4arch9wavefront6targetE1EEEvT1_,@function
_ZN7rocprim17ROCPRIM_400000_NS6detail17trampoline_kernelINS0_14default_configENS1_33run_length_encode_config_selectorIbjNS0_4plusIjEEEEZZNS1_33reduce_by_key_impl_wrapped_configILNS1_25lookback_scan_determinismE0ES3_S7_N6hipcub16HIPCUB_304000_NS22TransformInputIteratorIbN2at6native8internal12_GLOBAL__N_110LoadBoolOpEPKhlEENS0_17constant_iteratorIjlEEPbPlSO_S6_NS0_8equal_toIbEEEE10hipError_tPvRmT2_T3_mT4_T5_T6_T7_T8_P12ihipStream_tbENKUlT_T0_E_clISt17integral_constantIbLb0EES18_EEDaS13_S14_EUlS13_E_NS1_11comp_targetILNS1_3genE0ELNS1_11target_archE4294967295ELNS1_3gpuE0ELNS1_3repE0EEENS1_30default_config_static_selectorELNS0_4arch9wavefront6targetE1EEEvT1_: ; @_ZN7rocprim17ROCPRIM_400000_NS6detail17trampoline_kernelINS0_14default_configENS1_33run_length_encode_config_selectorIbjNS0_4plusIjEEEEZZNS1_33reduce_by_key_impl_wrapped_configILNS1_25lookback_scan_determinismE0ES3_S7_N6hipcub16HIPCUB_304000_NS22TransformInputIteratorIbN2at6native8internal12_GLOBAL__N_110LoadBoolOpEPKhlEENS0_17constant_iteratorIjlEEPbPlSO_S6_NS0_8equal_toIbEEEE10hipError_tPvRmT2_T3_mT4_T5_T6_T7_T8_P12ihipStream_tbENKUlT_T0_E_clISt17integral_constantIbLb0EES18_EEDaS13_S14_EUlS13_E_NS1_11comp_targetILNS1_3genE0ELNS1_11target_archE4294967295ELNS1_3gpuE0ELNS1_3repE0EEENS1_30default_config_static_selectorELNS0_4arch9wavefront6targetE1EEEvT1_
; %bb.0:
	.section	.rodata,"a",@progbits
	.p2align	6, 0x0
	.amdhsa_kernel _ZN7rocprim17ROCPRIM_400000_NS6detail17trampoline_kernelINS0_14default_configENS1_33run_length_encode_config_selectorIbjNS0_4plusIjEEEEZZNS1_33reduce_by_key_impl_wrapped_configILNS1_25lookback_scan_determinismE0ES3_S7_N6hipcub16HIPCUB_304000_NS22TransformInputIteratorIbN2at6native8internal12_GLOBAL__N_110LoadBoolOpEPKhlEENS0_17constant_iteratorIjlEEPbPlSO_S6_NS0_8equal_toIbEEEE10hipError_tPvRmT2_T3_mT4_T5_T6_T7_T8_P12ihipStream_tbENKUlT_T0_E_clISt17integral_constantIbLb0EES18_EEDaS13_S14_EUlS13_E_NS1_11comp_targetILNS1_3genE0ELNS1_11target_archE4294967295ELNS1_3gpuE0ELNS1_3repE0EEENS1_30default_config_static_selectorELNS0_4arch9wavefront6targetE1EEEvT1_
		.amdhsa_group_segment_fixed_size 0
		.amdhsa_private_segment_fixed_size 0
		.amdhsa_kernarg_size 136
		.amdhsa_user_sgpr_count 6
		.amdhsa_user_sgpr_private_segment_buffer 1
		.amdhsa_user_sgpr_dispatch_ptr 0
		.amdhsa_user_sgpr_queue_ptr 0
		.amdhsa_user_sgpr_kernarg_segment_ptr 1
		.amdhsa_user_sgpr_dispatch_id 0
		.amdhsa_user_sgpr_flat_scratch_init 0
		.amdhsa_user_sgpr_kernarg_preload_length 0
		.amdhsa_user_sgpr_kernarg_preload_offset 0
		.amdhsa_user_sgpr_private_segment_size 0
		.amdhsa_uses_dynamic_stack 0
		.amdhsa_system_sgpr_private_segment_wavefront_offset 0
		.amdhsa_system_sgpr_workgroup_id_x 1
		.amdhsa_system_sgpr_workgroup_id_y 0
		.amdhsa_system_sgpr_workgroup_id_z 0
		.amdhsa_system_sgpr_workgroup_info 0
		.amdhsa_system_vgpr_workitem_id 0
		.amdhsa_next_free_vgpr 1
		.amdhsa_next_free_sgpr 0
		.amdhsa_accum_offset 4
		.amdhsa_reserve_vcc 0
		.amdhsa_reserve_flat_scratch 0
		.amdhsa_float_round_mode_32 0
		.amdhsa_float_round_mode_16_64 0
		.amdhsa_float_denorm_mode_32 3
		.amdhsa_float_denorm_mode_16_64 3
		.amdhsa_dx10_clamp 1
		.amdhsa_ieee_mode 1
		.amdhsa_fp16_overflow 0
		.amdhsa_tg_split 0
		.amdhsa_exception_fp_ieee_invalid_op 0
		.amdhsa_exception_fp_denorm_src 0
		.amdhsa_exception_fp_ieee_div_zero 0
		.amdhsa_exception_fp_ieee_overflow 0
		.amdhsa_exception_fp_ieee_underflow 0
		.amdhsa_exception_fp_ieee_inexact 0
		.amdhsa_exception_int_div_zero 0
	.end_amdhsa_kernel
	.section	.text._ZN7rocprim17ROCPRIM_400000_NS6detail17trampoline_kernelINS0_14default_configENS1_33run_length_encode_config_selectorIbjNS0_4plusIjEEEEZZNS1_33reduce_by_key_impl_wrapped_configILNS1_25lookback_scan_determinismE0ES3_S7_N6hipcub16HIPCUB_304000_NS22TransformInputIteratorIbN2at6native8internal12_GLOBAL__N_110LoadBoolOpEPKhlEENS0_17constant_iteratorIjlEEPbPlSO_S6_NS0_8equal_toIbEEEE10hipError_tPvRmT2_T3_mT4_T5_T6_T7_T8_P12ihipStream_tbENKUlT_T0_E_clISt17integral_constantIbLb0EES18_EEDaS13_S14_EUlS13_E_NS1_11comp_targetILNS1_3genE0ELNS1_11target_archE4294967295ELNS1_3gpuE0ELNS1_3repE0EEENS1_30default_config_static_selectorELNS0_4arch9wavefront6targetE1EEEvT1_,"axG",@progbits,_ZN7rocprim17ROCPRIM_400000_NS6detail17trampoline_kernelINS0_14default_configENS1_33run_length_encode_config_selectorIbjNS0_4plusIjEEEEZZNS1_33reduce_by_key_impl_wrapped_configILNS1_25lookback_scan_determinismE0ES3_S7_N6hipcub16HIPCUB_304000_NS22TransformInputIteratorIbN2at6native8internal12_GLOBAL__N_110LoadBoolOpEPKhlEENS0_17constant_iteratorIjlEEPbPlSO_S6_NS0_8equal_toIbEEEE10hipError_tPvRmT2_T3_mT4_T5_T6_T7_T8_P12ihipStream_tbENKUlT_T0_E_clISt17integral_constantIbLb0EES18_EEDaS13_S14_EUlS13_E_NS1_11comp_targetILNS1_3genE0ELNS1_11target_archE4294967295ELNS1_3gpuE0ELNS1_3repE0EEENS1_30default_config_static_selectorELNS0_4arch9wavefront6targetE1EEEvT1_,comdat
.Lfunc_end58:
	.size	_ZN7rocprim17ROCPRIM_400000_NS6detail17trampoline_kernelINS0_14default_configENS1_33run_length_encode_config_selectorIbjNS0_4plusIjEEEEZZNS1_33reduce_by_key_impl_wrapped_configILNS1_25lookback_scan_determinismE0ES3_S7_N6hipcub16HIPCUB_304000_NS22TransformInputIteratorIbN2at6native8internal12_GLOBAL__N_110LoadBoolOpEPKhlEENS0_17constant_iteratorIjlEEPbPlSO_S6_NS0_8equal_toIbEEEE10hipError_tPvRmT2_T3_mT4_T5_T6_T7_T8_P12ihipStream_tbENKUlT_T0_E_clISt17integral_constantIbLb0EES18_EEDaS13_S14_EUlS13_E_NS1_11comp_targetILNS1_3genE0ELNS1_11target_archE4294967295ELNS1_3gpuE0ELNS1_3repE0EEENS1_30default_config_static_selectorELNS0_4arch9wavefront6targetE1EEEvT1_, .Lfunc_end58-_ZN7rocprim17ROCPRIM_400000_NS6detail17trampoline_kernelINS0_14default_configENS1_33run_length_encode_config_selectorIbjNS0_4plusIjEEEEZZNS1_33reduce_by_key_impl_wrapped_configILNS1_25lookback_scan_determinismE0ES3_S7_N6hipcub16HIPCUB_304000_NS22TransformInputIteratorIbN2at6native8internal12_GLOBAL__N_110LoadBoolOpEPKhlEENS0_17constant_iteratorIjlEEPbPlSO_S6_NS0_8equal_toIbEEEE10hipError_tPvRmT2_T3_mT4_T5_T6_T7_T8_P12ihipStream_tbENKUlT_T0_E_clISt17integral_constantIbLb0EES18_EEDaS13_S14_EUlS13_E_NS1_11comp_targetILNS1_3genE0ELNS1_11target_archE4294967295ELNS1_3gpuE0ELNS1_3repE0EEENS1_30default_config_static_selectorELNS0_4arch9wavefront6targetE1EEEvT1_
                                        ; -- End function
	.section	.AMDGPU.csdata,"",@progbits
; Kernel info:
; codeLenInByte = 0
; NumSgprs: 4
; NumVgprs: 0
; NumAgprs: 0
; TotalNumVgprs: 0
; ScratchSize: 0
; MemoryBound: 0
; FloatMode: 240
; IeeeMode: 1
; LDSByteSize: 0 bytes/workgroup (compile time only)
; SGPRBlocks: 0
; VGPRBlocks: 0
; NumSGPRsForWavesPerEU: 4
; NumVGPRsForWavesPerEU: 1
; AccumOffset: 4
; Occupancy: 8
; WaveLimiterHint : 0
; COMPUTE_PGM_RSRC2:SCRATCH_EN: 0
; COMPUTE_PGM_RSRC2:USER_SGPR: 6
; COMPUTE_PGM_RSRC2:TRAP_HANDLER: 0
; COMPUTE_PGM_RSRC2:TGID_X_EN: 1
; COMPUTE_PGM_RSRC2:TGID_Y_EN: 0
; COMPUTE_PGM_RSRC2:TGID_Z_EN: 0
; COMPUTE_PGM_RSRC2:TIDIG_COMP_CNT: 0
; COMPUTE_PGM_RSRC3_GFX90A:ACCUM_OFFSET: 0
; COMPUTE_PGM_RSRC3_GFX90A:TG_SPLIT: 0
	.section	.text._ZN7rocprim17ROCPRIM_400000_NS6detail17trampoline_kernelINS0_14default_configENS1_33run_length_encode_config_selectorIbjNS0_4plusIjEEEEZZNS1_33reduce_by_key_impl_wrapped_configILNS1_25lookback_scan_determinismE0ES3_S7_N6hipcub16HIPCUB_304000_NS22TransformInputIteratorIbN2at6native8internal12_GLOBAL__N_110LoadBoolOpEPKhlEENS0_17constant_iteratorIjlEEPbPlSO_S6_NS0_8equal_toIbEEEE10hipError_tPvRmT2_T3_mT4_T5_T6_T7_T8_P12ihipStream_tbENKUlT_T0_E_clISt17integral_constantIbLb0EES18_EEDaS13_S14_EUlS13_E_NS1_11comp_targetILNS1_3genE5ELNS1_11target_archE942ELNS1_3gpuE9ELNS1_3repE0EEENS1_30default_config_static_selectorELNS0_4arch9wavefront6targetE1EEEvT1_,"axG",@progbits,_ZN7rocprim17ROCPRIM_400000_NS6detail17trampoline_kernelINS0_14default_configENS1_33run_length_encode_config_selectorIbjNS0_4plusIjEEEEZZNS1_33reduce_by_key_impl_wrapped_configILNS1_25lookback_scan_determinismE0ES3_S7_N6hipcub16HIPCUB_304000_NS22TransformInputIteratorIbN2at6native8internal12_GLOBAL__N_110LoadBoolOpEPKhlEENS0_17constant_iteratorIjlEEPbPlSO_S6_NS0_8equal_toIbEEEE10hipError_tPvRmT2_T3_mT4_T5_T6_T7_T8_P12ihipStream_tbENKUlT_T0_E_clISt17integral_constantIbLb0EES18_EEDaS13_S14_EUlS13_E_NS1_11comp_targetILNS1_3genE5ELNS1_11target_archE942ELNS1_3gpuE9ELNS1_3repE0EEENS1_30default_config_static_selectorELNS0_4arch9wavefront6targetE1EEEvT1_,comdat
	.globl	_ZN7rocprim17ROCPRIM_400000_NS6detail17trampoline_kernelINS0_14default_configENS1_33run_length_encode_config_selectorIbjNS0_4plusIjEEEEZZNS1_33reduce_by_key_impl_wrapped_configILNS1_25lookback_scan_determinismE0ES3_S7_N6hipcub16HIPCUB_304000_NS22TransformInputIteratorIbN2at6native8internal12_GLOBAL__N_110LoadBoolOpEPKhlEENS0_17constant_iteratorIjlEEPbPlSO_S6_NS0_8equal_toIbEEEE10hipError_tPvRmT2_T3_mT4_T5_T6_T7_T8_P12ihipStream_tbENKUlT_T0_E_clISt17integral_constantIbLb0EES18_EEDaS13_S14_EUlS13_E_NS1_11comp_targetILNS1_3genE5ELNS1_11target_archE942ELNS1_3gpuE9ELNS1_3repE0EEENS1_30default_config_static_selectorELNS0_4arch9wavefront6targetE1EEEvT1_ ; -- Begin function _ZN7rocprim17ROCPRIM_400000_NS6detail17trampoline_kernelINS0_14default_configENS1_33run_length_encode_config_selectorIbjNS0_4plusIjEEEEZZNS1_33reduce_by_key_impl_wrapped_configILNS1_25lookback_scan_determinismE0ES3_S7_N6hipcub16HIPCUB_304000_NS22TransformInputIteratorIbN2at6native8internal12_GLOBAL__N_110LoadBoolOpEPKhlEENS0_17constant_iteratorIjlEEPbPlSO_S6_NS0_8equal_toIbEEEE10hipError_tPvRmT2_T3_mT4_T5_T6_T7_T8_P12ihipStream_tbENKUlT_T0_E_clISt17integral_constantIbLb0EES18_EEDaS13_S14_EUlS13_E_NS1_11comp_targetILNS1_3genE5ELNS1_11target_archE942ELNS1_3gpuE9ELNS1_3repE0EEENS1_30default_config_static_selectorELNS0_4arch9wavefront6targetE1EEEvT1_
	.p2align	8
	.type	_ZN7rocprim17ROCPRIM_400000_NS6detail17trampoline_kernelINS0_14default_configENS1_33run_length_encode_config_selectorIbjNS0_4plusIjEEEEZZNS1_33reduce_by_key_impl_wrapped_configILNS1_25lookback_scan_determinismE0ES3_S7_N6hipcub16HIPCUB_304000_NS22TransformInputIteratorIbN2at6native8internal12_GLOBAL__N_110LoadBoolOpEPKhlEENS0_17constant_iteratorIjlEEPbPlSO_S6_NS0_8equal_toIbEEEE10hipError_tPvRmT2_T3_mT4_T5_T6_T7_T8_P12ihipStream_tbENKUlT_T0_E_clISt17integral_constantIbLb0EES18_EEDaS13_S14_EUlS13_E_NS1_11comp_targetILNS1_3genE5ELNS1_11target_archE942ELNS1_3gpuE9ELNS1_3repE0EEENS1_30default_config_static_selectorELNS0_4arch9wavefront6targetE1EEEvT1_,@function
_ZN7rocprim17ROCPRIM_400000_NS6detail17trampoline_kernelINS0_14default_configENS1_33run_length_encode_config_selectorIbjNS0_4plusIjEEEEZZNS1_33reduce_by_key_impl_wrapped_configILNS1_25lookback_scan_determinismE0ES3_S7_N6hipcub16HIPCUB_304000_NS22TransformInputIteratorIbN2at6native8internal12_GLOBAL__N_110LoadBoolOpEPKhlEENS0_17constant_iteratorIjlEEPbPlSO_S6_NS0_8equal_toIbEEEE10hipError_tPvRmT2_T3_mT4_T5_T6_T7_T8_P12ihipStream_tbENKUlT_T0_E_clISt17integral_constantIbLb0EES18_EEDaS13_S14_EUlS13_E_NS1_11comp_targetILNS1_3genE5ELNS1_11target_archE942ELNS1_3gpuE9ELNS1_3repE0EEENS1_30default_config_static_selectorELNS0_4arch9wavefront6targetE1EEEvT1_: ; @_ZN7rocprim17ROCPRIM_400000_NS6detail17trampoline_kernelINS0_14default_configENS1_33run_length_encode_config_selectorIbjNS0_4plusIjEEEEZZNS1_33reduce_by_key_impl_wrapped_configILNS1_25lookback_scan_determinismE0ES3_S7_N6hipcub16HIPCUB_304000_NS22TransformInputIteratorIbN2at6native8internal12_GLOBAL__N_110LoadBoolOpEPKhlEENS0_17constant_iteratorIjlEEPbPlSO_S6_NS0_8equal_toIbEEEE10hipError_tPvRmT2_T3_mT4_T5_T6_T7_T8_P12ihipStream_tbENKUlT_T0_E_clISt17integral_constantIbLb0EES18_EEDaS13_S14_EUlS13_E_NS1_11comp_targetILNS1_3genE5ELNS1_11target_archE942ELNS1_3gpuE9ELNS1_3repE0EEENS1_30default_config_static_selectorELNS0_4arch9wavefront6targetE1EEEvT1_
; %bb.0:
	.section	.rodata,"a",@progbits
	.p2align	6, 0x0
	.amdhsa_kernel _ZN7rocprim17ROCPRIM_400000_NS6detail17trampoline_kernelINS0_14default_configENS1_33run_length_encode_config_selectorIbjNS0_4plusIjEEEEZZNS1_33reduce_by_key_impl_wrapped_configILNS1_25lookback_scan_determinismE0ES3_S7_N6hipcub16HIPCUB_304000_NS22TransformInputIteratorIbN2at6native8internal12_GLOBAL__N_110LoadBoolOpEPKhlEENS0_17constant_iteratorIjlEEPbPlSO_S6_NS0_8equal_toIbEEEE10hipError_tPvRmT2_T3_mT4_T5_T6_T7_T8_P12ihipStream_tbENKUlT_T0_E_clISt17integral_constantIbLb0EES18_EEDaS13_S14_EUlS13_E_NS1_11comp_targetILNS1_3genE5ELNS1_11target_archE942ELNS1_3gpuE9ELNS1_3repE0EEENS1_30default_config_static_selectorELNS0_4arch9wavefront6targetE1EEEvT1_
		.amdhsa_group_segment_fixed_size 0
		.amdhsa_private_segment_fixed_size 0
		.amdhsa_kernarg_size 136
		.amdhsa_user_sgpr_count 6
		.amdhsa_user_sgpr_private_segment_buffer 1
		.amdhsa_user_sgpr_dispatch_ptr 0
		.amdhsa_user_sgpr_queue_ptr 0
		.amdhsa_user_sgpr_kernarg_segment_ptr 1
		.amdhsa_user_sgpr_dispatch_id 0
		.amdhsa_user_sgpr_flat_scratch_init 0
		.amdhsa_user_sgpr_kernarg_preload_length 0
		.amdhsa_user_sgpr_kernarg_preload_offset 0
		.amdhsa_user_sgpr_private_segment_size 0
		.amdhsa_uses_dynamic_stack 0
		.amdhsa_system_sgpr_private_segment_wavefront_offset 0
		.amdhsa_system_sgpr_workgroup_id_x 1
		.amdhsa_system_sgpr_workgroup_id_y 0
		.amdhsa_system_sgpr_workgroup_id_z 0
		.amdhsa_system_sgpr_workgroup_info 0
		.amdhsa_system_vgpr_workitem_id 0
		.amdhsa_next_free_vgpr 1
		.amdhsa_next_free_sgpr 0
		.amdhsa_accum_offset 4
		.amdhsa_reserve_vcc 0
		.amdhsa_reserve_flat_scratch 0
		.amdhsa_float_round_mode_32 0
		.amdhsa_float_round_mode_16_64 0
		.amdhsa_float_denorm_mode_32 3
		.amdhsa_float_denorm_mode_16_64 3
		.amdhsa_dx10_clamp 1
		.amdhsa_ieee_mode 1
		.amdhsa_fp16_overflow 0
		.amdhsa_tg_split 0
		.amdhsa_exception_fp_ieee_invalid_op 0
		.amdhsa_exception_fp_denorm_src 0
		.amdhsa_exception_fp_ieee_div_zero 0
		.amdhsa_exception_fp_ieee_overflow 0
		.amdhsa_exception_fp_ieee_underflow 0
		.amdhsa_exception_fp_ieee_inexact 0
		.amdhsa_exception_int_div_zero 0
	.end_amdhsa_kernel
	.section	.text._ZN7rocprim17ROCPRIM_400000_NS6detail17trampoline_kernelINS0_14default_configENS1_33run_length_encode_config_selectorIbjNS0_4plusIjEEEEZZNS1_33reduce_by_key_impl_wrapped_configILNS1_25lookback_scan_determinismE0ES3_S7_N6hipcub16HIPCUB_304000_NS22TransformInputIteratorIbN2at6native8internal12_GLOBAL__N_110LoadBoolOpEPKhlEENS0_17constant_iteratorIjlEEPbPlSO_S6_NS0_8equal_toIbEEEE10hipError_tPvRmT2_T3_mT4_T5_T6_T7_T8_P12ihipStream_tbENKUlT_T0_E_clISt17integral_constantIbLb0EES18_EEDaS13_S14_EUlS13_E_NS1_11comp_targetILNS1_3genE5ELNS1_11target_archE942ELNS1_3gpuE9ELNS1_3repE0EEENS1_30default_config_static_selectorELNS0_4arch9wavefront6targetE1EEEvT1_,"axG",@progbits,_ZN7rocprim17ROCPRIM_400000_NS6detail17trampoline_kernelINS0_14default_configENS1_33run_length_encode_config_selectorIbjNS0_4plusIjEEEEZZNS1_33reduce_by_key_impl_wrapped_configILNS1_25lookback_scan_determinismE0ES3_S7_N6hipcub16HIPCUB_304000_NS22TransformInputIteratorIbN2at6native8internal12_GLOBAL__N_110LoadBoolOpEPKhlEENS0_17constant_iteratorIjlEEPbPlSO_S6_NS0_8equal_toIbEEEE10hipError_tPvRmT2_T3_mT4_T5_T6_T7_T8_P12ihipStream_tbENKUlT_T0_E_clISt17integral_constantIbLb0EES18_EEDaS13_S14_EUlS13_E_NS1_11comp_targetILNS1_3genE5ELNS1_11target_archE942ELNS1_3gpuE9ELNS1_3repE0EEENS1_30default_config_static_selectorELNS0_4arch9wavefront6targetE1EEEvT1_,comdat
.Lfunc_end59:
	.size	_ZN7rocprim17ROCPRIM_400000_NS6detail17trampoline_kernelINS0_14default_configENS1_33run_length_encode_config_selectorIbjNS0_4plusIjEEEEZZNS1_33reduce_by_key_impl_wrapped_configILNS1_25lookback_scan_determinismE0ES3_S7_N6hipcub16HIPCUB_304000_NS22TransformInputIteratorIbN2at6native8internal12_GLOBAL__N_110LoadBoolOpEPKhlEENS0_17constant_iteratorIjlEEPbPlSO_S6_NS0_8equal_toIbEEEE10hipError_tPvRmT2_T3_mT4_T5_T6_T7_T8_P12ihipStream_tbENKUlT_T0_E_clISt17integral_constantIbLb0EES18_EEDaS13_S14_EUlS13_E_NS1_11comp_targetILNS1_3genE5ELNS1_11target_archE942ELNS1_3gpuE9ELNS1_3repE0EEENS1_30default_config_static_selectorELNS0_4arch9wavefront6targetE1EEEvT1_, .Lfunc_end59-_ZN7rocprim17ROCPRIM_400000_NS6detail17trampoline_kernelINS0_14default_configENS1_33run_length_encode_config_selectorIbjNS0_4plusIjEEEEZZNS1_33reduce_by_key_impl_wrapped_configILNS1_25lookback_scan_determinismE0ES3_S7_N6hipcub16HIPCUB_304000_NS22TransformInputIteratorIbN2at6native8internal12_GLOBAL__N_110LoadBoolOpEPKhlEENS0_17constant_iteratorIjlEEPbPlSO_S6_NS0_8equal_toIbEEEE10hipError_tPvRmT2_T3_mT4_T5_T6_T7_T8_P12ihipStream_tbENKUlT_T0_E_clISt17integral_constantIbLb0EES18_EEDaS13_S14_EUlS13_E_NS1_11comp_targetILNS1_3genE5ELNS1_11target_archE942ELNS1_3gpuE9ELNS1_3repE0EEENS1_30default_config_static_selectorELNS0_4arch9wavefront6targetE1EEEvT1_
                                        ; -- End function
	.section	.AMDGPU.csdata,"",@progbits
; Kernel info:
; codeLenInByte = 0
; NumSgprs: 4
; NumVgprs: 0
; NumAgprs: 0
; TotalNumVgprs: 0
; ScratchSize: 0
; MemoryBound: 0
; FloatMode: 240
; IeeeMode: 1
; LDSByteSize: 0 bytes/workgroup (compile time only)
; SGPRBlocks: 0
; VGPRBlocks: 0
; NumSGPRsForWavesPerEU: 4
; NumVGPRsForWavesPerEU: 1
; AccumOffset: 4
; Occupancy: 8
; WaveLimiterHint : 0
; COMPUTE_PGM_RSRC2:SCRATCH_EN: 0
; COMPUTE_PGM_RSRC2:USER_SGPR: 6
; COMPUTE_PGM_RSRC2:TRAP_HANDLER: 0
; COMPUTE_PGM_RSRC2:TGID_X_EN: 1
; COMPUTE_PGM_RSRC2:TGID_Y_EN: 0
; COMPUTE_PGM_RSRC2:TGID_Z_EN: 0
; COMPUTE_PGM_RSRC2:TIDIG_COMP_CNT: 0
; COMPUTE_PGM_RSRC3_GFX90A:ACCUM_OFFSET: 0
; COMPUTE_PGM_RSRC3_GFX90A:TG_SPLIT: 0
	.section	.text._ZN7rocprim17ROCPRIM_400000_NS6detail17trampoline_kernelINS0_14default_configENS1_33run_length_encode_config_selectorIbjNS0_4plusIjEEEEZZNS1_33reduce_by_key_impl_wrapped_configILNS1_25lookback_scan_determinismE0ES3_S7_N6hipcub16HIPCUB_304000_NS22TransformInputIteratorIbN2at6native8internal12_GLOBAL__N_110LoadBoolOpEPKhlEENS0_17constant_iteratorIjlEEPbPlSO_S6_NS0_8equal_toIbEEEE10hipError_tPvRmT2_T3_mT4_T5_T6_T7_T8_P12ihipStream_tbENKUlT_T0_E_clISt17integral_constantIbLb0EES18_EEDaS13_S14_EUlS13_E_NS1_11comp_targetILNS1_3genE4ELNS1_11target_archE910ELNS1_3gpuE8ELNS1_3repE0EEENS1_30default_config_static_selectorELNS0_4arch9wavefront6targetE1EEEvT1_,"axG",@progbits,_ZN7rocprim17ROCPRIM_400000_NS6detail17trampoline_kernelINS0_14default_configENS1_33run_length_encode_config_selectorIbjNS0_4plusIjEEEEZZNS1_33reduce_by_key_impl_wrapped_configILNS1_25lookback_scan_determinismE0ES3_S7_N6hipcub16HIPCUB_304000_NS22TransformInputIteratorIbN2at6native8internal12_GLOBAL__N_110LoadBoolOpEPKhlEENS0_17constant_iteratorIjlEEPbPlSO_S6_NS0_8equal_toIbEEEE10hipError_tPvRmT2_T3_mT4_T5_T6_T7_T8_P12ihipStream_tbENKUlT_T0_E_clISt17integral_constantIbLb0EES18_EEDaS13_S14_EUlS13_E_NS1_11comp_targetILNS1_3genE4ELNS1_11target_archE910ELNS1_3gpuE8ELNS1_3repE0EEENS1_30default_config_static_selectorELNS0_4arch9wavefront6targetE1EEEvT1_,comdat
	.globl	_ZN7rocprim17ROCPRIM_400000_NS6detail17trampoline_kernelINS0_14default_configENS1_33run_length_encode_config_selectorIbjNS0_4plusIjEEEEZZNS1_33reduce_by_key_impl_wrapped_configILNS1_25lookback_scan_determinismE0ES3_S7_N6hipcub16HIPCUB_304000_NS22TransformInputIteratorIbN2at6native8internal12_GLOBAL__N_110LoadBoolOpEPKhlEENS0_17constant_iteratorIjlEEPbPlSO_S6_NS0_8equal_toIbEEEE10hipError_tPvRmT2_T3_mT4_T5_T6_T7_T8_P12ihipStream_tbENKUlT_T0_E_clISt17integral_constantIbLb0EES18_EEDaS13_S14_EUlS13_E_NS1_11comp_targetILNS1_3genE4ELNS1_11target_archE910ELNS1_3gpuE8ELNS1_3repE0EEENS1_30default_config_static_selectorELNS0_4arch9wavefront6targetE1EEEvT1_ ; -- Begin function _ZN7rocprim17ROCPRIM_400000_NS6detail17trampoline_kernelINS0_14default_configENS1_33run_length_encode_config_selectorIbjNS0_4plusIjEEEEZZNS1_33reduce_by_key_impl_wrapped_configILNS1_25lookback_scan_determinismE0ES3_S7_N6hipcub16HIPCUB_304000_NS22TransformInputIteratorIbN2at6native8internal12_GLOBAL__N_110LoadBoolOpEPKhlEENS0_17constant_iteratorIjlEEPbPlSO_S6_NS0_8equal_toIbEEEE10hipError_tPvRmT2_T3_mT4_T5_T6_T7_T8_P12ihipStream_tbENKUlT_T0_E_clISt17integral_constantIbLb0EES18_EEDaS13_S14_EUlS13_E_NS1_11comp_targetILNS1_3genE4ELNS1_11target_archE910ELNS1_3gpuE8ELNS1_3repE0EEENS1_30default_config_static_selectorELNS0_4arch9wavefront6targetE1EEEvT1_
	.p2align	8
	.type	_ZN7rocprim17ROCPRIM_400000_NS6detail17trampoline_kernelINS0_14default_configENS1_33run_length_encode_config_selectorIbjNS0_4plusIjEEEEZZNS1_33reduce_by_key_impl_wrapped_configILNS1_25lookback_scan_determinismE0ES3_S7_N6hipcub16HIPCUB_304000_NS22TransformInputIteratorIbN2at6native8internal12_GLOBAL__N_110LoadBoolOpEPKhlEENS0_17constant_iteratorIjlEEPbPlSO_S6_NS0_8equal_toIbEEEE10hipError_tPvRmT2_T3_mT4_T5_T6_T7_T8_P12ihipStream_tbENKUlT_T0_E_clISt17integral_constantIbLb0EES18_EEDaS13_S14_EUlS13_E_NS1_11comp_targetILNS1_3genE4ELNS1_11target_archE910ELNS1_3gpuE8ELNS1_3repE0EEENS1_30default_config_static_selectorELNS0_4arch9wavefront6targetE1EEEvT1_,@function
_ZN7rocprim17ROCPRIM_400000_NS6detail17trampoline_kernelINS0_14default_configENS1_33run_length_encode_config_selectorIbjNS0_4plusIjEEEEZZNS1_33reduce_by_key_impl_wrapped_configILNS1_25lookback_scan_determinismE0ES3_S7_N6hipcub16HIPCUB_304000_NS22TransformInputIteratorIbN2at6native8internal12_GLOBAL__N_110LoadBoolOpEPKhlEENS0_17constant_iteratorIjlEEPbPlSO_S6_NS0_8equal_toIbEEEE10hipError_tPvRmT2_T3_mT4_T5_T6_T7_T8_P12ihipStream_tbENKUlT_T0_E_clISt17integral_constantIbLb0EES18_EEDaS13_S14_EUlS13_E_NS1_11comp_targetILNS1_3genE4ELNS1_11target_archE910ELNS1_3gpuE8ELNS1_3repE0EEENS1_30default_config_static_selectorELNS0_4arch9wavefront6targetE1EEEvT1_: ; @_ZN7rocprim17ROCPRIM_400000_NS6detail17trampoline_kernelINS0_14default_configENS1_33run_length_encode_config_selectorIbjNS0_4plusIjEEEEZZNS1_33reduce_by_key_impl_wrapped_configILNS1_25lookback_scan_determinismE0ES3_S7_N6hipcub16HIPCUB_304000_NS22TransformInputIteratorIbN2at6native8internal12_GLOBAL__N_110LoadBoolOpEPKhlEENS0_17constant_iteratorIjlEEPbPlSO_S6_NS0_8equal_toIbEEEE10hipError_tPvRmT2_T3_mT4_T5_T6_T7_T8_P12ihipStream_tbENKUlT_T0_E_clISt17integral_constantIbLb0EES18_EEDaS13_S14_EUlS13_E_NS1_11comp_targetILNS1_3genE4ELNS1_11target_archE910ELNS1_3gpuE8ELNS1_3repE0EEENS1_30default_config_static_selectorELNS0_4arch9wavefront6targetE1EEEvT1_
; %bb.0:
	s_load_dwordx2 s[0:1], s[4:5], 0x0
	s_load_dwordx2 s[2:3], s[4:5], 0x10
	s_load_dwordx8 s[36:43], s[4:5], 0x48
	s_load_dword s7, s[4:5], 0x18
	s_load_dwordx4 s[44:47], s[4:5], 0x68
	s_mov_b64 s[12:13], -1
	s_waitcnt lgkmcnt(0)
	s_add_u32 s0, s0, s2
	s_addc_u32 s1, s1, s3
	s_mul_i32 s2, s40, s39
	s_mul_hi_u32 s3, s40, s38
	s_add_i32 s2, s3, s2
	s_mul_i32 s3, s41, s38
	s_add_i32 s8, s2, s3
	s_mul_i32 s2, s6, 0xf00
	s_add_u32 s2, s0, s2
	s_mul_i32 s9, s40, s38
	s_addc_u32 s3, s1, 0
	s_add_u32 s0, s9, s6
	s_addc_u32 s1, s8, 0
	s_add_u32 s8, s42, -1
	s_addc_u32 s9, s43, -1
	s_cmp_eq_u64 s[0:1], s[8:9]
	s_cselect_b64 s[34:35], -1, 0
	s_cmp_lg_u64 s[0:1], s[8:9]
	s_cselect_b64 s[10:11], -1, 0
	s_mul_i32 s33, s8, 0xfffff100
	s_and_b64 vcc, exec, s[34:35]
	v_mad_u32_u24 v2, v0, 14, v0
	s_cbranch_vccnz .LBB60_2
; %bb.1:
	global_load_ubyte v1, v0, s[2:3]
	global_load_ubyte v3, v0, s[2:3] offset:256
	global_load_ubyte v4, v0, s[2:3] offset:512
	;; [unrolled: 1-line block ×14, first 2 shown]
	s_mov_b64 s[8:9], -1
	s_waitcnt vmcnt(14)
	v_cmp_ne_u16_e32 vcc, 0, v1
	v_cndmask_b32_e64 v1, 0, 1, vcc
	s_waitcnt vmcnt(13)
	v_cmp_ne_u16_e32 vcc, 0, v3
	v_cndmask_b32_e64 v3, 0, 1, vcc
	;; [unrolled: 3-line block ×15, first 2 shown]
	ds_write_b8 v0, v1
	ds_write_b8 v0, v3 offset:256
	ds_write_b8 v0, v4 offset:512
	;; [unrolled: 1-line block ×14, first 2 shown]
	s_waitcnt lgkmcnt(0)
	s_barrier
	ds_read_b96 v[8:10], v2
	ds_read_u8 v55, v2 offset:12
	ds_read_u8 v11, v2 offset:13
	;; [unrolled: 1-line block ×3, first 2 shown]
	s_waitcnt lgkmcnt(3)
	v_lshrrev_b32_e32 v64, 8, v8
	v_lshrrev_b32_e32 v63, 16, v8
	;; [unrolled: 1-line block ×9, first 2 shown]
	s_add_i32 s33, s33, s44
	s_cbranch_execz .LBB60_3
	s_branch .LBB60_34
.LBB60_2:
	s_mov_b64 s[8:9], 0
                                        ; implicit-def: $vgpr8
                                        ; implicit-def: $vgpr64
                                        ; implicit-def: $vgpr63
                                        ; implicit-def: $vgpr62
                                        ; implicit-def: $vgpr61
                                        ; implicit-def: $vgpr60
                                        ; implicit-def: $vgpr59
                                        ; implicit-def: $vgpr58
                                        ; implicit-def: $vgpr57
                                        ; implicit-def: $vgpr56
                                        ; implicit-def: $vgpr55
                                        ; implicit-def: $vgpr11
                                        ; implicit-def: $vgpr1
	s_add_i32 s33, s33, s44
	s_andn2_b64 vcc, exec, s[12:13]
	s_cbranch_vccnz .LBB60_34
.LBB60_3:
	v_cmp_gt_u32_e32 vcc, s33, v0
                                        ; implicit-def: $vgpr1
	s_and_saveexec_b64 s[8:9], vcc
	s_cbranch_execz .LBB60_5
; %bb.4:
	s_waitcnt lgkmcnt(0)
	global_load_ubyte v1, v0, s[2:3]
	s_waitcnt vmcnt(0)
	v_cmp_ne_u16_e32 vcc, 0, v1
	v_cndmask_b32_e64 v1, 0, 1, vcc
.LBB60_5:
	s_or_b64 exec, exec, s[8:9]
	v_or_b32_e32 v3, 0x100, v0
	v_cmp_gt_u32_e32 vcc, s33, v3
                                        ; implicit-def: $vgpr3
	s_and_saveexec_b64 s[8:9], vcc
	s_cbranch_execz .LBB60_7
; %bb.6:
	global_load_ubyte v3, v0, s[2:3] offset:256
	s_waitcnt vmcnt(0)
	v_cmp_ne_u16_e32 vcc, 0, v3
	v_cndmask_b32_e64 v3, 0, 1, vcc
.LBB60_7:
	s_or_b64 exec, exec, s[8:9]
	v_or_b32_e32 v4, 0x200, v0
	v_cmp_gt_u32_e32 vcc, s33, v4
                                        ; implicit-def: $vgpr4
	s_and_saveexec_b64 s[8:9], vcc
	s_cbranch_execz .LBB60_9
; %bb.8:
	global_load_ubyte v4, v0, s[2:3] offset:512
	s_waitcnt vmcnt(0)
	v_cmp_ne_u16_e32 vcc, 0, v4
	v_cndmask_b32_e64 v4, 0, 1, vcc
.LBB60_9:
	s_or_b64 exec, exec, s[8:9]
	v_or_b32_e32 v5, 0x300, v0
	v_cmp_gt_u32_e32 vcc, s33, v5
                                        ; implicit-def: $vgpr5
	s_and_saveexec_b64 s[8:9], vcc
	s_cbranch_execz .LBB60_11
; %bb.10:
	global_load_ubyte v5, v0, s[2:3] offset:768
	s_waitcnt vmcnt(0)
	v_cmp_ne_u16_e32 vcc, 0, v5
	v_cndmask_b32_e64 v5, 0, 1, vcc
.LBB60_11:
	s_or_b64 exec, exec, s[8:9]
	v_or_b32_e32 v6, 0x400, v0
	v_cmp_gt_u32_e32 vcc, s33, v6
                                        ; implicit-def: $vgpr6
	s_and_saveexec_b64 s[8:9], vcc
	s_cbranch_execz .LBB60_13
; %bb.12:
	global_load_ubyte v6, v0, s[2:3] offset:1024
	s_waitcnt vmcnt(0)
	v_cmp_ne_u16_e32 vcc, 0, v6
	v_cndmask_b32_e64 v6, 0, 1, vcc
.LBB60_13:
	s_or_b64 exec, exec, s[8:9]
	v_or_b32_e32 v7, 0x500, v0
	v_cmp_gt_u32_e32 vcc, s33, v7
                                        ; implicit-def: $vgpr7
	s_and_saveexec_b64 s[8:9], vcc
	s_cbranch_execz .LBB60_15
; %bb.14:
	global_load_ubyte v7, v0, s[2:3] offset:1280
	s_waitcnt vmcnt(0)
	v_cmp_ne_u16_e32 vcc, 0, v7
	v_cndmask_b32_e64 v7, 0, 1, vcc
.LBB60_15:
	s_or_b64 exec, exec, s[8:9]
	v_or_b32_e32 v8, 0x600, v0
	v_cmp_gt_u32_e32 vcc, s33, v8
                                        ; implicit-def: $vgpr8
	s_and_saveexec_b64 s[8:9], vcc
	s_cbranch_execz .LBB60_17
; %bb.16:
	global_load_ubyte v8, v0, s[2:3] offset:1536
	s_waitcnt vmcnt(0)
	v_cmp_ne_u16_e32 vcc, 0, v8
	v_cndmask_b32_e64 v8, 0, 1, vcc
.LBB60_17:
	s_or_b64 exec, exec, s[8:9]
	v_or_b32_e32 v9, 0x700, v0
	v_cmp_gt_u32_e32 vcc, s33, v9
                                        ; implicit-def: $vgpr9
	s_and_saveexec_b64 s[8:9], vcc
	s_cbranch_execz .LBB60_19
; %bb.18:
	global_load_ubyte v9, v0, s[2:3] offset:1792
	s_waitcnt vmcnt(0)
	v_cmp_ne_u16_e32 vcc, 0, v9
	v_cndmask_b32_e64 v9, 0, 1, vcc
.LBB60_19:
	s_or_b64 exec, exec, s[8:9]
	v_or_b32_e32 v10, 0x800, v0
	v_cmp_gt_u32_e32 vcc, s33, v10
                                        ; implicit-def: $vgpr10
	s_and_saveexec_b64 s[8:9], vcc
	s_cbranch_execz .LBB60_21
; %bb.20:
	global_load_ubyte v10, v0, s[2:3] offset:2048
	s_waitcnt vmcnt(0)
	v_cmp_ne_u16_e32 vcc, 0, v10
	v_cndmask_b32_e64 v10, 0, 1, vcc
.LBB60_21:
	s_or_b64 exec, exec, s[8:9]
	s_waitcnt lgkmcnt(1)
	v_or_b32_e32 v11, 0x900, v0
	v_cmp_gt_u32_e32 vcc, s33, v11
                                        ; implicit-def: $vgpr11
	s_and_saveexec_b64 s[8:9], vcc
	s_cbranch_execz .LBB60_23
; %bb.22:
	global_load_ubyte v11, v0, s[2:3] offset:2304
	s_waitcnt vmcnt(0)
	v_cmp_ne_u16_e32 vcc, 0, v11
	v_cndmask_b32_e64 v11, 0, 1, vcc
.LBB60_23:
	s_or_b64 exec, exec, s[8:9]
	v_or_b32_e32 v12, 0xa00, v0
	v_cmp_gt_u32_e32 vcc, s33, v12
                                        ; implicit-def: $vgpr12
	s_and_saveexec_b64 s[8:9], vcc
	s_cbranch_execz .LBB60_25
; %bb.24:
	global_load_ubyte v12, v0, s[2:3] offset:2560
	s_waitcnt vmcnt(0)
	v_cmp_ne_u16_e32 vcc, 0, v12
	v_cndmask_b32_e64 v12, 0, 1, vcc
.LBB60_25:
	s_or_b64 exec, exec, s[8:9]
	v_or_b32_e32 v13, 0xb00, v0
	v_cmp_gt_u32_e32 vcc, s33, v13
                                        ; implicit-def: $vgpr13
	s_and_saveexec_b64 s[8:9], vcc
	s_cbranch_execz .LBB60_27
; %bb.26:
	global_load_ubyte v13, v0, s[2:3] offset:2816
	s_waitcnt vmcnt(0)
	v_cmp_ne_u16_e32 vcc, 0, v13
	v_cndmask_b32_e64 v13, 0, 1, vcc
.LBB60_27:
	s_or_b64 exec, exec, s[8:9]
	v_or_b32_e32 v14, 0xc00, v0
	v_cmp_gt_u32_e32 vcc, s33, v14
                                        ; implicit-def: $vgpr14
	s_and_saveexec_b64 s[8:9], vcc
	s_cbranch_execz .LBB60_29
; %bb.28:
	global_load_ubyte v14, v0, s[2:3] offset:3072
	s_waitcnt vmcnt(0)
	v_cmp_ne_u16_e32 vcc, 0, v14
	v_cndmask_b32_e64 v14, 0, 1, vcc
.LBB60_29:
	s_or_b64 exec, exec, s[8:9]
	v_or_b32_e32 v15, 0xd00, v0
	v_cmp_gt_u32_e32 vcc, s33, v15
                                        ; implicit-def: $vgpr15
	s_and_saveexec_b64 s[8:9], vcc
	s_cbranch_execz .LBB60_31
; %bb.30:
	global_load_ubyte v15, v0, s[2:3] offset:3328
	s_waitcnt vmcnt(0)
	v_cmp_ne_u16_e32 vcc, 0, v15
	v_cndmask_b32_e64 v15, 0, 1, vcc
.LBB60_31:
	s_or_b64 exec, exec, s[8:9]
	v_or_b32_e32 v16, 0xe00, v0
	v_cmp_gt_u32_e32 vcc, s33, v16
                                        ; implicit-def: $vgpr16
	s_and_saveexec_b64 s[8:9], vcc
	s_cbranch_execz .LBB60_33
; %bb.32:
	global_load_ubyte v16, v0, s[2:3] offset:3584
	s_waitcnt vmcnt(0)
	v_cmp_ne_u16_e32 vcc, 0, v16
	v_cndmask_b32_e64 v16, 0, 1, vcc
.LBB60_33:
	s_or_b64 exec, exec, s[8:9]
	s_waitcnt lgkmcnt(0)
	ds_write_b8 v0, v1
	ds_write_b8 v0, v3 offset:256
	ds_write_b8 v0, v4 offset:512
	;; [unrolled: 1-line block ×14, first 2 shown]
	s_waitcnt lgkmcnt(0)
	s_barrier
	ds_read_b96 v[8:10], v2
	ds_read_u8 v55, v2 offset:12
	ds_read_u8 v11, v2 offset:13
	;; [unrolled: 1-line block ×3, first 2 shown]
	v_mad_u32_u24 v2, v0, 15, 14
	s_waitcnt lgkmcnt(3)
	v_lshrrev_b32_e32 v64, 8, v8
	v_lshrrev_b32_e32 v63, 16, v8
	;; [unrolled: 1-line block ×9, first 2 shown]
	v_cmp_gt_u32_e64 s[8:9], s33, v2
.LBB60_34:
	v_mov_b32_e32 v52, s7
                                        ; implicit-def: $vgpr53
	s_and_saveexec_b64 s[12:13], s[8:9]
; %bb.35:
	v_mov_b32_e32 v53, s7
; %bb.36:
	s_or_b64 exec, exec, s[12:13]
	s_load_dwordx2 s[50:51], s[4:5], 0x78
	s_cmp_eq_u64 s[0:1], 0
	s_cselect_b64 s[48:49], -1, 0
	s_cmp_lg_u64 s[0:1], 0
	s_mov_b64 s[8:9], 0
	s_cselect_b64 s[12:13], -1, 0
	s_and_b64 vcc, exec, s[10:11]
	s_waitcnt lgkmcnt(0)
	s_barrier
	s_cbranch_vccz .LBB60_42
; %bb.37:
	s_and_b64 vcc, exec, s[12:13]
	s_cbranch_vccz .LBB60_43
; %bb.38:
	v_mov_b32_e32 v2, 0
	global_load_ubyte v2, v2, s[2:3] offset:-1
	v_cmp_ne_u16_sdwa s[8:9], v11, v1 src0_sel:BYTE_0 src1_sel:BYTE_0
	v_cmp_ne_u16_sdwa s[10:11], v55, v11 src0_sel:BYTE_0 src1_sel:BYTE_0
	;; [unrolled: 1-line block ×14, first 2 shown]
	ds_write_b8 v0, v1
	s_waitcnt lgkmcnt(0)
	s_barrier
	s_waitcnt vmcnt(0)
	v_cmp_ne_u16_e32 vcc, 0, v2
	v_cndmask_b32_e64 v2, 0, 1, vcc
	v_cmp_ne_u32_e32 vcc, 0, v0
	s_and_saveexec_b64 s[54:55], vcc
	s_cbranch_execz .LBB60_40
; %bb.39:
	v_add_u32_e32 v2, -1, v0
	ds_read_u8 v2, v2
.LBB60_40:
	s_or_b64 exec, exec, s[54:55]
	s_waitcnt lgkmcnt(0)
	v_and_b32_e32 v2, 0xff, v2
	v_cndmask_b32_e64 v65, 0, 1, s[8:9]
	v_cndmask_b32_e64 v66, 0, 1, s[10:11]
	v_cndmask_b32_e64 v67, 0, 1, s[14:15]
	v_cndmask_b32_e64 v68, 0, 1, s[16:17]
	v_cndmask_b32_e64 v69, 0, 1, s[18:19]
	v_cndmask_b32_e64 v70, 0, 1, s[20:21]
	v_cndmask_b32_e64 v71, 0, 1, s[22:23]
	v_cndmask_b32_e64 v21, 0, 1, s[24:25]
	v_cndmask_b32_e64 v72, 0, 1, s[26:27]
	v_cndmask_b32_e64 v73, 0, 1, s[28:29]
	v_cndmask_b32_e64 v74, 0, 1, s[30:31]
	v_cndmask_b32_e64 v75, 0, 1, s[40:41]
	v_cndmask_b32_e64 v76, 0, 1, s[42:43]
	v_cndmask_b32_e64 v77, 0, 1, s[52:53]
	v_cmp_ne_u16_sdwa s[10:11], v2, v8 src0_sel:DWORD src1_sel:BYTE_0
	s_mov_b64 s[8:9], -1
.LBB60_41:
                                        ; implicit-def: $sgpr7
	s_branch .LBB60_55
.LBB60_42:
                                        ; implicit-def: $sgpr10_sgpr11
                                        ; implicit-def: $vgpr65
                                        ; implicit-def: $vgpr66
                                        ; implicit-def: $vgpr67
                                        ; implicit-def: $vgpr68
                                        ; implicit-def: $vgpr69
                                        ; implicit-def: $vgpr70
                                        ; implicit-def: $vgpr71
                                        ; implicit-def: $vgpr21
                                        ; implicit-def: $vgpr72
                                        ; implicit-def: $vgpr73
                                        ; implicit-def: $vgpr74
                                        ; implicit-def: $vgpr75
                                        ; implicit-def: $vgpr76
                                        ; implicit-def: $vgpr77
                                        ; implicit-def: $sgpr7
	s_cbranch_execnz .LBB60_47
	s_branch .LBB60_55
.LBB60_43:
                                        ; implicit-def: $sgpr10_sgpr11
                                        ; implicit-def: $vgpr65
                                        ; implicit-def: $vgpr66
                                        ; implicit-def: $vgpr67
                                        ; implicit-def: $vgpr68
                                        ; implicit-def: $vgpr69
                                        ; implicit-def: $vgpr70
                                        ; implicit-def: $vgpr71
                                        ; implicit-def: $vgpr21
                                        ; implicit-def: $vgpr72
                                        ; implicit-def: $vgpr73
                                        ; implicit-def: $vgpr74
                                        ; implicit-def: $vgpr75
                                        ; implicit-def: $vgpr76
                                        ; implicit-def: $vgpr77
	s_cbranch_execz .LBB60_41
; %bb.44:
	v_cmp_ne_u16_sdwa s[10:11], v11, v1 src0_sel:BYTE_0 src1_sel:BYTE_0
	v_cndmask_b32_e64 v65, 0, 1, s[10:11]
	v_cmp_ne_u16_sdwa s[10:11], v55, v11 src0_sel:BYTE_0 src1_sel:BYTE_0
	v_cndmask_b32_e64 v66, 0, 1, s[10:11]
	v_cmp_ne_u16_sdwa s[10:11], v56, v55 src0_sel:BYTE_0 src1_sel:BYTE_0
	v_cndmask_b32_e64 v67, 0, 1, s[10:11]
	v_cmp_ne_u16_sdwa s[10:11], v57, v56 src0_sel:BYTE_0 src1_sel:BYTE_0
	v_cndmask_b32_e64 v68, 0, 1, s[10:11]
	v_cmp_ne_u16_sdwa s[10:11], v58, v57 src0_sel:BYTE_0 src1_sel:BYTE_0
	v_cndmask_b32_e64 v69, 0, 1, s[10:11]
	v_cmp_ne_u16_sdwa s[10:11], v10, v58 src0_sel:BYTE_0 src1_sel:BYTE_0
	v_cndmask_b32_e64 v70, 0, 1, s[10:11]
	v_cmp_ne_u16_sdwa s[10:11], v59, v10 src0_sel:BYTE_0 src1_sel:BYTE_0
	v_cndmask_b32_e64 v71, 0, 1, s[10:11]
	v_cmp_ne_u16_sdwa s[10:11], v60, v59 src0_sel:BYTE_0 src1_sel:BYTE_0
	v_cndmask_b32_e64 v21, 0, 1, s[10:11]
	v_cmp_ne_u16_sdwa s[10:11], v61, v60 src0_sel:BYTE_0 src1_sel:BYTE_0
	v_cndmask_b32_e64 v72, 0, 1, s[10:11]
	v_cmp_ne_u16_sdwa s[10:11], v9, v61 src0_sel:BYTE_0 src1_sel:BYTE_0
	v_cndmask_b32_e64 v73, 0, 1, s[10:11]
	v_cmp_ne_u16_sdwa s[10:11], v62, v9 src0_sel:BYTE_0 src1_sel:BYTE_0
	v_cndmask_b32_e64 v74, 0, 1, s[10:11]
	v_cmp_ne_u16_sdwa s[10:11], v63, v62 src0_sel:BYTE_0 src1_sel:BYTE_0
	v_cndmask_b32_e64 v75, 0, 1, s[10:11]
	v_cmp_ne_u16_sdwa s[10:11], v64, v63 src0_sel:BYTE_0 src1_sel:BYTE_0
	v_cndmask_b32_e64 v76, 0, 1, s[10:11]
	v_cmp_ne_u16_sdwa s[10:11], v8, v64 src0_sel:BYTE_0 src1_sel:BYTE_0
	v_cndmask_b32_e64 v77, 0, 1, s[10:11]
	v_cmp_ne_u32_e32 vcc, 0, v0
	ds_write_b8 v0, v1
	s_waitcnt lgkmcnt(0)
	s_barrier
	s_waitcnt lgkmcnt(0)
                                        ; implicit-def: $sgpr10_sgpr11
	s_and_saveexec_b64 s[14:15], vcc
	s_xor_b64 s[14:15], exec, s[14:15]
	s_cbranch_execz .LBB60_46
; %bb.45:
	v_add_u32_e32 v2, -1, v0
	ds_read_u8 v2, v2
	s_or_b64 s[8:9], s[8:9], exec
	s_waitcnt lgkmcnt(0)
	v_cmp_ne_u16_sdwa s[10:11], v2, v8 src0_sel:DWORD src1_sel:BYTE_0
	s_and_b64 s[10:11], s[10:11], exec
.LBB60_46:
	s_or_b64 exec, exec, s[14:15]
	s_mov_b32 s7, 1
	s_branch .LBB60_55
.LBB60_47:
	s_mul_hi_u32 s7, s0, 0xfffff100
	s_mulk_i32 s1, 0xf100
	s_sub_i32 s7, s7, s0
	s_add_i32 s7, s7, s1
	s_mulk_i32 s0, 0xf100
	s_add_u32 s30, s0, s44
	s_addc_u32 s31, s7, s45
	s_and_b64 vcc, exec, s[12:13]
	v_mad_u32_u24 v2, v0, 15, 14
	v_cmp_ne_u16_sdwa s[10:11], v11, v1 src0_sel:BYTE_0 src1_sel:BYTE_0
	v_mad_u32_u24 v32, v0, 15, 13
	v_cmp_ne_u16_sdwa s[40:41], v55, v11 src0_sel:BYTE_0 src1_sel:BYTE_0
	;; [unrolled: 2-line block ×14, first 2 shown]
	v_cmp_ne_u32_e64 s[0:1], 0, v0
	s_cbranch_vccz .LBB60_52
; %bb.48:
	v_mov_b32_e32 v3, 0
	global_load_ubyte v35, v3, s[2:3] offset:-1
	v_cmp_gt_u64_e32 vcc, s[30:31], v[2:3]
	v_mov_b32_e32 v33, v3
	v_mov_b32_e32 v31, v3
	;; [unrolled: 1-line block ×13, first 2 shown]
	s_and_b64 s[72:73], vcc, s[10:11]
	v_cmp_gt_u64_e32 vcc, s[30:31], v[32:33]
	v_cmp_gt_u64_e64 s[2:3], s[30:31], v[30:31]
	v_cmp_gt_u64_e64 s[8:9], s[30:31], v[28:29]
	;; [unrolled: 1-line block ×12, first 2 shown]
	s_and_b64 s[40:41], vcc, s[40:41]
	v_mul_u32_u24_e32 v34, 15, v0
	s_and_b64 s[2:3], s[2:3], s[42:43]
	s_and_b64 s[8:9], s[8:9], s[44:45]
	;; [unrolled: 1-line block ×12, first 2 shown]
	ds_write_b8 v0, v1
	s_waitcnt lgkmcnt(0)
	s_barrier
	s_waitcnt vmcnt(0)
	v_cmp_ne_u16_e32 vcc, 0, v35
	v_cndmask_b32_e64 v5, 0, 1, vcc
	s_and_saveexec_b64 s[42:43], s[0:1]
	s_cbranch_execz .LBB60_50
; %bb.49:
	v_add_u32_e32 v5, -1, v0
	ds_read_u8 v5, v5
.LBB60_50:
	s_or_b64 exec, exec, s[42:43]
	v_mov_b32_e32 v35, v3
	s_waitcnt lgkmcnt(0)
	v_and_b32_e32 v3, 0xff, v5
	v_cmp_gt_u64_e32 vcc, s[30:31], v[34:35]
	v_cmp_ne_u16_sdwa s[0:1], v3, v8 src0_sel:DWORD src1_sel:BYTE_0
	v_cndmask_b32_e64 v65, 0, 1, s[72:73]
	v_cndmask_b32_e64 v66, 0, 1, s[40:41]
	;; [unrolled: 1-line block ×14, first 2 shown]
	s_and_b64 s[10:11], vcc, s[0:1]
	s_mov_b64 s[8:9], -1
.LBB60_51:
                                        ; implicit-def: $sgpr7
	v_mov_b32_e32 v78, s7
	s_and_saveexec_b64 s[0:1], s[8:9]
	s_cbranch_execnz .LBB60_56
	s_branch .LBB60_57
.LBB60_52:
                                        ; implicit-def: $sgpr10_sgpr11
                                        ; implicit-def: $vgpr65
                                        ; implicit-def: $vgpr66
                                        ; implicit-def: $vgpr67
                                        ; implicit-def: $vgpr68
                                        ; implicit-def: $vgpr69
                                        ; implicit-def: $vgpr70
                                        ; implicit-def: $vgpr71
                                        ; implicit-def: $vgpr21
                                        ; implicit-def: $vgpr72
                                        ; implicit-def: $vgpr73
                                        ; implicit-def: $vgpr74
                                        ; implicit-def: $vgpr75
                                        ; implicit-def: $vgpr76
                                        ; implicit-def: $vgpr77
	s_cbranch_execz .LBB60_51
; %bb.53:
	v_mov_b32_e32 v3, 0
	v_cmp_gt_u64_e32 vcc, s[30:31], v[2:3]
	v_cmp_ne_u16_sdwa s[0:1], v11, v1 src0_sel:BYTE_0 src1_sel:BYTE_0
	s_and_b64 s[0:1], vcc, s[0:1]
	v_mov_b32_e32 v33, v3
	v_cndmask_b32_e64 v65, 0, 1, s[0:1]
	v_cmp_gt_u64_e32 vcc, s[30:31], v[32:33]
	v_cmp_ne_u16_sdwa s[0:1], v55, v11 src0_sel:BYTE_0 src1_sel:BYTE_0
	s_and_b64 s[0:1], vcc, s[0:1]
	v_mov_b32_e32 v31, v3
	v_cndmask_b32_e64 v66, 0, 1, s[0:1]
	;; [unrolled: 5-line block ×13, first 2 shown]
	v_cmp_gt_u64_e32 vcc, s[30:31], v[4:5]
	v_cmp_ne_u16_sdwa s[0:1], v8, v64 src0_sel:BYTE_0 src1_sel:BYTE_0
	s_and_b64 s[0:1], vcc, s[0:1]
	s_mov_b32 s7, 1
	v_cndmask_b32_e64 v77, 0, 1, s[0:1]
	v_cmp_ne_u32_e32 vcc, 0, v0
	ds_write_b8 v0, v1
	s_waitcnt lgkmcnt(0)
	s_barrier
	s_waitcnt lgkmcnt(0)
                                        ; implicit-def: $sgpr10_sgpr11
	s_and_saveexec_b64 s[0:1], vcc
	s_cbranch_execz .LBB60_147
; %bb.54:
	v_add_u32_e32 v2, -1, v0
	ds_read_u8 v4, v2
	v_mul_u32_u24_e32 v2, 15, v0
	v_cmp_gt_u64_e32 vcc, s[30:31], v[2:3]
	s_or_b64 s[8:9], s[8:9], exec
	s_waitcnt lgkmcnt(0)
	v_and_b32_e32 v2, 0xff, v4
	v_cmp_ne_u16_sdwa s[2:3], v2, v8 src0_sel:DWORD src1_sel:BYTE_0
	s_and_b64 s[2:3], vcc, s[2:3]
	s_and_b64 s[10:11], s[2:3], exec
	s_or_b64 exec, exec, s[0:1]
.LBB60_55:
	v_mov_b32_e32 v78, s7
	s_and_saveexec_b64 s[0:1], s[8:9]
.LBB60_56:
	v_cndmask_b32_e64 v78, 0, 1, s[10:11]
.LBB60_57:
	s_or_b64 exec, exec, s[0:1]
	s_load_dwordx4 s[40:43], s[4:5], 0x28
	s_load_dwordx2 s[44:45], s[4:5], 0x38
	s_cmp_eq_u64 s[38:39], 0
	v_add3_u32 v2, v77, v78, v76
	s_cselect_b64 s[38:39], -1, 0
	s_cmp_lg_u32 s6, 0
	v_cmp_eq_u32_e64 s[24:25], 0, v77
	v_cmp_eq_u32_e64 s[22:23], 0, v76
	v_cmp_eq_u32_e64 s[20:21], 0, v75
	v_add3_u32 v81, v2, v75, v74
	v_cmp_eq_u32_e64 s[18:19], 0, v74
	v_cmp_eq_u32_e64 s[16:17], 0, v73
	;; [unrolled: 1-line block ×10, first 2 shown]
	v_cmp_eq_u32_e32 vcc, 0, v65
	v_mbcnt_lo_u32_b32 v80, -1, 0
	v_lshrrev_b32_e32 v54, 6, v0
	v_or_b32_e32 v79, 63, v0
	s_cbranch_scc0 .LBB60_84
; %bb.58:
	v_cndmask_b32_e64 v2, 0, v52, s[24:25]
	v_add_u32_e32 v2, v2, v52
	v_cndmask_b32_e64 v2, 0, v2, s[22:23]
	v_add_u32_e32 v2, v2, v52
	;; [unrolled: 2-line block ×11, first 2 shown]
	v_cndmask_b32_e64 v2, 0, v2, s[2:3]
	v_add3_u32 v3, v81, v73, v72
	v_add_u32_e32 v2, v2, v52
	v_add3_u32 v3, v3, v21, v71
	v_cndmask_b32_e64 v2, 0, v2, s[0:1]
	v_add3_u32 v3, v3, v70, v69
	v_add_u32_e32 v2, v2, v52
	v_add3_u32 v3, v3, v68, v67
	v_cndmask_b32_e32 v2, 0, v2, vcc
	v_add3_u32 v3, v3, v66, v65
	v_add_u32_e32 v2, v2, v53
	v_mbcnt_hi_u32_b32 v15, -1, v80
	v_and_b32_e32 v4, 15, v15
	v_mov_b32_dpp v6, v2 row_shr:1 row_mask:0xf bank_mask:0xf
	v_cmp_eq_u32_e32 vcc, 0, v3
	v_mov_b32_dpp v5, v3 row_shr:1 row_mask:0xf bank_mask:0xf
	v_cndmask_b32_e32 v6, 0, v6, vcc
	v_cmp_eq_u32_e32 vcc, 0, v4
	v_cndmask_b32_e64 v5, v5, 0, vcc
	v_add_u32_e32 v3, v5, v3
	v_cndmask_b32_e64 v5, v6, 0, vcc
	v_add_u32_e32 v2, v5, v2
	v_cmp_eq_u32_e32 vcc, 0, v3
	v_mov_b32_dpp v5, v3 row_shr:2 row_mask:0xf bank_mask:0xf
	v_cmp_lt_u32_e64 s[26:27], 1, v4
	v_mov_b32_dpp v6, v2 row_shr:2 row_mask:0xf bank_mask:0xf
	v_cndmask_b32_e64 v5, 0, v5, s[26:27]
	s_and_b64 vcc, s[26:27], vcc
	v_cndmask_b32_e32 v6, 0, v6, vcc
	v_add_u32_e32 v3, v3, v5
	v_add_u32_e32 v2, v6, v2
	v_cmp_eq_u32_e32 vcc, 0, v3
	v_mov_b32_dpp v5, v3 row_shr:4 row_mask:0xf bank_mask:0xf
	v_cmp_lt_u32_e64 s[26:27], 3, v4
	v_mov_b32_dpp v6, v2 row_shr:4 row_mask:0xf bank_mask:0xf
	v_cndmask_b32_e64 v5, 0, v5, s[26:27]
	s_and_b64 vcc, s[26:27], vcc
	v_cndmask_b32_e32 v6, 0, v6, vcc
	v_add_u32_e32 v3, v5, v3
	v_add_u32_e32 v2, v2, v6
	v_cmp_eq_u32_e32 vcc, 0, v3
	v_cmp_lt_u32_e64 s[26:27], 7, v4
	v_mov_b32_dpp v5, v3 row_shr:8 row_mask:0xf bank_mask:0xf
	v_mov_b32_dpp v6, v2 row_shr:8 row_mask:0xf bank_mask:0xf
	s_and_b64 vcc, s[26:27], vcc
	v_cndmask_b32_e64 v4, 0, v5, s[26:27]
	v_cndmask_b32_e32 v5, 0, v6, vcc
	v_add_u32_e32 v2, v5, v2
	v_add_u32_e32 v3, v4, v3
	v_bfe_i32 v6, v15, 4, 1
	v_mov_b32_dpp v5, v2 row_bcast:15 row_mask:0xf bank_mask:0xf
	v_mov_b32_dpp v4, v3 row_bcast:15 row_mask:0xf bank_mask:0xf
	v_cmp_eq_u32_e32 vcc, 0, v3
	v_cndmask_b32_e32 v5, 0, v5, vcc
	v_and_b32_e32 v4, v6, v4
	v_add_u32_e32 v3, v4, v3
	v_and_b32_e32 v4, v6, v5
	v_add_u32_e32 v4, v4, v2
	v_mov_b32_dpp v2, v3 row_bcast:31 row_mask:0xf bank_mask:0xf
	v_cmp_eq_u32_e32 vcc, 0, v3
	v_cmp_lt_u32_e64 s[26:27], 31, v15
	v_mov_b32_dpp v5, v4 row_bcast:31 row_mask:0xf bank_mask:0xf
	v_cndmask_b32_e64 v2, 0, v2, s[26:27]
	s_and_b64 vcc, s[26:27], vcc
	v_add_u32_e32 v2, v2, v3
	v_cndmask_b32_e32 v3, 0, v5, vcc
	v_add_u32_e32 v3, v3, v4
	v_cmp_eq_u32_e32 vcc, v79, v0
	v_lshlrev_b32_e32 v4, 3, v54
	s_and_saveexec_b64 s[26:27], vcc
	s_cbranch_execz .LBB60_60
; %bb.59:
	ds_write_b64 v4, v[2:3] offset:528
.LBB60_60:
	s_or_b64 exec, exec, s[26:27]
	v_cmp_gt_u32_e32 vcc, 4, v0
	s_waitcnt lgkmcnt(0)
	s_barrier
	s_and_saveexec_b64 s[30:31], vcc
	s_cbranch_execz .LBB60_62
; %bb.61:
	v_lshlrev_b32_e32 v5, 3, v0
	ds_read_b64 v[6:7], v5 offset:528
	v_and_b32_e32 v12, 3, v15
	v_cmp_lt_u32_e64 s[26:27], 1, v12
	s_waitcnt lgkmcnt(0)
	v_mov_b32_dpp v14, v7 row_shr:1 row_mask:0xf bank_mask:0xf
	v_cmp_eq_u32_e32 vcc, 0, v6
	v_mov_b32_dpp v13, v6 row_shr:1 row_mask:0xf bank_mask:0xf
	v_cndmask_b32_e32 v14, 0, v14, vcc
	v_cmp_eq_u32_e32 vcc, 0, v12
	v_cndmask_b32_e64 v13, v13, 0, vcc
	v_add_u32_e32 v6, v13, v6
	v_cndmask_b32_e64 v13, v14, 0, vcc
	v_add_u32_e32 v7, v13, v7
	v_cmp_eq_u32_e32 vcc, 0, v6
	v_mov_b32_dpp v13, v6 row_shr:2 row_mask:0xf bank_mask:0xf
	v_mov_b32_dpp v14, v7 row_shr:2 row_mask:0xf bank_mask:0xf
	v_cndmask_b32_e64 v12, 0, v13, s[26:27]
	s_and_b64 vcc, s[26:27], vcc
	v_add_u32_e32 v6, v12, v6
	v_cndmask_b32_e32 v12, 0, v14, vcc
	v_add_u32_e32 v7, v12, v7
	ds_write_b64 v5, v[6:7] offset:528
.LBB60_62:
	s_or_b64 exec, exec, s[30:31]
	v_cmp_gt_u32_e32 vcc, 64, v0
	v_cmp_lt_u32_e64 s[26:27], 63, v0
	v_mov_b32_e32 v12, 0
	v_mov_b32_e32 v13, 0
	s_waitcnt lgkmcnt(0)
	s_barrier
	s_and_saveexec_b64 s[30:31], s[26:27]
	s_cbranch_execz .LBB60_64
; %bb.63:
	ds_read_b64 v[12:13], v4 offset:520
	v_cmp_eq_u32_e64 s[26:27], 0, v2
	s_waitcnt lgkmcnt(0)
	v_add_u32_e32 v4, v12, v2
	v_cndmask_b32_e64 v2, 0, v13, s[26:27]
	v_add_u32_e32 v3, v2, v3
	v_mov_b32_e32 v2, v4
.LBB60_64:
	s_or_b64 exec, exec, s[30:31]
	v_add_u32_e32 v4, -1, v15
	v_and_b32_e32 v5, 64, v15
	v_cmp_lt_i32_e64 s[26:27], v4, v5
	v_cndmask_b32_e64 v4, v4, v15, s[26:27]
	v_lshlrev_b32_e32 v4, 2, v4
	ds_bpermute_b32 v20, v4, v2
	ds_bpermute_b32 v22, v4, v3
	v_cmp_eq_u32_e64 s[26:27], 0, v15
	s_and_saveexec_b64 s[52:53], vcc
	s_cbranch_execz .LBB60_83
; %bb.65:
	v_mov_b32_e32 v7, 0
	ds_read_b64 v[2:3], v7 offset:552
	s_waitcnt lgkmcnt(0)
	v_readfirstlane_b32 s7, v2
	v_readfirstlane_b32 s56, v3
	s_and_saveexec_b64 s[30:31], s[26:27]
	s_cbranch_execz .LBB60_67
; %bb.66:
	s_add_i32 s54, s6, 64
	s_mov_b32 s55, 0
	s_lshl_b64 s[58:59], s[54:55], 4
	s_add_u32 s58, s36, s58
	s_addc_u32 s59, s37, s59
	s_and_b32 s61, s56, 0xff000000
	s_mov_b32 s60, s55
	s_and_b32 s63, s56, 0xff0000
	s_mov_b32 s62, s55
	s_or_b64 s[60:61], s[62:63], s[60:61]
	s_and_b32 s63, s56, 0xff00
	s_or_b64 s[60:61], s[60:61], s[62:63]
	s_and_b32 s63, s56, 0xff
	s_or_b64 s[54:55], s[60:61], s[62:63]
	v_mov_b32_e32 v4, s7
	v_mov_b32_e32 v5, s55
	;; [unrolled: 1-line block ×3, first 2 shown]
	v_pk_mov_b32 v[2:3], s[58:59], s[58:59] op_sel:[0,1]
	;;#ASMSTART
	global_store_dwordx4 v[2:3], v[4:7] off	
s_waitcnt vmcnt(0)
	;;#ASMEND
.LBB60_67:
	s_or_b64 exec, exec, s[30:31]
	v_xad_u32 v14, v15, -1, s6
	v_add_u32_e32 v6, 64, v14
	v_lshlrev_b64 v[2:3], 4, v[6:7]
	v_mov_b32_e32 v4, s37
	v_add_co_u32_e32 v16, vcc, s36, v2
	v_addc_co_u32_e32 v17, vcc, v4, v3, vcc
	;;#ASMSTART
	global_load_dwordx4 v[2:5], v[16:17] off glc	
s_waitcnt vmcnt(0)
	;;#ASMEND
	v_and_b32_e32 v5, 0xff, v3
	v_and_b32_e32 v6, 0xff00, v3
	v_or3_b32 v5, 0, v5, v6
	v_or3_b32 v2, v2, 0, 0
	v_and_b32_e32 v6, 0xff000000, v3
	v_and_b32_e32 v3, 0xff0000, v3
	v_or3_b32 v3, v5, v3, v6
	v_or3_b32 v2, v2, 0, 0
	v_cmp_eq_u16_sdwa s[54:55], v4, v7 src0_sel:BYTE_0 src1_sel:DWORD
	s_and_saveexec_b64 s[30:31], s[54:55]
	s_cbranch_execz .LBB60_71
; %bb.68:
	s_mov_b64 s[54:55], 0
	v_mov_b32_e32 v6, 0
.LBB60_69:                              ; =>This Inner Loop Header: Depth=1
	;;#ASMSTART
	global_load_dwordx4 v[2:5], v[16:17] off glc	
s_waitcnt vmcnt(0)
	;;#ASMEND
	v_cmp_ne_u16_sdwa s[58:59], v4, v6 src0_sel:BYTE_0 src1_sel:DWORD
	s_or_b64 s[54:55], s[58:59], s[54:55]
	s_andn2_b64 exec, exec, s[54:55]
	s_cbranch_execnz .LBB60_69
; %bb.70:
	s_or_b64 exec, exec, s[54:55]
.LBB60_71:
	s_or_b64 exec, exec, s[30:31]
	v_mov_b32_e32 v23, 2
	v_cmp_eq_u16_sdwa s[30:31], v4, v23 src0_sel:BYTE_0 src1_sel:DWORD
	v_lshlrev_b64 v[16:17], v15, -1
	v_and_b32_e32 v5, s31, v17
	v_and_b32_e32 v24, 63, v15
	v_or_b32_e32 v5, 0x80000000, v5
	v_cmp_ne_u32_e32 vcc, 63, v24
	v_and_b32_e32 v6, s30, v16
	v_ffbl_b32_e32 v5, v5
	v_addc_co_u32_e32 v7, vcc, 0, v15, vcc
	v_add_u32_e32 v5, 32, v5
	v_ffbl_b32_e32 v6, v6
	v_lshlrev_b32_e32 v25, 2, v7
	v_min_u32_e32 v5, v6, v5
	ds_bpermute_b32 v6, v25, v3
	v_cmp_eq_u32_e32 vcc, 0, v2
	v_cmp_lt_u32_e64 s[30:31], v24, v5
	ds_bpermute_b32 v7, v25, v2
	s_and_b64 vcc, s[30:31], vcc
	s_waitcnt lgkmcnt(1)
	v_cndmask_b32_e32 v6, 0, v6, vcc
	v_cmp_gt_u32_e32 vcc, 62, v24
	v_add_u32_e32 v3, v6, v3
	v_cndmask_b32_e64 v6, 0, 1, vcc
	v_lshlrev_b32_e32 v6, 1, v6
	v_add_lshl_u32 v26, v6, v15, 2
	s_waitcnt lgkmcnt(0)
	v_cndmask_b32_e64 v7, 0, v7, s[30:31]
	ds_bpermute_b32 v6, v26, v3
	v_add_u32_e32 v2, v7, v2
	ds_bpermute_b32 v7, v26, v2
	v_add_u32_e32 v27, 2, v24
	v_cmp_eq_u32_e32 vcc, 0, v2
	s_waitcnt lgkmcnt(1)
	v_cndmask_b32_e32 v6, 0, v6, vcc
	v_cmp_gt_u32_e32 vcc, v27, v5
	v_cndmask_b32_e64 v6, v6, 0, vcc
	v_add_u32_e32 v3, v6, v3
	s_waitcnt lgkmcnt(0)
	v_cndmask_b32_e64 v6, v7, 0, vcc
	v_cmp_gt_u32_e32 vcc, 60, v24
	v_cndmask_b32_e64 v7, 0, 1, vcc
	v_lshlrev_b32_e32 v7, 2, v7
	v_add_lshl_u32 v28, v7, v15, 2
	ds_bpermute_b32 v7, v28, v3
	v_add_u32_e32 v2, v2, v6
	ds_bpermute_b32 v6, v28, v2
	v_add_u32_e32 v29, 4, v24
	v_cmp_eq_u32_e32 vcc, 0, v2
	s_waitcnt lgkmcnt(1)
	v_cndmask_b32_e32 v7, 0, v7, vcc
	v_cmp_gt_u32_e32 vcc, v29, v5
	v_cndmask_b32_e64 v7, v7, 0, vcc
	s_waitcnt lgkmcnt(0)
	v_cndmask_b32_e64 v6, v6, 0, vcc
	v_cmp_gt_u32_e32 vcc, 56, v24
	v_add_u32_e32 v3, v3, v7
	v_cndmask_b32_e64 v7, 0, 1, vcc
	v_lshlrev_b32_e32 v7, 3, v7
	v_add_lshl_u32 v30, v7, v15, 2
	ds_bpermute_b32 v7, v30, v3
	v_add_u32_e32 v2, v2, v6
	ds_bpermute_b32 v6, v30, v2
	v_add_u32_e32 v31, 8, v24
	v_cmp_eq_u32_e32 vcc, 0, v2
	s_waitcnt lgkmcnt(1)
	v_cndmask_b32_e32 v7, 0, v7, vcc
	v_cmp_gt_u32_e32 vcc, v31, v5
	v_cndmask_b32_e64 v7, v7, 0, vcc
	s_waitcnt lgkmcnt(0)
	v_cndmask_b32_e64 v6, v6, 0, vcc
	v_cmp_gt_u32_e32 vcc, 48, v24
	v_add_u32_e32 v3, v3, v7
	;; [unrolled: 16-line block ×3, first 2 shown]
	v_cndmask_b32_e64 v7, 0, 1, vcc
	v_lshlrev_b32_e32 v7, 5, v7
	v_add_lshl_u32 v34, v7, v15, 2
	ds_bpermute_b32 v7, v34, v3
	v_add_u32_e32 v2, v2, v6
	ds_bpermute_b32 v6, v34, v2
	v_add_u32_e32 v35, 32, v24
	v_cmp_eq_u32_e32 vcc, 0, v2
	s_waitcnt lgkmcnt(1)
	v_cndmask_b32_e32 v7, 0, v7, vcc
	v_cmp_gt_u32_e32 vcc, v35, v5
	v_cndmask_b32_e64 v5, v7, 0, vcc
	v_add_u32_e32 v3, v5, v3
	s_waitcnt lgkmcnt(0)
	v_cndmask_b32_e64 v5, v6, 0, vcc
	v_add_u32_e32 v2, v5, v2
	v_mov_b32_e32 v15, 0
	s_branch .LBB60_73
.LBB60_72:                              ;   in Loop: Header=BB60_73 Depth=1
	s_or_b64 exec, exec, s[30:31]
	v_cmp_eq_u16_sdwa s[30:31], v4, v23 src0_sel:BYTE_0 src1_sel:DWORD
	v_and_b32_e32 v5, s31, v17
	v_or_b32_e32 v5, 0x80000000, v5
	v_and_b32_e32 v18, s30, v16
	v_ffbl_b32_e32 v5, v5
	v_add_u32_e32 v5, 32, v5
	v_ffbl_b32_e32 v18, v18
	v_min_u32_e32 v5, v18, v5
	ds_bpermute_b32 v18, v25, v3
	v_cmp_eq_u32_e32 vcc, 0, v2
	v_cmp_lt_u32_e64 s[30:31], v24, v5
	ds_bpermute_b32 v19, v25, v2
	s_and_b64 vcc, s[30:31], vcc
	s_waitcnt lgkmcnt(1)
	v_cndmask_b32_e32 v18, 0, v18, vcc
	v_add_u32_e32 v3, v18, v3
	ds_bpermute_b32 v18, v26, v3
	s_waitcnt lgkmcnt(1)
	v_cndmask_b32_e64 v19, 0, v19, s[30:31]
	v_add_u32_e32 v2, v19, v2
	v_cmp_eq_u32_e32 vcc, 0, v2
	ds_bpermute_b32 v19, v26, v2
	s_waitcnt lgkmcnt(1)
	v_cndmask_b32_e32 v18, 0, v18, vcc
	v_cmp_gt_u32_e32 vcc, v27, v5
	v_cndmask_b32_e64 v18, v18, 0, vcc
	v_add_u32_e32 v3, v18, v3
	ds_bpermute_b32 v18, v28, v3
	s_waitcnt lgkmcnt(1)
	v_cndmask_b32_e64 v19, v19, 0, vcc
	v_add_u32_e32 v2, v2, v19
	v_cmp_eq_u32_e32 vcc, 0, v2
	ds_bpermute_b32 v19, v28, v2
	s_waitcnt lgkmcnt(1)
	v_cndmask_b32_e32 v18, 0, v18, vcc
	v_cmp_gt_u32_e32 vcc, v29, v5
	v_cndmask_b32_e64 v18, v18, 0, vcc
	v_add_u32_e32 v3, v3, v18
	ds_bpermute_b32 v18, v30, v3
	s_waitcnt lgkmcnt(1)
	v_cndmask_b32_e64 v19, v19, 0, vcc
	v_add_u32_e32 v2, v2, v19
	ds_bpermute_b32 v19, v30, v2
	v_cmp_eq_u32_e32 vcc, 0, v2
	s_waitcnt lgkmcnt(1)
	v_cndmask_b32_e32 v18, 0, v18, vcc
	v_cmp_gt_u32_e32 vcc, v31, v5
	v_cndmask_b32_e64 v18, v18, 0, vcc
	v_add_u32_e32 v3, v3, v18
	ds_bpermute_b32 v18, v32, v3
	s_waitcnt lgkmcnt(1)
	v_cndmask_b32_e64 v19, v19, 0, vcc
	v_add_u32_e32 v2, v2, v19
	ds_bpermute_b32 v19, v32, v2
	v_cmp_eq_u32_e32 vcc, 0, v2
	;; [unrolled: 11-line block ×3, first 2 shown]
	s_waitcnt lgkmcnt(1)
	v_cndmask_b32_e32 v18, 0, v18, vcc
	v_cmp_gt_u32_e32 vcc, v35, v5
	v_cndmask_b32_e64 v5, v18, 0, vcc
	v_add_u32_e32 v3, v5, v3
	s_waitcnt lgkmcnt(0)
	v_cndmask_b32_e64 v5, v19, 0, vcc
	v_cmp_eq_u32_e32 vcc, 0, v6
	v_cndmask_b32_e32 v3, 0, v3, vcc
	v_subrev_u32_e32 v14, 64, v14
	v_add3_u32 v2, v2, v6, v5
	v_add_u32_e32 v3, v3, v7
.LBB60_73:                              ; =>This Loop Header: Depth=1
                                        ;     Child Loop BB60_76 Depth 2
	v_cmp_ne_u16_sdwa s[30:31], v4, v23 src0_sel:BYTE_0 src1_sel:DWORD
	v_mov_b32_e32 v7, v3
	v_cndmask_b32_e64 v3, 0, 1, s[30:31]
	;;#ASMSTART
	;;#ASMEND
	v_cmp_ne_u32_e32 vcc, 0, v3
	s_cmp_lg_u64 vcc, exec
	v_mov_b32_e32 v6, v2
	s_cbranch_scc1 .LBB60_78
; %bb.74:                               ;   in Loop: Header=BB60_73 Depth=1
	v_lshlrev_b64 v[2:3], 4, v[14:15]
	v_mov_b32_e32 v4, s37
	v_add_co_u32_e32 v18, vcc, s36, v2
	v_addc_co_u32_e32 v19, vcc, v4, v3, vcc
	;;#ASMSTART
	global_load_dwordx4 v[2:5], v[18:19] off glc	
s_waitcnt vmcnt(0)
	;;#ASMEND
	v_and_b32_e32 v5, 0xff, v3
	v_and_b32_e32 v36, 0xff00, v3
	v_or3_b32 v5, 0, v5, v36
	v_or3_b32 v2, v2, 0, 0
	v_and_b32_e32 v36, 0xff000000, v3
	v_and_b32_e32 v3, 0xff0000, v3
	v_or3_b32 v3, v5, v3, v36
	v_or3_b32 v2, v2, 0, 0
	v_cmp_eq_u16_sdwa s[54:55], v4, v15 src0_sel:BYTE_0 src1_sel:DWORD
	s_and_saveexec_b64 s[30:31], s[54:55]
	s_cbranch_execz .LBB60_72
; %bb.75:                               ;   in Loop: Header=BB60_73 Depth=1
	s_mov_b64 s[54:55], 0
.LBB60_76:                              ;   Parent Loop BB60_73 Depth=1
                                        ; =>  This Inner Loop Header: Depth=2
	;;#ASMSTART
	global_load_dwordx4 v[2:5], v[18:19] off glc	
s_waitcnt vmcnt(0)
	;;#ASMEND
	v_cmp_ne_u16_sdwa s[58:59], v4, v15 src0_sel:BYTE_0 src1_sel:DWORD
	s_or_b64 s[54:55], s[58:59], s[54:55]
	s_andn2_b64 exec, exec, s[54:55]
	s_cbranch_execnz .LBB60_76
; %bb.77:                               ;   in Loop: Header=BB60_73 Depth=1
	s_or_b64 exec, exec, s[54:55]
	s_branch .LBB60_72
.LBB60_78:                              ;   in Loop: Header=BB60_73 Depth=1
                                        ; implicit-def: $vgpr3
                                        ; implicit-def: $vgpr2
                                        ; implicit-def: $vgpr4
	s_cbranch_execz .LBB60_73
; %bb.79:
	s_and_saveexec_b64 s[30:31], s[26:27]
	s_cbranch_execz .LBB60_81
; %bb.80:
	s_cmp_eq_u32 s7, 0
	s_cselect_b64 vcc, -1, 0
	s_mov_b32 s55, 0
	v_cndmask_b32_e32 v2, 0, v7, vcc
	s_add_i32 s54, s6, 64
	v_add_u32_e32 v2, s56, v2
	s_lshl_b64 s[54:55], s[54:55], 4
	s_add_u32 s54, s36, s54
	v_and_b32_e32 v3, 0xff000000, v2
	v_and_b32_e32 v4, 0xff0000, v2
	s_addc_u32 s55, s37, s55
	v_or_b32_e32 v3, v4, v3
	v_and_b32_e32 v4, 0xff00, v2
	v_and_b32_e32 v2, 0xff, v2
	v_add_u32_e32 v14, s7, v6
	v_mov_b32_e32 v17, 0
	v_or3_b32 v15, v3, v4, v2
	v_mov_b32_e32 v16, 2
	v_pk_mov_b32 v[2:3], s[54:55], s[54:55] op_sel:[0,1]
	;;#ASMSTART
	global_store_dwordx4 v[2:3], v[14:17] off	
s_waitcnt vmcnt(0)
	;;#ASMEND
	v_mov_b32_e32 v4, s7
	v_mov_b32_e32 v5, s56
	ds_write_b128 v17, v[4:7] offset:512
.LBB60_81:
	s_or_b64 exec, exec, s[30:31]
	v_cmp_eq_u32_e32 vcc, 0, v0
	s_and_b64 exec, exec, vcc
	s_cbranch_execz .LBB60_83
; %bb.82:
	v_mov_b32_e32 v2, 0
	ds_write_b64 v2, v[6:7] offset:552
.LBB60_83:
	s_or_b64 exec, exec, s[52:53]
	v_mov_b32_e32 v4, 0
	s_waitcnt lgkmcnt(0)
	s_barrier
	ds_read_b64 v[2:3], v4 offset:552
	v_cndmask_b32_e64 v6, v20, v12, s[26:27]
	v_cmp_eq_u32_e32 vcc, 0, v6
	v_cndmask_b32_e64 v5, v22, v13, s[26:27]
	s_waitcnt lgkmcnt(0)
	v_cndmask_b32_e32 v7, 0, v3, vcc
	v_add_u32_e32 v5, v7, v5
	v_cmp_eq_u32_e32 vcc, 0, v0
	v_cndmask_b32_e32 v51, v5, v3, vcc
	v_cndmask_b32_e64 v3, v6, 0, vcc
	v_cmp_eq_u32_e32 vcc, 0, v78
	v_add_u32_e32 v50, v2, v3
	v_cndmask_b32_e32 v2, 0, v51, vcc
	v_add_u32_e32 v49, v2, v52
	v_cndmask_b32_e64 v2, 0, v49, s[24:25]
	v_add_u32_e32 v47, v2, v52
	v_cndmask_b32_e64 v2, 0, v47, s[22:23]
	;; [unrolled: 2-line block ×7, first 2 shown]
	v_add_u32_e32 v48, v50, v78
	v_add_u32_e32 v35, v2, v52
	v_add_u32_e32 v46, v48, v77
	v_cndmask_b32_e64 v2, 0, v35, s[10:11]
	v_add_u32_e32 v44, v46, v76
	v_add_u32_e32 v33, v2, v52
	v_add_u32_e32 v42, v44, v75
	v_cndmask_b32_e64 v2, 0, v33, s[8:9]
	;; [unrolled: 4-line block ×3, first 2 shown]
	v_add_u32_e32 v36, v38, v72
	v_add_u32_e32 v29, v2, v52
	s_barrier
	ds_read_b128 v[16:19], v4 offset:512
	v_add_u32_e32 v34, v36, v21
	v_cndmask_b32_e64 v2, 0, v29, s[4:5]
	v_add_u32_e32 v32, v34, v71
	v_add_u32_e32 v27, v2, v52
	;; [unrolled: 1-line block ×3, first 2 shown]
	v_cndmask_b32_e64 v2, 0, v27, s[2:3]
	v_add_u32_e32 v28, v30, v69
	v_add_u32_e32 v23, v2, v52
	;; [unrolled: 1-line block ×3, first 2 shown]
	v_cndmask_b32_e64 v2, 0, v23, s[0:1]
	s_waitcnt lgkmcnt(0)
	v_cmp_eq_u32_e32 vcc, 0, v16
	v_add_u32_e32 v22, v26, v67
	v_add_u32_e32 v25, v2, v52
	v_cndmask_b32_e32 v2, 0, v19, vcc
	v_add_u32_e32 v24, v22, v66
	v_add_u32_e32 v20, v2, v17
	s_branch .LBB60_96
.LBB60_84:
                                        ; implicit-def: $vgpr16
                                        ; implicit-def: $vgpr20
                                        ; implicit-def: $vgpr24_vgpr25
                                        ; implicit-def: $vgpr22_vgpr23
                                        ; implicit-def: $vgpr26_vgpr27
                                        ; implicit-def: $vgpr28_vgpr29
                                        ; implicit-def: $vgpr50_vgpr51
                                        ; implicit-def: $vgpr48_vgpr49
                                        ; implicit-def: $vgpr46_vgpr47
                                        ; implicit-def: $vgpr44_vgpr45
                                        ; implicit-def: $vgpr42_vgpr43
                                        ; implicit-def: $vgpr40_vgpr41
                                        ; implicit-def: $vgpr38_vgpr39
                                        ; implicit-def: $vgpr36_vgpr37
                                        ; implicit-def: $vgpr34_vgpr35
                                        ; implicit-def: $vgpr32_vgpr33
                                        ; implicit-def: $vgpr30_vgpr31
	s_cbranch_execz .LBB60_96
; %bb.85:
	s_and_b64 s[0:1], s[38:39], exec
	s_cselect_b32 s1, 0, s51
	s_cselect_b32 s0, 0, s50
	s_cmp_eq_u64 s[0:1], 0
	v_mov_b32_e32 v6, v52
	s_cbranch_scc1 .LBB60_87
; %bb.86:
	v_mov_b32_e32 v2, 0
	global_load_dword v6, v2, s[0:1]
.LBB60_87:
	v_cmp_eq_u32_e64 s[0:1], 0, v77
	v_cndmask_b32_e64 v2, 0, v52, s[0:1]
	v_add_u32_e32 v2, v2, v52
	v_cmp_eq_u32_e64 s[2:3], 0, v76
	v_cndmask_b32_e64 v2, 0, v2, s[2:3]
	v_add_u32_e32 v2, v2, v52
	;; [unrolled: 3-line block ×11, first 2 shown]
	v_cmp_eq_u32_e64 s[22:23], 0, v67
	v_cndmask_b32_e64 v2, 0, v2, s[22:23]
	v_add3_u32 v3, v81, v73, v72
	v_add_u32_e32 v2, v2, v52
	v_cmp_eq_u32_e32 vcc, 0, v66
	v_add3_u32 v3, v3, v21, v71
	v_cndmask_b32_e32 v2, 0, v2, vcc
	v_add3_u32 v3, v3, v70, v69
	v_add_u32_e32 v2, v2, v52
	v_cmp_eq_u32_e64 s[24:25], 0, v65
	v_add3_u32 v3, v3, v68, v67
	v_cndmask_b32_e64 v2, 0, v2, s[24:25]
	v_add3_u32 v3, v3, v66, v65
	v_add_u32_e32 v2, v2, v53
	v_mbcnt_hi_u32_b32 v7, -1, v80
	v_and_b32_e32 v4, 15, v7
	v_mov_b32_dpp v12, v2 row_shr:1 row_mask:0xf bank_mask:0xf
	v_cmp_eq_u32_e64 s[24:25], 0, v3
	v_mov_b32_dpp v5, v3 row_shr:1 row_mask:0xf bank_mask:0xf
	v_cndmask_b32_e64 v12, 0, v12, s[24:25]
	v_cmp_eq_u32_e64 s[24:25], 0, v4
	v_cndmask_b32_e64 v5, v5, 0, s[24:25]
	v_add_u32_e32 v3, v5, v3
	v_cndmask_b32_e64 v5, v12, 0, s[24:25]
	v_add_u32_e32 v2, v5, v2
	v_cmp_eq_u32_e64 s[24:25], 0, v3
	v_mov_b32_dpp v5, v3 row_shr:2 row_mask:0xf bank_mask:0xf
	v_cmp_lt_u32_e64 s[26:27], 1, v4
	v_mov_b32_dpp v12, v2 row_shr:2 row_mask:0xf bank_mask:0xf
	v_cndmask_b32_e64 v5, 0, v5, s[26:27]
	s_and_b64 s[24:25], s[26:27], s[24:25]
	v_cndmask_b32_e64 v12, 0, v12, s[24:25]
	v_add_u32_e32 v3, v3, v5
	v_add_u32_e32 v2, v12, v2
	v_cmp_eq_u32_e64 s[24:25], 0, v3
	v_mov_b32_dpp v5, v3 row_shr:4 row_mask:0xf bank_mask:0xf
	v_cmp_lt_u32_e64 s[26:27], 3, v4
	v_mov_b32_dpp v12, v2 row_shr:4 row_mask:0xf bank_mask:0xf
	v_cndmask_b32_e64 v5, 0, v5, s[26:27]
	s_and_b64 s[24:25], s[26:27], s[24:25]
	v_cndmask_b32_e64 v12, 0, v12, s[24:25]
	v_add_u32_e32 v3, v5, v3
	v_add_u32_e32 v2, v2, v12
	v_cmp_eq_u32_e64 s[24:25], 0, v3
	v_cmp_lt_u32_e64 s[26:27], 7, v4
	v_mov_b32_dpp v5, v3 row_shr:8 row_mask:0xf bank_mask:0xf
	v_mov_b32_dpp v12, v2 row_shr:8 row_mask:0xf bank_mask:0xf
	s_and_b64 s[24:25], s[26:27], s[24:25]
	v_cndmask_b32_e64 v4, 0, v5, s[26:27]
	v_cndmask_b32_e64 v5, 0, v12, s[24:25]
	v_add_u32_e32 v2, v5, v2
	v_add_u32_e32 v3, v4, v3
	v_bfe_i32 v12, v7, 4, 1
	v_mov_b32_dpp v5, v2 row_bcast:15 row_mask:0xf bank_mask:0xf
	v_mov_b32_dpp v4, v3 row_bcast:15 row_mask:0xf bank_mask:0xf
	v_cmp_eq_u32_e64 s[24:25], 0, v3
	v_cndmask_b32_e64 v5, 0, v5, s[24:25]
	v_and_b32_e32 v4, v12, v4
	v_add_u32_e32 v3, v4, v3
	v_and_b32_e32 v4, v12, v5
	v_add_u32_e32 v4, v4, v2
	v_mov_b32_dpp v2, v3 row_bcast:31 row_mask:0xf bank_mask:0xf
	v_cmp_eq_u32_e64 s[24:25], 0, v3
	v_cmp_lt_u32_e64 s[26:27], 31, v7
	v_mov_b32_dpp v5, v4 row_bcast:31 row_mask:0xf bank_mask:0xf
	v_cndmask_b32_e64 v2, 0, v2, s[26:27]
	s_and_b64 s[24:25], s[26:27], s[24:25]
	v_add_u32_e32 v2, v2, v3
	v_cndmask_b32_e64 v3, 0, v5, s[24:25]
	v_add_u32_e32 v3, v3, v4
	v_cmp_eq_u32_e64 s[24:25], v79, v0
	v_lshlrev_b32_e32 v5, 3, v54
	s_and_saveexec_b64 s[26:27], s[24:25]
	s_cbranch_execz .LBB60_89
; %bb.88:
	ds_write_b64 v5, v[2:3] offset:528
.LBB60_89:
	s_or_b64 exec, exec, s[26:27]
	v_cmp_gt_u32_e64 s[24:25], 4, v0
	s_waitcnt lgkmcnt(0)
	s_barrier
	s_and_saveexec_b64 s[28:29], s[24:25]
	s_cbranch_execz .LBB60_91
; %bb.90:
	v_lshlrev_b32_e32 v4, 3, v0
	ds_read_b64 v[12:13], v4 offset:528
	v_and_b32_e32 v14, 3, v7
	v_cmp_lt_u32_e64 s[26:27], 1, v14
	s_waitcnt lgkmcnt(0)
	v_mov_b32_dpp v16, v13 row_shr:1 row_mask:0xf bank_mask:0xf
	v_cmp_eq_u32_e64 s[24:25], 0, v12
	v_mov_b32_dpp v15, v12 row_shr:1 row_mask:0xf bank_mask:0xf
	v_cndmask_b32_e64 v16, 0, v16, s[24:25]
	v_cmp_eq_u32_e64 s[24:25], 0, v14
	v_cndmask_b32_e64 v15, v15, 0, s[24:25]
	v_add_u32_e32 v12, v15, v12
	v_cndmask_b32_e64 v15, v16, 0, s[24:25]
	v_add_u32_e32 v13, v15, v13
	v_cmp_eq_u32_e64 s[24:25], 0, v12
	v_mov_b32_dpp v15, v12 row_shr:2 row_mask:0xf bank_mask:0xf
	v_mov_b32_dpp v16, v13 row_shr:2 row_mask:0xf bank_mask:0xf
	v_cndmask_b32_e64 v14, 0, v15, s[26:27]
	s_and_b64 s[24:25], s[26:27], s[24:25]
	v_add_u32_e32 v12, v14, v12
	v_cndmask_b32_e64 v14, 0, v16, s[24:25]
	v_add_u32_e32 v13, v14, v13
	ds_write_b64 v4, v[12:13] offset:528
.LBB60_91:
	s_or_b64 exec, exec, s[28:29]
	v_cmp_lt_u32_e64 s[24:25], 63, v0
	v_mov_b32_e32 v12, 0
	v_mov_b32_e32 v4, 0
	s_waitcnt vmcnt(0)
	v_mov_b32_e32 v13, v6
	s_waitcnt lgkmcnt(0)
	s_barrier
	s_and_saveexec_b64 s[26:27], s[24:25]
	s_cbranch_execz .LBB60_93
; %bb.92:
	ds_read_b64 v[4:5], v5 offset:520
	s_waitcnt lgkmcnt(0)
	v_cmp_eq_u32_e64 s[24:25], 0, v4
	v_cndmask_b32_e64 v13, 0, v6, s[24:25]
	v_add_u32_e32 v13, v13, v5
.LBB60_93:
	s_or_b64 exec, exec, s[26:27]
	v_cmp_eq_u32_e64 s[24:25], 0, v2
	v_add_u32_e32 v5, v4, v2
	v_cndmask_b32_e64 v2, 0, v13, s[24:25]
	v_add_u32_e32 v2, v2, v3
	v_add_u32_e32 v3, -1, v7
	v_and_b32_e32 v14, 64, v7
	v_cmp_lt_i32_e64 s[24:25], v3, v14
	v_cndmask_b32_e64 v3, v3, v7, s[24:25]
	v_lshlrev_b32_e32 v3, 2, v3
	ds_bpermute_b32 v5, v3, v5
	ds_bpermute_b32 v2, v3, v2
	v_cmp_eq_u32_e64 s[24:25], 0, v7
	v_cmp_eq_u32_e64 s[26:27], 0, v78
	ds_read_b64 v[16:17], v12 offset:552
	s_waitcnt lgkmcnt(2)
	v_cndmask_b32_e64 v3, v5, v4, s[24:25]
	s_waitcnt lgkmcnt(1)
	v_cndmask_b32_e64 v2, v2, v13, s[24:25]
	v_cmp_eq_u32_e64 s[24:25], 0, v0
	v_cndmask_b32_e64 v51, v2, v6, s[24:25]
	v_cndmask_b32_e64 v2, 0, v51, s[26:27]
	v_add_u32_e32 v49, v2, v52
	v_cndmask_b32_e64 v2, 0, v49, s[0:1]
	v_add_u32_e32 v47, v2, v52
	;; [unrolled: 2-line block ×7, first 2 shown]
	v_cndmask_b32_e64 v50, v3, 0, s[24:25]
	v_cndmask_b32_e64 v2, 0, v37, s[12:13]
	v_add_u32_e32 v48, v50, v78
	v_add_u32_e32 v35, v2, v52
	v_add_u32_e32 v46, v48, v77
	v_cndmask_b32_e64 v2, 0, v35, s[14:15]
	v_add_u32_e32 v44, v46, v76
	v_add_u32_e32 v33, v2, v52
	v_add_u32_e32 v42, v44, v75
	;; [unrolled: 4-line block ×6, first 2 shown]
	v_cndmask_b32_e32 v2, 0, v23, vcc
	s_waitcnt lgkmcnt(0)
	v_cmp_eq_u32_e32 vcc, 0, v16
	v_add_u32_e32 v22, v26, v67
	v_add_u32_e32 v25, v2, v52
	v_cndmask_b32_e32 v2, 0, v6, vcc
	v_add_u32_e32 v24, v22, v66
	v_add_u32_e32 v20, v2, v17
	s_and_saveexec_b64 s[0:1], s[24:25]
	s_cbranch_execz .LBB60_95
; %bb.94:
	s_add_u32 s2, s36, 0x400
	v_and_b32_e32 v2, 0xff000000, v20
	v_and_b32_e32 v3, 0xff0000, v20
	s_addc_u32 s3, s37, 0
	v_or_b32_e32 v2, v3, v2
	v_and_b32_e32 v3, 0xff00, v20
	v_and_b32_e32 v4, 0xff, v20
	v_mov_b32_e32 v19, 0
	v_or3_b32 v17, v2, v3, v4
	v_mov_b32_e32 v18, 2
	v_pk_mov_b32 v[2:3], s[2:3], s[2:3] op_sel:[0,1]
	;;#ASMSTART
	global_store_dwordx4 v[2:3], v[16:19] off	
s_waitcnt vmcnt(0)
	;;#ASMEND
.LBB60_95:
	s_or_b64 exec, exec, s[0:1]
	v_mov_b32_e32 v18, 0
.LBB60_96:
	s_and_b64 s[0:1], s[38:39], exec
	s_cselect_b32 s1, 0, s47
	s_cselect_b32 s0, 0, s46
	s_cmp_eq_u64 s[0:1], 0
	v_pk_mov_b32 v[52:53], 0, 0
	s_waitcnt lgkmcnt(0)
	s_barrier
	s_cbranch_scc1 .LBB60_98
; %bb.97:
	v_mov_b32_e32 v2, 0
	global_load_dwordx2 v[52:53], v2, s[0:1]
.LBB60_98:
	v_mov_b32_e32 v2, s41
	s_waitcnt vmcnt(0)
	v_add_co_u32_e32 v3, vcc, s40, v52
	v_addc_co_u32_e32 v2, vcc, v2, v53, vcc
	v_add_co_u32_e32 v54, vcc, v3, v18
	v_addc_co_u32_e32 v17, vcc, 0, v2, vcc
	v_cmp_eq_u32_e32 vcc, 0, v78
	v_cndmask_b32_e64 v2, 1, 2, vcc
	v_cmp_eq_u32_e32 vcc, 0, v77
	v_cndmask_b32_e64 v3, 1, 2, vcc
	v_cmp_eq_u32_e32 vcc, 0, v76
	v_and_b32_e32 v2, v3, v2
	v_cndmask_b32_e64 v3, 1, 2, vcc
	v_cmp_eq_u32_e32 vcc, 0, v75
	v_and_b32_e32 v2, v2, v3
	;; [unrolled: 3-line block ×13, first 2 shown]
	v_cndmask_b32_e64 v3, 1, 2, vcc
	s_movk_i32 s30, 0x100
	v_and_b32_e32 v2, v2, v3
	v_cmp_gt_u32_e32 vcc, s30, v16
	v_mov_b32_e32 v19, 0
	v_cmp_ne_u32_e64 s[28:29], 0, v78
	v_cmp_ne_u32_e64 s[26:27], 0, v77
	;; [unrolled: 1-line block ×15, first 2 shown]
	s_mov_b64 s[36:37], -1
	v_cmp_gt_i16_e64 s[30:31], 2, v2
	s_cbranch_vccz .LBB60_105
; %bb.99:
	s_and_saveexec_b64 s[36:37], s[30:31]
	s_cbranch_execz .LBB60_104
; %bb.100:
	v_cmp_ne_u16_e32 vcc, 1, v2
	s_mov_b64 s[38:39], 0
	s_and_saveexec_b64 s[30:31], vcc
	s_xor_b64 s[30:31], exec, s[30:31]
	s_cbranch_execnz .LBB60_148
; %bb.101:
	s_andn2_saveexec_b64 s[30:31], s[30:31]
	s_cbranch_execnz .LBB60_164
.LBB60_102:
	s_or_b64 exec, exec, s[30:31]
	s_and_b64 exec, exec, s[38:39]
	s_cbranch_execz .LBB60_104
.LBB60_103:
	v_sub_u32_e32 v3, v24, v18
	v_readfirstlane_b32 s30, v54
	v_readfirstlane_b32 s31, v17
	s_nop 4
	global_store_byte v3, v1, s[30:31]
.LBB60_104:
	s_or_b64 exec, exec, s[36:37]
	s_mov_b64 s[36:37], 0
.LBB60_105:
	s_and_b64 vcc, exec, s[36:37]
	s_cbranch_vccz .LBB60_126
; %bb.106:
	v_cmp_gt_i16_e32 vcc, 2, v2
	s_and_saveexec_b64 s[30:31], vcc
	s_cbranch_execz .LBB60_111
; %bb.107:
	v_cmp_ne_u16_e32 vcc, 1, v2
	s_mov_b64 s[38:39], 0
	s_and_saveexec_b64 s[36:37], vcc
	s_xor_b64 s[36:37], exec, s[36:37]
	s_cbranch_execnz .LBB60_165
; %bb.108:
	s_andn2_saveexec_b64 s[0:1], s[36:37]
	s_cbranch_execnz .LBB60_181
.LBB60_109:
	s_or_b64 exec, exec, s[0:1]
	s_and_b64 exec, exec, s[38:39]
	s_cbranch_execz .LBB60_111
.LBB60_110:
	v_sub_u32_e32 v2, v24, v18
	ds_write_b8 v2, v1
.LBB60_111:
	s_or_b64 exec, exec, s[30:31]
	v_cmp_lt_u32_e32 vcc, v0, v16
	s_waitcnt lgkmcnt(0)
	s_barrier
	s_and_saveexec_b64 s[0:1], vcc
	s_cbranch_execz .LBB60_125
; %bb.112:
	v_xad_u32 v2, v0, -1, v16
	s_movk_i32 s2, 0x1700
	s_movk_i32 s4, 0x16ff
	v_cmp_gt_u32_e64 s[2:3], s2, v2
	v_cmp_lt_u32_e32 vcc, s4, v2
	v_mov_b32_e32 v1, v0
	s_and_saveexec_b64 s[4:5], vcc
	s_cbranch_execz .LBB60_122
; %bb.113:
	v_sub_u32_e32 v1, v0, v16
	v_or_b32_e32 v1, 0xff, v1
	v_cmp_ge_u32_e32 vcc, v1, v0
	s_mov_b64 s[8:9], -1
	v_mov_b32_e32 v1, v0
	s_and_saveexec_b64 s[6:7], vcc
	s_cbranch_execz .LBB60_121
; %bb.114:
	v_lshrrev_b32_e32 v55, 8, v2
	v_or_b32_e32 v7, 0x700, v0
	v_or_b32_e32 v6, 0x600, v0
	;; [unrolled: 1-line block ×7, first 2 shown]
	v_add_u32_e32 v56, -7, v55
	v_pk_mov_b32 v[14:15], v[6:7], v[6:7] op_sel:[0,1]
	v_cmp_lt_u32_e32 vcc, 7, v56
	v_mov_b32_e32 v59, 0
	v_pk_mov_b32 v[12:13], v[4:5], v[4:5] op_sel:[0,1]
	v_pk_mov_b32 v[10:11], v[2:3], v[2:3] op_sel:[0,1]
	;; [unrolled: 1-line block ×3, first 2 shown]
	s_and_saveexec_b64 s[8:9], vcc
	s_cbranch_execz .LBB60_118
; %bb.115:
	v_lshrrev_b32_e32 v8, 3, v56
	v_add_u32_e32 v8, 1, v8
	v_and_b32_e32 v57, 0x3ffffffe, v8
	v_pk_mov_b32 v[14:15], v[6:7], v[6:7] op_sel:[0,1]
	s_mov_b32 s12, 0
	s_mov_b64 s[10:11], 0
	v_mov_b32_e32 v58, v0
	v_pk_mov_b32 v[12:13], v[4:5], v[4:5] op_sel:[0,1]
	v_pk_mov_b32 v[10:11], v[2:3], v[2:3] op_sel:[0,1]
	;; [unrolled: 1-line block ×3, first 2 shown]
.LBB60_116:                             ; =>This Inner Loop Header: Depth=1
	v_add_co_u32_e32 v2, vcc, v54, v8
	v_addc_co_u32_e32 v3, vcc, 0, v17, vcc
	v_add_co_u32_e32 v4, vcc, v54, v9
	v_addc_co_u32_e32 v5, vcc, 0, v17, vcc
	;; [unrolled: 2-line block ×8, first 2 shown]
	v_add_u32_e32 v86, 0x800, v8
	v_add_co_u32_e32 v86, vcc, v54, v86
	v_add_u32_e32 v88, 0x800, v9
	v_addc_co_u32_e32 v87, vcc, 0, v17, vcc
	v_add_co_u32_e32 v88, vcc, v54, v88
	v_add_u32_e32 v90, 0x800, v10
	v_addc_co_u32_e32 v89, vcc, 0, v17, vcc
	v_add_co_u32_e32 v90, vcc, v54, v90
	v_add_u32_e32 v92, 0x800, v11
	v_addc_co_u32_e32 v91, vcc, 0, v17, vcc
	v_add_co_u32_e32 v92, vcc, v54, v92
	v_add_u32_e32 v94, 0x800, v12
	v_addc_co_u32_e32 v93, vcc, 0, v17, vcc
	v_add_co_u32_e32 v94, vcc, v54, v94
	v_add_u32_e32 v96, 0x800, v13
	v_addc_co_u32_e32 v95, vcc, 0, v17, vcc
	v_add_co_u32_e32 v96, vcc, v54, v96
	v_add_u32_e32 v98, 0x800, v14
	v_addc_co_u32_e32 v97, vcc, 0, v17, vcc
	v_add_co_u32_e32 v98, vcc, v54, v98
	ds_read_u8 v1, v58
	ds_read_u8 v64, v58 offset:256
	ds_read_u8 v79, v58 offset:512
	;; [unrolled: 1-line block ×7, first 2 shown]
	v_add_u32_e32 v59, 0x800, v15
	ds_read_u8 v107, v58 offset:2048
	ds_read_u8 v108, v58 offset:2304
	;; [unrolled: 1-line block ×8, first 2 shown]
	v_addc_co_u32_e32 v99, vcc, 0, v17, vcc
	v_add_co_u32_e32 v100, vcc, v54, v59
	v_add_u32_e32 v57, -2, v57
	v_addc_co_u32_e32 v101, vcc, 0, v17, vcc
	s_add_i32 s12, s12, 16
	v_cmp_eq_u32_e32 vcc, 0, v57
	v_add_u32_e32 v15, 0x1000, v15
	v_add_u32_e32 v14, 0x1000, v14
	;; [unrolled: 1-line block ×9, first 2 shown]
	v_mov_b32_e32 v59, s12
	s_or_b64 s[10:11], vcc, s[10:11]
	s_waitcnt lgkmcnt(14)
	global_store_byte v[2:3], v1, off
	global_store_byte v[4:5], v64, off
	s_waitcnt lgkmcnt(13)
	global_store_byte v[6:7], v79, off
	s_waitcnt lgkmcnt(12)
	;; [unrolled: 2-line block ×14, first 2 shown]
	global_store_byte v[100:101], v114, off
	s_andn2_b64 exec, exec, s[10:11]
	s_cbranch_execnz .LBB60_116
; %bb.117:
	s_or_b64 exec, exec, s[10:11]
.LBB60_118:
	s_or_b64 exec, exec, s[8:9]
	v_and_b32_e32 v1, 8, v56
	v_cmp_eq_u32_e32 vcc, 0, v1
	s_and_saveexec_b64 s[8:9], vcc
	s_cbranch_execz .LBB60_120
; %bb.119:
	v_add_co_u32_e32 v2, vcc, v54, v8
	v_addc_co_u32_e32 v3, vcc, 0, v17, vcc
	v_add_co_u32_e32 v4, vcc, v54, v9
	v_addc_co_u32_e32 v5, vcc, 0, v17, vcc
	;; [unrolled: 2-line block ×4, first 2 shown]
	v_add_co_u32_e32 v10, vcc, v54, v12
	v_lshl_or_b32 v1, v59, 8, v0
	v_addc_co_u32_e32 v11, vcc, 0, v17, vcc
	ds_read_u8 v58, v1
	ds_read_u8 v59, v1 offset:256
	ds_read_u8 v60, v1 offset:512
	ds_read_u8 v61, v1 offset:768
	ds_read_u8 v62, v1 offset:1024
	ds_read_u8 v63, v1 offset:1280
	ds_read_u8 v64, v1 offset:1536
	ds_read_u8 v1, v1 offset:1792
	v_add_co_u32_e32 v12, vcc, v54, v13
	v_addc_co_u32_e32 v13, vcc, 0, v17, vcc
	v_add_co_u32_e32 v56, vcc, v54, v14
	v_addc_co_u32_e32 v57, vcc, 0, v17, vcc
	;; [unrolled: 2-line block ×3, first 2 shown]
	s_waitcnt lgkmcnt(7)
	global_store_byte v[2:3], v58, off
	s_waitcnt lgkmcnt(6)
	global_store_byte v[4:5], v59, off
	;; [unrolled: 2-line block ×8, first 2 shown]
.LBB60_120:
	s_or_b64 exec, exec, s[8:9]
	v_add_u32_e32 v2, 1, v55
	v_and_b32_e32 v3, 0x1fffff8, v2
	v_cmp_ne_u32_e32 vcc, v2, v3
	v_lshl_or_b32 v1, v3, 8, v0
	s_orn2_b64 s[8:9], vcc, exec
.LBB60_121:
	s_or_b64 exec, exec, s[6:7]
	s_andn2_b64 s[2:3], s[2:3], exec
	s_and_b64 s[6:7], s[8:9], exec
	s_or_b64 s[2:3], s[2:3], s[6:7]
.LBB60_122:
	s_or_b64 exec, exec, s[4:5]
	s_and_b64 exec, exec, s[2:3]
	s_cbranch_execz .LBB60_125
; %bb.123:
	s_mov_b64 s[2:3], 0
.LBB60_124:                             ; =>This Inner Loop Header: Depth=1
	ds_read_u8 v2, v1
	v_readfirstlane_b32 s4, v54
	v_readfirstlane_b32 s5, v17
	s_waitcnt lgkmcnt(0)
	s_nop 3
	global_store_byte v1, v2, s[4:5]
	v_add_u32_e32 v1, 0x100, v1
	v_cmp_ge_u32_e32 vcc, v1, v16
	s_or_b64 s[2:3], vcc, s[2:3]
	s_andn2_b64 exec, exec, s[2:3]
	s_cbranch_execnz .LBB60_124
.LBB60_125:
	s_or_b64 exec, exec, s[0:1]
.LBB60_126:
	s_cmpk_lg_i32 s33, 0xf00
	s_cselect_b64 s[0:1], -1, 0
	v_cndmask_b32_e64 v8, 0, 1, s[48:49]
	s_and_b64 s[0:1], s[34:35], s[0:1]
	v_cmp_eq_u32_e32 vcc, 0, v0
	v_sub_u32_e32 v1, v16, v8
	v_cndmask_b32_e64 v2, 0, 1, s[0:1]
	s_and_b64 s[0:1], vcc, s[48:49]
	v_add_u32_e32 v1, v1, v2
	v_cndmask_b32_e64 v2, v78, 0, s[0:1]
	s_mul_hi_u32 s0, s33, 0x88888889
	s_lshr_b32 s0, s0, 3
	v_mad_i32_i24 v3, v0, -15, s33
	v_cmp_eq_u32_e32 vcc, s0, v0
	v_cmp_ne_u32_e64 s[0:1], 0, v3
	v_cndmask_b32_e64 v4, 1, v2, s[0:1]
	v_cmp_ne_u32_e64 s[0:1], 1, v3
	v_cndmask_b32_e64 v5, 1, v77, s[0:1]
	;; [unrolled: 2-line block ×15, first 2 shown]
	s_and_b64 vcc, s[34:35], vcc
	v_cndmask_b32_e32 v56, v65, v3, vcc
	v_cndmask_b32_e32 v59, v2, v4, vcc
	v_lshlrev_b64 v[2:3], 3, v[52:53]
	v_cndmask_b32_e32 v55, v66, v55, vcc
	v_cndmask_b32_e32 v54, v67, v54, vcc
	;; [unrolled: 1-line block ×13, first 2 shown]
	v_mov_b32_e32 v4, s43
	v_add_co_u32_e32 v5, vcc, s42, v2
	v_addc_co_u32_e32 v6, vcc, v4, v3, vcc
	v_lshlrev_b64 v[2:3], 3, v[18:19]
	v_add_co_u32_e32 v4, vcc, v5, v2
	v_addc_co_u32_e32 v5, vcc, v6, v3, vcc
	v_lshlrev_b32_e32 v2, 3, v8
	v_add_co_u32_e32 v2, vcc, v2, v4
	v_addc_co_u32_e32 v3, vcc, 0, v5, vcc
	v_add_co_u32_e32 v6, vcc, -8, v2
	v_addc_co_u32_e32 v7, vcc, -1, v3, vcc
	v_cmp_eq_u32_e32 vcc, 0, v59
	v_cndmask_b32_e64 v3, 1, 2, vcc
	v_cmp_eq_u32_e32 vcc, 0, v58
	v_add_u32_e32 v2, v18, v8
	v_cndmask_b32_e64 v8, 1, 2, vcc
	v_cmp_eq_u32_e32 vcc, 0, v57
	v_and_b32_e32 v3, v8, v3
	v_cndmask_b32_e64 v8, 1, 2, vcc
	v_cmp_eq_u32_e32 vcc, 0, v21
	v_and_b32_e32 v3, v3, v8
	;; [unrolled: 3-line block ×13, first 2 shown]
	v_cndmask_b32_e64 v8, 1, 2, vcc
	s_movk_i32 s30, 0x100
	v_and_b32_e32 v3, v3, v8
	v_cmp_gt_u32_e32 vcc, s30, v1
	v_cmp_ne_u32_e64 s[28:29], 0, v59
	v_cmp_ne_u32_e64 s[26:27], 0, v58
	;; [unrolled: 1-line block ×15, first 2 shown]
	s_mov_b64 s[36:37], -1
	v_cmp_gt_i16_e64 s[30:31], 2, v3
	s_barrier
	s_cbranch_vccz .LBB60_133
; %bb.127:
	s_and_saveexec_b64 s[36:37], s[30:31]
	s_cbranch_execz .LBB60_132
; %bb.128:
	v_cmp_ne_u16_e32 vcc, 1, v3
	s_mov_b64 s[38:39], 0
	s_and_saveexec_b64 s[30:31], vcc
	s_xor_b64 s[30:31], exec, s[30:31]
	s_cbranch_execnz .LBB60_182
; %bb.129:
	s_andn2_saveexec_b64 s[30:31], s[30:31]
	s_cbranch_execnz .LBB60_198
.LBB60_130:
	s_or_b64 exec, exec, s[30:31]
	s_and_b64 exec, exec, s[38:39]
	s_cbranch_execz .LBB60_132
.LBB60_131:
	v_mov_b32_e32 v9, 0
	v_sub_u32_e32 v10, v24, v2
	v_mov_b32_e32 v11, v9
	v_lshlrev_b64 v[10:11], 3, v[10:11]
	v_add_co_u32_e32 v10, vcc, v6, v10
	v_mov_b32_e32 v8, v25
	v_addc_co_u32_e32 v11, vcc, v7, v11, vcc
	global_store_dwordx2 v[10:11], v[8:9], off
.LBB60_132:
	s_or_b64 exec, exec, s[36:37]
	s_mov_b64 s[36:37], 0
.LBB60_133:
	s_and_b64 vcc, exec, s[36:37]
	s_cbranch_vccz .LBB60_143
; %bb.134:
	v_cmp_gt_i16_e32 vcc, 2, v3
	s_and_saveexec_b64 s[30:31], vcc
	s_cbranch_execz .LBB60_139
; %bb.135:
	v_cmp_ne_u16_e32 vcc, 1, v3
	s_mov_b64 s[38:39], 0
	s_and_saveexec_b64 s[36:37], vcc
	s_xor_b64 s[36:37], exec, s[36:37]
	s_cbranch_execnz .LBB60_199
; %bb.136:
	s_andn2_saveexec_b64 s[0:1], s[36:37]
	s_cbranch_execnz .LBB60_215
.LBB60_137:
	s_or_b64 exec, exec, s[0:1]
	s_and_b64 exec, exec, s[38:39]
	s_cbranch_execz .LBB60_139
.LBB60_138:
	v_sub_u32_e32 v2, v24, v2
	v_lshlrev_b32_e32 v2, 2, v2
	ds_write_b32 v2, v25
.LBB60_139:
	s_or_b64 exec, exec, s[30:31]
	v_cmp_lt_u32_e32 vcc, v0, v1
	s_waitcnt lgkmcnt(0)
	s_barrier
	s_and_saveexec_b64 s[0:1], vcc
	s_cbranch_execz .LBB60_142
; %bb.140:
	v_lshlrev_b32_e32 v8, 2, v0
	s_mov_b64 s[2:3], 0
	v_mov_b32_e32 v3, 0
	v_mov_b32_e32 v2, v0
.LBB60_141:                             ; =>This Inner Loop Header: Depth=1
	ds_read_b32 v10, v8
	v_lshlrev_b64 v[12:13], 3, v[2:3]
	v_add_co_u32_e32 v12, vcc, v6, v12
	v_add_u32_e32 v2, 0x100, v2
	v_addc_co_u32_e32 v13, vcc, v7, v13, vcc
	v_cmp_ge_u32_e32 vcc, v2, v1
	v_mov_b32_e32 v11, v3
	v_add_u32_e32 v8, 0x400, v8
	s_or_b64 s[2:3], vcc, s[2:3]
	s_waitcnt lgkmcnt(0)
	global_store_dwordx2 v[12:13], v[10:11], off
	s_andn2_b64 exec, exec, s[2:3]
	s_cbranch_execnz .LBB60_141
.LBB60_142:
	s_or_b64 exec, exec, s[0:1]
.LBB60_143:
	s_movk_i32 s0, 0xff
	v_cmp_eq_u32_e32 vcc, s0, v0
	s_and_b64 s[0:1], vcc, s[34:35]
	s_and_saveexec_b64 s[2:3], s[0:1]
	s_cbranch_execz .LBB60_146
; %bb.144:
	v_add_co_u32_e32 v0, vcc, v16, v18
	v_addc_co_u32_e64 v1, s[0:1], 0, 0, vcc
	v_add_co_u32_e32 v0, vcc, v0, v52
	v_mov_b32_e32 v17, 0
	v_addc_co_u32_e32 v1, vcc, v1, v53, vcc
	s_cmpk_lg_i32 s33, 0xf00
	global_store_dwordx2 v17, v[0:1], s[44:45]
	s_cbranch_scc1 .LBB60_146
; %bb.145:
	v_lshlrev_b64 v[0:1], 3, v[16:17]
	v_add_co_u32_e32 v0, vcc, v4, v0
	v_mov_b32_e32 v21, v17
	v_addc_co_u32_e32 v1, vcc, v5, v1, vcc
	global_store_dwordx2 v[0:1], v[20:21], off offset:-8
.LBB60_146:
	s_endpgm
.LBB60_147:
	s_or_b64 exec, exec, s[0:1]
	v_mov_b32_e32 v78, s7
	s_and_saveexec_b64 s[0:1], s[8:9]
	s_cbranch_execnz .LBB60_56
	s_branch .LBB60_57
.LBB60_148:
	s_and_saveexec_b64 s[38:39], s[28:29]
	s_cbranch_execnz .LBB60_216
; %bb.149:
	s_or_b64 exec, exec, s[38:39]
	s_and_saveexec_b64 s[38:39], s[26:27]
	s_cbranch_execnz .LBB60_217
.LBB60_150:
	s_or_b64 exec, exec, s[38:39]
	s_and_saveexec_b64 s[38:39], s[24:25]
	s_cbranch_execnz .LBB60_218
.LBB60_151:
	s_or_b64 exec, exec, s[38:39]
	s_and_saveexec_b64 s[38:39], s[22:23]
	s_cbranch_execnz .LBB60_219
.LBB60_152:
	s_or_b64 exec, exec, s[38:39]
	s_and_saveexec_b64 s[38:39], s[20:21]
	s_cbranch_execnz .LBB60_220
.LBB60_153:
	s_or_b64 exec, exec, s[38:39]
	s_and_saveexec_b64 s[38:39], s[18:19]
	s_cbranch_execnz .LBB60_221
.LBB60_154:
	s_or_b64 exec, exec, s[38:39]
	s_and_saveexec_b64 s[38:39], s[16:17]
	s_cbranch_execnz .LBB60_222
.LBB60_155:
	s_or_b64 exec, exec, s[38:39]
	s_and_saveexec_b64 s[38:39], s[14:15]
	s_cbranch_execnz .LBB60_223
.LBB60_156:
	s_or_b64 exec, exec, s[38:39]
	s_and_saveexec_b64 s[38:39], s[12:13]
	s_cbranch_execnz .LBB60_224
.LBB60_157:
	s_or_b64 exec, exec, s[38:39]
	s_and_saveexec_b64 s[38:39], s[10:11]
	s_cbranch_execnz .LBB60_225
.LBB60_158:
	s_or_b64 exec, exec, s[38:39]
	s_and_saveexec_b64 s[38:39], s[8:9]
	s_cbranch_execnz .LBB60_226
.LBB60_159:
	s_or_b64 exec, exec, s[38:39]
	s_and_saveexec_b64 s[38:39], s[6:7]
	s_cbranch_execnz .LBB60_227
.LBB60_160:
	s_or_b64 exec, exec, s[38:39]
	s_and_saveexec_b64 s[38:39], s[4:5]
	s_cbranch_execnz .LBB60_228
.LBB60_161:
	s_or_b64 exec, exec, s[38:39]
	s_and_saveexec_b64 s[38:39], s[2:3]
	s_cbranch_execz .LBB60_163
.LBB60_162:
	v_sub_u32_e32 v3, v22, v18
	v_readfirstlane_b32 s40, v54
	v_readfirstlane_b32 s41, v17
	s_nop 4
	global_store_byte v3, v11, s[40:41]
.LBB60_163:
	s_or_b64 exec, exec, s[38:39]
	s_and_b64 s[38:39], s[0:1], exec
	s_andn2_saveexec_b64 s[30:31], s[30:31]
	s_cbranch_execz .LBB60_102
.LBB60_164:
	v_sub_u32_e32 v3, v50, v18
	v_readfirstlane_b32 s40, v54
	v_readfirstlane_b32 s41, v17
	s_or_b64 s[38:39], s[38:39], exec
	s_nop 3
	global_store_byte v3, v8, s[40:41]
	v_sub_u32_e32 v3, v48, v18
	global_store_byte v3, v64, s[40:41]
	v_sub_u32_e32 v3, v46, v18
	;; [unrolled: 2-line block ×13, first 2 shown]
	global_store_byte v3, v11, s[40:41]
	s_or_b64 exec, exec, s[30:31]
	s_and_b64 exec, exec, s[38:39]
	s_cbranch_execnz .LBB60_103
	s_branch .LBB60_104
.LBB60_165:
	s_and_saveexec_b64 s[38:39], s[28:29]
	s_cbranch_execnz .LBB60_229
; %bb.166:
	s_or_b64 exec, exec, s[38:39]
	s_and_saveexec_b64 s[28:29], s[26:27]
	s_cbranch_execnz .LBB60_230
.LBB60_167:
	s_or_b64 exec, exec, s[28:29]
	s_and_saveexec_b64 s[26:27], s[24:25]
	s_cbranch_execnz .LBB60_231
.LBB60_168:
	s_or_b64 exec, exec, s[26:27]
	s_and_saveexec_b64 s[24:25], s[22:23]
	s_cbranch_execnz .LBB60_232
.LBB60_169:
	s_or_b64 exec, exec, s[24:25]
	s_and_saveexec_b64 s[22:23], s[20:21]
	s_cbranch_execnz .LBB60_233
.LBB60_170:
	s_or_b64 exec, exec, s[22:23]
	s_and_saveexec_b64 s[20:21], s[18:19]
	s_cbranch_execnz .LBB60_234
.LBB60_171:
	s_or_b64 exec, exec, s[20:21]
	s_and_saveexec_b64 s[18:19], s[16:17]
	s_cbranch_execnz .LBB60_235
.LBB60_172:
	s_or_b64 exec, exec, s[18:19]
	s_and_saveexec_b64 s[16:17], s[14:15]
	s_cbranch_execnz .LBB60_236
.LBB60_173:
	s_or_b64 exec, exec, s[16:17]
	s_and_saveexec_b64 s[14:15], s[12:13]
	s_cbranch_execnz .LBB60_237
.LBB60_174:
	s_or_b64 exec, exec, s[14:15]
	s_and_saveexec_b64 s[12:13], s[10:11]
	s_cbranch_execnz .LBB60_238
.LBB60_175:
	s_or_b64 exec, exec, s[12:13]
	s_and_saveexec_b64 s[10:11], s[8:9]
	s_cbranch_execnz .LBB60_239
.LBB60_176:
	s_or_b64 exec, exec, s[10:11]
	s_and_saveexec_b64 s[8:9], s[6:7]
	s_cbranch_execnz .LBB60_240
.LBB60_177:
	s_or_b64 exec, exec, s[8:9]
	s_and_saveexec_b64 s[6:7], s[4:5]
	s_cbranch_execnz .LBB60_241
.LBB60_178:
	s_or_b64 exec, exec, s[6:7]
	s_and_saveexec_b64 s[4:5], s[2:3]
	s_cbranch_execz .LBB60_180
.LBB60_179:
	v_sub_u32_e32 v2, v22, v18
	ds_write_b8 v2, v11
.LBB60_180:
	s_or_b64 exec, exec, s[4:5]
	s_and_b64 s[38:39], s[0:1], exec
                                        ; implicit-def: $vgpr11
                                        ; implicit-def: $vgpr55
                                        ; implicit-def: $vgpr56
                                        ; implicit-def: $vgpr57
                                        ; implicit-def: $vgpr58
                                        ; implicit-def: $vgpr10
                                        ; implicit-def: $vgpr59
                                        ; implicit-def: $vgpr60
                                        ; implicit-def: $vgpr61
                                        ; implicit-def: $vgpr62
                                        ; implicit-def: $vgpr63
                                        ; implicit-def: $vgpr64
	s_andn2_saveexec_b64 s[0:1], s[36:37]
	s_cbranch_execz .LBB60_109
.LBB60_181:
	v_sub_u32_e32 v2, v50, v18
	ds_write_b8 v2, v8
	v_sub_u32_e32 v2, v48, v18
	ds_write_b8 v2, v64
	;; [unrolled: 2-line block ×13, first 2 shown]
	v_sub_u32_e32 v2, v22, v18
	s_or_b64 s[38:39], s[38:39], exec
	ds_write_b8 v2, v11
	s_or_b64 exec, exec, s[0:1]
	s_and_b64 exec, exec, s[38:39]
	s_cbranch_execnz .LBB60_110
	s_branch .LBB60_111
.LBB60_182:
	s_and_saveexec_b64 s[38:39], s[28:29]
	s_cbranch_execnz .LBB60_242
; %bb.183:
	s_or_b64 exec, exec, s[38:39]
	s_and_saveexec_b64 s[38:39], s[26:27]
	s_cbranch_execnz .LBB60_243
.LBB60_184:
	s_or_b64 exec, exec, s[38:39]
	s_and_saveexec_b64 s[38:39], s[24:25]
	s_cbranch_execnz .LBB60_244
.LBB60_185:
	s_or_b64 exec, exec, s[38:39]
	s_and_saveexec_b64 s[38:39], s[22:23]
	s_cbranch_execnz .LBB60_245
.LBB60_186:
	s_or_b64 exec, exec, s[38:39]
	s_and_saveexec_b64 s[38:39], s[20:21]
	s_cbranch_execnz .LBB60_246
.LBB60_187:
	s_or_b64 exec, exec, s[38:39]
	s_and_saveexec_b64 s[38:39], s[18:19]
	s_cbranch_execnz .LBB60_247
.LBB60_188:
	s_or_b64 exec, exec, s[38:39]
	s_and_saveexec_b64 s[38:39], s[16:17]
	s_cbranch_execnz .LBB60_248
.LBB60_189:
	s_or_b64 exec, exec, s[38:39]
	s_and_saveexec_b64 s[38:39], s[14:15]
	s_cbranch_execnz .LBB60_249
.LBB60_190:
	s_or_b64 exec, exec, s[38:39]
	s_and_saveexec_b64 s[38:39], s[12:13]
	s_cbranch_execnz .LBB60_250
.LBB60_191:
	s_or_b64 exec, exec, s[38:39]
	s_and_saveexec_b64 s[38:39], s[10:11]
	s_cbranch_execnz .LBB60_251
.LBB60_192:
	s_or_b64 exec, exec, s[38:39]
	s_and_saveexec_b64 s[38:39], s[8:9]
	s_cbranch_execnz .LBB60_252
.LBB60_193:
	s_or_b64 exec, exec, s[38:39]
	s_and_saveexec_b64 s[38:39], s[6:7]
	s_cbranch_execnz .LBB60_253
.LBB60_194:
	s_or_b64 exec, exec, s[38:39]
	s_and_saveexec_b64 s[38:39], s[4:5]
	s_cbranch_execnz .LBB60_254
.LBB60_195:
	s_or_b64 exec, exec, s[38:39]
	s_and_saveexec_b64 s[38:39], s[2:3]
	s_cbranch_execz .LBB60_197
.LBB60_196:
	v_sub_u32_e32 v8, v22, v2
	v_mov_b32_e32 v9, 0
	v_lshlrev_b64 v[10:11], 3, v[8:9]
	v_add_co_u32_e32 v10, vcc, v6, v10
	v_addc_co_u32_e32 v11, vcc, v7, v11, vcc
	v_mov_b32_e32 v8, v23
	global_store_dwordx2 v[10:11], v[8:9], off
.LBB60_197:
	s_or_b64 exec, exec, s[38:39]
	s_and_b64 s[38:39], s[0:1], exec
	s_andn2_saveexec_b64 s[30:31], s[30:31]
	s_cbranch_execz .LBB60_130
.LBB60_198:
	v_mov_b32_e32 v9, 0
	v_sub_u32_e32 v10, v50, v2
	v_mov_b32_e32 v11, v9
	v_lshlrev_b64 v[10:11], 3, v[10:11]
	v_add_co_u32_e32 v10, vcc, v6, v10
	v_mov_b32_e32 v8, v51
	v_addc_co_u32_e32 v11, vcc, v7, v11, vcc
	global_store_dwordx2 v[10:11], v[8:9], off
	v_sub_u32_e32 v10, v48, v2
	v_mov_b32_e32 v11, v9
	v_lshlrev_b64 v[10:11], 3, v[10:11]
	v_add_co_u32_e32 v10, vcc, v6, v10
	v_mov_b32_e32 v8, v49
	v_addc_co_u32_e32 v11, vcc, v7, v11, vcc
	global_store_dwordx2 v[10:11], v[8:9], off
	;; [unrolled: 7-line block ×13, first 2 shown]
	v_sub_u32_e32 v10, v22, v2
	v_mov_b32_e32 v11, v9
	v_lshlrev_b64 v[10:11], 3, v[10:11]
	v_add_co_u32_e32 v10, vcc, v6, v10
	v_mov_b32_e32 v8, v23
	v_addc_co_u32_e32 v11, vcc, v7, v11, vcc
	s_or_b64 s[38:39], s[38:39], exec
	global_store_dwordx2 v[10:11], v[8:9], off
	s_or_b64 exec, exec, s[30:31]
	s_and_b64 exec, exec, s[38:39]
	s_cbranch_execnz .LBB60_131
	s_branch .LBB60_132
.LBB60_199:
	s_and_saveexec_b64 s[38:39], s[28:29]
	s_cbranch_execnz .LBB60_255
; %bb.200:
	s_or_b64 exec, exec, s[38:39]
	s_and_saveexec_b64 s[28:29], s[26:27]
	s_cbranch_execnz .LBB60_256
.LBB60_201:
	s_or_b64 exec, exec, s[28:29]
	s_and_saveexec_b64 s[26:27], s[24:25]
	s_cbranch_execnz .LBB60_257
.LBB60_202:
	s_or_b64 exec, exec, s[26:27]
	s_and_saveexec_b64 s[24:25], s[22:23]
	s_cbranch_execnz .LBB60_258
.LBB60_203:
	s_or_b64 exec, exec, s[24:25]
	s_and_saveexec_b64 s[22:23], s[20:21]
	s_cbranch_execnz .LBB60_259
.LBB60_204:
	s_or_b64 exec, exec, s[22:23]
	s_and_saveexec_b64 s[20:21], s[18:19]
	s_cbranch_execnz .LBB60_260
.LBB60_205:
	s_or_b64 exec, exec, s[20:21]
	s_and_saveexec_b64 s[18:19], s[16:17]
	s_cbranch_execnz .LBB60_261
.LBB60_206:
	s_or_b64 exec, exec, s[18:19]
	s_and_saveexec_b64 s[16:17], s[14:15]
	s_cbranch_execnz .LBB60_262
.LBB60_207:
	s_or_b64 exec, exec, s[16:17]
	s_and_saveexec_b64 s[14:15], s[12:13]
	s_cbranch_execnz .LBB60_263
.LBB60_208:
	s_or_b64 exec, exec, s[14:15]
	s_and_saveexec_b64 s[12:13], s[10:11]
	s_cbranch_execnz .LBB60_264
.LBB60_209:
	s_or_b64 exec, exec, s[12:13]
	s_and_saveexec_b64 s[10:11], s[8:9]
	s_cbranch_execnz .LBB60_265
.LBB60_210:
	s_or_b64 exec, exec, s[10:11]
	s_and_saveexec_b64 s[8:9], s[6:7]
	s_cbranch_execnz .LBB60_266
.LBB60_211:
	s_or_b64 exec, exec, s[8:9]
	s_and_saveexec_b64 s[6:7], s[4:5]
	s_cbranch_execnz .LBB60_267
.LBB60_212:
	s_or_b64 exec, exec, s[6:7]
	s_and_saveexec_b64 s[4:5], s[2:3]
	s_cbranch_execz .LBB60_214
.LBB60_213:
	v_sub_u32_e32 v3, v22, v2
	v_lshlrev_b32_e32 v3, 2, v3
	ds_write_b32 v3, v23
.LBB60_214:
	s_or_b64 exec, exec, s[4:5]
	s_and_b64 s[38:39], s[0:1], exec
                                        ; implicit-def: $vgpr22_vgpr23
                                        ; implicit-def: $vgpr26_vgpr27
                                        ; implicit-def: $vgpr28_vgpr29
                                        ; implicit-def: $vgpr50_vgpr51
                                        ; implicit-def: $vgpr48_vgpr49
                                        ; implicit-def: $vgpr46_vgpr47
                                        ; implicit-def: $vgpr44_vgpr45
                                        ; implicit-def: $vgpr42_vgpr43
                                        ; implicit-def: $vgpr40_vgpr41
                                        ; implicit-def: $vgpr38_vgpr39
                                        ; implicit-def: $vgpr36_vgpr37
                                        ; implicit-def: $vgpr34_vgpr35
                                        ; implicit-def: $vgpr32_vgpr33
                                        ; implicit-def: $vgpr30_vgpr31
	s_andn2_saveexec_b64 s[0:1], s[36:37]
	s_cbranch_execz .LBB60_137
.LBB60_215:
	v_sub_u32_e32 v3, v50, v2
	v_lshlrev_b32_e32 v3, 2, v3
	ds_write_b32 v3, v51
	v_sub_u32_e32 v3, v48, v2
	v_lshlrev_b32_e32 v3, 2, v3
	ds_write_b32 v3, v49
	;; [unrolled: 3-line block ×13, first 2 shown]
	v_sub_u32_e32 v3, v22, v2
	v_lshlrev_b32_e32 v3, 2, v3
	s_or_b64 s[38:39], s[38:39], exec
	ds_write_b32 v3, v23
	s_or_b64 exec, exec, s[0:1]
	s_and_b64 exec, exec, s[38:39]
	s_cbranch_execnz .LBB60_138
	s_branch .LBB60_139
.LBB60_216:
	v_sub_u32_e32 v3, v50, v18
	v_readfirstlane_b32 s40, v54
	v_readfirstlane_b32 s41, v17
	s_nop 4
	global_store_byte v3, v8, s[40:41]
	s_or_b64 exec, exec, s[38:39]
	s_and_saveexec_b64 s[38:39], s[26:27]
	s_cbranch_execz .LBB60_150
.LBB60_217:
	v_sub_u32_e32 v3, v48, v18
	v_readfirstlane_b32 s40, v54
	v_readfirstlane_b32 s41, v17
	s_nop 4
	global_store_byte v3, v64, s[40:41]
	s_or_b64 exec, exec, s[38:39]
	s_and_saveexec_b64 s[38:39], s[24:25]
	s_cbranch_execz .LBB60_151
.LBB60_218:
	v_sub_u32_e32 v3, v46, v18
	v_readfirstlane_b32 s40, v54
	v_readfirstlane_b32 s41, v17
	s_nop 4
	global_store_byte v3, v63, s[40:41]
	s_or_b64 exec, exec, s[38:39]
	s_and_saveexec_b64 s[38:39], s[22:23]
	s_cbranch_execz .LBB60_152
.LBB60_219:
	v_sub_u32_e32 v3, v44, v18
	v_readfirstlane_b32 s40, v54
	v_readfirstlane_b32 s41, v17
	s_nop 4
	global_store_byte v3, v62, s[40:41]
	s_or_b64 exec, exec, s[38:39]
	s_and_saveexec_b64 s[38:39], s[20:21]
	s_cbranch_execz .LBB60_153
.LBB60_220:
	v_sub_u32_e32 v3, v42, v18
	v_readfirstlane_b32 s40, v54
	v_readfirstlane_b32 s41, v17
	s_nop 4
	global_store_byte v3, v9, s[40:41]
	s_or_b64 exec, exec, s[38:39]
	s_and_saveexec_b64 s[38:39], s[18:19]
	s_cbranch_execz .LBB60_154
.LBB60_221:
	v_sub_u32_e32 v3, v40, v18
	v_readfirstlane_b32 s40, v54
	v_readfirstlane_b32 s41, v17
	s_nop 4
	global_store_byte v3, v61, s[40:41]
	s_or_b64 exec, exec, s[38:39]
	s_and_saveexec_b64 s[38:39], s[16:17]
	s_cbranch_execz .LBB60_155
.LBB60_222:
	v_sub_u32_e32 v3, v38, v18
	v_readfirstlane_b32 s40, v54
	v_readfirstlane_b32 s41, v17
	s_nop 4
	global_store_byte v3, v60, s[40:41]
	s_or_b64 exec, exec, s[38:39]
	s_and_saveexec_b64 s[38:39], s[14:15]
	s_cbranch_execz .LBB60_156
.LBB60_223:
	v_sub_u32_e32 v3, v36, v18
	v_readfirstlane_b32 s40, v54
	v_readfirstlane_b32 s41, v17
	s_nop 4
	global_store_byte v3, v59, s[40:41]
	s_or_b64 exec, exec, s[38:39]
	s_and_saveexec_b64 s[38:39], s[12:13]
	s_cbranch_execz .LBB60_157
.LBB60_224:
	v_sub_u32_e32 v3, v34, v18
	v_readfirstlane_b32 s40, v54
	v_readfirstlane_b32 s41, v17
	s_nop 4
	global_store_byte v3, v10, s[40:41]
	s_or_b64 exec, exec, s[38:39]
	s_and_saveexec_b64 s[38:39], s[10:11]
	s_cbranch_execz .LBB60_158
.LBB60_225:
	v_sub_u32_e32 v3, v32, v18
	v_readfirstlane_b32 s40, v54
	v_readfirstlane_b32 s41, v17
	s_nop 4
	global_store_byte v3, v58, s[40:41]
	s_or_b64 exec, exec, s[38:39]
	s_and_saveexec_b64 s[38:39], s[8:9]
	s_cbranch_execz .LBB60_159
.LBB60_226:
	v_sub_u32_e32 v3, v30, v18
	v_readfirstlane_b32 s40, v54
	v_readfirstlane_b32 s41, v17
	s_nop 4
	global_store_byte v3, v57, s[40:41]
	s_or_b64 exec, exec, s[38:39]
	s_and_saveexec_b64 s[38:39], s[6:7]
	s_cbranch_execz .LBB60_160
.LBB60_227:
	v_sub_u32_e32 v3, v28, v18
	v_readfirstlane_b32 s40, v54
	v_readfirstlane_b32 s41, v17
	s_nop 4
	global_store_byte v3, v56, s[40:41]
	s_or_b64 exec, exec, s[38:39]
	s_and_saveexec_b64 s[38:39], s[4:5]
	s_cbranch_execz .LBB60_161
.LBB60_228:
	v_sub_u32_e32 v3, v26, v18
	v_readfirstlane_b32 s40, v54
	v_readfirstlane_b32 s41, v17
	s_nop 4
	global_store_byte v3, v55, s[40:41]
	s_or_b64 exec, exec, s[38:39]
	s_and_saveexec_b64 s[38:39], s[2:3]
	s_cbranch_execnz .LBB60_162
	s_branch .LBB60_163
.LBB60_229:
	v_sub_u32_e32 v2, v50, v18
	ds_write_b8 v2, v8
	s_or_b64 exec, exec, s[38:39]
	s_and_saveexec_b64 s[28:29], s[26:27]
	s_cbranch_execz .LBB60_167
.LBB60_230:
	v_sub_u32_e32 v2, v48, v18
	ds_write_b8 v2, v64
	s_or_b64 exec, exec, s[28:29]
	s_and_saveexec_b64 s[26:27], s[24:25]
	s_cbranch_execz .LBB60_168
.LBB60_231:
	v_sub_u32_e32 v2, v46, v18
	ds_write_b8 v2, v63
	s_or_b64 exec, exec, s[26:27]
	s_and_saveexec_b64 s[24:25], s[22:23]
	s_cbranch_execz .LBB60_169
.LBB60_232:
	v_sub_u32_e32 v2, v44, v18
	ds_write_b8 v2, v62
	s_or_b64 exec, exec, s[24:25]
	s_and_saveexec_b64 s[22:23], s[20:21]
	s_cbranch_execz .LBB60_170
.LBB60_233:
	v_sub_u32_e32 v2, v42, v18
	ds_write_b8 v2, v9
	s_or_b64 exec, exec, s[22:23]
	s_and_saveexec_b64 s[20:21], s[18:19]
	s_cbranch_execz .LBB60_171
.LBB60_234:
	v_sub_u32_e32 v2, v40, v18
	ds_write_b8 v2, v61
	s_or_b64 exec, exec, s[20:21]
	s_and_saveexec_b64 s[18:19], s[16:17]
	s_cbranch_execz .LBB60_172
.LBB60_235:
	v_sub_u32_e32 v2, v38, v18
	ds_write_b8 v2, v60
	s_or_b64 exec, exec, s[18:19]
	s_and_saveexec_b64 s[16:17], s[14:15]
	s_cbranch_execz .LBB60_173
.LBB60_236:
	v_sub_u32_e32 v2, v36, v18
	ds_write_b8 v2, v59
	s_or_b64 exec, exec, s[16:17]
	s_and_saveexec_b64 s[14:15], s[12:13]
	s_cbranch_execz .LBB60_174
.LBB60_237:
	v_sub_u32_e32 v2, v34, v18
	ds_write_b8 v2, v10
	s_or_b64 exec, exec, s[14:15]
	s_and_saveexec_b64 s[12:13], s[10:11]
	s_cbranch_execz .LBB60_175
.LBB60_238:
	v_sub_u32_e32 v2, v32, v18
	ds_write_b8 v2, v58
	s_or_b64 exec, exec, s[12:13]
	s_and_saveexec_b64 s[10:11], s[8:9]
	s_cbranch_execz .LBB60_176
.LBB60_239:
	v_sub_u32_e32 v2, v30, v18
	ds_write_b8 v2, v57
	s_or_b64 exec, exec, s[10:11]
	s_and_saveexec_b64 s[8:9], s[6:7]
	s_cbranch_execz .LBB60_177
.LBB60_240:
	v_sub_u32_e32 v2, v28, v18
	ds_write_b8 v2, v56
	s_or_b64 exec, exec, s[8:9]
	s_and_saveexec_b64 s[6:7], s[4:5]
	s_cbranch_execz .LBB60_178
.LBB60_241:
	v_sub_u32_e32 v2, v26, v18
	ds_write_b8 v2, v55
	s_or_b64 exec, exec, s[6:7]
	s_and_saveexec_b64 s[4:5], s[2:3]
	s_cbranch_execnz .LBB60_179
	s_branch .LBB60_180
.LBB60_242:
	v_sub_u32_e32 v8, v50, v2
	v_mov_b32_e32 v9, 0
	v_lshlrev_b64 v[10:11], 3, v[8:9]
	v_add_co_u32_e32 v10, vcc, v6, v10
	v_addc_co_u32_e32 v11, vcc, v7, v11, vcc
	v_mov_b32_e32 v8, v51
	global_store_dwordx2 v[10:11], v[8:9], off
	s_or_b64 exec, exec, s[38:39]
	s_and_saveexec_b64 s[38:39], s[26:27]
	s_cbranch_execz .LBB60_184
.LBB60_243:
	v_sub_u32_e32 v8, v48, v2
	v_mov_b32_e32 v9, 0
	v_lshlrev_b64 v[10:11], 3, v[8:9]
	v_add_co_u32_e32 v10, vcc, v6, v10
	v_addc_co_u32_e32 v11, vcc, v7, v11, vcc
	v_mov_b32_e32 v8, v49
	global_store_dwordx2 v[10:11], v[8:9], off
	s_or_b64 exec, exec, s[38:39]
	s_and_saveexec_b64 s[38:39], s[24:25]
	s_cbranch_execz .LBB60_185
.LBB60_244:
	v_sub_u32_e32 v8, v46, v2
	v_mov_b32_e32 v9, 0
	v_lshlrev_b64 v[10:11], 3, v[8:9]
	v_add_co_u32_e32 v10, vcc, v6, v10
	v_addc_co_u32_e32 v11, vcc, v7, v11, vcc
	v_mov_b32_e32 v8, v47
	global_store_dwordx2 v[10:11], v[8:9], off
	s_or_b64 exec, exec, s[38:39]
	s_and_saveexec_b64 s[38:39], s[22:23]
	s_cbranch_execz .LBB60_186
.LBB60_245:
	v_sub_u32_e32 v8, v44, v2
	v_mov_b32_e32 v9, 0
	v_lshlrev_b64 v[10:11], 3, v[8:9]
	v_add_co_u32_e32 v10, vcc, v6, v10
	v_addc_co_u32_e32 v11, vcc, v7, v11, vcc
	v_mov_b32_e32 v8, v45
	global_store_dwordx2 v[10:11], v[8:9], off
	s_or_b64 exec, exec, s[38:39]
	s_and_saveexec_b64 s[38:39], s[20:21]
	s_cbranch_execz .LBB60_187
.LBB60_246:
	v_sub_u32_e32 v8, v42, v2
	v_mov_b32_e32 v9, 0
	v_lshlrev_b64 v[10:11], 3, v[8:9]
	v_add_co_u32_e32 v10, vcc, v6, v10
	v_addc_co_u32_e32 v11, vcc, v7, v11, vcc
	v_mov_b32_e32 v8, v43
	global_store_dwordx2 v[10:11], v[8:9], off
	s_or_b64 exec, exec, s[38:39]
	s_and_saveexec_b64 s[38:39], s[18:19]
	s_cbranch_execz .LBB60_188
.LBB60_247:
	v_sub_u32_e32 v8, v40, v2
	v_mov_b32_e32 v9, 0
	v_lshlrev_b64 v[10:11], 3, v[8:9]
	v_add_co_u32_e32 v10, vcc, v6, v10
	v_addc_co_u32_e32 v11, vcc, v7, v11, vcc
	v_mov_b32_e32 v8, v41
	global_store_dwordx2 v[10:11], v[8:9], off
	s_or_b64 exec, exec, s[38:39]
	s_and_saveexec_b64 s[38:39], s[16:17]
	s_cbranch_execz .LBB60_189
.LBB60_248:
	v_sub_u32_e32 v8, v38, v2
	v_mov_b32_e32 v9, 0
	v_lshlrev_b64 v[10:11], 3, v[8:9]
	v_add_co_u32_e32 v10, vcc, v6, v10
	v_addc_co_u32_e32 v11, vcc, v7, v11, vcc
	v_mov_b32_e32 v8, v39
	global_store_dwordx2 v[10:11], v[8:9], off
	s_or_b64 exec, exec, s[38:39]
	s_and_saveexec_b64 s[38:39], s[14:15]
	s_cbranch_execz .LBB60_190
.LBB60_249:
	v_sub_u32_e32 v8, v36, v2
	v_mov_b32_e32 v9, 0
	v_lshlrev_b64 v[10:11], 3, v[8:9]
	v_add_co_u32_e32 v10, vcc, v6, v10
	v_addc_co_u32_e32 v11, vcc, v7, v11, vcc
	v_mov_b32_e32 v8, v37
	global_store_dwordx2 v[10:11], v[8:9], off
	s_or_b64 exec, exec, s[38:39]
	s_and_saveexec_b64 s[38:39], s[12:13]
	s_cbranch_execz .LBB60_191
.LBB60_250:
	v_sub_u32_e32 v8, v34, v2
	v_mov_b32_e32 v9, 0
	v_lshlrev_b64 v[10:11], 3, v[8:9]
	v_add_co_u32_e32 v10, vcc, v6, v10
	v_addc_co_u32_e32 v11, vcc, v7, v11, vcc
	v_mov_b32_e32 v8, v35
	global_store_dwordx2 v[10:11], v[8:9], off
	s_or_b64 exec, exec, s[38:39]
	s_and_saveexec_b64 s[38:39], s[10:11]
	s_cbranch_execz .LBB60_192
.LBB60_251:
	v_sub_u32_e32 v8, v32, v2
	v_mov_b32_e32 v9, 0
	v_lshlrev_b64 v[10:11], 3, v[8:9]
	v_add_co_u32_e32 v10, vcc, v6, v10
	v_addc_co_u32_e32 v11, vcc, v7, v11, vcc
	v_mov_b32_e32 v8, v33
	global_store_dwordx2 v[10:11], v[8:9], off
	s_or_b64 exec, exec, s[38:39]
	s_and_saveexec_b64 s[38:39], s[8:9]
	s_cbranch_execz .LBB60_193
.LBB60_252:
	v_sub_u32_e32 v8, v30, v2
	v_mov_b32_e32 v9, 0
	v_lshlrev_b64 v[10:11], 3, v[8:9]
	v_add_co_u32_e32 v10, vcc, v6, v10
	v_addc_co_u32_e32 v11, vcc, v7, v11, vcc
	v_mov_b32_e32 v8, v31
	global_store_dwordx2 v[10:11], v[8:9], off
	s_or_b64 exec, exec, s[38:39]
	s_and_saveexec_b64 s[38:39], s[6:7]
	s_cbranch_execz .LBB60_194
.LBB60_253:
	v_sub_u32_e32 v8, v28, v2
	v_mov_b32_e32 v9, 0
	v_lshlrev_b64 v[10:11], 3, v[8:9]
	v_add_co_u32_e32 v10, vcc, v6, v10
	v_addc_co_u32_e32 v11, vcc, v7, v11, vcc
	v_mov_b32_e32 v8, v29
	global_store_dwordx2 v[10:11], v[8:9], off
	s_or_b64 exec, exec, s[38:39]
	s_and_saveexec_b64 s[38:39], s[4:5]
	s_cbranch_execz .LBB60_195
.LBB60_254:
	v_sub_u32_e32 v8, v26, v2
	v_mov_b32_e32 v9, 0
	v_lshlrev_b64 v[10:11], 3, v[8:9]
	v_add_co_u32_e32 v10, vcc, v6, v10
	v_addc_co_u32_e32 v11, vcc, v7, v11, vcc
	v_mov_b32_e32 v8, v27
	global_store_dwordx2 v[10:11], v[8:9], off
	s_or_b64 exec, exec, s[38:39]
	s_and_saveexec_b64 s[38:39], s[2:3]
	s_cbranch_execnz .LBB60_196
	s_branch .LBB60_197
.LBB60_255:
	v_sub_u32_e32 v3, v50, v2
	v_lshlrev_b32_e32 v3, 2, v3
	ds_write_b32 v3, v51
	s_or_b64 exec, exec, s[38:39]
	s_and_saveexec_b64 s[28:29], s[26:27]
	s_cbranch_execz .LBB60_201
.LBB60_256:
	v_sub_u32_e32 v3, v48, v2
	v_lshlrev_b32_e32 v3, 2, v3
	ds_write_b32 v3, v49
	s_or_b64 exec, exec, s[28:29]
	s_and_saveexec_b64 s[26:27], s[24:25]
	s_cbranch_execz .LBB60_202
.LBB60_257:
	v_sub_u32_e32 v3, v46, v2
	v_lshlrev_b32_e32 v3, 2, v3
	ds_write_b32 v3, v47
	s_or_b64 exec, exec, s[26:27]
	s_and_saveexec_b64 s[24:25], s[22:23]
	s_cbranch_execz .LBB60_203
.LBB60_258:
	v_sub_u32_e32 v3, v44, v2
	v_lshlrev_b32_e32 v3, 2, v3
	ds_write_b32 v3, v45
	s_or_b64 exec, exec, s[24:25]
	s_and_saveexec_b64 s[22:23], s[20:21]
	s_cbranch_execz .LBB60_204
.LBB60_259:
	v_sub_u32_e32 v3, v42, v2
	v_lshlrev_b32_e32 v3, 2, v3
	ds_write_b32 v3, v43
	s_or_b64 exec, exec, s[22:23]
	s_and_saveexec_b64 s[20:21], s[18:19]
	s_cbranch_execz .LBB60_205
.LBB60_260:
	v_sub_u32_e32 v3, v40, v2
	v_lshlrev_b32_e32 v3, 2, v3
	ds_write_b32 v3, v41
	s_or_b64 exec, exec, s[20:21]
	s_and_saveexec_b64 s[18:19], s[16:17]
	s_cbranch_execz .LBB60_206
.LBB60_261:
	v_sub_u32_e32 v3, v38, v2
	v_lshlrev_b32_e32 v3, 2, v3
	ds_write_b32 v3, v39
	s_or_b64 exec, exec, s[18:19]
	s_and_saveexec_b64 s[16:17], s[14:15]
	s_cbranch_execz .LBB60_207
.LBB60_262:
	v_sub_u32_e32 v3, v36, v2
	v_lshlrev_b32_e32 v3, 2, v3
	ds_write_b32 v3, v37
	s_or_b64 exec, exec, s[16:17]
	s_and_saveexec_b64 s[14:15], s[12:13]
	s_cbranch_execz .LBB60_208
.LBB60_263:
	v_sub_u32_e32 v3, v34, v2
	v_lshlrev_b32_e32 v3, 2, v3
	ds_write_b32 v3, v35
	s_or_b64 exec, exec, s[14:15]
	s_and_saveexec_b64 s[12:13], s[10:11]
	s_cbranch_execz .LBB60_209
.LBB60_264:
	v_sub_u32_e32 v3, v32, v2
	v_lshlrev_b32_e32 v3, 2, v3
	ds_write_b32 v3, v33
	s_or_b64 exec, exec, s[12:13]
	s_and_saveexec_b64 s[10:11], s[8:9]
	s_cbranch_execz .LBB60_210
.LBB60_265:
	v_sub_u32_e32 v3, v30, v2
	v_lshlrev_b32_e32 v3, 2, v3
	ds_write_b32 v3, v31
	s_or_b64 exec, exec, s[10:11]
	s_and_saveexec_b64 s[8:9], s[6:7]
	s_cbranch_execz .LBB60_211
.LBB60_266:
	v_sub_u32_e32 v3, v28, v2
	v_lshlrev_b32_e32 v3, 2, v3
	ds_write_b32 v3, v29
	s_or_b64 exec, exec, s[8:9]
	s_and_saveexec_b64 s[6:7], s[4:5]
	s_cbranch_execz .LBB60_212
.LBB60_267:
	v_sub_u32_e32 v3, v26, v2
	v_lshlrev_b32_e32 v3, 2, v3
	ds_write_b32 v3, v27
	s_or_b64 exec, exec, s[6:7]
	s_and_saveexec_b64 s[4:5], s[2:3]
	s_cbranch_execnz .LBB60_213
	s_branch .LBB60_214
	.section	.rodata,"a",@progbits
	.p2align	6, 0x0
	.amdhsa_kernel _ZN7rocprim17ROCPRIM_400000_NS6detail17trampoline_kernelINS0_14default_configENS1_33run_length_encode_config_selectorIbjNS0_4plusIjEEEEZZNS1_33reduce_by_key_impl_wrapped_configILNS1_25lookback_scan_determinismE0ES3_S7_N6hipcub16HIPCUB_304000_NS22TransformInputIteratorIbN2at6native8internal12_GLOBAL__N_110LoadBoolOpEPKhlEENS0_17constant_iteratorIjlEEPbPlSO_S6_NS0_8equal_toIbEEEE10hipError_tPvRmT2_T3_mT4_T5_T6_T7_T8_P12ihipStream_tbENKUlT_T0_E_clISt17integral_constantIbLb0EES18_EEDaS13_S14_EUlS13_E_NS1_11comp_targetILNS1_3genE4ELNS1_11target_archE910ELNS1_3gpuE8ELNS1_3repE0EEENS1_30default_config_static_selectorELNS0_4arch9wavefront6targetE1EEEvT1_
		.amdhsa_group_segment_fixed_size 15360
		.amdhsa_private_segment_fixed_size 0
		.amdhsa_kernarg_size 136
		.amdhsa_user_sgpr_count 6
		.amdhsa_user_sgpr_private_segment_buffer 1
		.amdhsa_user_sgpr_dispatch_ptr 0
		.amdhsa_user_sgpr_queue_ptr 0
		.amdhsa_user_sgpr_kernarg_segment_ptr 1
		.amdhsa_user_sgpr_dispatch_id 0
		.amdhsa_user_sgpr_flat_scratch_init 0
		.amdhsa_user_sgpr_kernarg_preload_length 0
		.amdhsa_user_sgpr_kernarg_preload_offset 0
		.amdhsa_user_sgpr_private_segment_size 0
		.amdhsa_uses_dynamic_stack 0
		.amdhsa_system_sgpr_private_segment_wavefront_offset 0
		.amdhsa_system_sgpr_workgroup_id_x 1
		.amdhsa_system_sgpr_workgroup_id_y 0
		.amdhsa_system_sgpr_workgroup_id_z 0
		.amdhsa_system_sgpr_workgroup_info 0
		.amdhsa_system_vgpr_workitem_id 0
		.amdhsa_next_free_vgpr 115
		.amdhsa_next_free_sgpr 74
		.amdhsa_accum_offset 116
		.amdhsa_reserve_vcc 1
		.amdhsa_reserve_flat_scratch 0
		.amdhsa_float_round_mode_32 0
		.amdhsa_float_round_mode_16_64 0
		.amdhsa_float_denorm_mode_32 3
		.amdhsa_float_denorm_mode_16_64 3
		.amdhsa_dx10_clamp 1
		.amdhsa_ieee_mode 1
		.amdhsa_fp16_overflow 0
		.amdhsa_tg_split 0
		.amdhsa_exception_fp_ieee_invalid_op 0
		.amdhsa_exception_fp_denorm_src 0
		.amdhsa_exception_fp_ieee_div_zero 0
		.amdhsa_exception_fp_ieee_overflow 0
		.amdhsa_exception_fp_ieee_underflow 0
		.amdhsa_exception_fp_ieee_inexact 0
		.amdhsa_exception_int_div_zero 0
	.end_amdhsa_kernel
	.section	.text._ZN7rocprim17ROCPRIM_400000_NS6detail17trampoline_kernelINS0_14default_configENS1_33run_length_encode_config_selectorIbjNS0_4plusIjEEEEZZNS1_33reduce_by_key_impl_wrapped_configILNS1_25lookback_scan_determinismE0ES3_S7_N6hipcub16HIPCUB_304000_NS22TransformInputIteratorIbN2at6native8internal12_GLOBAL__N_110LoadBoolOpEPKhlEENS0_17constant_iteratorIjlEEPbPlSO_S6_NS0_8equal_toIbEEEE10hipError_tPvRmT2_T3_mT4_T5_T6_T7_T8_P12ihipStream_tbENKUlT_T0_E_clISt17integral_constantIbLb0EES18_EEDaS13_S14_EUlS13_E_NS1_11comp_targetILNS1_3genE4ELNS1_11target_archE910ELNS1_3gpuE8ELNS1_3repE0EEENS1_30default_config_static_selectorELNS0_4arch9wavefront6targetE1EEEvT1_,"axG",@progbits,_ZN7rocprim17ROCPRIM_400000_NS6detail17trampoline_kernelINS0_14default_configENS1_33run_length_encode_config_selectorIbjNS0_4plusIjEEEEZZNS1_33reduce_by_key_impl_wrapped_configILNS1_25lookback_scan_determinismE0ES3_S7_N6hipcub16HIPCUB_304000_NS22TransformInputIteratorIbN2at6native8internal12_GLOBAL__N_110LoadBoolOpEPKhlEENS0_17constant_iteratorIjlEEPbPlSO_S6_NS0_8equal_toIbEEEE10hipError_tPvRmT2_T3_mT4_T5_T6_T7_T8_P12ihipStream_tbENKUlT_T0_E_clISt17integral_constantIbLb0EES18_EEDaS13_S14_EUlS13_E_NS1_11comp_targetILNS1_3genE4ELNS1_11target_archE910ELNS1_3gpuE8ELNS1_3repE0EEENS1_30default_config_static_selectorELNS0_4arch9wavefront6targetE1EEEvT1_,comdat
.Lfunc_end60:
	.size	_ZN7rocprim17ROCPRIM_400000_NS6detail17trampoline_kernelINS0_14default_configENS1_33run_length_encode_config_selectorIbjNS0_4plusIjEEEEZZNS1_33reduce_by_key_impl_wrapped_configILNS1_25lookback_scan_determinismE0ES3_S7_N6hipcub16HIPCUB_304000_NS22TransformInputIteratorIbN2at6native8internal12_GLOBAL__N_110LoadBoolOpEPKhlEENS0_17constant_iteratorIjlEEPbPlSO_S6_NS0_8equal_toIbEEEE10hipError_tPvRmT2_T3_mT4_T5_T6_T7_T8_P12ihipStream_tbENKUlT_T0_E_clISt17integral_constantIbLb0EES18_EEDaS13_S14_EUlS13_E_NS1_11comp_targetILNS1_3genE4ELNS1_11target_archE910ELNS1_3gpuE8ELNS1_3repE0EEENS1_30default_config_static_selectorELNS0_4arch9wavefront6targetE1EEEvT1_, .Lfunc_end60-_ZN7rocprim17ROCPRIM_400000_NS6detail17trampoline_kernelINS0_14default_configENS1_33run_length_encode_config_selectorIbjNS0_4plusIjEEEEZZNS1_33reduce_by_key_impl_wrapped_configILNS1_25lookback_scan_determinismE0ES3_S7_N6hipcub16HIPCUB_304000_NS22TransformInputIteratorIbN2at6native8internal12_GLOBAL__N_110LoadBoolOpEPKhlEENS0_17constant_iteratorIjlEEPbPlSO_S6_NS0_8equal_toIbEEEE10hipError_tPvRmT2_T3_mT4_T5_T6_T7_T8_P12ihipStream_tbENKUlT_T0_E_clISt17integral_constantIbLb0EES18_EEDaS13_S14_EUlS13_E_NS1_11comp_targetILNS1_3genE4ELNS1_11target_archE910ELNS1_3gpuE8ELNS1_3repE0EEENS1_30default_config_static_selectorELNS0_4arch9wavefront6targetE1EEEvT1_
                                        ; -- End function
	.section	.AMDGPU.csdata,"",@progbits
; Kernel info:
; codeLenInByte = 15000
; NumSgprs: 78
; NumVgprs: 115
; NumAgprs: 0
; TotalNumVgprs: 115
; ScratchSize: 0
; MemoryBound: 0
; FloatMode: 240
; IeeeMode: 1
; LDSByteSize: 15360 bytes/workgroup (compile time only)
; SGPRBlocks: 9
; VGPRBlocks: 14
; NumSGPRsForWavesPerEU: 78
; NumVGPRsForWavesPerEU: 115
; AccumOffset: 116
; Occupancy: 4
; WaveLimiterHint : 1
; COMPUTE_PGM_RSRC2:SCRATCH_EN: 0
; COMPUTE_PGM_RSRC2:USER_SGPR: 6
; COMPUTE_PGM_RSRC2:TRAP_HANDLER: 0
; COMPUTE_PGM_RSRC2:TGID_X_EN: 1
; COMPUTE_PGM_RSRC2:TGID_Y_EN: 0
; COMPUTE_PGM_RSRC2:TGID_Z_EN: 0
; COMPUTE_PGM_RSRC2:TIDIG_COMP_CNT: 0
; COMPUTE_PGM_RSRC3_GFX90A:ACCUM_OFFSET: 28
; COMPUTE_PGM_RSRC3_GFX90A:TG_SPLIT: 0
	.section	.text._ZN7rocprim17ROCPRIM_400000_NS6detail17trampoline_kernelINS0_14default_configENS1_33run_length_encode_config_selectorIbjNS0_4plusIjEEEEZZNS1_33reduce_by_key_impl_wrapped_configILNS1_25lookback_scan_determinismE0ES3_S7_N6hipcub16HIPCUB_304000_NS22TransformInputIteratorIbN2at6native8internal12_GLOBAL__N_110LoadBoolOpEPKhlEENS0_17constant_iteratorIjlEEPbPlSO_S6_NS0_8equal_toIbEEEE10hipError_tPvRmT2_T3_mT4_T5_T6_T7_T8_P12ihipStream_tbENKUlT_T0_E_clISt17integral_constantIbLb0EES18_EEDaS13_S14_EUlS13_E_NS1_11comp_targetILNS1_3genE3ELNS1_11target_archE908ELNS1_3gpuE7ELNS1_3repE0EEENS1_30default_config_static_selectorELNS0_4arch9wavefront6targetE1EEEvT1_,"axG",@progbits,_ZN7rocprim17ROCPRIM_400000_NS6detail17trampoline_kernelINS0_14default_configENS1_33run_length_encode_config_selectorIbjNS0_4plusIjEEEEZZNS1_33reduce_by_key_impl_wrapped_configILNS1_25lookback_scan_determinismE0ES3_S7_N6hipcub16HIPCUB_304000_NS22TransformInputIteratorIbN2at6native8internal12_GLOBAL__N_110LoadBoolOpEPKhlEENS0_17constant_iteratorIjlEEPbPlSO_S6_NS0_8equal_toIbEEEE10hipError_tPvRmT2_T3_mT4_T5_T6_T7_T8_P12ihipStream_tbENKUlT_T0_E_clISt17integral_constantIbLb0EES18_EEDaS13_S14_EUlS13_E_NS1_11comp_targetILNS1_3genE3ELNS1_11target_archE908ELNS1_3gpuE7ELNS1_3repE0EEENS1_30default_config_static_selectorELNS0_4arch9wavefront6targetE1EEEvT1_,comdat
	.globl	_ZN7rocprim17ROCPRIM_400000_NS6detail17trampoline_kernelINS0_14default_configENS1_33run_length_encode_config_selectorIbjNS0_4plusIjEEEEZZNS1_33reduce_by_key_impl_wrapped_configILNS1_25lookback_scan_determinismE0ES3_S7_N6hipcub16HIPCUB_304000_NS22TransformInputIteratorIbN2at6native8internal12_GLOBAL__N_110LoadBoolOpEPKhlEENS0_17constant_iteratorIjlEEPbPlSO_S6_NS0_8equal_toIbEEEE10hipError_tPvRmT2_T3_mT4_T5_T6_T7_T8_P12ihipStream_tbENKUlT_T0_E_clISt17integral_constantIbLb0EES18_EEDaS13_S14_EUlS13_E_NS1_11comp_targetILNS1_3genE3ELNS1_11target_archE908ELNS1_3gpuE7ELNS1_3repE0EEENS1_30default_config_static_selectorELNS0_4arch9wavefront6targetE1EEEvT1_ ; -- Begin function _ZN7rocprim17ROCPRIM_400000_NS6detail17trampoline_kernelINS0_14default_configENS1_33run_length_encode_config_selectorIbjNS0_4plusIjEEEEZZNS1_33reduce_by_key_impl_wrapped_configILNS1_25lookback_scan_determinismE0ES3_S7_N6hipcub16HIPCUB_304000_NS22TransformInputIteratorIbN2at6native8internal12_GLOBAL__N_110LoadBoolOpEPKhlEENS0_17constant_iteratorIjlEEPbPlSO_S6_NS0_8equal_toIbEEEE10hipError_tPvRmT2_T3_mT4_T5_T6_T7_T8_P12ihipStream_tbENKUlT_T0_E_clISt17integral_constantIbLb0EES18_EEDaS13_S14_EUlS13_E_NS1_11comp_targetILNS1_3genE3ELNS1_11target_archE908ELNS1_3gpuE7ELNS1_3repE0EEENS1_30default_config_static_selectorELNS0_4arch9wavefront6targetE1EEEvT1_
	.p2align	8
	.type	_ZN7rocprim17ROCPRIM_400000_NS6detail17trampoline_kernelINS0_14default_configENS1_33run_length_encode_config_selectorIbjNS0_4plusIjEEEEZZNS1_33reduce_by_key_impl_wrapped_configILNS1_25lookback_scan_determinismE0ES3_S7_N6hipcub16HIPCUB_304000_NS22TransformInputIteratorIbN2at6native8internal12_GLOBAL__N_110LoadBoolOpEPKhlEENS0_17constant_iteratorIjlEEPbPlSO_S6_NS0_8equal_toIbEEEE10hipError_tPvRmT2_T3_mT4_T5_T6_T7_T8_P12ihipStream_tbENKUlT_T0_E_clISt17integral_constantIbLb0EES18_EEDaS13_S14_EUlS13_E_NS1_11comp_targetILNS1_3genE3ELNS1_11target_archE908ELNS1_3gpuE7ELNS1_3repE0EEENS1_30default_config_static_selectorELNS0_4arch9wavefront6targetE1EEEvT1_,@function
_ZN7rocprim17ROCPRIM_400000_NS6detail17trampoline_kernelINS0_14default_configENS1_33run_length_encode_config_selectorIbjNS0_4plusIjEEEEZZNS1_33reduce_by_key_impl_wrapped_configILNS1_25lookback_scan_determinismE0ES3_S7_N6hipcub16HIPCUB_304000_NS22TransformInputIteratorIbN2at6native8internal12_GLOBAL__N_110LoadBoolOpEPKhlEENS0_17constant_iteratorIjlEEPbPlSO_S6_NS0_8equal_toIbEEEE10hipError_tPvRmT2_T3_mT4_T5_T6_T7_T8_P12ihipStream_tbENKUlT_T0_E_clISt17integral_constantIbLb0EES18_EEDaS13_S14_EUlS13_E_NS1_11comp_targetILNS1_3genE3ELNS1_11target_archE908ELNS1_3gpuE7ELNS1_3repE0EEENS1_30default_config_static_selectorELNS0_4arch9wavefront6targetE1EEEvT1_: ; @_ZN7rocprim17ROCPRIM_400000_NS6detail17trampoline_kernelINS0_14default_configENS1_33run_length_encode_config_selectorIbjNS0_4plusIjEEEEZZNS1_33reduce_by_key_impl_wrapped_configILNS1_25lookback_scan_determinismE0ES3_S7_N6hipcub16HIPCUB_304000_NS22TransformInputIteratorIbN2at6native8internal12_GLOBAL__N_110LoadBoolOpEPKhlEENS0_17constant_iteratorIjlEEPbPlSO_S6_NS0_8equal_toIbEEEE10hipError_tPvRmT2_T3_mT4_T5_T6_T7_T8_P12ihipStream_tbENKUlT_T0_E_clISt17integral_constantIbLb0EES18_EEDaS13_S14_EUlS13_E_NS1_11comp_targetILNS1_3genE3ELNS1_11target_archE908ELNS1_3gpuE7ELNS1_3repE0EEENS1_30default_config_static_selectorELNS0_4arch9wavefront6targetE1EEEvT1_
; %bb.0:
	.section	.rodata,"a",@progbits
	.p2align	6, 0x0
	.amdhsa_kernel _ZN7rocprim17ROCPRIM_400000_NS6detail17trampoline_kernelINS0_14default_configENS1_33run_length_encode_config_selectorIbjNS0_4plusIjEEEEZZNS1_33reduce_by_key_impl_wrapped_configILNS1_25lookback_scan_determinismE0ES3_S7_N6hipcub16HIPCUB_304000_NS22TransformInputIteratorIbN2at6native8internal12_GLOBAL__N_110LoadBoolOpEPKhlEENS0_17constant_iteratorIjlEEPbPlSO_S6_NS0_8equal_toIbEEEE10hipError_tPvRmT2_T3_mT4_T5_T6_T7_T8_P12ihipStream_tbENKUlT_T0_E_clISt17integral_constantIbLb0EES18_EEDaS13_S14_EUlS13_E_NS1_11comp_targetILNS1_3genE3ELNS1_11target_archE908ELNS1_3gpuE7ELNS1_3repE0EEENS1_30default_config_static_selectorELNS0_4arch9wavefront6targetE1EEEvT1_
		.amdhsa_group_segment_fixed_size 0
		.amdhsa_private_segment_fixed_size 0
		.amdhsa_kernarg_size 136
		.amdhsa_user_sgpr_count 6
		.amdhsa_user_sgpr_private_segment_buffer 1
		.amdhsa_user_sgpr_dispatch_ptr 0
		.amdhsa_user_sgpr_queue_ptr 0
		.amdhsa_user_sgpr_kernarg_segment_ptr 1
		.amdhsa_user_sgpr_dispatch_id 0
		.amdhsa_user_sgpr_flat_scratch_init 0
		.amdhsa_user_sgpr_kernarg_preload_length 0
		.amdhsa_user_sgpr_kernarg_preload_offset 0
		.amdhsa_user_sgpr_private_segment_size 0
		.amdhsa_uses_dynamic_stack 0
		.amdhsa_system_sgpr_private_segment_wavefront_offset 0
		.amdhsa_system_sgpr_workgroup_id_x 1
		.amdhsa_system_sgpr_workgroup_id_y 0
		.amdhsa_system_sgpr_workgroup_id_z 0
		.amdhsa_system_sgpr_workgroup_info 0
		.amdhsa_system_vgpr_workitem_id 0
		.amdhsa_next_free_vgpr 1
		.amdhsa_next_free_sgpr 0
		.amdhsa_accum_offset 4
		.amdhsa_reserve_vcc 0
		.amdhsa_reserve_flat_scratch 0
		.amdhsa_float_round_mode_32 0
		.amdhsa_float_round_mode_16_64 0
		.amdhsa_float_denorm_mode_32 3
		.amdhsa_float_denorm_mode_16_64 3
		.amdhsa_dx10_clamp 1
		.amdhsa_ieee_mode 1
		.amdhsa_fp16_overflow 0
		.amdhsa_tg_split 0
		.amdhsa_exception_fp_ieee_invalid_op 0
		.amdhsa_exception_fp_denorm_src 0
		.amdhsa_exception_fp_ieee_div_zero 0
		.amdhsa_exception_fp_ieee_overflow 0
		.amdhsa_exception_fp_ieee_underflow 0
		.amdhsa_exception_fp_ieee_inexact 0
		.amdhsa_exception_int_div_zero 0
	.end_amdhsa_kernel
	.section	.text._ZN7rocprim17ROCPRIM_400000_NS6detail17trampoline_kernelINS0_14default_configENS1_33run_length_encode_config_selectorIbjNS0_4plusIjEEEEZZNS1_33reduce_by_key_impl_wrapped_configILNS1_25lookback_scan_determinismE0ES3_S7_N6hipcub16HIPCUB_304000_NS22TransformInputIteratorIbN2at6native8internal12_GLOBAL__N_110LoadBoolOpEPKhlEENS0_17constant_iteratorIjlEEPbPlSO_S6_NS0_8equal_toIbEEEE10hipError_tPvRmT2_T3_mT4_T5_T6_T7_T8_P12ihipStream_tbENKUlT_T0_E_clISt17integral_constantIbLb0EES18_EEDaS13_S14_EUlS13_E_NS1_11comp_targetILNS1_3genE3ELNS1_11target_archE908ELNS1_3gpuE7ELNS1_3repE0EEENS1_30default_config_static_selectorELNS0_4arch9wavefront6targetE1EEEvT1_,"axG",@progbits,_ZN7rocprim17ROCPRIM_400000_NS6detail17trampoline_kernelINS0_14default_configENS1_33run_length_encode_config_selectorIbjNS0_4plusIjEEEEZZNS1_33reduce_by_key_impl_wrapped_configILNS1_25lookback_scan_determinismE0ES3_S7_N6hipcub16HIPCUB_304000_NS22TransformInputIteratorIbN2at6native8internal12_GLOBAL__N_110LoadBoolOpEPKhlEENS0_17constant_iteratorIjlEEPbPlSO_S6_NS0_8equal_toIbEEEE10hipError_tPvRmT2_T3_mT4_T5_T6_T7_T8_P12ihipStream_tbENKUlT_T0_E_clISt17integral_constantIbLb0EES18_EEDaS13_S14_EUlS13_E_NS1_11comp_targetILNS1_3genE3ELNS1_11target_archE908ELNS1_3gpuE7ELNS1_3repE0EEENS1_30default_config_static_selectorELNS0_4arch9wavefront6targetE1EEEvT1_,comdat
.Lfunc_end61:
	.size	_ZN7rocprim17ROCPRIM_400000_NS6detail17trampoline_kernelINS0_14default_configENS1_33run_length_encode_config_selectorIbjNS0_4plusIjEEEEZZNS1_33reduce_by_key_impl_wrapped_configILNS1_25lookback_scan_determinismE0ES3_S7_N6hipcub16HIPCUB_304000_NS22TransformInputIteratorIbN2at6native8internal12_GLOBAL__N_110LoadBoolOpEPKhlEENS0_17constant_iteratorIjlEEPbPlSO_S6_NS0_8equal_toIbEEEE10hipError_tPvRmT2_T3_mT4_T5_T6_T7_T8_P12ihipStream_tbENKUlT_T0_E_clISt17integral_constantIbLb0EES18_EEDaS13_S14_EUlS13_E_NS1_11comp_targetILNS1_3genE3ELNS1_11target_archE908ELNS1_3gpuE7ELNS1_3repE0EEENS1_30default_config_static_selectorELNS0_4arch9wavefront6targetE1EEEvT1_, .Lfunc_end61-_ZN7rocprim17ROCPRIM_400000_NS6detail17trampoline_kernelINS0_14default_configENS1_33run_length_encode_config_selectorIbjNS0_4plusIjEEEEZZNS1_33reduce_by_key_impl_wrapped_configILNS1_25lookback_scan_determinismE0ES3_S7_N6hipcub16HIPCUB_304000_NS22TransformInputIteratorIbN2at6native8internal12_GLOBAL__N_110LoadBoolOpEPKhlEENS0_17constant_iteratorIjlEEPbPlSO_S6_NS0_8equal_toIbEEEE10hipError_tPvRmT2_T3_mT4_T5_T6_T7_T8_P12ihipStream_tbENKUlT_T0_E_clISt17integral_constantIbLb0EES18_EEDaS13_S14_EUlS13_E_NS1_11comp_targetILNS1_3genE3ELNS1_11target_archE908ELNS1_3gpuE7ELNS1_3repE0EEENS1_30default_config_static_selectorELNS0_4arch9wavefront6targetE1EEEvT1_
                                        ; -- End function
	.section	.AMDGPU.csdata,"",@progbits
; Kernel info:
; codeLenInByte = 0
; NumSgprs: 4
; NumVgprs: 0
; NumAgprs: 0
; TotalNumVgprs: 0
; ScratchSize: 0
; MemoryBound: 0
; FloatMode: 240
; IeeeMode: 1
; LDSByteSize: 0 bytes/workgroup (compile time only)
; SGPRBlocks: 0
; VGPRBlocks: 0
; NumSGPRsForWavesPerEU: 4
; NumVGPRsForWavesPerEU: 1
; AccumOffset: 4
; Occupancy: 8
; WaveLimiterHint : 0
; COMPUTE_PGM_RSRC2:SCRATCH_EN: 0
; COMPUTE_PGM_RSRC2:USER_SGPR: 6
; COMPUTE_PGM_RSRC2:TRAP_HANDLER: 0
; COMPUTE_PGM_RSRC2:TGID_X_EN: 1
; COMPUTE_PGM_RSRC2:TGID_Y_EN: 0
; COMPUTE_PGM_RSRC2:TGID_Z_EN: 0
; COMPUTE_PGM_RSRC2:TIDIG_COMP_CNT: 0
; COMPUTE_PGM_RSRC3_GFX90A:ACCUM_OFFSET: 0
; COMPUTE_PGM_RSRC3_GFX90A:TG_SPLIT: 0
	.section	.text._ZN7rocprim17ROCPRIM_400000_NS6detail17trampoline_kernelINS0_14default_configENS1_33run_length_encode_config_selectorIbjNS0_4plusIjEEEEZZNS1_33reduce_by_key_impl_wrapped_configILNS1_25lookback_scan_determinismE0ES3_S7_N6hipcub16HIPCUB_304000_NS22TransformInputIteratorIbN2at6native8internal12_GLOBAL__N_110LoadBoolOpEPKhlEENS0_17constant_iteratorIjlEEPbPlSO_S6_NS0_8equal_toIbEEEE10hipError_tPvRmT2_T3_mT4_T5_T6_T7_T8_P12ihipStream_tbENKUlT_T0_E_clISt17integral_constantIbLb0EES18_EEDaS13_S14_EUlS13_E_NS1_11comp_targetILNS1_3genE2ELNS1_11target_archE906ELNS1_3gpuE6ELNS1_3repE0EEENS1_30default_config_static_selectorELNS0_4arch9wavefront6targetE1EEEvT1_,"axG",@progbits,_ZN7rocprim17ROCPRIM_400000_NS6detail17trampoline_kernelINS0_14default_configENS1_33run_length_encode_config_selectorIbjNS0_4plusIjEEEEZZNS1_33reduce_by_key_impl_wrapped_configILNS1_25lookback_scan_determinismE0ES3_S7_N6hipcub16HIPCUB_304000_NS22TransformInputIteratorIbN2at6native8internal12_GLOBAL__N_110LoadBoolOpEPKhlEENS0_17constant_iteratorIjlEEPbPlSO_S6_NS0_8equal_toIbEEEE10hipError_tPvRmT2_T3_mT4_T5_T6_T7_T8_P12ihipStream_tbENKUlT_T0_E_clISt17integral_constantIbLb0EES18_EEDaS13_S14_EUlS13_E_NS1_11comp_targetILNS1_3genE2ELNS1_11target_archE906ELNS1_3gpuE6ELNS1_3repE0EEENS1_30default_config_static_selectorELNS0_4arch9wavefront6targetE1EEEvT1_,comdat
	.globl	_ZN7rocprim17ROCPRIM_400000_NS6detail17trampoline_kernelINS0_14default_configENS1_33run_length_encode_config_selectorIbjNS0_4plusIjEEEEZZNS1_33reduce_by_key_impl_wrapped_configILNS1_25lookback_scan_determinismE0ES3_S7_N6hipcub16HIPCUB_304000_NS22TransformInputIteratorIbN2at6native8internal12_GLOBAL__N_110LoadBoolOpEPKhlEENS0_17constant_iteratorIjlEEPbPlSO_S6_NS0_8equal_toIbEEEE10hipError_tPvRmT2_T3_mT4_T5_T6_T7_T8_P12ihipStream_tbENKUlT_T0_E_clISt17integral_constantIbLb0EES18_EEDaS13_S14_EUlS13_E_NS1_11comp_targetILNS1_3genE2ELNS1_11target_archE906ELNS1_3gpuE6ELNS1_3repE0EEENS1_30default_config_static_selectorELNS0_4arch9wavefront6targetE1EEEvT1_ ; -- Begin function _ZN7rocprim17ROCPRIM_400000_NS6detail17trampoline_kernelINS0_14default_configENS1_33run_length_encode_config_selectorIbjNS0_4plusIjEEEEZZNS1_33reduce_by_key_impl_wrapped_configILNS1_25lookback_scan_determinismE0ES3_S7_N6hipcub16HIPCUB_304000_NS22TransformInputIteratorIbN2at6native8internal12_GLOBAL__N_110LoadBoolOpEPKhlEENS0_17constant_iteratorIjlEEPbPlSO_S6_NS0_8equal_toIbEEEE10hipError_tPvRmT2_T3_mT4_T5_T6_T7_T8_P12ihipStream_tbENKUlT_T0_E_clISt17integral_constantIbLb0EES18_EEDaS13_S14_EUlS13_E_NS1_11comp_targetILNS1_3genE2ELNS1_11target_archE906ELNS1_3gpuE6ELNS1_3repE0EEENS1_30default_config_static_selectorELNS0_4arch9wavefront6targetE1EEEvT1_
	.p2align	8
	.type	_ZN7rocprim17ROCPRIM_400000_NS6detail17trampoline_kernelINS0_14default_configENS1_33run_length_encode_config_selectorIbjNS0_4plusIjEEEEZZNS1_33reduce_by_key_impl_wrapped_configILNS1_25lookback_scan_determinismE0ES3_S7_N6hipcub16HIPCUB_304000_NS22TransformInputIteratorIbN2at6native8internal12_GLOBAL__N_110LoadBoolOpEPKhlEENS0_17constant_iteratorIjlEEPbPlSO_S6_NS0_8equal_toIbEEEE10hipError_tPvRmT2_T3_mT4_T5_T6_T7_T8_P12ihipStream_tbENKUlT_T0_E_clISt17integral_constantIbLb0EES18_EEDaS13_S14_EUlS13_E_NS1_11comp_targetILNS1_3genE2ELNS1_11target_archE906ELNS1_3gpuE6ELNS1_3repE0EEENS1_30default_config_static_selectorELNS0_4arch9wavefront6targetE1EEEvT1_,@function
_ZN7rocprim17ROCPRIM_400000_NS6detail17trampoline_kernelINS0_14default_configENS1_33run_length_encode_config_selectorIbjNS0_4plusIjEEEEZZNS1_33reduce_by_key_impl_wrapped_configILNS1_25lookback_scan_determinismE0ES3_S7_N6hipcub16HIPCUB_304000_NS22TransformInputIteratorIbN2at6native8internal12_GLOBAL__N_110LoadBoolOpEPKhlEENS0_17constant_iteratorIjlEEPbPlSO_S6_NS0_8equal_toIbEEEE10hipError_tPvRmT2_T3_mT4_T5_T6_T7_T8_P12ihipStream_tbENKUlT_T0_E_clISt17integral_constantIbLb0EES18_EEDaS13_S14_EUlS13_E_NS1_11comp_targetILNS1_3genE2ELNS1_11target_archE906ELNS1_3gpuE6ELNS1_3repE0EEENS1_30default_config_static_selectorELNS0_4arch9wavefront6targetE1EEEvT1_: ; @_ZN7rocprim17ROCPRIM_400000_NS6detail17trampoline_kernelINS0_14default_configENS1_33run_length_encode_config_selectorIbjNS0_4plusIjEEEEZZNS1_33reduce_by_key_impl_wrapped_configILNS1_25lookback_scan_determinismE0ES3_S7_N6hipcub16HIPCUB_304000_NS22TransformInputIteratorIbN2at6native8internal12_GLOBAL__N_110LoadBoolOpEPKhlEENS0_17constant_iteratorIjlEEPbPlSO_S6_NS0_8equal_toIbEEEE10hipError_tPvRmT2_T3_mT4_T5_T6_T7_T8_P12ihipStream_tbENKUlT_T0_E_clISt17integral_constantIbLb0EES18_EEDaS13_S14_EUlS13_E_NS1_11comp_targetILNS1_3genE2ELNS1_11target_archE906ELNS1_3gpuE6ELNS1_3repE0EEENS1_30default_config_static_selectorELNS0_4arch9wavefront6targetE1EEEvT1_
; %bb.0:
	.section	.rodata,"a",@progbits
	.p2align	6, 0x0
	.amdhsa_kernel _ZN7rocprim17ROCPRIM_400000_NS6detail17trampoline_kernelINS0_14default_configENS1_33run_length_encode_config_selectorIbjNS0_4plusIjEEEEZZNS1_33reduce_by_key_impl_wrapped_configILNS1_25lookback_scan_determinismE0ES3_S7_N6hipcub16HIPCUB_304000_NS22TransformInputIteratorIbN2at6native8internal12_GLOBAL__N_110LoadBoolOpEPKhlEENS0_17constant_iteratorIjlEEPbPlSO_S6_NS0_8equal_toIbEEEE10hipError_tPvRmT2_T3_mT4_T5_T6_T7_T8_P12ihipStream_tbENKUlT_T0_E_clISt17integral_constantIbLb0EES18_EEDaS13_S14_EUlS13_E_NS1_11comp_targetILNS1_3genE2ELNS1_11target_archE906ELNS1_3gpuE6ELNS1_3repE0EEENS1_30default_config_static_selectorELNS0_4arch9wavefront6targetE1EEEvT1_
		.amdhsa_group_segment_fixed_size 0
		.amdhsa_private_segment_fixed_size 0
		.amdhsa_kernarg_size 136
		.amdhsa_user_sgpr_count 6
		.amdhsa_user_sgpr_private_segment_buffer 1
		.amdhsa_user_sgpr_dispatch_ptr 0
		.amdhsa_user_sgpr_queue_ptr 0
		.amdhsa_user_sgpr_kernarg_segment_ptr 1
		.amdhsa_user_sgpr_dispatch_id 0
		.amdhsa_user_sgpr_flat_scratch_init 0
		.amdhsa_user_sgpr_kernarg_preload_length 0
		.amdhsa_user_sgpr_kernarg_preload_offset 0
		.amdhsa_user_sgpr_private_segment_size 0
		.amdhsa_uses_dynamic_stack 0
		.amdhsa_system_sgpr_private_segment_wavefront_offset 0
		.amdhsa_system_sgpr_workgroup_id_x 1
		.amdhsa_system_sgpr_workgroup_id_y 0
		.amdhsa_system_sgpr_workgroup_id_z 0
		.amdhsa_system_sgpr_workgroup_info 0
		.amdhsa_system_vgpr_workitem_id 0
		.amdhsa_next_free_vgpr 1
		.amdhsa_next_free_sgpr 0
		.amdhsa_accum_offset 4
		.amdhsa_reserve_vcc 0
		.amdhsa_reserve_flat_scratch 0
		.amdhsa_float_round_mode_32 0
		.amdhsa_float_round_mode_16_64 0
		.amdhsa_float_denorm_mode_32 3
		.amdhsa_float_denorm_mode_16_64 3
		.amdhsa_dx10_clamp 1
		.amdhsa_ieee_mode 1
		.amdhsa_fp16_overflow 0
		.amdhsa_tg_split 0
		.amdhsa_exception_fp_ieee_invalid_op 0
		.amdhsa_exception_fp_denorm_src 0
		.amdhsa_exception_fp_ieee_div_zero 0
		.amdhsa_exception_fp_ieee_overflow 0
		.amdhsa_exception_fp_ieee_underflow 0
		.amdhsa_exception_fp_ieee_inexact 0
		.amdhsa_exception_int_div_zero 0
	.end_amdhsa_kernel
	.section	.text._ZN7rocprim17ROCPRIM_400000_NS6detail17trampoline_kernelINS0_14default_configENS1_33run_length_encode_config_selectorIbjNS0_4plusIjEEEEZZNS1_33reduce_by_key_impl_wrapped_configILNS1_25lookback_scan_determinismE0ES3_S7_N6hipcub16HIPCUB_304000_NS22TransformInputIteratorIbN2at6native8internal12_GLOBAL__N_110LoadBoolOpEPKhlEENS0_17constant_iteratorIjlEEPbPlSO_S6_NS0_8equal_toIbEEEE10hipError_tPvRmT2_T3_mT4_T5_T6_T7_T8_P12ihipStream_tbENKUlT_T0_E_clISt17integral_constantIbLb0EES18_EEDaS13_S14_EUlS13_E_NS1_11comp_targetILNS1_3genE2ELNS1_11target_archE906ELNS1_3gpuE6ELNS1_3repE0EEENS1_30default_config_static_selectorELNS0_4arch9wavefront6targetE1EEEvT1_,"axG",@progbits,_ZN7rocprim17ROCPRIM_400000_NS6detail17trampoline_kernelINS0_14default_configENS1_33run_length_encode_config_selectorIbjNS0_4plusIjEEEEZZNS1_33reduce_by_key_impl_wrapped_configILNS1_25lookback_scan_determinismE0ES3_S7_N6hipcub16HIPCUB_304000_NS22TransformInputIteratorIbN2at6native8internal12_GLOBAL__N_110LoadBoolOpEPKhlEENS0_17constant_iteratorIjlEEPbPlSO_S6_NS0_8equal_toIbEEEE10hipError_tPvRmT2_T3_mT4_T5_T6_T7_T8_P12ihipStream_tbENKUlT_T0_E_clISt17integral_constantIbLb0EES18_EEDaS13_S14_EUlS13_E_NS1_11comp_targetILNS1_3genE2ELNS1_11target_archE906ELNS1_3gpuE6ELNS1_3repE0EEENS1_30default_config_static_selectorELNS0_4arch9wavefront6targetE1EEEvT1_,comdat
.Lfunc_end62:
	.size	_ZN7rocprim17ROCPRIM_400000_NS6detail17trampoline_kernelINS0_14default_configENS1_33run_length_encode_config_selectorIbjNS0_4plusIjEEEEZZNS1_33reduce_by_key_impl_wrapped_configILNS1_25lookback_scan_determinismE0ES3_S7_N6hipcub16HIPCUB_304000_NS22TransformInputIteratorIbN2at6native8internal12_GLOBAL__N_110LoadBoolOpEPKhlEENS0_17constant_iteratorIjlEEPbPlSO_S6_NS0_8equal_toIbEEEE10hipError_tPvRmT2_T3_mT4_T5_T6_T7_T8_P12ihipStream_tbENKUlT_T0_E_clISt17integral_constantIbLb0EES18_EEDaS13_S14_EUlS13_E_NS1_11comp_targetILNS1_3genE2ELNS1_11target_archE906ELNS1_3gpuE6ELNS1_3repE0EEENS1_30default_config_static_selectorELNS0_4arch9wavefront6targetE1EEEvT1_, .Lfunc_end62-_ZN7rocprim17ROCPRIM_400000_NS6detail17trampoline_kernelINS0_14default_configENS1_33run_length_encode_config_selectorIbjNS0_4plusIjEEEEZZNS1_33reduce_by_key_impl_wrapped_configILNS1_25lookback_scan_determinismE0ES3_S7_N6hipcub16HIPCUB_304000_NS22TransformInputIteratorIbN2at6native8internal12_GLOBAL__N_110LoadBoolOpEPKhlEENS0_17constant_iteratorIjlEEPbPlSO_S6_NS0_8equal_toIbEEEE10hipError_tPvRmT2_T3_mT4_T5_T6_T7_T8_P12ihipStream_tbENKUlT_T0_E_clISt17integral_constantIbLb0EES18_EEDaS13_S14_EUlS13_E_NS1_11comp_targetILNS1_3genE2ELNS1_11target_archE906ELNS1_3gpuE6ELNS1_3repE0EEENS1_30default_config_static_selectorELNS0_4arch9wavefront6targetE1EEEvT1_
                                        ; -- End function
	.section	.AMDGPU.csdata,"",@progbits
; Kernel info:
; codeLenInByte = 0
; NumSgprs: 4
; NumVgprs: 0
; NumAgprs: 0
; TotalNumVgprs: 0
; ScratchSize: 0
; MemoryBound: 0
; FloatMode: 240
; IeeeMode: 1
; LDSByteSize: 0 bytes/workgroup (compile time only)
; SGPRBlocks: 0
; VGPRBlocks: 0
; NumSGPRsForWavesPerEU: 4
; NumVGPRsForWavesPerEU: 1
; AccumOffset: 4
; Occupancy: 8
; WaveLimiterHint : 0
; COMPUTE_PGM_RSRC2:SCRATCH_EN: 0
; COMPUTE_PGM_RSRC2:USER_SGPR: 6
; COMPUTE_PGM_RSRC2:TRAP_HANDLER: 0
; COMPUTE_PGM_RSRC2:TGID_X_EN: 1
; COMPUTE_PGM_RSRC2:TGID_Y_EN: 0
; COMPUTE_PGM_RSRC2:TGID_Z_EN: 0
; COMPUTE_PGM_RSRC2:TIDIG_COMP_CNT: 0
; COMPUTE_PGM_RSRC3_GFX90A:ACCUM_OFFSET: 0
; COMPUTE_PGM_RSRC3_GFX90A:TG_SPLIT: 0
	.section	.text._ZN7rocprim17ROCPRIM_400000_NS6detail17trampoline_kernelINS0_14default_configENS1_33run_length_encode_config_selectorIbjNS0_4plusIjEEEEZZNS1_33reduce_by_key_impl_wrapped_configILNS1_25lookback_scan_determinismE0ES3_S7_N6hipcub16HIPCUB_304000_NS22TransformInputIteratorIbN2at6native8internal12_GLOBAL__N_110LoadBoolOpEPKhlEENS0_17constant_iteratorIjlEEPbPlSO_S6_NS0_8equal_toIbEEEE10hipError_tPvRmT2_T3_mT4_T5_T6_T7_T8_P12ihipStream_tbENKUlT_T0_E_clISt17integral_constantIbLb0EES18_EEDaS13_S14_EUlS13_E_NS1_11comp_targetILNS1_3genE10ELNS1_11target_archE1201ELNS1_3gpuE5ELNS1_3repE0EEENS1_30default_config_static_selectorELNS0_4arch9wavefront6targetE1EEEvT1_,"axG",@progbits,_ZN7rocprim17ROCPRIM_400000_NS6detail17trampoline_kernelINS0_14default_configENS1_33run_length_encode_config_selectorIbjNS0_4plusIjEEEEZZNS1_33reduce_by_key_impl_wrapped_configILNS1_25lookback_scan_determinismE0ES3_S7_N6hipcub16HIPCUB_304000_NS22TransformInputIteratorIbN2at6native8internal12_GLOBAL__N_110LoadBoolOpEPKhlEENS0_17constant_iteratorIjlEEPbPlSO_S6_NS0_8equal_toIbEEEE10hipError_tPvRmT2_T3_mT4_T5_T6_T7_T8_P12ihipStream_tbENKUlT_T0_E_clISt17integral_constantIbLb0EES18_EEDaS13_S14_EUlS13_E_NS1_11comp_targetILNS1_3genE10ELNS1_11target_archE1201ELNS1_3gpuE5ELNS1_3repE0EEENS1_30default_config_static_selectorELNS0_4arch9wavefront6targetE1EEEvT1_,comdat
	.globl	_ZN7rocprim17ROCPRIM_400000_NS6detail17trampoline_kernelINS0_14default_configENS1_33run_length_encode_config_selectorIbjNS0_4plusIjEEEEZZNS1_33reduce_by_key_impl_wrapped_configILNS1_25lookback_scan_determinismE0ES3_S7_N6hipcub16HIPCUB_304000_NS22TransformInputIteratorIbN2at6native8internal12_GLOBAL__N_110LoadBoolOpEPKhlEENS0_17constant_iteratorIjlEEPbPlSO_S6_NS0_8equal_toIbEEEE10hipError_tPvRmT2_T3_mT4_T5_T6_T7_T8_P12ihipStream_tbENKUlT_T0_E_clISt17integral_constantIbLb0EES18_EEDaS13_S14_EUlS13_E_NS1_11comp_targetILNS1_3genE10ELNS1_11target_archE1201ELNS1_3gpuE5ELNS1_3repE0EEENS1_30default_config_static_selectorELNS0_4arch9wavefront6targetE1EEEvT1_ ; -- Begin function _ZN7rocprim17ROCPRIM_400000_NS6detail17trampoline_kernelINS0_14default_configENS1_33run_length_encode_config_selectorIbjNS0_4plusIjEEEEZZNS1_33reduce_by_key_impl_wrapped_configILNS1_25lookback_scan_determinismE0ES3_S7_N6hipcub16HIPCUB_304000_NS22TransformInputIteratorIbN2at6native8internal12_GLOBAL__N_110LoadBoolOpEPKhlEENS0_17constant_iteratorIjlEEPbPlSO_S6_NS0_8equal_toIbEEEE10hipError_tPvRmT2_T3_mT4_T5_T6_T7_T8_P12ihipStream_tbENKUlT_T0_E_clISt17integral_constantIbLb0EES18_EEDaS13_S14_EUlS13_E_NS1_11comp_targetILNS1_3genE10ELNS1_11target_archE1201ELNS1_3gpuE5ELNS1_3repE0EEENS1_30default_config_static_selectorELNS0_4arch9wavefront6targetE1EEEvT1_
	.p2align	8
	.type	_ZN7rocprim17ROCPRIM_400000_NS6detail17trampoline_kernelINS0_14default_configENS1_33run_length_encode_config_selectorIbjNS0_4plusIjEEEEZZNS1_33reduce_by_key_impl_wrapped_configILNS1_25lookback_scan_determinismE0ES3_S7_N6hipcub16HIPCUB_304000_NS22TransformInputIteratorIbN2at6native8internal12_GLOBAL__N_110LoadBoolOpEPKhlEENS0_17constant_iteratorIjlEEPbPlSO_S6_NS0_8equal_toIbEEEE10hipError_tPvRmT2_T3_mT4_T5_T6_T7_T8_P12ihipStream_tbENKUlT_T0_E_clISt17integral_constantIbLb0EES18_EEDaS13_S14_EUlS13_E_NS1_11comp_targetILNS1_3genE10ELNS1_11target_archE1201ELNS1_3gpuE5ELNS1_3repE0EEENS1_30default_config_static_selectorELNS0_4arch9wavefront6targetE1EEEvT1_,@function
_ZN7rocprim17ROCPRIM_400000_NS6detail17trampoline_kernelINS0_14default_configENS1_33run_length_encode_config_selectorIbjNS0_4plusIjEEEEZZNS1_33reduce_by_key_impl_wrapped_configILNS1_25lookback_scan_determinismE0ES3_S7_N6hipcub16HIPCUB_304000_NS22TransformInputIteratorIbN2at6native8internal12_GLOBAL__N_110LoadBoolOpEPKhlEENS0_17constant_iteratorIjlEEPbPlSO_S6_NS0_8equal_toIbEEEE10hipError_tPvRmT2_T3_mT4_T5_T6_T7_T8_P12ihipStream_tbENKUlT_T0_E_clISt17integral_constantIbLb0EES18_EEDaS13_S14_EUlS13_E_NS1_11comp_targetILNS1_3genE10ELNS1_11target_archE1201ELNS1_3gpuE5ELNS1_3repE0EEENS1_30default_config_static_selectorELNS0_4arch9wavefront6targetE1EEEvT1_: ; @_ZN7rocprim17ROCPRIM_400000_NS6detail17trampoline_kernelINS0_14default_configENS1_33run_length_encode_config_selectorIbjNS0_4plusIjEEEEZZNS1_33reduce_by_key_impl_wrapped_configILNS1_25lookback_scan_determinismE0ES3_S7_N6hipcub16HIPCUB_304000_NS22TransformInputIteratorIbN2at6native8internal12_GLOBAL__N_110LoadBoolOpEPKhlEENS0_17constant_iteratorIjlEEPbPlSO_S6_NS0_8equal_toIbEEEE10hipError_tPvRmT2_T3_mT4_T5_T6_T7_T8_P12ihipStream_tbENKUlT_T0_E_clISt17integral_constantIbLb0EES18_EEDaS13_S14_EUlS13_E_NS1_11comp_targetILNS1_3genE10ELNS1_11target_archE1201ELNS1_3gpuE5ELNS1_3repE0EEENS1_30default_config_static_selectorELNS0_4arch9wavefront6targetE1EEEvT1_
; %bb.0:
	.section	.rodata,"a",@progbits
	.p2align	6, 0x0
	.amdhsa_kernel _ZN7rocprim17ROCPRIM_400000_NS6detail17trampoline_kernelINS0_14default_configENS1_33run_length_encode_config_selectorIbjNS0_4plusIjEEEEZZNS1_33reduce_by_key_impl_wrapped_configILNS1_25lookback_scan_determinismE0ES3_S7_N6hipcub16HIPCUB_304000_NS22TransformInputIteratorIbN2at6native8internal12_GLOBAL__N_110LoadBoolOpEPKhlEENS0_17constant_iteratorIjlEEPbPlSO_S6_NS0_8equal_toIbEEEE10hipError_tPvRmT2_T3_mT4_T5_T6_T7_T8_P12ihipStream_tbENKUlT_T0_E_clISt17integral_constantIbLb0EES18_EEDaS13_S14_EUlS13_E_NS1_11comp_targetILNS1_3genE10ELNS1_11target_archE1201ELNS1_3gpuE5ELNS1_3repE0EEENS1_30default_config_static_selectorELNS0_4arch9wavefront6targetE1EEEvT1_
		.amdhsa_group_segment_fixed_size 0
		.amdhsa_private_segment_fixed_size 0
		.amdhsa_kernarg_size 136
		.amdhsa_user_sgpr_count 6
		.amdhsa_user_sgpr_private_segment_buffer 1
		.amdhsa_user_sgpr_dispatch_ptr 0
		.amdhsa_user_sgpr_queue_ptr 0
		.amdhsa_user_sgpr_kernarg_segment_ptr 1
		.amdhsa_user_sgpr_dispatch_id 0
		.amdhsa_user_sgpr_flat_scratch_init 0
		.amdhsa_user_sgpr_kernarg_preload_length 0
		.amdhsa_user_sgpr_kernarg_preload_offset 0
		.amdhsa_user_sgpr_private_segment_size 0
		.amdhsa_uses_dynamic_stack 0
		.amdhsa_system_sgpr_private_segment_wavefront_offset 0
		.amdhsa_system_sgpr_workgroup_id_x 1
		.amdhsa_system_sgpr_workgroup_id_y 0
		.amdhsa_system_sgpr_workgroup_id_z 0
		.amdhsa_system_sgpr_workgroup_info 0
		.amdhsa_system_vgpr_workitem_id 0
		.amdhsa_next_free_vgpr 1
		.amdhsa_next_free_sgpr 0
		.amdhsa_accum_offset 4
		.amdhsa_reserve_vcc 0
		.amdhsa_reserve_flat_scratch 0
		.amdhsa_float_round_mode_32 0
		.amdhsa_float_round_mode_16_64 0
		.amdhsa_float_denorm_mode_32 3
		.amdhsa_float_denorm_mode_16_64 3
		.amdhsa_dx10_clamp 1
		.amdhsa_ieee_mode 1
		.amdhsa_fp16_overflow 0
		.amdhsa_tg_split 0
		.amdhsa_exception_fp_ieee_invalid_op 0
		.amdhsa_exception_fp_denorm_src 0
		.amdhsa_exception_fp_ieee_div_zero 0
		.amdhsa_exception_fp_ieee_overflow 0
		.amdhsa_exception_fp_ieee_underflow 0
		.amdhsa_exception_fp_ieee_inexact 0
		.amdhsa_exception_int_div_zero 0
	.end_amdhsa_kernel
	.section	.text._ZN7rocprim17ROCPRIM_400000_NS6detail17trampoline_kernelINS0_14default_configENS1_33run_length_encode_config_selectorIbjNS0_4plusIjEEEEZZNS1_33reduce_by_key_impl_wrapped_configILNS1_25lookback_scan_determinismE0ES3_S7_N6hipcub16HIPCUB_304000_NS22TransformInputIteratorIbN2at6native8internal12_GLOBAL__N_110LoadBoolOpEPKhlEENS0_17constant_iteratorIjlEEPbPlSO_S6_NS0_8equal_toIbEEEE10hipError_tPvRmT2_T3_mT4_T5_T6_T7_T8_P12ihipStream_tbENKUlT_T0_E_clISt17integral_constantIbLb0EES18_EEDaS13_S14_EUlS13_E_NS1_11comp_targetILNS1_3genE10ELNS1_11target_archE1201ELNS1_3gpuE5ELNS1_3repE0EEENS1_30default_config_static_selectorELNS0_4arch9wavefront6targetE1EEEvT1_,"axG",@progbits,_ZN7rocprim17ROCPRIM_400000_NS6detail17trampoline_kernelINS0_14default_configENS1_33run_length_encode_config_selectorIbjNS0_4plusIjEEEEZZNS1_33reduce_by_key_impl_wrapped_configILNS1_25lookback_scan_determinismE0ES3_S7_N6hipcub16HIPCUB_304000_NS22TransformInputIteratorIbN2at6native8internal12_GLOBAL__N_110LoadBoolOpEPKhlEENS0_17constant_iteratorIjlEEPbPlSO_S6_NS0_8equal_toIbEEEE10hipError_tPvRmT2_T3_mT4_T5_T6_T7_T8_P12ihipStream_tbENKUlT_T0_E_clISt17integral_constantIbLb0EES18_EEDaS13_S14_EUlS13_E_NS1_11comp_targetILNS1_3genE10ELNS1_11target_archE1201ELNS1_3gpuE5ELNS1_3repE0EEENS1_30default_config_static_selectorELNS0_4arch9wavefront6targetE1EEEvT1_,comdat
.Lfunc_end63:
	.size	_ZN7rocprim17ROCPRIM_400000_NS6detail17trampoline_kernelINS0_14default_configENS1_33run_length_encode_config_selectorIbjNS0_4plusIjEEEEZZNS1_33reduce_by_key_impl_wrapped_configILNS1_25lookback_scan_determinismE0ES3_S7_N6hipcub16HIPCUB_304000_NS22TransformInputIteratorIbN2at6native8internal12_GLOBAL__N_110LoadBoolOpEPKhlEENS0_17constant_iteratorIjlEEPbPlSO_S6_NS0_8equal_toIbEEEE10hipError_tPvRmT2_T3_mT4_T5_T6_T7_T8_P12ihipStream_tbENKUlT_T0_E_clISt17integral_constantIbLb0EES18_EEDaS13_S14_EUlS13_E_NS1_11comp_targetILNS1_3genE10ELNS1_11target_archE1201ELNS1_3gpuE5ELNS1_3repE0EEENS1_30default_config_static_selectorELNS0_4arch9wavefront6targetE1EEEvT1_, .Lfunc_end63-_ZN7rocprim17ROCPRIM_400000_NS6detail17trampoline_kernelINS0_14default_configENS1_33run_length_encode_config_selectorIbjNS0_4plusIjEEEEZZNS1_33reduce_by_key_impl_wrapped_configILNS1_25lookback_scan_determinismE0ES3_S7_N6hipcub16HIPCUB_304000_NS22TransformInputIteratorIbN2at6native8internal12_GLOBAL__N_110LoadBoolOpEPKhlEENS0_17constant_iteratorIjlEEPbPlSO_S6_NS0_8equal_toIbEEEE10hipError_tPvRmT2_T3_mT4_T5_T6_T7_T8_P12ihipStream_tbENKUlT_T0_E_clISt17integral_constantIbLb0EES18_EEDaS13_S14_EUlS13_E_NS1_11comp_targetILNS1_3genE10ELNS1_11target_archE1201ELNS1_3gpuE5ELNS1_3repE0EEENS1_30default_config_static_selectorELNS0_4arch9wavefront6targetE1EEEvT1_
                                        ; -- End function
	.section	.AMDGPU.csdata,"",@progbits
; Kernel info:
; codeLenInByte = 0
; NumSgprs: 4
; NumVgprs: 0
; NumAgprs: 0
; TotalNumVgprs: 0
; ScratchSize: 0
; MemoryBound: 0
; FloatMode: 240
; IeeeMode: 1
; LDSByteSize: 0 bytes/workgroup (compile time only)
; SGPRBlocks: 0
; VGPRBlocks: 0
; NumSGPRsForWavesPerEU: 4
; NumVGPRsForWavesPerEU: 1
; AccumOffset: 4
; Occupancy: 8
; WaveLimiterHint : 0
; COMPUTE_PGM_RSRC2:SCRATCH_EN: 0
; COMPUTE_PGM_RSRC2:USER_SGPR: 6
; COMPUTE_PGM_RSRC2:TRAP_HANDLER: 0
; COMPUTE_PGM_RSRC2:TGID_X_EN: 1
; COMPUTE_PGM_RSRC2:TGID_Y_EN: 0
; COMPUTE_PGM_RSRC2:TGID_Z_EN: 0
; COMPUTE_PGM_RSRC2:TIDIG_COMP_CNT: 0
; COMPUTE_PGM_RSRC3_GFX90A:ACCUM_OFFSET: 0
; COMPUTE_PGM_RSRC3_GFX90A:TG_SPLIT: 0
	.section	.text._ZN7rocprim17ROCPRIM_400000_NS6detail17trampoline_kernelINS0_14default_configENS1_33run_length_encode_config_selectorIbjNS0_4plusIjEEEEZZNS1_33reduce_by_key_impl_wrapped_configILNS1_25lookback_scan_determinismE0ES3_S7_N6hipcub16HIPCUB_304000_NS22TransformInputIteratorIbN2at6native8internal12_GLOBAL__N_110LoadBoolOpEPKhlEENS0_17constant_iteratorIjlEEPbPlSO_S6_NS0_8equal_toIbEEEE10hipError_tPvRmT2_T3_mT4_T5_T6_T7_T8_P12ihipStream_tbENKUlT_T0_E_clISt17integral_constantIbLb0EES18_EEDaS13_S14_EUlS13_E_NS1_11comp_targetILNS1_3genE10ELNS1_11target_archE1200ELNS1_3gpuE4ELNS1_3repE0EEENS1_30default_config_static_selectorELNS0_4arch9wavefront6targetE1EEEvT1_,"axG",@progbits,_ZN7rocprim17ROCPRIM_400000_NS6detail17trampoline_kernelINS0_14default_configENS1_33run_length_encode_config_selectorIbjNS0_4plusIjEEEEZZNS1_33reduce_by_key_impl_wrapped_configILNS1_25lookback_scan_determinismE0ES3_S7_N6hipcub16HIPCUB_304000_NS22TransformInputIteratorIbN2at6native8internal12_GLOBAL__N_110LoadBoolOpEPKhlEENS0_17constant_iteratorIjlEEPbPlSO_S6_NS0_8equal_toIbEEEE10hipError_tPvRmT2_T3_mT4_T5_T6_T7_T8_P12ihipStream_tbENKUlT_T0_E_clISt17integral_constantIbLb0EES18_EEDaS13_S14_EUlS13_E_NS1_11comp_targetILNS1_3genE10ELNS1_11target_archE1200ELNS1_3gpuE4ELNS1_3repE0EEENS1_30default_config_static_selectorELNS0_4arch9wavefront6targetE1EEEvT1_,comdat
	.globl	_ZN7rocprim17ROCPRIM_400000_NS6detail17trampoline_kernelINS0_14default_configENS1_33run_length_encode_config_selectorIbjNS0_4plusIjEEEEZZNS1_33reduce_by_key_impl_wrapped_configILNS1_25lookback_scan_determinismE0ES3_S7_N6hipcub16HIPCUB_304000_NS22TransformInputIteratorIbN2at6native8internal12_GLOBAL__N_110LoadBoolOpEPKhlEENS0_17constant_iteratorIjlEEPbPlSO_S6_NS0_8equal_toIbEEEE10hipError_tPvRmT2_T3_mT4_T5_T6_T7_T8_P12ihipStream_tbENKUlT_T0_E_clISt17integral_constantIbLb0EES18_EEDaS13_S14_EUlS13_E_NS1_11comp_targetILNS1_3genE10ELNS1_11target_archE1200ELNS1_3gpuE4ELNS1_3repE0EEENS1_30default_config_static_selectorELNS0_4arch9wavefront6targetE1EEEvT1_ ; -- Begin function _ZN7rocprim17ROCPRIM_400000_NS6detail17trampoline_kernelINS0_14default_configENS1_33run_length_encode_config_selectorIbjNS0_4plusIjEEEEZZNS1_33reduce_by_key_impl_wrapped_configILNS1_25lookback_scan_determinismE0ES3_S7_N6hipcub16HIPCUB_304000_NS22TransformInputIteratorIbN2at6native8internal12_GLOBAL__N_110LoadBoolOpEPKhlEENS0_17constant_iteratorIjlEEPbPlSO_S6_NS0_8equal_toIbEEEE10hipError_tPvRmT2_T3_mT4_T5_T6_T7_T8_P12ihipStream_tbENKUlT_T0_E_clISt17integral_constantIbLb0EES18_EEDaS13_S14_EUlS13_E_NS1_11comp_targetILNS1_3genE10ELNS1_11target_archE1200ELNS1_3gpuE4ELNS1_3repE0EEENS1_30default_config_static_selectorELNS0_4arch9wavefront6targetE1EEEvT1_
	.p2align	8
	.type	_ZN7rocprim17ROCPRIM_400000_NS6detail17trampoline_kernelINS0_14default_configENS1_33run_length_encode_config_selectorIbjNS0_4plusIjEEEEZZNS1_33reduce_by_key_impl_wrapped_configILNS1_25lookback_scan_determinismE0ES3_S7_N6hipcub16HIPCUB_304000_NS22TransformInputIteratorIbN2at6native8internal12_GLOBAL__N_110LoadBoolOpEPKhlEENS0_17constant_iteratorIjlEEPbPlSO_S6_NS0_8equal_toIbEEEE10hipError_tPvRmT2_T3_mT4_T5_T6_T7_T8_P12ihipStream_tbENKUlT_T0_E_clISt17integral_constantIbLb0EES18_EEDaS13_S14_EUlS13_E_NS1_11comp_targetILNS1_3genE10ELNS1_11target_archE1200ELNS1_3gpuE4ELNS1_3repE0EEENS1_30default_config_static_selectorELNS0_4arch9wavefront6targetE1EEEvT1_,@function
_ZN7rocprim17ROCPRIM_400000_NS6detail17trampoline_kernelINS0_14default_configENS1_33run_length_encode_config_selectorIbjNS0_4plusIjEEEEZZNS1_33reduce_by_key_impl_wrapped_configILNS1_25lookback_scan_determinismE0ES3_S7_N6hipcub16HIPCUB_304000_NS22TransformInputIteratorIbN2at6native8internal12_GLOBAL__N_110LoadBoolOpEPKhlEENS0_17constant_iteratorIjlEEPbPlSO_S6_NS0_8equal_toIbEEEE10hipError_tPvRmT2_T3_mT4_T5_T6_T7_T8_P12ihipStream_tbENKUlT_T0_E_clISt17integral_constantIbLb0EES18_EEDaS13_S14_EUlS13_E_NS1_11comp_targetILNS1_3genE10ELNS1_11target_archE1200ELNS1_3gpuE4ELNS1_3repE0EEENS1_30default_config_static_selectorELNS0_4arch9wavefront6targetE1EEEvT1_: ; @_ZN7rocprim17ROCPRIM_400000_NS6detail17trampoline_kernelINS0_14default_configENS1_33run_length_encode_config_selectorIbjNS0_4plusIjEEEEZZNS1_33reduce_by_key_impl_wrapped_configILNS1_25lookback_scan_determinismE0ES3_S7_N6hipcub16HIPCUB_304000_NS22TransformInputIteratorIbN2at6native8internal12_GLOBAL__N_110LoadBoolOpEPKhlEENS0_17constant_iteratorIjlEEPbPlSO_S6_NS0_8equal_toIbEEEE10hipError_tPvRmT2_T3_mT4_T5_T6_T7_T8_P12ihipStream_tbENKUlT_T0_E_clISt17integral_constantIbLb0EES18_EEDaS13_S14_EUlS13_E_NS1_11comp_targetILNS1_3genE10ELNS1_11target_archE1200ELNS1_3gpuE4ELNS1_3repE0EEENS1_30default_config_static_selectorELNS0_4arch9wavefront6targetE1EEEvT1_
; %bb.0:
	.section	.rodata,"a",@progbits
	.p2align	6, 0x0
	.amdhsa_kernel _ZN7rocprim17ROCPRIM_400000_NS6detail17trampoline_kernelINS0_14default_configENS1_33run_length_encode_config_selectorIbjNS0_4plusIjEEEEZZNS1_33reduce_by_key_impl_wrapped_configILNS1_25lookback_scan_determinismE0ES3_S7_N6hipcub16HIPCUB_304000_NS22TransformInputIteratorIbN2at6native8internal12_GLOBAL__N_110LoadBoolOpEPKhlEENS0_17constant_iteratorIjlEEPbPlSO_S6_NS0_8equal_toIbEEEE10hipError_tPvRmT2_T3_mT4_T5_T6_T7_T8_P12ihipStream_tbENKUlT_T0_E_clISt17integral_constantIbLb0EES18_EEDaS13_S14_EUlS13_E_NS1_11comp_targetILNS1_3genE10ELNS1_11target_archE1200ELNS1_3gpuE4ELNS1_3repE0EEENS1_30default_config_static_selectorELNS0_4arch9wavefront6targetE1EEEvT1_
		.amdhsa_group_segment_fixed_size 0
		.amdhsa_private_segment_fixed_size 0
		.amdhsa_kernarg_size 136
		.amdhsa_user_sgpr_count 6
		.amdhsa_user_sgpr_private_segment_buffer 1
		.amdhsa_user_sgpr_dispatch_ptr 0
		.amdhsa_user_sgpr_queue_ptr 0
		.amdhsa_user_sgpr_kernarg_segment_ptr 1
		.amdhsa_user_sgpr_dispatch_id 0
		.amdhsa_user_sgpr_flat_scratch_init 0
		.amdhsa_user_sgpr_kernarg_preload_length 0
		.amdhsa_user_sgpr_kernarg_preload_offset 0
		.amdhsa_user_sgpr_private_segment_size 0
		.amdhsa_uses_dynamic_stack 0
		.amdhsa_system_sgpr_private_segment_wavefront_offset 0
		.amdhsa_system_sgpr_workgroup_id_x 1
		.amdhsa_system_sgpr_workgroup_id_y 0
		.amdhsa_system_sgpr_workgroup_id_z 0
		.amdhsa_system_sgpr_workgroup_info 0
		.amdhsa_system_vgpr_workitem_id 0
		.amdhsa_next_free_vgpr 1
		.amdhsa_next_free_sgpr 0
		.amdhsa_accum_offset 4
		.amdhsa_reserve_vcc 0
		.amdhsa_reserve_flat_scratch 0
		.amdhsa_float_round_mode_32 0
		.amdhsa_float_round_mode_16_64 0
		.amdhsa_float_denorm_mode_32 3
		.amdhsa_float_denorm_mode_16_64 3
		.amdhsa_dx10_clamp 1
		.amdhsa_ieee_mode 1
		.amdhsa_fp16_overflow 0
		.amdhsa_tg_split 0
		.amdhsa_exception_fp_ieee_invalid_op 0
		.amdhsa_exception_fp_denorm_src 0
		.amdhsa_exception_fp_ieee_div_zero 0
		.amdhsa_exception_fp_ieee_overflow 0
		.amdhsa_exception_fp_ieee_underflow 0
		.amdhsa_exception_fp_ieee_inexact 0
		.amdhsa_exception_int_div_zero 0
	.end_amdhsa_kernel
	.section	.text._ZN7rocprim17ROCPRIM_400000_NS6detail17trampoline_kernelINS0_14default_configENS1_33run_length_encode_config_selectorIbjNS0_4plusIjEEEEZZNS1_33reduce_by_key_impl_wrapped_configILNS1_25lookback_scan_determinismE0ES3_S7_N6hipcub16HIPCUB_304000_NS22TransformInputIteratorIbN2at6native8internal12_GLOBAL__N_110LoadBoolOpEPKhlEENS0_17constant_iteratorIjlEEPbPlSO_S6_NS0_8equal_toIbEEEE10hipError_tPvRmT2_T3_mT4_T5_T6_T7_T8_P12ihipStream_tbENKUlT_T0_E_clISt17integral_constantIbLb0EES18_EEDaS13_S14_EUlS13_E_NS1_11comp_targetILNS1_3genE10ELNS1_11target_archE1200ELNS1_3gpuE4ELNS1_3repE0EEENS1_30default_config_static_selectorELNS0_4arch9wavefront6targetE1EEEvT1_,"axG",@progbits,_ZN7rocprim17ROCPRIM_400000_NS6detail17trampoline_kernelINS0_14default_configENS1_33run_length_encode_config_selectorIbjNS0_4plusIjEEEEZZNS1_33reduce_by_key_impl_wrapped_configILNS1_25lookback_scan_determinismE0ES3_S7_N6hipcub16HIPCUB_304000_NS22TransformInputIteratorIbN2at6native8internal12_GLOBAL__N_110LoadBoolOpEPKhlEENS0_17constant_iteratorIjlEEPbPlSO_S6_NS0_8equal_toIbEEEE10hipError_tPvRmT2_T3_mT4_T5_T6_T7_T8_P12ihipStream_tbENKUlT_T0_E_clISt17integral_constantIbLb0EES18_EEDaS13_S14_EUlS13_E_NS1_11comp_targetILNS1_3genE10ELNS1_11target_archE1200ELNS1_3gpuE4ELNS1_3repE0EEENS1_30default_config_static_selectorELNS0_4arch9wavefront6targetE1EEEvT1_,comdat
.Lfunc_end64:
	.size	_ZN7rocprim17ROCPRIM_400000_NS6detail17trampoline_kernelINS0_14default_configENS1_33run_length_encode_config_selectorIbjNS0_4plusIjEEEEZZNS1_33reduce_by_key_impl_wrapped_configILNS1_25lookback_scan_determinismE0ES3_S7_N6hipcub16HIPCUB_304000_NS22TransformInputIteratorIbN2at6native8internal12_GLOBAL__N_110LoadBoolOpEPKhlEENS0_17constant_iteratorIjlEEPbPlSO_S6_NS0_8equal_toIbEEEE10hipError_tPvRmT2_T3_mT4_T5_T6_T7_T8_P12ihipStream_tbENKUlT_T0_E_clISt17integral_constantIbLb0EES18_EEDaS13_S14_EUlS13_E_NS1_11comp_targetILNS1_3genE10ELNS1_11target_archE1200ELNS1_3gpuE4ELNS1_3repE0EEENS1_30default_config_static_selectorELNS0_4arch9wavefront6targetE1EEEvT1_, .Lfunc_end64-_ZN7rocprim17ROCPRIM_400000_NS6detail17trampoline_kernelINS0_14default_configENS1_33run_length_encode_config_selectorIbjNS0_4plusIjEEEEZZNS1_33reduce_by_key_impl_wrapped_configILNS1_25lookback_scan_determinismE0ES3_S7_N6hipcub16HIPCUB_304000_NS22TransformInputIteratorIbN2at6native8internal12_GLOBAL__N_110LoadBoolOpEPKhlEENS0_17constant_iteratorIjlEEPbPlSO_S6_NS0_8equal_toIbEEEE10hipError_tPvRmT2_T3_mT4_T5_T6_T7_T8_P12ihipStream_tbENKUlT_T0_E_clISt17integral_constantIbLb0EES18_EEDaS13_S14_EUlS13_E_NS1_11comp_targetILNS1_3genE10ELNS1_11target_archE1200ELNS1_3gpuE4ELNS1_3repE0EEENS1_30default_config_static_selectorELNS0_4arch9wavefront6targetE1EEEvT1_
                                        ; -- End function
	.section	.AMDGPU.csdata,"",@progbits
; Kernel info:
; codeLenInByte = 0
; NumSgprs: 4
; NumVgprs: 0
; NumAgprs: 0
; TotalNumVgprs: 0
; ScratchSize: 0
; MemoryBound: 0
; FloatMode: 240
; IeeeMode: 1
; LDSByteSize: 0 bytes/workgroup (compile time only)
; SGPRBlocks: 0
; VGPRBlocks: 0
; NumSGPRsForWavesPerEU: 4
; NumVGPRsForWavesPerEU: 1
; AccumOffset: 4
; Occupancy: 8
; WaveLimiterHint : 0
; COMPUTE_PGM_RSRC2:SCRATCH_EN: 0
; COMPUTE_PGM_RSRC2:USER_SGPR: 6
; COMPUTE_PGM_RSRC2:TRAP_HANDLER: 0
; COMPUTE_PGM_RSRC2:TGID_X_EN: 1
; COMPUTE_PGM_RSRC2:TGID_Y_EN: 0
; COMPUTE_PGM_RSRC2:TGID_Z_EN: 0
; COMPUTE_PGM_RSRC2:TIDIG_COMP_CNT: 0
; COMPUTE_PGM_RSRC3_GFX90A:ACCUM_OFFSET: 0
; COMPUTE_PGM_RSRC3_GFX90A:TG_SPLIT: 0
	.section	.text._ZN7rocprim17ROCPRIM_400000_NS6detail17trampoline_kernelINS0_14default_configENS1_33run_length_encode_config_selectorIbjNS0_4plusIjEEEEZZNS1_33reduce_by_key_impl_wrapped_configILNS1_25lookback_scan_determinismE0ES3_S7_N6hipcub16HIPCUB_304000_NS22TransformInputIteratorIbN2at6native8internal12_GLOBAL__N_110LoadBoolOpEPKhlEENS0_17constant_iteratorIjlEEPbPlSO_S6_NS0_8equal_toIbEEEE10hipError_tPvRmT2_T3_mT4_T5_T6_T7_T8_P12ihipStream_tbENKUlT_T0_E_clISt17integral_constantIbLb0EES18_EEDaS13_S14_EUlS13_E_NS1_11comp_targetILNS1_3genE9ELNS1_11target_archE1100ELNS1_3gpuE3ELNS1_3repE0EEENS1_30default_config_static_selectorELNS0_4arch9wavefront6targetE1EEEvT1_,"axG",@progbits,_ZN7rocprim17ROCPRIM_400000_NS6detail17trampoline_kernelINS0_14default_configENS1_33run_length_encode_config_selectorIbjNS0_4plusIjEEEEZZNS1_33reduce_by_key_impl_wrapped_configILNS1_25lookback_scan_determinismE0ES3_S7_N6hipcub16HIPCUB_304000_NS22TransformInputIteratorIbN2at6native8internal12_GLOBAL__N_110LoadBoolOpEPKhlEENS0_17constant_iteratorIjlEEPbPlSO_S6_NS0_8equal_toIbEEEE10hipError_tPvRmT2_T3_mT4_T5_T6_T7_T8_P12ihipStream_tbENKUlT_T0_E_clISt17integral_constantIbLb0EES18_EEDaS13_S14_EUlS13_E_NS1_11comp_targetILNS1_3genE9ELNS1_11target_archE1100ELNS1_3gpuE3ELNS1_3repE0EEENS1_30default_config_static_selectorELNS0_4arch9wavefront6targetE1EEEvT1_,comdat
	.globl	_ZN7rocprim17ROCPRIM_400000_NS6detail17trampoline_kernelINS0_14default_configENS1_33run_length_encode_config_selectorIbjNS0_4plusIjEEEEZZNS1_33reduce_by_key_impl_wrapped_configILNS1_25lookback_scan_determinismE0ES3_S7_N6hipcub16HIPCUB_304000_NS22TransformInputIteratorIbN2at6native8internal12_GLOBAL__N_110LoadBoolOpEPKhlEENS0_17constant_iteratorIjlEEPbPlSO_S6_NS0_8equal_toIbEEEE10hipError_tPvRmT2_T3_mT4_T5_T6_T7_T8_P12ihipStream_tbENKUlT_T0_E_clISt17integral_constantIbLb0EES18_EEDaS13_S14_EUlS13_E_NS1_11comp_targetILNS1_3genE9ELNS1_11target_archE1100ELNS1_3gpuE3ELNS1_3repE0EEENS1_30default_config_static_selectorELNS0_4arch9wavefront6targetE1EEEvT1_ ; -- Begin function _ZN7rocprim17ROCPRIM_400000_NS6detail17trampoline_kernelINS0_14default_configENS1_33run_length_encode_config_selectorIbjNS0_4plusIjEEEEZZNS1_33reduce_by_key_impl_wrapped_configILNS1_25lookback_scan_determinismE0ES3_S7_N6hipcub16HIPCUB_304000_NS22TransformInputIteratorIbN2at6native8internal12_GLOBAL__N_110LoadBoolOpEPKhlEENS0_17constant_iteratorIjlEEPbPlSO_S6_NS0_8equal_toIbEEEE10hipError_tPvRmT2_T3_mT4_T5_T6_T7_T8_P12ihipStream_tbENKUlT_T0_E_clISt17integral_constantIbLb0EES18_EEDaS13_S14_EUlS13_E_NS1_11comp_targetILNS1_3genE9ELNS1_11target_archE1100ELNS1_3gpuE3ELNS1_3repE0EEENS1_30default_config_static_selectorELNS0_4arch9wavefront6targetE1EEEvT1_
	.p2align	8
	.type	_ZN7rocprim17ROCPRIM_400000_NS6detail17trampoline_kernelINS0_14default_configENS1_33run_length_encode_config_selectorIbjNS0_4plusIjEEEEZZNS1_33reduce_by_key_impl_wrapped_configILNS1_25lookback_scan_determinismE0ES3_S7_N6hipcub16HIPCUB_304000_NS22TransformInputIteratorIbN2at6native8internal12_GLOBAL__N_110LoadBoolOpEPKhlEENS0_17constant_iteratorIjlEEPbPlSO_S6_NS0_8equal_toIbEEEE10hipError_tPvRmT2_T3_mT4_T5_T6_T7_T8_P12ihipStream_tbENKUlT_T0_E_clISt17integral_constantIbLb0EES18_EEDaS13_S14_EUlS13_E_NS1_11comp_targetILNS1_3genE9ELNS1_11target_archE1100ELNS1_3gpuE3ELNS1_3repE0EEENS1_30default_config_static_selectorELNS0_4arch9wavefront6targetE1EEEvT1_,@function
_ZN7rocprim17ROCPRIM_400000_NS6detail17trampoline_kernelINS0_14default_configENS1_33run_length_encode_config_selectorIbjNS0_4plusIjEEEEZZNS1_33reduce_by_key_impl_wrapped_configILNS1_25lookback_scan_determinismE0ES3_S7_N6hipcub16HIPCUB_304000_NS22TransformInputIteratorIbN2at6native8internal12_GLOBAL__N_110LoadBoolOpEPKhlEENS0_17constant_iteratorIjlEEPbPlSO_S6_NS0_8equal_toIbEEEE10hipError_tPvRmT2_T3_mT4_T5_T6_T7_T8_P12ihipStream_tbENKUlT_T0_E_clISt17integral_constantIbLb0EES18_EEDaS13_S14_EUlS13_E_NS1_11comp_targetILNS1_3genE9ELNS1_11target_archE1100ELNS1_3gpuE3ELNS1_3repE0EEENS1_30default_config_static_selectorELNS0_4arch9wavefront6targetE1EEEvT1_: ; @_ZN7rocprim17ROCPRIM_400000_NS6detail17trampoline_kernelINS0_14default_configENS1_33run_length_encode_config_selectorIbjNS0_4plusIjEEEEZZNS1_33reduce_by_key_impl_wrapped_configILNS1_25lookback_scan_determinismE0ES3_S7_N6hipcub16HIPCUB_304000_NS22TransformInputIteratorIbN2at6native8internal12_GLOBAL__N_110LoadBoolOpEPKhlEENS0_17constant_iteratorIjlEEPbPlSO_S6_NS0_8equal_toIbEEEE10hipError_tPvRmT2_T3_mT4_T5_T6_T7_T8_P12ihipStream_tbENKUlT_T0_E_clISt17integral_constantIbLb0EES18_EEDaS13_S14_EUlS13_E_NS1_11comp_targetILNS1_3genE9ELNS1_11target_archE1100ELNS1_3gpuE3ELNS1_3repE0EEENS1_30default_config_static_selectorELNS0_4arch9wavefront6targetE1EEEvT1_
; %bb.0:
	.section	.rodata,"a",@progbits
	.p2align	6, 0x0
	.amdhsa_kernel _ZN7rocprim17ROCPRIM_400000_NS6detail17trampoline_kernelINS0_14default_configENS1_33run_length_encode_config_selectorIbjNS0_4plusIjEEEEZZNS1_33reduce_by_key_impl_wrapped_configILNS1_25lookback_scan_determinismE0ES3_S7_N6hipcub16HIPCUB_304000_NS22TransformInputIteratorIbN2at6native8internal12_GLOBAL__N_110LoadBoolOpEPKhlEENS0_17constant_iteratorIjlEEPbPlSO_S6_NS0_8equal_toIbEEEE10hipError_tPvRmT2_T3_mT4_T5_T6_T7_T8_P12ihipStream_tbENKUlT_T0_E_clISt17integral_constantIbLb0EES18_EEDaS13_S14_EUlS13_E_NS1_11comp_targetILNS1_3genE9ELNS1_11target_archE1100ELNS1_3gpuE3ELNS1_3repE0EEENS1_30default_config_static_selectorELNS0_4arch9wavefront6targetE1EEEvT1_
		.amdhsa_group_segment_fixed_size 0
		.amdhsa_private_segment_fixed_size 0
		.amdhsa_kernarg_size 136
		.amdhsa_user_sgpr_count 6
		.amdhsa_user_sgpr_private_segment_buffer 1
		.amdhsa_user_sgpr_dispatch_ptr 0
		.amdhsa_user_sgpr_queue_ptr 0
		.amdhsa_user_sgpr_kernarg_segment_ptr 1
		.amdhsa_user_sgpr_dispatch_id 0
		.amdhsa_user_sgpr_flat_scratch_init 0
		.amdhsa_user_sgpr_kernarg_preload_length 0
		.amdhsa_user_sgpr_kernarg_preload_offset 0
		.amdhsa_user_sgpr_private_segment_size 0
		.amdhsa_uses_dynamic_stack 0
		.amdhsa_system_sgpr_private_segment_wavefront_offset 0
		.amdhsa_system_sgpr_workgroup_id_x 1
		.amdhsa_system_sgpr_workgroup_id_y 0
		.amdhsa_system_sgpr_workgroup_id_z 0
		.amdhsa_system_sgpr_workgroup_info 0
		.amdhsa_system_vgpr_workitem_id 0
		.amdhsa_next_free_vgpr 1
		.amdhsa_next_free_sgpr 0
		.amdhsa_accum_offset 4
		.amdhsa_reserve_vcc 0
		.amdhsa_reserve_flat_scratch 0
		.amdhsa_float_round_mode_32 0
		.amdhsa_float_round_mode_16_64 0
		.amdhsa_float_denorm_mode_32 3
		.amdhsa_float_denorm_mode_16_64 3
		.amdhsa_dx10_clamp 1
		.amdhsa_ieee_mode 1
		.amdhsa_fp16_overflow 0
		.amdhsa_tg_split 0
		.amdhsa_exception_fp_ieee_invalid_op 0
		.amdhsa_exception_fp_denorm_src 0
		.amdhsa_exception_fp_ieee_div_zero 0
		.amdhsa_exception_fp_ieee_overflow 0
		.amdhsa_exception_fp_ieee_underflow 0
		.amdhsa_exception_fp_ieee_inexact 0
		.amdhsa_exception_int_div_zero 0
	.end_amdhsa_kernel
	.section	.text._ZN7rocprim17ROCPRIM_400000_NS6detail17trampoline_kernelINS0_14default_configENS1_33run_length_encode_config_selectorIbjNS0_4plusIjEEEEZZNS1_33reduce_by_key_impl_wrapped_configILNS1_25lookback_scan_determinismE0ES3_S7_N6hipcub16HIPCUB_304000_NS22TransformInputIteratorIbN2at6native8internal12_GLOBAL__N_110LoadBoolOpEPKhlEENS0_17constant_iteratorIjlEEPbPlSO_S6_NS0_8equal_toIbEEEE10hipError_tPvRmT2_T3_mT4_T5_T6_T7_T8_P12ihipStream_tbENKUlT_T0_E_clISt17integral_constantIbLb0EES18_EEDaS13_S14_EUlS13_E_NS1_11comp_targetILNS1_3genE9ELNS1_11target_archE1100ELNS1_3gpuE3ELNS1_3repE0EEENS1_30default_config_static_selectorELNS0_4arch9wavefront6targetE1EEEvT1_,"axG",@progbits,_ZN7rocprim17ROCPRIM_400000_NS6detail17trampoline_kernelINS0_14default_configENS1_33run_length_encode_config_selectorIbjNS0_4plusIjEEEEZZNS1_33reduce_by_key_impl_wrapped_configILNS1_25lookback_scan_determinismE0ES3_S7_N6hipcub16HIPCUB_304000_NS22TransformInputIteratorIbN2at6native8internal12_GLOBAL__N_110LoadBoolOpEPKhlEENS0_17constant_iteratorIjlEEPbPlSO_S6_NS0_8equal_toIbEEEE10hipError_tPvRmT2_T3_mT4_T5_T6_T7_T8_P12ihipStream_tbENKUlT_T0_E_clISt17integral_constantIbLb0EES18_EEDaS13_S14_EUlS13_E_NS1_11comp_targetILNS1_3genE9ELNS1_11target_archE1100ELNS1_3gpuE3ELNS1_3repE0EEENS1_30default_config_static_selectorELNS0_4arch9wavefront6targetE1EEEvT1_,comdat
.Lfunc_end65:
	.size	_ZN7rocprim17ROCPRIM_400000_NS6detail17trampoline_kernelINS0_14default_configENS1_33run_length_encode_config_selectorIbjNS0_4plusIjEEEEZZNS1_33reduce_by_key_impl_wrapped_configILNS1_25lookback_scan_determinismE0ES3_S7_N6hipcub16HIPCUB_304000_NS22TransformInputIteratorIbN2at6native8internal12_GLOBAL__N_110LoadBoolOpEPKhlEENS0_17constant_iteratorIjlEEPbPlSO_S6_NS0_8equal_toIbEEEE10hipError_tPvRmT2_T3_mT4_T5_T6_T7_T8_P12ihipStream_tbENKUlT_T0_E_clISt17integral_constantIbLb0EES18_EEDaS13_S14_EUlS13_E_NS1_11comp_targetILNS1_3genE9ELNS1_11target_archE1100ELNS1_3gpuE3ELNS1_3repE0EEENS1_30default_config_static_selectorELNS0_4arch9wavefront6targetE1EEEvT1_, .Lfunc_end65-_ZN7rocprim17ROCPRIM_400000_NS6detail17trampoline_kernelINS0_14default_configENS1_33run_length_encode_config_selectorIbjNS0_4plusIjEEEEZZNS1_33reduce_by_key_impl_wrapped_configILNS1_25lookback_scan_determinismE0ES3_S7_N6hipcub16HIPCUB_304000_NS22TransformInputIteratorIbN2at6native8internal12_GLOBAL__N_110LoadBoolOpEPKhlEENS0_17constant_iteratorIjlEEPbPlSO_S6_NS0_8equal_toIbEEEE10hipError_tPvRmT2_T3_mT4_T5_T6_T7_T8_P12ihipStream_tbENKUlT_T0_E_clISt17integral_constantIbLb0EES18_EEDaS13_S14_EUlS13_E_NS1_11comp_targetILNS1_3genE9ELNS1_11target_archE1100ELNS1_3gpuE3ELNS1_3repE0EEENS1_30default_config_static_selectorELNS0_4arch9wavefront6targetE1EEEvT1_
                                        ; -- End function
	.section	.AMDGPU.csdata,"",@progbits
; Kernel info:
; codeLenInByte = 0
; NumSgprs: 4
; NumVgprs: 0
; NumAgprs: 0
; TotalNumVgprs: 0
; ScratchSize: 0
; MemoryBound: 0
; FloatMode: 240
; IeeeMode: 1
; LDSByteSize: 0 bytes/workgroup (compile time only)
; SGPRBlocks: 0
; VGPRBlocks: 0
; NumSGPRsForWavesPerEU: 4
; NumVGPRsForWavesPerEU: 1
; AccumOffset: 4
; Occupancy: 8
; WaveLimiterHint : 0
; COMPUTE_PGM_RSRC2:SCRATCH_EN: 0
; COMPUTE_PGM_RSRC2:USER_SGPR: 6
; COMPUTE_PGM_RSRC2:TRAP_HANDLER: 0
; COMPUTE_PGM_RSRC2:TGID_X_EN: 1
; COMPUTE_PGM_RSRC2:TGID_Y_EN: 0
; COMPUTE_PGM_RSRC2:TGID_Z_EN: 0
; COMPUTE_PGM_RSRC2:TIDIG_COMP_CNT: 0
; COMPUTE_PGM_RSRC3_GFX90A:ACCUM_OFFSET: 0
; COMPUTE_PGM_RSRC3_GFX90A:TG_SPLIT: 0
	.section	.text._ZN7rocprim17ROCPRIM_400000_NS6detail17trampoline_kernelINS0_14default_configENS1_33run_length_encode_config_selectorIbjNS0_4plusIjEEEEZZNS1_33reduce_by_key_impl_wrapped_configILNS1_25lookback_scan_determinismE0ES3_S7_N6hipcub16HIPCUB_304000_NS22TransformInputIteratorIbN2at6native8internal12_GLOBAL__N_110LoadBoolOpEPKhlEENS0_17constant_iteratorIjlEEPbPlSO_S6_NS0_8equal_toIbEEEE10hipError_tPvRmT2_T3_mT4_T5_T6_T7_T8_P12ihipStream_tbENKUlT_T0_E_clISt17integral_constantIbLb0EES18_EEDaS13_S14_EUlS13_E_NS1_11comp_targetILNS1_3genE8ELNS1_11target_archE1030ELNS1_3gpuE2ELNS1_3repE0EEENS1_30default_config_static_selectorELNS0_4arch9wavefront6targetE1EEEvT1_,"axG",@progbits,_ZN7rocprim17ROCPRIM_400000_NS6detail17trampoline_kernelINS0_14default_configENS1_33run_length_encode_config_selectorIbjNS0_4plusIjEEEEZZNS1_33reduce_by_key_impl_wrapped_configILNS1_25lookback_scan_determinismE0ES3_S7_N6hipcub16HIPCUB_304000_NS22TransformInputIteratorIbN2at6native8internal12_GLOBAL__N_110LoadBoolOpEPKhlEENS0_17constant_iteratorIjlEEPbPlSO_S6_NS0_8equal_toIbEEEE10hipError_tPvRmT2_T3_mT4_T5_T6_T7_T8_P12ihipStream_tbENKUlT_T0_E_clISt17integral_constantIbLb0EES18_EEDaS13_S14_EUlS13_E_NS1_11comp_targetILNS1_3genE8ELNS1_11target_archE1030ELNS1_3gpuE2ELNS1_3repE0EEENS1_30default_config_static_selectorELNS0_4arch9wavefront6targetE1EEEvT1_,comdat
	.globl	_ZN7rocprim17ROCPRIM_400000_NS6detail17trampoline_kernelINS0_14default_configENS1_33run_length_encode_config_selectorIbjNS0_4plusIjEEEEZZNS1_33reduce_by_key_impl_wrapped_configILNS1_25lookback_scan_determinismE0ES3_S7_N6hipcub16HIPCUB_304000_NS22TransformInputIteratorIbN2at6native8internal12_GLOBAL__N_110LoadBoolOpEPKhlEENS0_17constant_iteratorIjlEEPbPlSO_S6_NS0_8equal_toIbEEEE10hipError_tPvRmT2_T3_mT4_T5_T6_T7_T8_P12ihipStream_tbENKUlT_T0_E_clISt17integral_constantIbLb0EES18_EEDaS13_S14_EUlS13_E_NS1_11comp_targetILNS1_3genE8ELNS1_11target_archE1030ELNS1_3gpuE2ELNS1_3repE0EEENS1_30default_config_static_selectorELNS0_4arch9wavefront6targetE1EEEvT1_ ; -- Begin function _ZN7rocprim17ROCPRIM_400000_NS6detail17trampoline_kernelINS0_14default_configENS1_33run_length_encode_config_selectorIbjNS0_4plusIjEEEEZZNS1_33reduce_by_key_impl_wrapped_configILNS1_25lookback_scan_determinismE0ES3_S7_N6hipcub16HIPCUB_304000_NS22TransformInputIteratorIbN2at6native8internal12_GLOBAL__N_110LoadBoolOpEPKhlEENS0_17constant_iteratorIjlEEPbPlSO_S6_NS0_8equal_toIbEEEE10hipError_tPvRmT2_T3_mT4_T5_T6_T7_T8_P12ihipStream_tbENKUlT_T0_E_clISt17integral_constantIbLb0EES18_EEDaS13_S14_EUlS13_E_NS1_11comp_targetILNS1_3genE8ELNS1_11target_archE1030ELNS1_3gpuE2ELNS1_3repE0EEENS1_30default_config_static_selectorELNS0_4arch9wavefront6targetE1EEEvT1_
	.p2align	8
	.type	_ZN7rocprim17ROCPRIM_400000_NS6detail17trampoline_kernelINS0_14default_configENS1_33run_length_encode_config_selectorIbjNS0_4plusIjEEEEZZNS1_33reduce_by_key_impl_wrapped_configILNS1_25lookback_scan_determinismE0ES3_S7_N6hipcub16HIPCUB_304000_NS22TransformInputIteratorIbN2at6native8internal12_GLOBAL__N_110LoadBoolOpEPKhlEENS0_17constant_iteratorIjlEEPbPlSO_S6_NS0_8equal_toIbEEEE10hipError_tPvRmT2_T3_mT4_T5_T6_T7_T8_P12ihipStream_tbENKUlT_T0_E_clISt17integral_constantIbLb0EES18_EEDaS13_S14_EUlS13_E_NS1_11comp_targetILNS1_3genE8ELNS1_11target_archE1030ELNS1_3gpuE2ELNS1_3repE0EEENS1_30default_config_static_selectorELNS0_4arch9wavefront6targetE1EEEvT1_,@function
_ZN7rocprim17ROCPRIM_400000_NS6detail17trampoline_kernelINS0_14default_configENS1_33run_length_encode_config_selectorIbjNS0_4plusIjEEEEZZNS1_33reduce_by_key_impl_wrapped_configILNS1_25lookback_scan_determinismE0ES3_S7_N6hipcub16HIPCUB_304000_NS22TransformInputIteratorIbN2at6native8internal12_GLOBAL__N_110LoadBoolOpEPKhlEENS0_17constant_iteratorIjlEEPbPlSO_S6_NS0_8equal_toIbEEEE10hipError_tPvRmT2_T3_mT4_T5_T6_T7_T8_P12ihipStream_tbENKUlT_T0_E_clISt17integral_constantIbLb0EES18_EEDaS13_S14_EUlS13_E_NS1_11comp_targetILNS1_3genE8ELNS1_11target_archE1030ELNS1_3gpuE2ELNS1_3repE0EEENS1_30default_config_static_selectorELNS0_4arch9wavefront6targetE1EEEvT1_: ; @_ZN7rocprim17ROCPRIM_400000_NS6detail17trampoline_kernelINS0_14default_configENS1_33run_length_encode_config_selectorIbjNS0_4plusIjEEEEZZNS1_33reduce_by_key_impl_wrapped_configILNS1_25lookback_scan_determinismE0ES3_S7_N6hipcub16HIPCUB_304000_NS22TransformInputIteratorIbN2at6native8internal12_GLOBAL__N_110LoadBoolOpEPKhlEENS0_17constant_iteratorIjlEEPbPlSO_S6_NS0_8equal_toIbEEEE10hipError_tPvRmT2_T3_mT4_T5_T6_T7_T8_P12ihipStream_tbENKUlT_T0_E_clISt17integral_constantIbLb0EES18_EEDaS13_S14_EUlS13_E_NS1_11comp_targetILNS1_3genE8ELNS1_11target_archE1030ELNS1_3gpuE2ELNS1_3repE0EEENS1_30default_config_static_selectorELNS0_4arch9wavefront6targetE1EEEvT1_
; %bb.0:
	.section	.rodata,"a",@progbits
	.p2align	6, 0x0
	.amdhsa_kernel _ZN7rocprim17ROCPRIM_400000_NS6detail17trampoline_kernelINS0_14default_configENS1_33run_length_encode_config_selectorIbjNS0_4plusIjEEEEZZNS1_33reduce_by_key_impl_wrapped_configILNS1_25lookback_scan_determinismE0ES3_S7_N6hipcub16HIPCUB_304000_NS22TransformInputIteratorIbN2at6native8internal12_GLOBAL__N_110LoadBoolOpEPKhlEENS0_17constant_iteratorIjlEEPbPlSO_S6_NS0_8equal_toIbEEEE10hipError_tPvRmT2_T3_mT4_T5_T6_T7_T8_P12ihipStream_tbENKUlT_T0_E_clISt17integral_constantIbLb0EES18_EEDaS13_S14_EUlS13_E_NS1_11comp_targetILNS1_3genE8ELNS1_11target_archE1030ELNS1_3gpuE2ELNS1_3repE0EEENS1_30default_config_static_selectorELNS0_4arch9wavefront6targetE1EEEvT1_
		.amdhsa_group_segment_fixed_size 0
		.amdhsa_private_segment_fixed_size 0
		.amdhsa_kernarg_size 136
		.amdhsa_user_sgpr_count 6
		.amdhsa_user_sgpr_private_segment_buffer 1
		.amdhsa_user_sgpr_dispatch_ptr 0
		.amdhsa_user_sgpr_queue_ptr 0
		.amdhsa_user_sgpr_kernarg_segment_ptr 1
		.amdhsa_user_sgpr_dispatch_id 0
		.amdhsa_user_sgpr_flat_scratch_init 0
		.amdhsa_user_sgpr_kernarg_preload_length 0
		.amdhsa_user_sgpr_kernarg_preload_offset 0
		.amdhsa_user_sgpr_private_segment_size 0
		.amdhsa_uses_dynamic_stack 0
		.amdhsa_system_sgpr_private_segment_wavefront_offset 0
		.amdhsa_system_sgpr_workgroup_id_x 1
		.amdhsa_system_sgpr_workgroup_id_y 0
		.amdhsa_system_sgpr_workgroup_id_z 0
		.amdhsa_system_sgpr_workgroup_info 0
		.amdhsa_system_vgpr_workitem_id 0
		.amdhsa_next_free_vgpr 1
		.amdhsa_next_free_sgpr 0
		.amdhsa_accum_offset 4
		.amdhsa_reserve_vcc 0
		.amdhsa_reserve_flat_scratch 0
		.amdhsa_float_round_mode_32 0
		.amdhsa_float_round_mode_16_64 0
		.amdhsa_float_denorm_mode_32 3
		.amdhsa_float_denorm_mode_16_64 3
		.amdhsa_dx10_clamp 1
		.amdhsa_ieee_mode 1
		.amdhsa_fp16_overflow 0
		.amdhsa_tg_split 0
		.amdhsa_exception_fp_ieee_invalid_op 0
		.amdhsa_exception_fp_denorm_src 0
		.amdhsa_exception_fp_ieee_div_zero 0
		.amdhsa_exception_fp_ieee_overflow 0
		.amdhsa_exception_fp_ieee_underflow 0
		.amdhsa_exception_fp_ieee_inexact 0
		.amdhsa_exception_int_div_zero 0
	.end_amdhsa_kernel
	.section	.text._ZN7rocprim17ROCPRIM_400000_NS6detail17trampoline_kernelINS0_14default_configENS1_33run_length_encode_config_selectorIbjNS0_4plusIjEEEEZZNS1_33reduce_by_key_impl_wrapped_configILNS1_25lookback_scan_determinismE0ES3_S7_N6hipcub16HIPCUB_304000_NS22TransformInputIteratorIbN2at6native8internal12_GLOBAL__N_110LoadBoolOpEPKhlEENS0_17constant_iteratorIjlEEPbPlSO_S6_NS0_8equal_toIbEEEE10hipError_tPvRmT2_T3_mT4_T5_T6_T7_T8_P12ihipStream_tbENKUlT_T0_E_clISt17integral_constantIbLb0EES18_EEDaS13_S14_EUlS13_E_NS1_11comp_targetILNS1_3genE8ELNS1_11target_archE1030ELNS1_3gpuE2ELNS1_3repE0EEENS1_30default_config_static_selectorELNS0_4arch9wavefront6targetE1EEEvT1_,"axG",@progbits,_ZN7rocprim17ROCPRIM_400000_NS6detail17trampoline_kernelINS0_14default_configENS1_33run_length_encode_config_selectorIbjNS0_4plusIjEEEEZZNS1_33reduce_by_key_impl_wrapped_configILNS1_25lookback_scan_determinismE0ES3_S7_N6hipcub16HIPCUB_304000_NS22TransformInputIteratorIbN2at6native8internal12_GLOBAL__N_110LoadBoolOpEPKhlEENS0_17constant_iteratorIjlEEPbPlSO_S6_NS0_8equal_toIbEEEE10hipError_tPvRmT2_T3_mT4_T5_T6_T7_T8_P12ihipStream_tbENKUlT_T0_E_clISt17integral_constantIbLb0EES18_EEDaS13_S14_EUlS13_E_NS1_11comp_targetILNS1_3genE8ELNS1_11target_archE1030ELNS1_3gpuE2ELNS1_3repE0EEENS1_30default_config_static_selectorELNS0_4arch9wavefront6targetE1EEEvT1_,comdat
.Lfunc_end66:
	.size	_ZN7rocprim17ROCPRIM_400000_NS6detail17trampoline_kernelINS0_14default_configENS1_33run_length_encode_config_selectorIbjNS0_4plusIjEEEEZZNS1_33reduce_by_key_impl_wrapped_configILNS1_25lookback_scan_determinismE0ES3_S7_N6hipcub16HIPCUB_304000_NS22TransformInputIteratorIbN2at6native8internal12_GLOBAL__N_110LoadBoolOpEPKhlEENS0_17constant_iteratorIjlEEPbPlSO_S6_NS0_8equal_toIbEEEE10hipError_tPvRmT2_T3_mT4_T5_T6_T7_T8_P12ihipStream_tbENKUlT_T0_E_clISt17integral_constantIbLb0EES18_EEDaS13_S14_EUlS13_E_NS1_11comp_targetILNS1_3genE8ELNS1_11target_archE1030ELNS1_3gpuE2ELNS1_3repE0EEENS1_30default_config_static_selectorELNS0_4arch9wavefront6targetE1EEEvT1_, .Lfunc_end66-_ZN7rocprim17ROCPRIM_400000_NS6detail17trampoline_kernelINS0_14default_configENS1_33run_length_encode_config_selectorIbjNS0_4plusIjEEEEZZNS1_33reduce_by_key_impl_wrapped_configILNS1_25lookback_scan_determinismE0ES3_S7_N6hipcub16HIPCUB_304000_NS22TransformInputIteratorIbN2at6native8internal12_GLOBAL__N_110LoadBoolOpEPKhlEENS0_17constant_iteratorIjlEEPbPlSO_S6_NS0_8equal_toIbEEEE10hipError_tPvRmT2_T3_mT4_T5_T6_T7_T8_P12ihipStream_tbENKUlT_T0_E_clISt17integral_constantIbLb0EES18_EEDaS13_S14_EUlS13_E_NS1_11comp_targetILNS1_3genE8ELNS1_11target_archE1030ELNS1_3gpuE2ELNS1_3repE0EEENS1_30default_config_static_selectorELNS0_4arch9wavefront6targetE1EEEvT1_
                                        ; -- End function
	.section	.AMDGPU.csdata,"",@progbits
; Kernel info:
; codeLenInByte = 0
; NumSgprs: 4
; NumVgprs: 0
; NumAgprs: 0
; TotalNumVgprs: 0
; ScratchSize: 0
; MemoryBound: 0
; FloatMode: 240
; IeeeMode: 1
; LDSByteSize: 0 bytes/workgroup (compile time only)
; SGPRBlocks: 0
; VGPRBlocks: 0
; NumSGPRsForWavesPerEU: 4
; NumVGPRsForWavesPerEU: 1
; AccumOffset: 4
; Occupancy: 8
; WaveLimiterHint : 0
; COMPUTE_PGM_RSRC2:SCRATCH_EN: 0
; COMPUTE_PGM_RSRC2:USER_SGPR: 6
; COMPUTE_PGM_RSRC2:TRAP_HANDLER: 0
; COMPUTE_PGM_RSRC2:TGID_X_EN: 1
; COMPUTE_PGM_RSRC2:TGID_Y_EN: 0
; COMPUTE_PGM_RSRC2:TGID_Z_EN: 0
; COMPUTE_PGM_RSRC2:TIDIG_COMP_CNT: 0
; COMPUTE_PGM_RSRC3_GFX90A:ACCUM_OFFSET: 0
; COMPUTE_PGM_RSRC3_GFX90A:TG_SPLIT: 0
	.section	.text._ZN7rocprim17ROCPRIM_400000_NS6detail25reduce_by_key_init_kernelINS1_19lookback_scan_stateINS0_5tupleIJjjEEELb1ELb1EEEjNS1_16block_id_wrapperIjLb1EEEEEvT_jbjPmPT0_T1_,"axG",@progbits,_ZN7rocprim17ROCPRIM_400000_NS6detail25reduce_by_key_init_kernelINS1_19lookback_scan_stateINS0_5tupleIJjjEEELb1ELb1EEEjNS1_16block_id_wrapperIjLb1EEEEEvT_jbjPmPT0_T1_,comdat
	.protected	_ZN7rocprim17ROCPRIM_400000_NS6detail25reduce_by_key_init_kernelINS1_19lookback_scan_stateINS0_5tupleIJjjEEELb1ELb1EEEjNS1_16block_id_wrapperIjLb1EEEEEvT_jbjPmPT0_T1_ ; -- Begin function _ZN7rocprim17ROCPRIM_400000_NS6detail25reduce_by_key_init_kernelINS1_19lookback_scan_stateINS0_5tupleIJjjEEELb1ELb1EEEjNS1_16block_id_wrapperIjLb1EEEEEvT_jbjPmPT0_T1_
	.globl	_ZN7rocprim17ROCPRIM_400000_NS6detail25reduce_by_key_init_kernelINS1_19lookback_scan_stateINS0_5tupleIJjjEEELb1ELb1EEEjNS1_16block_id_wrapperIjLb1EEEEEvT_jbjPmPT0_T1_
	.p2align	8
	.type	_ZN7rocprim17ROCPRIM_400000_NS6detail25reduce_by_key_init_kernelINS1_19lookback_scan_stateINS0_5tupleIJjjEEELb1ELb1EEEjNS1_16block_id_wrapperIjLb1EEEEEvT_jbjPmPT0_T1_,@function
_ZN7rocprim17ROCPRIM_400000_NS6detail25reduce_by_key_init_kernelINS1_19lookback_scan_stateINS0_5tupleIJjjEEELb1ELb1EEEjNS1_16block_id_wrapperIjLb1EEEEEvT_jbjPmPT0_T1_: ; @_ZN7rocprim17ROCPRIM_400000_NS6detail25reduce_by_key_init_kernelINS1_19lookback_scan_stateINS0_5tupleIJjjEEELb1ELb1EEEjNS1_16block_id_wrapperIjLb1EEEEEvT_jbjPmPT0_T1_
; %bb.0:
	s_load_dwordx8 s[8:15], s[4:5], 0x8
	s_load_dword s0, s[4:5], 0x3c
	s_load_dwordx2 s[16:17], s[4:5], 0x28
	s_load_dwordx2 s[2:3], s[4:5], 0x0
	s_waitcnt lgkmcnt(0)
	s_and_b32 s1, s9, 1
	s_and_b32 s0, s0, 0xffff
	s_mul_i32 s6, s6, s0
	s_cmp_eq_u32 s1, 0
	v_add_u32_e32 v0, s6, v0
	s_mov_b64 s[0:1], -1
	s_cbranch_scc1 .LBB67_6
; %bb.1:
	s_andn2_b64 vcc, exec, s[0:1]
	v_cmp_eq_u32_e64 s[0:1], 0, v0
	s_cbranch_vccz .LBB67_15
.LBB67_2:
	v_cmp_eq_u32_e32 vcc, 0, v0
	s_and_saveexec_b64 s[0:1], vcc
	s_cbranch_execnz .LBB67_18
.LBB67_3:
	s_or_b64 exec, exec, s[0:1]
	v_cmp_gt_u32_e32 vcc, s8, v0
	s_and_saveexec_b64 s[0:1], vcc
	s_cbranch_execnz .LBB67_19
.LBB67_4:
	s_or_b64 exec, exec, s[0:1]
	v_cmp_gt_u32_e32 vcc, 64, v0
	s_and_saveexec_b64 s[0:1], vcc
	s_cbranch_execnz .LBB67_20
.LBB67_5:
	s_endpgm
.LBB67_6:
	s_cmp_lt_u32 s10, s8
	s_cselect_b32 s0, s10, 0
	v_cmp_eq_u32_e32 vcc, s0, v0
	s_and_saveexec_b64 s[0:1], vcc
	s_cbranch_execz .LBB67_14
; %bb.7:
	s_add_i32 s4, s10, 64
	s_mov_b32 s5, 0
	s_lshl_b64 s[4:5], s[4:5], 4
	s_add_u32 s10, s2, s4
	s_addc_u32 s11, s3, s5
	v_pk_mov_b32 v[2:3], s[10:11], s[10:11] op_sel:[0,1]
	;;#ASMSTART
	global_load_dwordx4 v[2:5], v[2:3] off glc	
s_waitcnt vmcnt(0)
	;;#ASMEND
	v_mov_b32_e32 v7, 0
	v_and_b32_e32 v6, 0xff, v4
	s_mov_b64 s[6:7], 0
	v_cmp_eq_u64_e32 vcc, 0, v[6:7]
	s_and_saveexec_b64 s[4:5], vcc
	s_cbranch_execz .LBB67_13
; %bb.8:
	s_mov_b32 s9, 1
	v_pk_mov_b32 v[8:9], s[10:11], s[10:11] op_sel:[0,1]
.LBB67_9:                               ; =>This Loop Header: Depth=1
                                        ;     Child Loop BB67_10 Depth 2
	s_max_u32 s10, s9, 1
.LBB67_10:                              ;   Parent Loop BB67_9 Depth=1
                                        ; =>  This Inner Loop Header: Depth=2
	s_add_i32 s10, s10, -1
	s_cmp_eq_u32 s10, 0
	s_sleep 1
	s_cbranch_scc0 .LBB67_10
; %bb.11:                               ;   in Loop: Header=BB67_9 Depth=1
	s_cmp_lt_u32 s9, 32
	s_cselect_b64 s[10:11], -1, 0
	s_cmp_lg_u64 s[10:11], 0
	;;#ASMSTART
	global_load_dwordx4 v[2:5], v[8:9] off glc	
s_waitcnt vmcnt(0)
	;;#ASMEND
	v_and_b32_e32 v6, 0xff, v4
	s_addc_u32 s9, s9, 0
	v_cmp_ne_u64_e32 vcc, 0, v[6:7]
	s_or_b64 s[6:7], vcc, s[6:7]
	s_andn2_b64 exec, exec, s[6:7]
	s_cbranch_execnz .LBB67_9
; %bb.12:
	s_or_b64 exec, exec, s[6:7]
.LBB67_13:
	s_or_b64 exec, exec, s[4:5]
	v_mov_b32_e32 v1, 0
	global_load_dwordx2 v[4:5], v1, s[12:13]
	s_waitcnt vmcnt(0)
	v_add_co_u32_e32 v4, vcc, v4, v2
	v_addc_co_u32_e32 v5, vcc, 0, v5, vcc
	global_store_dwordx2 v1, v[4:5], s[12:13]
	global_store_dword v1, v3, s[14:15]
.LBB67_14:
	s_or_b64 exec, exec, s[0:1]
	v_cmp_eq_u32_e64 s[0:1], 0, v0
	s_cbranch_execnz .LBB67_2
.LBB67_15:
	s_cmp_lg_u64 s[12:13], 0
	s_cselect_b64 s[4:5], -1, 0
	s_and_b64 s[4:5], s[4:5], s[0:1]
	s_and_saveexec_b64 s[0:1], s[4:5]
	s_cbranch_execz .LBB67_17
; %bb.16:
	v_mov_b32_e32 v2, 0
	v_mov_b32_e32 v3, v2
	global_store_dwordx2 v2, v[2:3], s[12:13]
.LBB67_17:
	s_or_b64 exec, exec, s[0:1]
	v_cmp_eq_u32_e32 vcc, 0, v0
	s_and_saveexec_b64 s[0:1], vcc
	s_cbranch_execz .LBB67_3
.LBB67_18:
	v_mov_b32_e32 v1, 0
	global_store_dword v1, v1, s[16:17]
	s_or_b64 exec, exec, s[0:1]
	v_cmp_gt_u32_e32 vcc, s8, v0
	s_and_saveexec_b64 s[0:1], vcc
	s_cbranch_execz .LBB67_4
.LBB67_19:
	v_add_u32_e32 v2, 64, v0
	v_mov_b32_e32 v3, 0
	v_lshlrev_b64 v[4:5], 4, v[2:3]
	v_mov_b32_e32 v1, s3
	v_add_co_u32_e32 v6, vcc, s2, v4
	v_addc_co_u32_e32 v7, vcc, v1, v5, vcc
	v_mov_b32_e32 v2, v3
	v_mov_b32_e32 v4, v3
	;; [unrolled: 1-line block ×3, first 2 shown]
	global_store_dwordx4 v[6:7], v[2:5], off
	s_or_b64 exec, exec, s[0:1]
	v_cmp_gt_u32_e32 vcc, 64, v0
	s_and_saveexec_b64 s[0:1], vcc
	s_cbranch_execz .LBB67_5
.LBB67_20:
	v_mov_b32_e32 v1, 0
	v_lshlrev_b64 v[2:3], 4, v[0:1]
	v_mov_b32_e32 v0, s3
	v_add_co_u32_e32 v4, vcc, s2, v2
	v_addc_co_u32_e32 v5, vcc, v0, v3, vcc
	v_mov_b32_e32 v2, 0xff
	v_mov_b32_e32 v0, v1
	;; [unrolled: 1-line block ×3, first 2 shown]
	global_store_dwordx4 v[4:5], v[0:3], off
	s_endpgm
	.section	.rodata,"a",@progbits
	.p2align	6, 0x0
	.amdhsa_kernel _ZN7rocprim17ROCPRIM_400000_NS6detail25reduce_by_key_init_kernelINS1_19lookback_scan_stateINS0_5tupleIJjjEEELb1ELb1EEEjNS1_16block_id_wrapperIjLb1EEEEEvT_jbjPmPT0_T1_
		.amdhsa_group_segment_fixed_size 0
		.amdhsa_private_segment_fixed_size 0
		.amdhsa_kernarg_size 304
		.amdhsa_user_sgpr_count 6
		.amdhsa_user_sgpr_private_segment_buffer 1
		.amdhsa_user_sgpr_dispatch_ptr 0
		.amdhsa_user_sgpr_queue_ptr 0
		.amdhsa_user_sgpr_kernarg_segment_ptr 1
		.amdhsa_user_sgpr_dispatch_id 0
		.amdhsa_user_sgpr_flat_scratch_init 0
		.amdhsa_user_sgpr_kernarg_preload_length 0
		.amdhsa_user_sgpr_kernarg_preload_offset 0
		.amdhsa_user_sgpr_private_segment_size 0
		.amdhsa_uses_dynamic_stack 0
		.amdhsa_system_sgpr_private_segment_wavefront_offset 0
		.amdhsa_system_sgpr_workgroup_id_x 1
		.amdhsa_system_sgpr_workgroup_id_y 0
		.amdhsa_system_sgpr_workgroup_id_z 0
		.amdhsa_system_sgpr_workgroup_info 0
		.amdhsa_system_vgpr_workitem_id 0
		.amdhsa_next_free_vgpr 10
		.amdhsa_next_free_sgpr 18
		.amdhsa_accum_offset 12
		.amdhsa_reserve_vcc 1
		.amdhsa_reserve_flat_scratch 0
		.amdhsa_float_round_mode_32 0
		.amdhsa_float_round_mode_16_64 0
		.amdhsa_float_denorm_mode_32 3
		.amdhsa_float_denorm_mode_16_64 3
		.amdhsa_dx10_clamp 1
		.amdhsa_ieee_mode 1
		.amdhsa_fp16_overflow 0
		.amdhsa_tg_split 0
		.amdhsa_exception_fp_ieee_invalid_op 0
		.amdhsa_exception_fp_denorm_src 0
		.amdhsa_exception_fp_ieee_div_zero 0
		.amdhsa_exception_fp_ieee_overflow 0
		.amdhsa_exception_fp_ieee_underflow 0
		.amdhsa_exception_fp_ieee_inexact 0
		.amdhsa_exception_int_div_zero 0
	.end_amdhsa_kernel
	.section	.text._ZN7rocprim17ROCPRIM_400000_NS6detail25reduce_by_key_init_kernelINS1_19lookback_scan_stateINS0_5tupleIJjjEEELb1ELb1EEEjNS1_16block_id_wrapperIjLb1EEEEEvT_jbjPmPT0_T1_,"axG",@progbits,_ZN7rocprim17ROCPRIM_400000_NS6detail25reduce_by_key_init_kernelINS1_19lookback_scan_stateINS0_5tupleIJjjEEELb1ELb1EEEjNS1_16block_id_wrapperIjLb1EEEEEvT_jbjPmPT0_T1_,comdat
.Lfunc_end67:
	.size	_ZN7rocprim17ROCPRIM_400000_NS6detail25reduce_by_key_init_kernelINS1_19lookback_scan_stateINS0_5tupleIJjjEEELb1ELb1EEEjNS1_16block_id_wrapperIjLb1EEEEEvT_jbjPmPT0_T1_, .Lfunc_end67-_ZN7rocprim17ROCPRIM_400000_NS6detail25reduce_by_key_init_kernelINS1_19lookback_scan_stateINS0_5tupleIJjjEEELb1ELb1EEEjNS1_16block_id_wrapperIjLb1EEEEEvT_jbjPmPT0_T1_
                                        ; -- End function
	.section	.AMDGPU.csdata,"",@progbits
; Kernel info:
; codeLenInByte = 572
; NumSgprs: 22
; NumVgprs: 10
; NumAgprs: 0
; TotalNumVgprs: 10
; ScratchSize: 0
; MemoryBound: 0
; FloatMode: 240
; IeeeMode: 1
; LDSByteSize: 0 bytes/workgroup (compile time only)
; SGPRBlocks: 2
; VGPRBlocks: 1
; NumSGPRsForWavesPerEU: 22
; NumVGPRsForWavesPerEU: 10
; AccumOffset: 12
; Occupancy: 8
; WaveLimiterHint : 0
; COMPUTE_PGM_RSRC2:SCRATCH_EN: 0
; COMPUTE_PGM_RSRC2:USER_SGPR: 6
; COMPUTE_PGM_RSRC2:TRAP_HANDLER: 0
; COMPUTE_PGM_RSRC2:TGID_X_EN: 1
; COMPUTE_PGM_RSRC2:TGID_Y_EN: 0
; COMPUTE_PGM_RSRC2:TGID_Z_EN: 0
; COMPUTE_PGM_RSRC2:TIDIG_COMP_CNT: 0
; COMPUTE_PGM_RSRC3_GFX90A:ACCUM_OFFSET: 2
; COMPUTE_PGM_RSRC3_GFX90A:TG_SPLIT: 0
	.section	.text._ZN7rocprim17ROCPRIM_400000_NS6detail17trampoline_kernelINS0_14default_configENS1_33run_length_encode_config_selectorIbjNS0_4plusIjEEEEZZNS1_33reduce_by_key_impl_wrapped_configILNS1_25lookback_scan_determinismE0ES3_S7_N6hipcub16HIPCUB_304000_NS22TransformInputIteratorIbN2at6native8internal12_GLOBAL__N_110LoadBoolOpEPKhlEENS0_17constant_iteratorIjlEEPbPlSO_S6_NS0_8equal_toIbEEEE10hipError_tPvRmT2_T3_mT4_T5_T6_T7_T8_P12ihipStream_tbENKUlT_T0_E_clISt17integral_constantIbLb1EES18_EEDaS13_S14_EUlS13_E_NS1_11comp_targetILNS1_3genE0ELNS1_11target_archE4294967295ELNS1_3gpuE0ELNS1_3repE0EEENS1_30default_config_static_selectorELNS0_4arch9wavefront6targetE1EEEvT1_,"axG",@progbits,_ZN7rocprim17ROCPRIM_400000_NS6detail17trampoline_kernelINS0_14default_configENS1_33run_length_encode_config_selectorIbjNS0_4plusIjEEEEZZNS1_33reduce_by_key_impl_wrapped_configILNS1_25lookback_scan_determinismE0ES3_S7_N6hipcub16HIPCUB_304000_NS22TransformInputIteratorIbN2at6native8internal12_GLOBAL__N_110LoadBoolOpEPKhlEENS0_17constant_iteratorIjlEEPbPlSO_S6_NS0_8equal_toIbEEEE10hipError_tPvRmT2_T3_mT4_T5_T6_T7_T8_P12ihipStream_tbENKUlT_T0_E_clISt17integral_constantIbLb1EES18_EEDaS13_S14_EUlS13_E_NS1_11comp_targetILNS1_3genE0ELNS1_11target_archE4294967295ELNS1_3gpuE0ELNS1_3repE0EEENS1_30default_config_static_selectorELNS0_4arch9wavefront6targetE1EEEvT1_,comdat
	.globl	_ZN7rocprim17ROCPRIM_400000_NS6detail17trampoline_kernelINS0_14default_configENS1_33run_length_encode_config_selectorIbjNS0_4plusIjEEEEZZNS1_33reduce_by_key_impl_wrapped_configILNS1_25lookback_scan_determinismE0ES3_S7_N6hipcub16HIPCUB_304000_NS22TransformInputIteratorIbN2at6native8internal12_GLOBAL__N_110LoadBoolOpEPKhlEENS0_17constant_iteratorIjlEEPbPlSO_S6_NS0_8equal_toIbEEEE10hipError_tPvRmT2_T3_mT4_T5_T6_T7_T8_P12ihipStream_tbENKUlT_T0_E_clISt17integral_constantIbLb1EES18_EEDaS13_S14_EUlS13_E_NS1_11comp_targetILNS1_3genE0ELNS1_11target_archE4294967295ELNS1_3gpuE0ELNS1_3repE0EEENS1_30default_config_static_selectorELNS0_4arch9wavefront6targetE1EEEvT1_ ; -- Begin function _ZN7rocprim17ROCPRIM_400000_NS6detail17trampoline_kernelINS0_14default_configENS1_33run_length_encode_config_selectorIbjNS0_4plusIjEEEEZZNS1_33reduce_by_key_impl_wrapped_configILNS1_25lookback_scan_determinismE0ES3_S7_N6hipcub16HIPCUB_304000_NS22TransformInputIteratorIbN2at6native8internal12_GLOBAL__N_110LoadBoolOpEPKhlEENS0_17constant_iteratorIjlEEPbPlSO_S6_NS0_8equal_toIbEEEE10hipError_tPvRmT2_T3_mT4_T5_T6_T7_T8_P12ihipStream_tbENKUlT_T0_E_clISt17integral_constantIbLb1EES18_EEDaS13_S14_EUlS13_E_NS1_11comp_targetILNS1_3genE0ELNS1_11target_archE4294967295ELNS1_3gpuE0ELNS1_3repE0EEENS1_30default_config_static_selectorELNS0_4arch9wavefront6targetE1EEEvT1_
	.p2align	8
	.type	_ZN7rocprim17ROCPRIM_400000_NS6detail17trampoline_kernelINS0_14default_configENS1_33run_length_encode_config_selectorIbjNS0_4plusIjEEEEZZNS1_33reduce_by_key_impl_wrapped_configILNS1_25lookback_scan_determinismE0ES3_S7_N6hipcub16HIPCUB_304000_NS22TransformInputIteratorIbN2at6native8internal12_GLOBAL__N_110LoadBoolOpEPKhlEENS0_17constant_iteratorIjlEEPbPlSO_S6_NS0_8equal_toIbEEEE10hipError_tPvRmT2_T3_mT4_T5_T6_T7_T8_P12ihipStream_tbENKUlT_T0_E_clISt17integral_constantIbLb1EES18_EEDaS13_S14_EUlS13_E_NS1_11comp_targetILNS1_3genE0ELNS1_11target_archE4294967295ELNS1_3gpuE0ELNS1_3repE0EEENS1_30default_config_static_selectorELNS0_4arch9wavefront6targetE1EEEvT1_,@function
_ZN7rocprim17ROCPRIM_400000_NS6detail17trampoline_kernelINS0_14default_configENS1_33run_length_encode_config_selectorIbjNS0_4plusIjEEEEZZNS1_33reduce_by_key_impl_wrapped_configILNS1_25lookback_scan_determinismE0ES3_S7_N6hipcub16HIPCUB_304000_NS22TransformInputIteratorIbN2at6native8internal12_GLOBAL__N_110LoadBoolOpEPKhlEENS0_17constant_iteratorIjlEEPbPlSO_S6_NS0_8equal_toIbEEEE10hipError_tPvRmT2_T3_mT4_T5_T6_T7_T8_P12ihipStream_tbENKUlT_T0_E_clISt17integral_constantIbLb1EES18_EEDaS13_S14_EUlS13_E_NS1_11comp_targetILNS1_3genE0ELNS1_11target_archE4294967295ELNS1_3gpuE0ELNS1_3repE0EEENS1_30default_config_static_selectorELNS0_4arch9wavefront6targetE1EEEvT1_: ; @_ZN7rocprim17ROCPRIM_400000_NS6detail17trampoline_kernelINS0_14default_configENS1_33run_length_encode_config_selectorIbjNS0_4plusIjEEEEZZNS1_33reduce_by_key_impl_wrapped_configILNS1_25lookback_scan_determinismE0ES3_S7_N6hipcub16HIPCUB_304000_NS22TransformInputIteratorIbN2at6native8internal12_GLOBAL__N_110LoadBoolOpEPKhlEENS0_17constant_iteratorIjlEEPbPlSO_S6_NS0_8equal_toIbEEEE10hipError_tPvRmT2_T3_mT4_T5_T6_T7_T8_P12ihipStream_tbENKUlT_T0_E_clISt17integral_constantIbLb1EES18_EEDaS13_S14_EUlS13_E_NS1_11comp_targetILNS1_3genE0ELNS1_11target_archE4294967295ELNS1_3gpuE0ELNS1_3repE0EEENS1_30default_config_static_selectorELNS0_4arch9wavefront6targetE1EEEvT1_
; %bb.0:
	.section	.rodata,"a",@progbits
	.p2align	6, 0x0
	.amdhsa_kernel _ZN7rocprim17ROCPRIM_400000_NS6detail17trampoline_kernelINS0_14default_configENS1_33run_length_encode_config_selectorIbjNS0_4plusIjEEEEZZNS1_33reduce_by_key_impl_wrapped_configILNS1_25lookback_scan_determinismE0ES3_S7_N6hipcub16HIPCUB_304000_NS22TransformInputIteratorIbN2at6native8internal12_GLOBAL__N_110LoadBoolOpEPKhlEENS0_17constant_iteratorIjlEEPbPlSO_S6_NS0_8equal_toIbEEEE10hipError_tPvRmT2_T3_mT4_T5_T6_T7_T8_P12ihipStream_tbENKUlT_T0_E_clISt17integral_constantIbLb1EES18_EEDaS13_S14_EUlS13_E_NS1_11comp_targetILNS1_3genE0ELNS1_11target_archE4294967295ELNS1_3gpuE0ELNS1_3repE0EEENS1_30default_config_static_selectorELNS0_4arch9wavefront6targetE1EEEvT1_
		.amdhsa_group_segment_fixed_size 0
		.amdhsa_private_segment_fixed_size 0
		.amdhsa_kernarg_size 136
		.amdhsa_user_sgpr_count 6
		.amdhsa_user_sgpr_private_segment_buffer 1
		.amdhsa_user_sgpr_dispatch_ptr 0
		.amdhsa_user_sgpr_queue_ptr 0
		.amdhsa_user_sgpr_kernarg_segment_ptr 1
		.amdhsa_user_sgpr_dispatch_id 0
		.amdhsa_user_sgpr_flat_scratch_init 0
		.amdhsa_user_sgpr_kernarg_preload_length 0
		.amdhsa_user_sgpr_kernarg_preload_offset 0
		.amdhsa_user_sgpr_private_segment_size 0
		.amdhsa_uses_dynamic_stack 0
		.amdhsa_system_sgpr_private_segment_wavefront_offset 0
		.amdhsa_system_sgpr_workgroup_id_x 1
		.amdhsa_system_sgpr_workgroup_id_y 0
		.amdhsa_system_sgpr_workgroup_id_z 0
		.amdhsa_system_sgpr_workgroup_info 0
		.amdhsa_system_vgpr_workitem_id 0
		.amdhsa_next_free_vgpr 1
		.amdhsa_next_free_sgpr 0
		.amdhsa_accum_offset 4
		.amdhsa_reserve_vcc 0
		.amdhsa_reserve_flat_scratch 0
		.amdhsa_float_round_mode_32 0
		.amdhsa_float_round_mode_16_64 0
		.amdhsa_float_denorm_mode_32 3
		.amdhsa_float_denorm_mode_16_64 3
		.amdhsa_dx10_clamp 1
		.amdhsa_ieee_mode 1
		.amdhsa_fp16_overflow 0
		.amdhsa_tg_split 0
		.amdhsa_exception_fp_ieee_invalid_op 0
		.amdhsa_exception_fp_denorm_src 0
		.amdhsa_exception_fp_ieee_div_zero 0
		.amdhsa_exception_fp_ieee_overflow 0
		.amdhsa_exception_fp_ieee_underflow 0
		.amdhsa_exception_fp_ieee_inexact 0
		.amdhsa_exception_int_div_zero 0
	.end_amdhsa_kernel
	.section	.text._ZN7rocprim17ROCPRIM_400000_NS6detail17trampoline_kernelINS0_14default_configENS1_33run_length_encode_config_selectorIbjNS0_4plusIjEEEEZZNS1_33reduce_by_key_impl_wrapped_configILNS1_25lookback_scan_determinismE0ES3_S7_N6hipcub16HIPCUB_304000_NS22TransformInputIteratorIbN2at6native8internal12_GLOBAL__N_110LoadBoolOpEPKhlEENS0_17constant_iteratorIjlEEPbPlSO_S6_NS0_8equal_toIbEEEE10hipError_tPvRmT2_T3_mT4_T5_T6_T7_T8_P12ihipStream_tbENKUlT_T0_E_clISt17integral_constantIbLb1EES18_EEDaS13_S14_EUlS13_E_NS1_11comp_targetILNS1_3genE0ELNS1_11target_archE4294967295ELNS1_3gpuE0ELNS1_3repE0EEENS1_30default_config_static_selectorELNS0_4arch9wavefront6targetE1EEEvT1_,"axG",@progbits,_ZN7rocprim17ROCPRIM_400000_NS6detail17trampoline_kernelINS0_14default_configENS1_33run_length_encode_config_selectorIbjNS0_4plusIjEEEEZZNS1_33reduce_by_key_impl_wrapped_configILNS1_25lookback_scan_determinismE0ES3_S7_N6hipcub16HIPCUB_304000_NS22TransformInputIteratorIbN2at6native8internal12_GLOBAL__N_110LoadBoolOpEPKhlEENS0_17constant_iteratorIjlEEPbPlSO_S6_NS0_8equal_toIbEEEE10hipError_tPvRmT2_T3_mT4_T5_T6_T7_T8_P12ihipStream_tbENKUlT_T0_E_clISt17integral_constantIbLb1EES18_EEDaS13_S14_EUlS13_E_NS1_11comp_targetILNS1_3genE0ELNS1_11target_archE4294967295ELNS1_3gpuE0ELNS1_3repE0EEENS1_30default_config_static_selectorELNS0_4arch9wavefront6targetE1EEEvT1_,comdat
.Lfunc_end68:
	.size	_ZN7rocprim17ROCPRIM_400000_NS6detail17trampoline_kernelINS0_14default_configENS1_33run_length_encode_config_selectorIbjNS0_4plusIjEEEEZZNS1_33reduce_by_key_impl_wrapped_configILNS1_25lookback_scan_determinismE0ES3_S7_N6hipcub16HIPCUB_304000_NS22TransformInputIteratorIbN2at6native8internal12_GLOBAL__N_110LoadBoolOpEPKhlEENS0_17constant_iteratorIjlEEPbPlSO_S6_NS0_8equal_toIbEEEE10hipError_tPvRmT2_T3_mT4_T5_T6_T7_T8_P12ihipStream_tbENKUlT_T0_E_clISt17integral_constantIbLb1EES18_EEDaS13_S14_EUlS13_E_NS1_11comp_targetILNS1_3genE0ELNS1_11target_archE4294967295ELNS1_3gpuE0ELNS1_3repE0EEENS1_30default_config_static_selectorELNS0_4arch9wavefront6targetE1EEEvT1_, .Lfunc_end68-_ZN7rocprim17ROCPRIM_400000_NS6detail17trampoline_kernelINS0_14default_configENS1_33run_length_encode_config_selectorIbjNS0_4plusIjEEEEZZNS1_33reduce_by_key_impl_wrapped_configILNS1_25lookback_scan_determinismE0ES3_S7_N6hipcub16HIPCUB_304000_NS22TransformInputIteratorIbN2at6native8internal12_GLOBAL__N_110LoadBoolOpEPKhlEENS0_17constant_iteratorIjlEEPbPlSO_S6_NS0_8equal_toIbEEEE10hipError_tPvRmT2_T3_mT4_T5_T6_T7_T8_P12ihipStream_tbENKUlT_T0_E_clISt17integral_constantIbLb1EES18_EEDaS13_S14_EUlS13_E_NS1_11comp_targetILNS1_3genE0ELNS1_11target_archE4294967295ELNS1_3gpuE0ELNS1_3repE0EEENS1_30default_config_static_selectorELNS0_4arch9wavefront6targetE1EEEvT1_
                                        ; -- End function
	.section	.AMDGPU.csdata,"",@progbits
; Kernel info:
; codeLenInByte = 0
; NumSgprs: 4
; NumVgprs: 0
; NumAgprs: 0
; TotalNumVgprs: 0
; ScratchSize: 0
; MemoryBound: 0
; FloatMode: 240
; IeeeMode: 1
; LDSByteSize: 0 bytes/workgroup (compile time only)
; SGPRBlocks: 0
; VGPRBlocks: 0
; NumSGPRsForWavesPerEU: 4
; NumVGPRsForWavesPerEU: 1
; AccumOffset: 4
; Occupancy: 8
; WaveLimiterHint : 0
; COMPUTE_PGM_RSRC2:SCRATCH_EN: 0
; COMPUTE_PGM_RSRC2:USER_SGPR: 6
; COMPUTE_PGM_RSRC2:TRAP_HANDLER: 0
; COMPUTE_PGM_RSRC2:TGID_X_EN: 1
; COMPUTE_PGM_RSRC2:TGID_Y_EN: 0
; COMPUTE_PGM_RSRC2:TGID_Z_EN: 0
; COMPUTE_PGM_RSRC2:TIDIG_COMP_CNT: 0
; COMPUTE_PGM_RSRC3_GFX90A:ACCUM_OFFSET: 0
; COMPUTE_PGM_RSRC3_GFX90A:TG_SPLIT: 0
	.section	.text._ZN7rocprim17ROCPRIM_400000_NS6detail17trampoline_kernelINS0_14default_configENS1_33run_length_encode_config_selectorIbjNS0_4plusIjEEEEZZNS1_33reduce_by_key_impl_wrapped_configILNS1_25lookback_scan_determinismE0ES3_S7_N6hipcub16HIPCUB_304000_NS22TransformInputIteratorIbN2at6native8internal12_GLOBAL__N_110LoadBoolOpEPKhlEENS0_17constant_iteratorIjlEEPbPlSO_S6_NS0_8equal_toIbEEEE10hipError_tPvRmT2_T3_mT4_T5_T6_T7_T8_P12ihipStream_tbENKUlT_T0_E_clISt17integral_constantIbLb1EES18_EEDaS13_S14_EUlS13_E_NS1_11comp_targetILNS1_3genE5ELNS1_11target_archE942ELNS1_3gpuE9ELNS1_3repE0EEENS1_30default_config_static_selectorELNS0_4arch9wavefront6targetE1EEEvT1_,"axG",@progbits,_ZN7rocprim17ROCPRIM_400000_NS6detail17trampoline_kernelINS0_14default_configENS1_33run_length_encode_config_selectorIbjNS0_4plusIjEEEEZZNS1_33reduce_by_key_impl_wrapped_configILNS1_25lookback_scan_determinismE0ES3_S7_N6hipcub16HIPCUB_304000_NS22TransformInputIteratorIbN2at6native8internal12_GLOBAL__N_110LoadBoolOpEPKhlEENS0_17constant_iteratorIjlEEPbPlSO_S6_NS0_8equal_toIbEEEE10hipError_tPvRmT2_T3_mT4_T5_T6_T7_T8_P12ihipStream_tbENKUlT_T0_E_clISt17integral_constantIbLb1EES18_EEDaS13_S14_EUlS13_E_NS1_11comp_targetILNS1_3genE5ELNS1_11target_archE942ELNS1_3gpuE9ELNS1_3repE0EEENS1_30default_config_static_selectorELNS0_4arch9wavefront6targetE1EEEvT1_,comdat
	.globl	_ZN7rocprim17ROCPRIM_400000_NS6detail17trampoline_kernelINS0_14default_configENS1_33run_length_encode_config_selectorIbjNS0_4plusIjEEEEZZNS1_33reduce_by_key_impl_wrapped_configILNS1_25lookback_scan_determinismE0ES3_S7_N6hipcub16HIPCUB_304000_NS22TransformInputIteratorIbN2at6native8internal12_GLOBAL__N_110LoadBoolOpEPKhlEENS0_17constant_iteratorIjlEEPbPlSO_S6_NS0_8equal_toIbEEEE10hipError_tPvRmT2_T3_mT4_T5_T6_T7_T8_P12ihipStream_tbENKUlT_T0_E_clISt17integral_constantIbLb1EES18_EEDaS13_S14_EUlS13_E_NS1_11comp_targetILNS1_3genE5ELNS1_11target_archE942ELNS1_3gpuE9ELNS1_3repE0EEENS1_30default_config_static_selectorELNS0_4arch9wavefront6targetE1EEEvT1_ ; -- Begin function _ZN7rocprim17ROCPRIM_400000_NS6detail17trampoline_kernelINS0_14default_configENS1_33run_length_encode_config_selectorIbjNS0_4plusIjEEEEZZNS1_33reduce_by_key_impl_wrapped_configILNS1_25lookback_scan_determinismE0ES3_S7_N6hipcub16HIPCUB_304000_NS22TransformInputIteratorIbN2at6native8internal12_GLOBAL__N_110LoadBoolOpEPKhlEENS0_17constant_iteratorIjlEEPbPlSO_S6_NS0_8equal_toIbEEEE10hipError_tPvRmT2_T3_mT4_T5_T6_T7_T8_P12ihipStream_tbENKUlT_T0_E_clISt17integral_constantIbLb1EES18_EEDaS13_S14_EUlS13_E_NS1_11comp_targetILNS1_3genE5ELNS1_11target_archE942ELNS1_3gpuE9ELNS1_3repE0EEENS1_30default_config_static_selectorELNS0_4arch9wavefront6targetE1EEEvT1_
	.p2align	8
	.type	_ZN7rocprim17ROCPRIM_400000_NS6detail17trampoline_kernelINS0_14default_configENS1_33run_length_encode_config_selectorIbjNS0_4plusIjEEEEZZNS1_33reduce_by_key_impl_wrapped_configILNS1_25lookback_scan_determinismE0ES3_S7_N6hipcub16HIPCUB_304000_NS22TransformInputIteratorIbN2at6native8internal12_GLOBAL__N_110LoadBoolOpEPKhlEENS0_17constant_iteratorIjlEEPbPlSO_S6_NS0_8equal_toIbEEEE10hipError_tPvRmT2_T3_mT4_T5_T6_T7_T8_P12ihipStream_tbENKUlT_T0_E_clISt17integral_constantIbLb1EES18_EEDaS13_S14_EUlS13_E_NS1_11comp_targetILNS1_3genE5ELNS1_11target_archE942ELNS1_3gpuE9ELNS1_3repE0EEENS1_30default_config_static_selectorELNS0_4arch9wavefront6targetE1EEEvT1_,@function
_ZN7rocprim17ROCPRIM_400000_NS6detail17trampoline_kernelINS0_14default_configENS1_33run_length_encode_config_selectorIbjNS0_4plusIjEEEEZZNS1_33reduce_by_key_impl_wrapped_configILNS1_25lookback_scan_determinismE0ES3_S7_N6hipcub16HIPCUB_304000_NS22TransformInputIteratorIbN2at6native8internal12_GLOBAL__N_110LoadBoolOpEPKhlEENS0_17constant_iteratorIjlEEPbPlSO_S6_NS0_8equal_toIbEEEE10hipError_tPvRmT2_T3_mT4_T5_T6_T7_T8_P12ihipStream_tbENKUlT_T0_E_clISt17integral_constantIbLb1EES18_EEDaS13_S14_EUlS13_E_NS1_11comp_targetILNS1_3genE5ELNS1_11target_archE942ELNS1_3gpuE9ELNS1_3repE0EEENS1_30default_config_static_selectorELNS0_4arch9wavefront6targetE1EEEvT1_: ; @_ZN7rocprim17ROCPRIM_400000_NS6detail17trampoline_kernelINS0_14default_configENS1_33run_length_encode_config_selectorIbjNS0_4plusIjEEEEZZNS1_33reduce_by_key_impl_wrapped_configILNS1_25lookback_scan_determinismE0ES3_S7_N6hipcub16HIPCUB_304000_NS22TransformInputIteratorIbN2at6native8internal12_GLOBAL__N_110LoadBoolOpEPKhlEENS0_17constant_iteratorIjlEEPbPlSO_S6_NS0_8equal_toIbEEEE10hipError_tPvRmT2_T3_mT4_T5_T6_T7_T8_P12ihipStream_tbENKUlT_T0_E_clISt17integral_constantIbLb1EES18_EEDaS13_S14_EUlS13_E_NS1_11comp_targetILNS1_3genE5ELNS1_11target_archE942ELNS1_3gpuE9ELNS1_3repE0EEENS1_30default_config_static_selectorELNS0_4arch9wavefront6targetE1EEEvT1_
; %bb.0:
	.section	.rodata,"a",@progbits
	.p2align	6, 0x0
	.amdhsa_kernel _ZN7rocprim17ROCPRIM_400000_NS6detail17trampoline_kernelINS0_14default_configENS1_33run_length_encode_config_selectorIbjNS0_4plusIjEEEEZZNS1_33reduce_by_key_impl_wrapped_configILNS1_25lookback_scan_determinismE0ES3_S7_N6hipcub16HIPCUB_304000_NS22TransformInputIteratorIbN2at6native8internal12_GLOBAL__N_110LoadBoolOpEPKhlEENS0_17constant_iteratorIjlEEPbPlSO_S6_NS0_8equal_toIbEEEE10hipError_tPvRmT2_T3_mT4_T5_T6_T7_T8_P12ihipStream_tbENKUlT_T0_E_clISt17integral_constantIbLb1EES18_EEDaS13_S14_EUlS13_E_NS1_11comp_targetILNS1_3genE5ELNS1_11target_archE942ELNS1_3gpuE9ELNS1_3repE0EEENS1_30default_config_static_selectorELNS0_4arch9wavefront6targetE1EEEvT1_
		.amdhsa_group_segment_fixed_size 0
		.amdhsa_private_segment_fixed_size 0
		.amdhsa_kernarg_size 136
		.amdhsa_user_sgpr_count 6
		.amdhsa_user_sgpr_private_segment_buffer 1
		.amdhsa_user_sgpr_dispatch_ptr 0
		.amdhsa_user_sgpr_queue_ptr 0
		.amdhsa_user_sgpr_kernarg_segment_ptr 1
		.amdhsa_user_sgpr_dispatch_id 0
		.amdhsa_user_sgpr_flat_scratch_init 0
		.amdhsa_user_sgpr_kernarg_preload_length 0
		.amdhsa_user_sgpr_kernarg_preload_offset 0
		.amdhsa_user_sgpr_private_segment_size 0
		.amdhsa_uses_dynamic_stack 0
		.amdhsa_system_sgpr_private_segment_wavefront_offset 0
		.amdhsa_system_sgpr_workgroup_id_x 1
		.amdhsa_system_sgpr_workgroup_id_y 0
		.amdhsa_system_sgpr_workgroup_id_z 0
		.amdhsa_system_sgpr_workgroup_info 0
		.amdhsa_system_vgpr_workitem_id 0
		.amdhsa_next_free_vgpr 1
		.amdhsa_next_free_sgpr 0
		.amdhsa_accum_offset 4
		.amdhsa_reserve_vcc 0
		.amdhsa_reserve_flat_scratch 0
		.amdhsa_float_round_mode_32 0
		.amdhsa_float_round_mode_16_64 0
		.amdhsa_float_denorm_mode_32 3
		.amdhsa_float_denorm_mode_16_64 3
		.amdhsa_dx10_clamp 1
		.amdhsa_ieee_mode 1
		.amdhsa_fp16_overflow 0
		.amdhsa_tg_split 0
		.amdhsa_exception_fp_ieee_invalid_op 0
		.amdhsa_exception_fp_denorm_src 0
		.amdhsa_exception_fp_ieee_div_zero 0
		.amdhsa_exception_fp_ieee_overflow 0
		.amdhsa_exception_fp_ieee_underflow 0
		.amdhsa_exception_fp_ieee_inexact 0
		.amdhsa_exception_int_div_zero 0
	.end_amdhsa_kernel
	.section	.text._ZN7rocprim17ROCPRIM_400000_NS6detail17trampoline_kernelINS0_14default_configENS1_33run_length_encode_config_selectorIbjNS0_4plusIjEEEEZZNS1_33reduce_by_key_impl_wrapped_configILNS1_25lookback_scan_determinismE0ES3_S7_N6hipcub16HIPCUB_304000_NS22TransformInputIteratorIbN2at6native8internal12_GLOBAL__N_110LoadBoolOpEPKhlEENS0_17constant_iteratorIjlEEPbPlSO_S6_NS0_8equal_toIbEEEE10hipError_tPvRmT2_T3_mT4_T5_T6_T7_T8_P12ihipStream_tbENKUlT_T0_E_clISt17integral_constantIbLb1EES18_EEDaS13_S14_EUlS13_E_NS1_11comp_targetILNS1_3genE5ELNS1_11target_archE942ELNS1_3gpuE9ELNS1_3repE0EEENS1_30default_config_static_selectorELNS0_4arch9wavefront6targetE1EEEvT1_,"axG",@progbits,_ZN7rocprim17ROCPRIM_400000_NS6detail17trampoline_kernelINS0_14default_configENS1_33run_length_encode_config_selectorIbjNS0_4plusIjEEEEZZNS1_33reduce_by_key_impl_wrapped_configILNS1_25lookback_scan_determinismE0ES3_S7_N6hipcub16HIPCUB_304000_NS22TransformInputIteratorIbN2at6native8internal12_GLOBAL__N_110LoadBoolOpEPKhlEENS0_17constant_iteratorIjlEEPbPlSO_S6_NS0_8equal_toIbEEEE10hipError_tPvRmT2_T3_mT4_T5_T6_T7_T8_P12ihipStream_tbENKUlT_T0_E_clISt17integral_constantIbLb1EES18_EEDaS13_S14_EUlS13_E_NS1_11comp_targetILNS1_3genE5ELNS1_11target_archE942ELNS1_3gpuE9ELNS1_3repE0EEENS1_30default_config_static_selectorELNS0_4arch9wavefront6targetE1EEEvT1_,comdat
.Lfunc_end69:
	.size	_ZN7rocprim17ROCPRIM_400000_NS6detail17trampoline_kernelINS0_14default_configENS1_33run_length_encode_config_selectorIbjNS0_4plusIjEEEEZZNS1_33reduce_by_key_impl_wrapped_configILNS1_25lookback_scan_determinismE0ES3_S7_N6hipcub16HIPCUB_304000_NS22TransformInputIteratorIbN2at6native8internal12_GLOBAL__N_110LoadBoolOpEPKhlEENS0_17constant_iteratorIjlEEPbPlSO_S6_NS0_8equal_toIbEEEE10hipError_tPvRmT2_T3_mT4_T5_T6_T7_T8_P12ihipStream_tbENKUlT_T0_E_clISt17integral_constantIbLb1EES18_EEDaS13_S14_EUlS13_E_NS1_11comp_targetILNS1_3genE5ELNS1_11target_archE942ELNS1_3gpuE9ELNS1_3repE0EEENS1_30default_config_static_selectorELNS0_4arch9wavefront6targetE1EEEvT1_, .Lfunc_end69-_ZN7rocprim17ROCPRIM_400000_NS6detail17trampoline_kernelINS0_14default_configENS1_33run_length_encode_config_selectorIbjNS0_4plusIjEEEEZZNS1_33reduce_by_key_impl_wrapped_configILNS1_25lookback_scan_determinismE0ES3_S7_N6hipcub16HIPCUB_304000_NS22TransformInputIteratorIbN2at6native8internal12_GLOBAL__N_110LoadBoolOpEPKhlEENS0_17constant_iteratorIjlEEPbPlSO_S6_NS0_8equal_toIbEEEE10hipError_tPvRmT2_T3_mT4_T5_T6_T7_T8_P12ihipStream_tbENKUlT_T0_E_clISt17integral_constantIbLb1EES18_EEDaS13_S14_EUlS13_E_NS1_11comp_targetILNS1_3genE5ELNS1_11target_archE942ELNS1_3gpuE9ELNS1_3repE0EEENS1_30default_config_static_selectorELNS0_4arch9wavefront6targetE1EEEvT1_
                                        ; -- End function
	.section	.AMDGPU.csdata,"",@progbits
; Kernel info:
; codeLenInByte = 0
; NumSgprs: 4
; NumVgprs: 0
; NumAgprs: 0
; TotalNumVgprs: 0
; ScratchSize: 0
; MemoryBound: 0
; FloatMode: 240
; IeeeMode: 1
; LDSByteSize: 0 bytes/workgroup (compile time only)
; SGPRBlocks: 0
; VGPRBlocks: 0
; NumSGPRsForWavesPerEU: 4
; NumVGPRsForWavesPerEU: 1
; AccumOffset: 4
; Occupancy: 8
; WaveLimiterHint : 0
; COMPUTE_PGM_RSRC2:SCRATCH_EN: 0
; COMPUTE_PGM_RSRC2:USER_SGPR: 6
; COMPUTE_PGM_RSRC2:TRAP_HANDLER: 0
; COMPUTE_PGM_RSRC2:TGID_X_EN: 1
; COMPUTE_PGM_RSRC2:TGID_Y_EN: 0
; COMPUTE_PGM_RSRC2:TGID_Z_EN: 0
; COMPUTE_PGM_RSRC2:TIDIG_COMP_CNT: 0
; COMPUTE_PGM_RSRC3_GFX90A:ACCUM_OFFSET: 0
; COMPUTE_PGM_RSRC3_GFX90A:TG_SPLIT: 0
	.section	.text._ZN7rocprim17ROCPRIM_400000_NS6detail17trampoline_kernelINS0_14default_configENS1_33run_length_encode_config_selectorIbjNS0_4plusIjEEEEZZNS1_33reduce_by_key_impl_wrapped_configILNS1_25lookback_scan_determinismE0ES3_S7_N6hipcub16HIPCUB_304000_NS22TransformInputIteratorIbN2at6native8internal12_GLOBAL__N_110LoadBoolOpEPKhlEENS0_17constant_iteratorIjlEEPbPlSO_S6_NS0_8equal_toIbEEEE10hipError_tPvRmT2_T3_mT4_T5_T6_T7_T8_P12ihipStream_tbENKUlT_T0_E_clISt17integral_constantIbLb1EES18_EEDaS13_S14_EUlS13_E_NS1_11comp_targetILNS1_3genE4ELNS1_11target_archE910ELNS1_3gpuE8ELNS1_3repE0EEENS1_30default_config_static_selectorELNS0_4arch9wavefront6targetE1EEEvT1_,"axG",@progbits,_ZN7rocprim17ROCPRIM_400000_NS6detail17trampoline_kernelINS0_14default_configENS1_33run_length_encode_config_selectorIbjNS0_4plusIjEEEEZZNS1_33reduce_by_key_impl_wrapped_configILNS1_25lookback_scan_determinismE0ES3_S7_N6hipcub16HIPCUB_304000_NS22TransformInputIteratorIbN2at6native8internal12_GLOBAL__N_110LoadBoolOpEPKhlEENS0_17constant_iteratorIjlEEPbPlSO_S6_NS0_8equal_toIbEEEE10hipError_tPvRmT2_T3_mT4_T5_T6_T7_T8_P12ihipStream_tbENKUlT_T0_E_clISt17integral_constantIbLb1EES18_EEDaS13_S14_EUlS13_E_NS1_11comp_targetILNS1_3genE4ELNS1_11target_archE910ELNS1_3gpuE8ELNS1_3repE0EEENS1_30default_config_static_selectorELNS0_4arch9wavefront6targetE1EEEvT1_,comdat
	.globl	_ZN7rocprim17ROCPRIM_400000_NS6detail17trampoline_kernelINS0_14default_configENS1_33run_length_encode_config_selectorIbjNS0_4plusIjEEEEZZNS1_33reduce_by_key_impl_wrapped_configILNS1_25lookback_scan_determinismE0ES3_S7_N6hipcub16HIPCUB_304000_NS22TransformInputIteratorIbN2at6native8internal12_GLOBAL__N_110LoadBoolOpEPKhlEENS0_17constant_iteratorIjlEEPbPlSO_S6_NS0_8equal_toIbEEEE10hipError_tPvRmT2_T3_mT4_T5_T6_T7_T8_P12ihipStream_tbENKUlT_T0_E_clISt17integral_constantIbLb1EES18_EEDaS13_S14_EUlS13_E_NS1_11comp_targetILNS1_3genE4ELNS1_11target_archE910ELNS1_3gpuE8ELNS1_3repE0EEENS1_30default_config_static_selectorELNS0_4arch9wavefront6targetE1EEEvT1_ ; -- Begin function _ZN7rocprim17ROCPRIM_400000_NS6detail17trampoline_kernelINS0_14default_configENS1_33run_length_encode_config_selectorIbjNS0_4plusIjEEEEZZNS1_33reduce_by_key_impl_wrapped_configILNS1_25lookback_scan_determinismE0ES3_S7_N6hipcub16HIPCUB_304000_NS22TransformInputIteratorIbN2at6native8internal12_GLOBAL__N_110LoadBoolOpEPKhlEENS0_17constant_iteratorIjlEEPbPlSO_S6_NS0_8equal_toIbEEEE10hipError_tPvRmT2_T3_mT4_T5_T6_T7_T8_P12ihipStream_tbENKUlT_T0_E_clISt17integral_constantIbLb1EES18_EEDaS13_S14_EUlS13_E_NS1_11comp_targetILNS1_3genE4ELNS1_11target_archE910ELNS1_3gpuE8ELNS1_3repE0EEENS1_30default_config_static_selectorELNS0_4arch9wavefront6targetE1EEEvT1_
	.p2align	8
	.type	_ZN7rocprim17ROCPRIM_400000_NS6detail17trampoline_kernelINS0_14default_configENS1_33run_length_encode_config_selectorIbjNS0_4plusIjEEEEZZNS1_33reduce_by_key_impl_wrapped_configILNS1_25lookback_scan_determinismE0ES3_S7_N6hipcub16HIPCUB_304000_NS22TransformInputIteratorIbN2at6native8internal12_GLOBAL__N_110LoadBoolOpEPKhlEENS0_17constant_iteratorIjlEEPbPlSO_S6_NS0_8equal_toIbEEEE10hipError_tPvRmT2_T3_mT4_T5_T6_T7_T8_P12ihipStream_tbENKUlT_T0_E_clISt17integral_constantIbLb1EES18_EEDaS13_S14_EUlS13_E_NS1_11comp_targetILNS1_3genE4ELNS1_11target_archE910ELNS1_3gpuE8ELNS1_3repE0EEENS1_30default_config_static_selectorELNS0_4arch9wavefront6targetE1EEEvT1_,@function
_ZN7rocprim17ROCPRIM_400000_NS6detail17trampoline_kernelINS0_14default_configENS1_33run_length_encode_config_selectorIbjNS0_4plusIjEEEEZZNS1_33reduce_by_key_impl_wrapped_configILNS1_25lookback_scan_determinismE0ES3_S7_N6hipcub16HIPCUB_304000_NS22TransformInputIteratorIbN2at6native8internal12_GLOBAL__N_110LoadBoolOpEPKhlEENS0_17constant_iteratorIjlEEPbPlSO_S6_NS0_8equal_toIbEEEE10hipError_tPvRmT2_T3_mT4_T5_T6_T7_T8_P12ihipStream_tbENKUlT_T0_E_clISt17integral_constantIbLb1EES18_EEDaS13_S14_EUlS13_E_NS1_11comp_targetILNS1_3genE4ELNS1_11target_archE910ELNS1_3gpuE8ELNS1_3repE0EEENS1_30default_config_static_selectorELNS0_4arch9wavefront6targetE1EEEvT1_: ; @_ZN7rocprim17ROCPRIM_400000_NS6detail17trampoline_kernelINS0_14default_configENS1_33run_length_encode_config_selectorIbjNS0_4plusIjEEEEZZNS1_33reduce_by_key_impl_wrapped_configILNS1_25lookback_scan_determinismE0ES3_S7_N6hipcub16HIPCUB_304000_NS22TransformInputIteratorIbN2at6native8internal12_GLOBAL__N_110LoadBoolOpEPKhlEENS0_17constant_iteratorIjlEEPbPlSO_S6_NS0_8equal_toIbEEEE10hipError_tPvRmT2_T3_mT4_T5_T6_T7_T8_P12ihipStream_tbENKUlT_T0_E_clISt17integral_constantIbLb1EES18_EEDaS13_S14_EUlS13_E_NS1_11comp_targetILNS1_3genE4ELNS1_11target_archE910ELNS1_3gpuE8ELNS1_3repE0EEENS1_30default_config_static_selectorELNS0_4arch9wavefront6targetE1EEEvT1_
; %bb.0:
	s_load_dwordx2 s[6:7], s[4:5], 0x0
	s_load_dwordx2 s[8:9], s[4:5], 0x10
	s_load_dword s16, s[4:5], 0x18
	s_load_dwordx4 s[44:47], s[4:5], 0x28
	s_load_dwordx2 s[52:53], s[4:5], 0x38
	s_load_dwordx2 s[34:35], s[4:5], 0x78
	s_load_dwordx4 s[48:51], s[4:5], 0x68
	s_load_dwordx8 s[36:43], s[4:5], 0x48
	v_cmp_ne_u32_e64 s[2:3], 0, v0
	v_cmp_eq_u32_e64 s[0:1], 0, v0
	s_and_saveexec_b64 s[10:11], s[0:1]
	s_cbranch_execz .LBB70_4
; %bb.1:
	s_mov_b64 s[14:15], exec
	v_mbcnt_lo_u32_b32 v1, s14, 0
	v_mbcnt_hi_u32_b32 v1, s15, v1
	v_cmp_eq_u32_e32 vcc, 0, v1
                                        ; implicit-def: $vgpr2
	s_and_saveexec_b64 s[12:13], vcc
	s_cbranch_execz .LBB70_3
; %bb.2:
	s_load_dwordx2 s[4:5], s[4:5], 0x80
	s_bcnt1_i32_b64 s14, s[14:15]
	v_mov_b32_e32 v2, 0
	v_mov_b32_e32 v3, s14
	s_waitcnt lgkmcnt(0)
	global_atomic_add v2, v2, v3, s[4:5] glc
.LBB70_3:
	s_or_b64 exec, exec, s[12:13]
	s_waitcnt vmcnt(0)
	v_readfirstlane_b32 s4, v2
	v_add_u32_e32 v1, s4, v1
	v_mov_b32_e32 v2, 0
	ds_write_b32 v2, v1
.LBB70_4:
	s_or_b64 exec, exec, s[10:11]
	v_mov_b32_e32 v1, 0
	s_waitcnt lgkmcnt(0)
	s_barrier
	ds_read_b32 v1, v1
	s_add_u32 s4, s6, s8
	s_addc_u32 s5, s7, s9
	s_mul_i32 s6, s40, s39
	s_mul_hi_u32 s7, s40, s38
	s_add_i32 s6, s7, s6
	s_mul_i32 s7, s41, s38
	s_movk_i32 s8, 0xf00
	s_add_i32 s6, s6, s7
	s_mul_i32 s7, s40, s38
	s_waitcnt lgkmcnt(0)
	v_readfirstlane_b32 s60, v1
	v_mul_lo_u32 v1, v1, s8
	v_add_co_u32_e32 v2, vcc, s4, v1
	s_add_u32 s4, s7, s60
	v_mov_b32_e32 v3, s5
	s_addc_u32 s5, s6, 0
	s_add_u32 s6, s42, -1
	s_addc_u32 s7, s43, -1
	s_cmp_eq_u64 s[4:5], s[6:7]
	v_addc_co_u32_e32 v3, vcc, 0, v3, vcc
	s_cselect_b64 s[40:41], -1, 0
	s_cmp_lg_u64 s[4:5], s[6:7]
	s_mov_b64 s[10:11], -1
	s_cselect_b64 s[8:9], -1, 0
	s_mul_i32 s33, s6, 0xfffff100
	s_and_b64 vcc, exec, s[40:41]
	v_mad_u32_u24 v4, v0, 14, v0
	s_barrier
	s_cbranch_vccnz .LBB70_6
; %bb.5:
	v_readfirstlane_b32 s6, v2
	v_readfirstlane_b32 s7, v3
	s_nop 4
	global_load_ubyte v1, v0, s[6:7]
	global_load_ubyte v5, v0, s[6:7] offset:256
	global_load_ubyte v6, v0, s[6:7] offset:512
	;; [unrolled: 1-line block ×14, first 2 shown]
	s_mov_b64 s[6:7], -1
	s_waitcnt vmcnt(14)
	v_cmp_ne_u16_e32 vcc, 0, v1
	v_cndmask_b32_e64 v1, 0, 1, vcc
	s_waitcnt vmcnt(13)
	v_cmp_ne_u16_e32 vcc, 0, v5
	v_cndmask_b32_e64 v5, 0, 1, vcc
	;; [unrolled: 3-line block ×15, first 2 shown]
	ds_write_b8 v0, v1
	ds_write_b8 v0, v5 offset:256
	ds_write_b8 v0, v6 offset:512
	;; [unrolled: 1-line block ×14, first 2 shown]
	s_waitcnt lgkmcnt(0)
	s_barrier
	ds_read_b96 v[8:10], v4
	ds_read_u8 v21, v4 offset:12
	ds_read_u8 v11, v4 offset:13
	;; [unrolled: 1-line block ×3, first 2 shown]
	s_waitcnt lgkmcnt(3)
	v_lshrrev_b32_e32 v63, 8, v8
	v_lshrrev_b32_e32 v62, 16, v8
	;; [unrolled: 1-line block ×9, first 2 shown]
	s_add_i32 s33, s33, s48
	s_cbranch_execz .LBB70_7
	s_branch .LBB70_38
.LBB70_6:
	s_mov_b64 s[6:7], 0
                                        ; implicit-def: $vgpr8
                                        ; implicit-def: $vgpr63
                                        ; implicit-def: $vgpr62
                                        ; implicit-def: $vgpr61
                                        ; implicit-def: $vgpr60
                                        ; implicit-def: $vgpr59
                                        ; implicit-def: $vgpr58
                                        ; implicit-def: $vgpr57
                                        ; implicit-def: $vgpr56
                                        ; implicit-def: $vgpr55
                                        ; implicit-def: $vgpr21
                                        ; implicit-def: $vgpr11
                                        ; implicit-def: $vgpr1
	s_add_i32 s33, s33, s48
	s_andn2_b64 vcc, exec, s[10:11]
	s_cbranch_vccnz .LBB70_38
.LBB70_7:
	v_cmp_gt_u32_e32 vcc, s33, v0
                                        ; implicit-def: $vgpr1
	s_and_saveexec_b64 s[6:7], vcc
	s_cbranch_execz .LBB70_9
; %bb.8:
	v_readfirstlane_b32 s10, v2
	v_readfirstlane_b32 s11, v3
	s_waitcnt lgkmcnt(0)
	s_nop 3
	global_load_ubyte v1, v0, s[10:11]
	s_waitcnt vmcnt(0)
	v_cmp_ne_u16_e32 vcc, 0, v1
	v_cndmask_b32_e64 v1, 0, 1, vcc
.LBB70_9:
	s_or_b64 exec, exec, s[6:7]
	v_or_b32_e32 v5, 0x100, v0
	v_cmp_gt_u32_e32 vcc, s33, v5
                                        ; implicit-def: $vgpr5
	s_and_saveexec_b64 s[6:7], vcc
	s_cbranch_execz .LBB70_11
; %bb.10:
	v_readfirstlane_b32 s10, v2
	v_readfirstlane_b32 s11, v3
	s_nop 4
	global_load_ubyte v5, v0, s[10:11] offset:256
	s_waitcnt vmcnt(0)
	v_cmp_ne_u16_e32 vcc, 0, v5
	v_cndmask_b32_e64 v5, 0, 1, vcc
.LBB70_11:
	s_or_b64 exec, exec, s[6:7]
	v_or_b32_e32 v6, 0x200, v0
	v_cmp_gt_u32_e32 vcc, s33, v6
                                        ; implicit-def: $vgpr6
	s_and_saveexec_b64 s[6:7], vcc
	s_cbranch_execz .LBB70_13
; %bb.12:
	v_readfirstlane_b32 s10, v2
	v_readfirstlane_b32 s11, v3
	s_nop 4
	global_load_ubyte v6, v0, s[10:11] offset:512
	s_waitcnt vmcnt(0)
	v_cmp_ne_u16_e32 vcc, 0, v6
	v_cndmask_b32_e64 v6, 0, 1, vcc
.LBB70_13:
	s_or_b64 exec, exec, s[6:7]
	v_or_b32_e32 v7, 0x300, v0
	v_cmp_gt_u32_e32 vcc, s33, v7
                                        ; implicit-def: $vgpr7
	s_and_saveexec_b64 s[6:7], vcc
	s_cbranch_execz .LBB70_15
; %bb.14:
	v_readfirstlane_b32 s10, v2
	v_readfirstlane_b32 s11, v3
	s_nop 4
	global_load_ubyte v7, v0, s[10:11] offset:768
	s_waitcnt vmcnt(0)
	v_cmp_ne_u16_e32 vcc, 0, v7
	v_cndmask_b32_e64 v7, 0, 1, vcc
.LBB70_15:
	s_or_b64 exec, exec, s[6:7]
	v_or_b32_e32 v8, 0x400, v0
	v_cmp_gt_u32_e32 vcc, s33, v8
                                        ; implicit-def: $vgpr8
	s_and_saveexec_b64 s[6:7], vcc
	s_cbranch_execz .LBB70_17
; %bb.16:
	v_readfirstlane_b32 s10, v2
	v_readfirstlane_b32 s11, v3
	s_nop 4
	global_load_ubyte v8, v0, s[10:11] offset:1024
	s_waitcnt vmcnt(0)
	v_cmp_ne_u16_e32 vcc, 0, v8
	v_cndmask_b32_e64 v8, 0, 1, vcc
.LBB70_17:
	s_or_b64 exec, exec, s[6:7]
	v_or_b32_e32 v9, 0x500, v0
	v_cmp_gt_u32_e32 vcc, s33, v9
                                        ; implicit-def: $vgpr9
	s_and_saveexec_b64 s[6:7], vcc
	s_cbranch_execz .LBB70_19
; %bb.18:
	v_readfirstlane_b32 s10, v2
	v_readfirstlane_b32 s11, v3
	s_nop 4
	global_load_ubyte v9, v0, s[10:11] offset:1280
	s_waitcnt vmcnt(0)
	v_cmp_ne_u16_e32 vcc, 0, v9
	v_cndmask_b32_e64 v9, 0, 1, vcc
.LBB70_19:
	s_or_b64 exec, exec, s[6:7]
	v_or_b32_e32 v10, 0x600, v0
	v_cmp_gt_u32_e32 vcc, s33, v10
                                        ; implicit-def: $vgpr10
	s_and_saveexec_b64 s[6:7], vcc
	s_cbranch_execz .LBB70_21
; %bb.20:
	v_readfirstlane_b32 s10, v2
	v_readfirstlane_b32 s11, v3
	s_nop 4
	global_load_ubyte v10, v0, s[10:11] offset:1536
	s_waitcnt vmcnt(0)
	v_cmp_ne_u16_e32 vcc, 0, v10
	v_cndmask_b32_e64 v10, 0, 1, vcc
.LBB70_21:
	s_or_b64 exec, exec, s[6:7]
	s_waitcnt lgkmcnt(1)
	v_or_b32_e32 v11, 0x700, v0
	v_cmp_gt_u32_e32 vcc, s33, v11
                                        ; implicit-def: $vgpr11
	s_and_saveexec_b64 s[6:7], vcc
	s_cbranch_execz .LBB70_23
; %bb.22:
	v_readfirstlane_b32 s10, v2
	v_readfirstlane_b32 s11, v3
	s_nop 4
	global_load_ubyte v11, v0, s[10:11] offset:1792
	s_waitcnt vmcnt(0)
	v_cmp_ne_u16_e32 vcc, 0, v11
	v_cndmask_b32_e64 v11, 0, 1, vcc
.LBB70_23:
	s_or_b64 exec, exec, s[6:7]
	v_or_b32_e32 v12, 0x800, v0
	v_cmp_gt_u32_e32 vcc, s33, v12
                                        ; implicit-def: $vgpr12
	s_and_saveexec_b64 s[6:7], vcc
	s_cbranch_execz .LBB70_25
; %bb.24:
	v_readfirstlane_b32 s10, v2
	v_readfirstlane_b32 s11, v3
	s_nop 4
	global_load_ubyte v12, v0, s[10:11] offset:2048
	s_waitcnt vmcnt(0)
	v_cmp_ne_u16_e32 vcc, 0, v12
	v_cndmask_b32_e64 v12, 0, 1, vcc
.LBB70_25:
	s_or_b64 exec, exec, s[6:7]
	v_or_b32_e32 v13, 0x900, v0
	v_cmp_gt_u32_e32 vcc, s33, v13
                                        ; implicit-def: $vgpr13
	s_and_saveexec_b64 s[6:7], vcc
	s_cbranch_execz .LBB70_27
; %bb.26:
	v_readfirstlane_b32 s10, v2
	v_readfirstlane_b32 s11, v3
	s_nop 4
	global_load_ubyte v13, v0, s[10:11] offset:2304
	s_waitcnt vmcnt(0)
	v_cmp_ne_u16_e32 vcc, 0, v13
	v_cndmask_b32_e64 v13, 0, 1, vcc
.LBB70_27:
	s_or_b64 exec, exec, s[6:7]
	v_or_b32_e32 v14, 0xa00, v0
	v_cmp_gt_u32_e32 vcc, s33, v14
                                        ; implicit-def: $vgpr14
	s_and_saveexec_b64 s[6:7], vcc
	s_cbranch_execz .LBB70_29
; %bb.28:
	v_readfirstlane_b32 s10, v2
	v_readfirstlane_b32 s11, v3
	s_nop 4
	global_load_ubyte v14, v0, s[10:11] offset:2560
	s_waitcnt vmcnt(0)
	v_cmp_ne_u16_e32 vcc, 0, v14
	v_cndmask_b32_e64 v14, 0, 1, vcc
.LBB70_29:
	s_or_b64 exec, exec, s[6:7]
	v_or_b32_e32 v15, 0xb00, v0
	v_cmp_gt_u32_e32 vcc, s33, v15
                                        ; implicit-def: $vgpr15
	s_and_saveexec_b64 s[6:7], vcc
	s_cbranch_execz .LBB70_31
; %bb.30:
	v_readfirstlane_b32 s10, v2
	v_readfirstlane_b32 s11, v3
	s_nop 4
	global_load_ubyte v15, v0, s[10:11] offset:2816
	s_waitcnt vmcnt(0)
	v_cmp_ne_u16_e32 vcc, 0, v15
	v_cndmask_b32_e64 v15, 0, 1, vcc
.LBB70_31:
	s_or_b64 exec, exec, s[6:7]
	v_or_b32_e32 v16, 0xc00, v0
	v_cmp_gt_u32_e32 vcc, s33, v16
                                        ; implicit-def: $vgpr16
	s_and_saveexec_b64 s[6:7], vcc
	s_cbranch_execz .LBB70_33
; %bb.32:
	v_readfirstlane_b32 s10, v2
	v_readfirstlane_b32 s11, v3
	s_nop 4
	global_load_ubyte v16, v0, s[10:11] offset:3072
	s_waitcnt vmcnt(0)
	v_cmp_ne_u16_e32 vcc, 0, v16
	v_cndmask_b32_e64 v16, 0, 1, vcc
.LBB70_33:
	s_or_b64 exec, exec, s[6:7]
	v_or_b32_e32 v17, 0xd00, v0
	v_cmp_gt_u32_e32 vcc, s33, v17
                                        ; implicit-def: $vgpr17
	s_and_saveexec_b64 s[6:7], vcc
	s_cbranch_execz .LBB70_35
; %bb.34:
	v_readfirstlane_b32 s10, v2
	v_readfirstlane_b32 s11, v3
	s_nop 4
	global_load_ubyte v17, v0, s[10:11] offset:3328
	s_waitcnt vmcnt(0)
	v_cmp_ne_u16_e32 vcc, 0, v17
	v_cndmask_b32_e64 v17, 0, 1, vcc
.LBB70_35:
	s_or_b64 exec, exec, s[6:7]
	v_or_b32_e32 v18, 0xe00, v0
	v_cmp_gt_u32_e32 vcc, s33, v18
                                        ; implicit-def: $vgpr18
	s_and_saveexec_b64 s[6:7], vcc
	s_cbranch_execz .LBB70_37
; %bb.36:
	v_readfirstlane_b32 s10, v2
	v_readfirstlane_b32 s11, v3
	s_nop 4
	global_load_ubyte v18, v0, s[10:11] offset:3584
	s_waitcnt vmcnt(0)
	v_cmp_ne_u16_e32 vcc, 0, v18
	v_cndmask_b32_e64 v18, 0, 1, vcc
.LBB70_37:
	s_or_b64 exec, exec, s[6:7]
	s_waitcnt lgkmcnt(0)
	ds_write_b8 v0, v1
	ds_write_b8 v0, v5 offset:256
	ds_write_b8 v0, v6 offset:512
	;; [unrolled: 1-line block ×14, first 2 shown]
	s_waitcnt lgkmcnt(0)
	s_barrier
	ds_read_b96 v[8:10], v4
	ds_read_u8 v21, v4 offset:12
	ds_read_u8 v11, v4 offset:13
	;; [unrolled: 1-line block ×3, first 2 shown]
	v_mad_u32_u24 v4, v0, 15, 14
	s_waitcnt lgkmcnt(3)
	v_lshrrev_b32_e32 v63, 8, v8
	v_lshrrev_b32_e32 v62, 16, v8
	;; [unrolled: 1-line block ×9, first 2 shown]
	v_cmp_gt_u32_e64 s[6:7], s33, v4
.LBB70_38:
	v_mov_b32_e32 v52, s16
                                        ; implicit-def: $vgpr53
	s_and_saveexec_b64 s[10:11], s[6:7]
; %bb.39:
	v_mov_b32_e32 v53, s16
; %bb.40:
	s_or_b64 exec, exec, s[10:11]
	s_cmp_eq_u64 s[4:5], 0
	s_cselect_b64 s[42:43], -1, 0
	s_cmp_lg_u64 s[4:5], 0
	s_mov_b64 s[6:7], 0
	s_cselect_b64 s[10:11], -1, 0
	s_and_b64 vcc, exec, s[8:9]
	s_waitcnt lgkmcnt(0)
	s_barrier
	s_cbranch_vccz .LBB70_46
; %bb.41:
	s_and_b64 vcc, exec, s[10:11]
	s_cbranch_vccz .LBB70_47
; %bb.42:
	global_load_ubyte v4, v[2:3], off offset:-1
	v_cmp_ne_u16_sdwa s[6:7], v11, v1 src0_sel:BYTE_0 src1_sel:BYTE_0
	v_cmp_ne_u16_sdwa s[8:9], v21, v11 src0_sel:BYTE_0 src1_sel:BYTE_0
	;; [unrolled: 1-line block ×14, first 2 shown]
	ds_write_b8 v0, v1
	s_waitcnt lgkmcnt(0)
	s_barrier
	s_waitcnt vmcnt(0)
	v_cmp_ne_u16_e32 vcc, 0, v4
	v_cndmask_b32_e64 v4, 0, 1, vcc
	s_and_saveexec_b64 s[58:59], s[2:3]
	s_cbranch_execz .LBB70_44
; %bb.43:
	v_add_u32_e32 v4, -1, v0
	ds_read_u8 v4, v4
.LBB70_44:
	s_or_b64 exec, exec, s[58:59]
	s_waitcnt lgkmcnt(0)
	v_and_b32_e32 v4, 0xff, v4
	v_cndmask_b32_e64 v64, 0, 1, s[6:7]
	v_cndmask_b32_e64 v65, 0, 1, s[8:9]
	;; [unrolled: 1-line block ×14, first 2 shown]
	v_cmp_ne_u16_sdwa s[8:9], v4, v8 src0_sel:DWORD src1_sel:BYTE_0
	s_mov_b64 s[6:7], -1
.LBB70_45:
                                        ; implicit-def: $sgpr14
	s_branch .LBB70_59
.LBB70_46:
                                        ; implicit-def: $sgpr8_sgpr9
                                        ; implicit-def: $vgpr64
                                        ; implicit-def: $vgpr65
                                        ; implicit-def: $vgpr66
                                        ; implicit-def: $vgpr67
                                        ; implicit-def: $vgpr68
                                        ; implicit-def: $vgpr69
                                        ; implicit-def: $vgpr70
                                        ; implicit-def: $vgpr71
                                        ; implicit-def: $vgpr72
                                        ; implicit-def: $vgpr73
                                        ; implicit-def: $vgpr74
                                        ; implicit-def: $vgpr75
                                        ; implicit-def: $vgpr76
                                        ; implicit-def: $vgpr77
                                        ; implicit-def: $sgpr14
	s_cbranch_execnz .LBB70_51
	s_branch .LBB70_59
.LBB70_47:
                                        ; implicit-def: $sgpr8_sgpr9
                                        ; implicit-def: $vgpr64
                                        ; implicit-def: $vgpr65
                                        ; implicit-def: $vgpr66
                                        ; implicit-def: $vgpr67
                                        ; implicit-def: $vgpr68
                                        ; implicit-def: $vgpr69
                                        ; implicit-def: $vgpr70
                                        ; implicit-def: $vgpr71
                                        ; implicit-def: $vgpr72
                                        ; implicit-def: $vgpr73
                                        ; implicit-def: $vgpr74
                                        ; implicit-def: $vgpr75
                                        ; implicit-def: $vgpr76
                                        ; implicit-def: $vgpr77
	s_cbranch_execz .LBB70_45
; %bb.48:
	v_cmp_ne_u16_sdwa s[8:9], v11, v1 src0_sel:BYTE_0 src1_sel:BYTE_0
	v_cndmask_b32_e64 v64, 0, 1, s[8:9]
	v_cmp_ne_u16_sdwa s[8:9], v21, v11 src0_sel:BYTE_0 src1_sel:BYTE_0
	v_cndmask_b32_e64 v65, 0, 1, s[8:9]
	;; [unrolled: 2-line block ×14, first 2 shown]
	ds_write_b8 v0, v1
	s_waitcnt lgkmcnt(0)
	s_barrier
	s_waitcnt lgkmcnt(0)
                                        ; implicit-def: $sgpr8_sgpr9
	s_and_saveexec_b64 s[12:13], s[2:3]
	s_xor_b64 s[12:13], exec, s[12:13]
	s_cbranch_execz .LBB70_50
; %bb.49:
	v_add_u32_e32 v4, -1, v0
	ds_read_u8 v4, v4
	s_or_b64 s[6:7], s[6:7], exec
	s_waitcnt lgkmcnt(0)
	v_cmp_ne_u16_sdwa s[8:9], v4, v8 src0_sel:DWORD src1_sel:BYTE_0
	s_and_b64 s[8:9], s[8:9], exec
.LBB70_50:
	s_or_b64 exec, exec, s[12:13]
	s_mov_b32 s14, 1
	s_branch .LBB70_59
.LBB70_51:
	s_mul_hi_u32 s8, s4, 0xfffff100
	s_mulk_i32 s5, 0xf100
	s_sub_i32 s8, s8, s4
	s_add_i32 s8, s8, s5
	s_mulk_i32 s4, 0xf100
	s_add_u32 s4, s4, s48
	s_addc_u32 s5, s8, s49
	s_and_b64 vcc, exec, s[10:11]
	s_cbranch_vccz .LBB70_56
; %bb.52:
	global_load_ubyte v3, v[2:3], off offset:-1
	v_mad_u32_u24 v4, v0, 15, 14
	v_mov_b32_e32 v5, 0
	v_cmp_ne_u16_sdwa s[6:7], v11, v1 src0_sel:BYTE_0 src1_sel:BYTE_0
	v_cmp_gt_u64_e32 vcc, s[4:5], v[4:5]
	v_mad_u32_u24 v4, v0, 15, 13
	v_cmp_ne_u16_sdwa s[8:9], v21, v11 src0_sel:BYTE_0 src1_sel:BYTE_0
	s_and_b64 s[6:7], vcc, s[6:7]
	v_cmp_gt_u64_e32 vcc, s[4:5], v[4:5]
	v_mad_u32_u24 v4, v0, 15, 12
	v_cmp_ne_u16_sdwa s[10:11], v55, v21 src0_sel:BYTE_0 src1_sel:BYTE_0
	s_and_b64 s[8:9], vcc, s[8:9]
	;; [unrolled: 4-line block ×13, first 2 shown]
	v_cmp_gt_u64_e32 vcc, s[4:5], v[4:5]
	s_and_b64 s[48:49], vcc, s[48:49]
	v_mul_u32_u24_e32 v2, 15, v0
	ds_write_b8 v0, v1
	s_waitcnt lgkmcnt(0)
	s_barrier
	s_waitcnt vmcnt(0)
	v_cmp_ne_u16_e32 vcc, 0, v3
	v_cndmask_b32_e64 v4, 0, 1, vcc
	s_and_saveexec_b64 s[54:55], s[2:3]
	s_cbranch_execz .LBB70_54
; %bb.53:
	v_add_u32_e32 v3, -1, v0
	ds_read_u8 v4, v3
.LBB70_54:
	s_or_b64 exec, exec, s[54:55]
	v_mov_b32_e32 v3, v5
	v_cmp_gt_u64_e32 vcc, s[4:5], v[2:3]
	s_waitcnt lgkmcnt(0)
	v_and_b32_e32 v2, 0xff, v4
	v_cndmask_b32_e64 v64, 0, 1, s[6:7]
	v_cmp_ne_u16_sdwa s[6:7], v2, v8 src0_sel:DWORD src1_sel:BYTE_0
	v_cndmask_b32_e64 v65, 0, 1, s[8:9]
	v_cndmask_b32_e64 v66, 0, 1, s[10:11]
	v_cndmask_b32_e64 v67, 0, 1, s[12:13]
	v_cndmask_b32_e64 v68, 0, 1, s[14:15]
	v_cndmask_b32_e64 v69, 0, 1, s[16:17]
	v_cndmask_b32_e64 v70, 0, 1, s[18:19]
	v_cndmask_b32_e64 v71, 0, 1, s[20:21]
	v_cndmask_b32_e64 v72, 0, 1, s[22:23]
	v_cndmask_b32_e64 v73, 0, 1, s[24:25]
	v_cndmask_b32_e64 v74, 0, 1, s[26:27]
	v_cndmask_b32_e64 v75, 0, 1, s[28:29]
	v_cndmask_b32_e64 v76, 0, 1, s[30:31]
	v_cndmask_b32_e64 v77, 0, 1, s[48:49]
	s_and_b64 s[8:9], vcc, s[6:7]
	s_mov_b64 s[6:7], -1
.LBB70_55:
                                        ; implicit-def: $sgpr14
	v_mov_b32_e32 v78, s14
	s_and_saveexec_b64 s[2:3], s[6:7]
	s_cbranch_execnz .LBB70_60
	s_branch .LBB70_61
.LBB70_56:
                                        ; implicit-def: $sgpr8_sgpr9
                                        ; implicit-def: $vgpr64
                                        ; implicit-def: $vgpr65
                                        ; implicit-def: $vgpr66
                                        ; implicit-def: $vgpr67
                                        ; implicit-def: $vgpr68
                                        ; implicit-def: $vgpr69
                                        ; implicit-def: $vgpr70
                                        ; implicit-def: $vgpr71
                                        ; implicit-def: $vgpr72
                                        ; implicit-def: $vgpr73
                                        ; implicit-def: $vgpr74
                                        ; implicit-def: $vgpr75
                                        ; implicit-def: $vgpr76
                                        ; implicit-def: $vgpr77
	s_cbranch_execz .LBB70_55
; %bb.57:
	v_mad_u32_u24 v2, v0, 15, 14
	v_mov_b32_e32 v3, 0
	v_cmp_gt_u64_e32 vcc, s[4:5], v[2:3]
	v_cmp_ne_u16_sdwa s[8:9], v11, v1 src0_sel:BYTE_0 src1_sel:BYTE_0
	s_and_b64 s[8:9], vcc, s[8:9]
	v_mad_u32_u24 v2, v0, 15, 13
	v_cndmask_b32_e64 v64, 0, 1, s[8:9]
	v_cmp_gt_u64_e32 vcc, s[4:5], v[2:3]
	v_cmp_ne_u16_sdwa s[8:9], v21, v11 src0_sel:BYTE_0 src1_sel:BYTE_0
	s_and_b64 s[8:9], vcc, s[8:9]
	v_mad_u32_u24 v2, v0, 15, 12
	v_cndmask_b32_e64 v65, 0, 1, s[8:9]
	;; [unrolled: 5-line block ×13, first 2 shown]
	v_cmp_gt_u64_e32 vcc, s[4:5], v[2:3]
	v_cmp_ne_u16_sdwa s[8:9], v8, v63 src0_sel:BYTE_0 src1_sel:BYTE_0
	s_and_b64 s[8:9], vcc, s[8:9]
	s_mov_b32 s14, 1
	v_cndmask_b32_e64 v77, 0, 1, s[8:9]
	ds_write_b8 v0, v1
	s_waitcnt lgkmcnt(0)
	s_barrier
	s_waitcnt lgkmcnt(0)
                                        ; implicit-def: $sgpr8_sgpr9
	s_and_saveexec_b64 s[10:11], s[2:3]
	s_cbranch_execz .LBB70_155
; %bb.58:
	v_add_u32_e32 v2, -1, v0
	ds_read_u8 v4, v2
	v_mul_u32_u24_e32 v2, 15, v0
	v_cmp_gt_u64_e32 vcc, s[4:5], v[2:3]
	s_or_b64 s[6:7], s[6:7], exec
	s_waitcnt lgkmcnt(0)
	v_and_b32_e32 v2, 0xff, v4
	v_cmp_ne_u16_sdwa s[2:3], v2, v8 src0_sel:DWORD src1_sel:BYTE_0
	s_and_b64 s[2:3], vcc, s[2:3]
	s_and_b64 s[8:9], s[2:3], exec
	s_or_b64 exec, exec, s[10:11]
.LBB70_59:
	v_mov_b32_e32 v78, s14
	s_and_saveexec_b64 s[2:3], s[6:7]
.LBB70_60:
	v_cndmask_b32_e64 v78, 0, 1, s[8:9]
.LBB70_61:
	s_or_b64 exec, exec, s[2:3]
	s_cmp_eq_u64 s[38:39], 0
	v_add3_u32 v2, v77, v78, v76
	s_cselect_b64 s[38:39], -1, 0
	s_cmp_lg_u32 s60, 0
	v_cmp_eq_u32_e64 s[26:27], 0, v77
	v_cmp_eq_u32_e64 s[24:25], 0, v76
	;; [unrolled: 1-line block ×3, first 2 shown]
	v_add3_u32 v81, v2, v75, v74
	v_cmp_eq_u32_e64 s[20:21], 0, v74
	v_cmp_eq_u32_e64 s[18:19], 0, v73
	;; [unrolled: 1-line block ×10, first 2 shown]
	v_cmp_eq_u32_e32 vcc, 0, v64
	v_mbcnt_lo_u32_b32 v80, -1, 0
	v_lshrrev_b32_e32 v54, 6, v0
	v_or_b32_e32 v79, 63, v0
	s_cbranch_scc0 .LBB70_92
; %bb.62:
	v_cndmask_b32_e64 v2, 0, v52, s[26:27]
	v_add_u32_e32 v2, v2, v52
	v_cndmask_b32_e64 v2, 0, v2, s[24:25]
	v_add_u32_e32 v2, v2, v52
	;; [unrolled: 2-line block ×11, first 2 shown]
	v_cndmask_b32_e64 v2, 0, v2, s[4:5]
	v_add3_u32 v3, v81, v73, v72
	v_add_u32_e32 v2, v2, v52
	v_add3_u32 v3, v3, v71, v70
	v_cndmask_b32_e64 v2, 0, v2, s[2:3]
	v_add3_u32 v3, v3, v69, v68
	v_add_u32_e32 v2, v2, v52
	v_add3_u32 v3, v3, v67, v66
	v_cndmask_b32_e32 v2, 0, v2, vcc
	v_add3_u32 v3, v3, v65, v64
	v_add_u32_e32 v2, v2, v53
	v_mbcnt_hi_u32_b32 v15, -1, v80
	v_and_b32_e32 v4, 15, v15
	v_mov_b32_dpp v6, v2 row_shr:1 row_mask:0xf bank_mask:0xf
	v_cmp_eq_u32_e32 vcc, 0, v3
	v_mov_b32_dpp v5, v3 row_shr:1 row_mask:0xf bank_mask:0xf
	v_cndmask_b32_e32 v6, 0, v6, vcc
	v_cmp_eq_u32_e32 vcc, 0, v4
	v_cndmask_b32_e64 v5, v5, 0, vcc
	v_add_u32_e32 v3, v5, v3
	v_cndmask_b32_e64 v5, v6, 0, vcc
	v_add_u32_e32 v2, v5, v2
	v_cmp_eq_u32_e32 vcc, 0, v3
	v_mov_b32_dpp v5, v3 row_shr:2 row_mask:0xf bank_mask:0xf
	v_cmp_lt_u32_e64 s[28:29], 1, v4
	v_mov_b32_dpp v6, v2 row_shr:2 row_mask:0xf bank_mask:0xf
	v_cndmask_b32_e64 v5, 0, v5, s[28:29]
	s_and_b64 vcc, s[28:29], vcc
	v_cndmask_b32_e32 v6, 0, v6, vcc
	v_add_u32_e32 v3, v3, v5
	v_add_u32_e32 v2, v6, v2
	v_cmp_eq_u32_e32 vcc, 0, v3
	v_mov_b32_dpp v5, v3 row_shr:4 row_mask:0xf bank_mask:0xf
	v_cmp_lt_u32_e64 s[28:29], 3, v4
	v_mov_b32_dpp v6, v2 row_shr:4 row_mask:0xf bank_mask:0xf
	v_cndmask_b32_e64 v5, 0, v5, s[28:29]
	s_and_b64 vcc, s[28:29], vcc
	v_cndmask_b32_e32 v6, 0, v6, vcc
	v_add_u32_e32 v3, v5, v3
	v_add_u32_e32 v2, v2, v6
	v_cmp_eq_u32_e32 vcc, 0, v3
	v_cmp_lt_u32_e64 s[28:29], 7, v4
	v_mov_b32_dpp v5, v3 row_shr:8 row_mask:0xf bank_mask:0xf
	v_mov_b32_dpp v6, v2 row_shr:8 row_mask:0xf bank_mask:0xf
	s_and_b64 vcc, s[28:29], vcc
	v_cndmask_b32_e64 v4, 0, v5, s[28:29]
	v_cndmask_b32_e32 v5, 0, v6, vcc
	v_add_u32_e32 v2, v5, v2
	v_add_u32_e32 v3, v4, v3
	v_bfe_i32 v6, v15, 4, 1
	v_mov_b32_dpp v5, v2 row_bcast:15 row_mask:0xf bank_mask:0xf
	v_mov_b32_dpp v4, v3 row_bcast:15 row_mask:0xf bank_mask:0xf
	v_cmp_eq_u32_e32 vcc, 0, v3
	v_cndmask_b32_e32 v5, 0, v5, vcc
	v_and_b32_e32 v4, v6, v4
	v_add_u32_e32 v3, v4, v3
	v_and_b32_e32 v4, v6, v5
	v_add_u32_e32 v4, v4, v2
	v_mov_b32_dpp v2, v3 row_bcast:31 row_mask:0xf bank_mask:0xf
	v_cmp_eq_u32_e32 vcc, 0, v3
	v_cmp_lt_u32_e64 s[28:29], 31, v15
	v_mov_b32_dpp v5, v4 row_bcast:31 row_mask:0xf bank_mask:0xf
	v_cndmask_b32_e64 v2, 0, v2, s[28:29]
	s_and_b64 vcc, s[28:29], vcc
	v_add_u32_e32 v2, v2, v3
	v_cndmask_b32_e32 v3, 0, v5, vcc
	v_add_u32_e32 v3, v3, v4
	v_cmp_eq_u32_e32 vcc, v79, v0
	v_lshlrev_b32_e32 v4, 3, v54
	s_and_saveexec_b64 s[28:29], vcc
	s_cbranch_execz .LBB70_64
; %bb.63:
	ds_write_b64 v4, v[2:3] offset:528
.LBB70_64:
	s_or_b64 exec, exec, s[28:29]
	v_cmp_gt_u32_e32 vcc, 4, v0
	s_waitcnt lgkmcnt(0)
	s_barrier
	s_and_saveexec_b64 s[30:31], vcc
	s_cbranch_execz .LBB70_66
; %bb.65:
	v_lshlrev_b32_e32 v5, 3, v0
	ds_read_b64 v[6:7], v5 offset:528
	v_and_b32_e32 v12, 3, v15
	v_cmp_lt_u32_e64 s[28:29], 1, v12
	s_waitcnt lgkmcnt(0)
	v_mov_b32_dpp v14, v7 row_shr:1 row_mask:0xf bank_mask:0xf
	v_cmp_eq_u32_e32 vcc, 0, v6
	v_mov_b32_dpp v13, v6 row_shr:1 row_mask:0xf bank_mask:0xf
	v_cndmask_b32_e32 v14, 0, v14, vcc
	v_cmp_eq_u32_e32 vcc, 0, v12
	v_cndmask_b32_e64 v13, v13, 0, vcc
	v_add_u32_e32 v6, v13, v6
	v_cndmask_b32_e64 v13, v14, 0, vcc
	v_add_u32_e32 v7, v13, v7
	v_cmp_eq_u32_e32 vcc, 0, v6
	v_mov_b32_dpp v13, v6 row_shr:2 row_mask:0xf bank_mask:0xf
	v_mov_b32_dpp v14, v7 row_shr:2 row_mask:0xf bank_mask:0xf
	v_cndmask_b32_e64 v12, 0, v13, s[28:29]
	s_and_b64 vcc, s[28:29], vcc
	v_add_u32_e32 v6, v12, v6
	v_cndmask_b32_e32 v12, 0, v14, vcc
	v_add_u32_e32 v7, v12, v7
	ds_write_b64 v5, v[6:7] offset:528
.LBB70_66:
	s_or_b64 exec, exec, s[30:31]
	v_cmp_gt_u32_e32 vcc, 64, v0
	v_cmp_lt_u32_e64 s[28:29], 63, v0
	v_mov_b32_e32 v12, 0
	v_mov_b32_e32 v13, 0
	s_waitcnt lgkmcnt(0)
	s_barrier
	s_and_saveexec_b64 s[30:31], s[28:29]
	s_cbranch_execz .LBB70_68
; %bb.67:
	ds_read_b64 v[12:13], v4 offset:520
	v_cmp_eq_u32_e64 s[28:29], 0, v2
	s_waitcnt lgkmcnt(0)
	v_add_u32_e32 v4, v12, v2
	v_cndmask_b32_e64 v2, 0, v13, s[28:29]
	v_add_u32_e32 v3, v2, v3
	v_mov_b32_e32 v2, v4
.LBB70_68:
	s_or_b64 exec, exec, s[30:31]
	v_add_u32_e32 v4, -1, v15
	v_and_b32_e32 v5, 64, v15
	v_cmp_lt_i32_e64 s[28:29], v4, v5
	v_cndmask_b32_e64 v4, v4, v15, s[28:29]
	v_lshlrev_b32_e32 v4, 2, v4
	ds_bpermute_b32 v20, v4, v2
	ds_bpermute_b32 v22, v4, v3
	v_cmp_eq_u32_e64 s[28:29], 0, v15
	s_and_saveexec_b64 s[48:49], vcc
	s_cbranch_execz .LBB70_91
; %bb.69:
	v_mov_b32_e32 v7, 0
	ds_read_b64 v[2:3], v7 offset:552
	s_waitcnt lgkmcnt(0)
	v_readfirstlane_b32 s56, v2
	v_readfirstlane_b32 s57, v3
	s_and_saveexec_b64 s[30:31], s[28:29]
	s_cbranch_execz .LBB70_71
; %bb.70:
	s_add_i32 s54, s60, 64
	s_mov_b32 s55, 0
	s_lshl_b64 s[58:59], s[54:55], 4
	s_add_u32 s58, s36, s58
	s_addc_u32 s59, s37, s59
	s_and_b32 s63, s57, 0xff000000
	s_mov_b32 s62, s55
	s_and_b32 s65, s57, 0xff0000
	s_mov_b32 s64, s55
	s_or_b64 s[62:63], s[64:65], s[62:63]
	s_and_b32 s65, s57, 0xff00
	s_or_b64 s[62:63], s[62:63], s[64:65]
	s_and_b32 s65, s57, 0xff
	s_or_b64 s[54:55], s[62:63], s[64:65]
	v_mov_b32_e32 v4, s56
	v_mov_b32_e32 v5, s55
	;; [unrolled: 1-line block ×3, first 2 shown]
	v_pk_mov_b32 v[2:3], s[58:59], s[58:59] op_sel:[0,1]
	;;#ASMSTART
	global_store_dwordx4 v[2:3], v[4:7] off	
s_waitcnt vmcnt(0)
	;;#ASMEND
.LBB70_71:
	s_or_b64 exec, exec, s[30:31]
	v_xad_u32 v14, v15, -1, s60
	v_add_u32_e32 v6, 64, v14
	v_lshlrev_b64 v[2:3], 4, v[6:7]
	v_mov_b32_e32 v4, s37
	v_add_co_u32_e32 v16, vcc, s36, v2
	v_addc_co_u32_e32 v17, vcc, v4, v3, vcc
	;;#ASMSTART
	global_load_dwordx4 v[2:5], v[16:17] off glc	
s_waitcnt vmcnt(0)
	;;#ASMEND
	v_and_b32_e32 v5, 0xff, v3
	v_and_b32_e32 v6, 0xff00, v3
	v_or3_b32 v5, 0, v5, v6
	v_or3_b32 v2, v2, 0, 0
	v_and_b32_e32 v6, 0xff000000, v3
	v_and_b32_e32 v3, 0xff0000, v3
	v_or3_b32 v3, v5, v3, v6
	v_or3_b32 v2, v2, 0, 0
	v_cmp_eq_u16_sdwa s[54:55], v4, v7 src0_sel:BYTE_0 src1_sel:DWORD
	s_and_saveexec_b64 s[30:31], s[54:55]
	s_cbranch_execz .LBB70_77
; %bb.72:
	s_mov_b32 s58, 1
	s_mov_b64 s[54:55], 0
	v_mov_b32_e32 v6, 0
.LBB70_73:                              ; =>This Loop Header: Depth=1
                                        ;     Child Loop BB70_74 Depth 2
	s_max_u32 s59, s58, 1
.LBB70_74:                              ;   Parent Loop BB70_73 Depth=1
                                        ; =>  This Inner Loop Header: Depth=2
	s_add_i32 s59, s59, -1
	s_cmp_eq_u32 s59, 0
	s_sleep 1
	s_cbranch_scc0 .LBB70_74
; %bb.75:                               ;   in Loop: Header=BB70_73 Depth=1
	s_cmp_lt_u32 s58, 32
	s_cselect_b64 s[62:63], -1, 0
	s_cmp_lg_u64 s[62:63], 0
	s_addc_u32 s58, s58, 0
	;;#ASMSTART
	global_load_dwordx4 v[2:5], v[16:17] off glc	
s_waitcnt vmcnt(0)
	;;#ASMEND
	v_cmp_ne_u16_sdwa s[62:63], v4, v6 src0_sel:BYTE_0 src1_sel:DWORD
	s_or_b64 s[54:55], s[62:63], s[54:55]
	s_andn2_b64 exec, exec, s[54:55]
	s_cbranch_execnz .LBB70_73
; %bb.76:
	s_or_b64 exec, exec, s[54:55]
.LBB70_77:
	s_or_b64 exec, exec, s[30:31]
	v_mov_b32_e32 v23, 2
	v_cmp_eq_u16_sdwa s[30:31], v4, v23 src0_sel:BYTE_0 src1_sel:DWORD
	v_lshlrev_b64 v[16:17], v15, -1
	v_and_b32_e32 v5, s31, v17
	v_and_b32_e32 v24, 63, v15
	v_or_b32_e32 v5, 0x80000000, v5
	v_cmp_ne_u32_e32 vcc, 63, v24
	v_and_b32_e32 v6, s30, v16
	v_ffbl_b32_e32 v5, v5
	v_addc_co_u32_e32 v7, vcc, 0, v15, vcc
	v_add_u32_e32 v5, 32, v5
	v_ffbl_b32_e32 v6, v6
	v_lshlrev_b32_e32 v25, 2, v7
	v_min_u32_e32 v5, v6, v5
	ds_bpermute_b32 v6, v25, v3
	v_cmp_eq_u32_e32 vcc, 0, v2
	v_cmp_lt_u32_e64 s[30:31], v24, v5
	ds_bpermute_b32 v7, v25, v2
	s_and_b64 vcc, s[30:31], vcc
	s_waitcnt lgkmcnt(1)
	v_cndmask_b32_e32 v6, 0, v6, vcc
	v_cmp_gt_u32_e32 vcc, 62, v24
	v_add_u32_e32 v3, v6, v3
	v_cndmask_b32_e64 v6, 0, 1, vcc
	v_lshlrev_b32_e32 v6, 1, v6
	v_add_lshl_u32 v26, v6, v15, 2
	s_waitcnt lgkmcnt(0)
	v_cndmask_b32_e64 v7, 0, v7, s[30:31]
	ds_bpermute_b32 v6, v26, v3
	v_add_u32_e32 v2, v7, v2
	ds_bpermute_b32 v7, v26, v2
	v_add_u32_e32 v27, 2, v24
	v_cmp_eq_u32_e32 vcc, 0, v2
	s_waitcnt lgkmcnt(1)
	v_cndmask_b32_e32 v6, 0, v6, vcc
	v_cmp_gt_u32_e32 vcc, v27, v5
	v_cndmask_b32_e64 v6, v6, 0, vcc
	v_add_u32_e32 v3, v6, v3
	s_waitcnt lgkmcnt(0)
	v_cndmask_b32_e64 v6, v7, 0, vcc
	v_cmp_gt_u32_e32 vcc, 60, v24
	v_cndmask_b32_e64 v7, 0, 1, vcc
	v_lshlrev_b32_e32 v7, 2, v7
	v_add_lshl_u32 v28, v7, v15, 2
	ds_bpermute_b32 v7, v28, v3
	v_add_u32_e32 v2, v2, v6
	ds_bpermute_b32 v6, v28, v2
	v_add_u32_e32 v29, 4, v24
	v_cmp_eq_u32_e32 vcc, 0, v2
	s_waitcnt lgkmcnt(1)
	v_cndmask_b32_e32 v7, 0, v7, vcc
	v_cmp_gt_u32_e32 vcc, v29, v5
	v_cndmask_b32_e64 v7, v7, 0, vcc
	s_waitcnt lgkmcnt(0)
	v_cndmask_b32_e64 v6, v6, 0, vcc
	v_cmp_gt_u32_e32 vcc, 56, v24
	v_add_u32_e32 v3, v3, v7
	v_cndmask_b32_e64 v7, 0, 1, vcc
	v_lshlrev_b32_e32 v7, 3, v7
	v_add_lshl_u32 v30, v7, v15, 2
	ds_bpermute_b32 v7, v30, v3
	v_add_u32_e32 v2, v2, v6
	ds_bpermute_b32 v6, v30, v2
	v_add_u32_e32 v31, 8, v24
	v_cmp_eq_u32_e32 vcc, 0, v2
	s_waitcnt lgkmcnt(1)
	v_cndmask_b32_e32 v7, 0, v7, vcc
	v_cmp_gt_u32_e32 vcc, v31, v5
	v_cndmask_b32_e64 v7, v7, 0, vcc
	s_waitcnt lgkmcnt(0)
	v_cndmask_b32_e64 v6, v6, 0, vcc
	v_cmp_gt_u32_e32 vcc, 48, v24
	v_add_u32_e32 v3, v3, v7
	;; [unrolled: 16-line block ×3, first 2 shown]
	v_cndmask_b32_e64 v7, 0, 1, vcc
	v_lshlrev_b32_e32 v7, 5, v7
	v_add_lshl_u32 v34, v7, v15, 2
	ds_bpermute_b32 v7, v34, v3
	v_add_u32_e32 v2, v2, v6
	ds_bpermute_b32 v6, v34, v2
	v_add_u32_e32 v35, 32, v24
	v_cmp_eq_u32_e32 vcc, 0, v2
	s_waitcnt lgkmcnt(1)
	v_cndmask_b32_e32 v7, 0, v7, vcc
	v_cmp_gt_u32_e32 vcc, v35, v5
	v_cndmask_b32_e64 v5, v7, 0, vcc
	v_add_u32_e32 v3, v5, v3
	s_waitcnt lgkmcnt(0)
	v_cndmask_b32_e64 v5, v6, 0, vcc
	v_add_u32_e32 v2, v5, v2
	v_mov_b32_e32 v15, 0
	s_branch .LBB70_79
.LBB70_78:                              ;   in Loop: Header=BB70_79 Depth=1
	s_or_b64 exec, exec, s[30:31]
	v_cmp_eq_u16_sdwa s[30:31], v4, v23 src0_sel:BYTE_0 src1_sel:DWORD
	v_and_b32_e32 v5, s31, v17
	v_or_b32_e32 v5, 0x80000000, v5
	v_and_b32_e32 v18, s30, v16
	v_ffbl_b32_e32 v5, v5
	v_add_u32_e32 v5, 32, v5
	v_ffbl_b32_e32 v18, v18
	v_min_u32_e32 v5, v18, v5
	ds_bpermute_b32 v18, v25, v3
	v_cmp_eq_u32_e32 vcc, 0, v2
	v_cmp_lt_u32_e64 s[30:31], v24, v5
	ds_bpermute_b32 v19, v25, v2
	s_and_b64 vcc, s[30:31], vcc
	s_waitcnt lgkmcnt(1)
	v_cndmask_b32_e32 v18, 0, v18, vcc
	v_add_u32_e32 v3, v18, v3
	ds_bpermute_b32 v18, v26, v3
	s_waitcnt lgkmcnt(1)
	v_cndmask_b32_e64 v19, 0, v19, s[30:31]
	v_add_u32_e32 v2, v19, v2
	v_cmp_eq_u32_e32 vcc, 0, v2
	ds_bpermute_b32 v19, v26, v2
	s_waitcnt lgkmcnt(1)
	v_cndmask_b32_e32 v18, 0, v18, vcc
	v_cmp_gt_u32_e32 vcc, v27, v5
	v_cndmask_b32_e64 v18, v18, 0, vcc
	v_add_u32_e32 v3, v18, v3
	ds_bpermute_b32 v18, v28, v3
	s_waitcnt lgkmcnt(1)
	v_cndmask_b32_e64 v19, v19, 0, vcc
	v_add_u32_e32 v2, v2, v19
	v_cmp_eq_u32_e32 vcc, 0, v2
	ds_bpermute_b32 v19, v28, v2
	s_waitcnt lgkmcnt(1)
	v_cndmask_b32_e32 v18, 0, v18, vcc
	v_cmp_gt_u32_e32 vcc, v29, v5
	v_cndmask_b32_e64 v18, v18, 0, vcc
	v_add_u32_e32 v3, v3, v18
	ds_bpermute_b32 v18, v30, v3
	s_waitcnt lgkmcnt(1)
	v_cndmask_b32_e64 v19, v19, 0, vcc
	v_add_u32_e32 v2, v2, v19
	ds_bpermute_b32 v19, v30, v2
	v_cmp_eq_u32_e32 vcc, 0, v2
	s_waitcnt lgkmcnt(1)
	v_cndmask_b32_e32 v18, 0, v18, vcc
	v_cmp_gt_u32_e32 vcc, v31, v5
	v_cndmask_b32_e64 v18, v18, 0, vcc
	v_add_u32_e32 v3, v3, v18
	ds_bpermute_b32 v18, v32, v3
	s_waitcnt lgkmcnt(1)
	v_cndmask_b32_e64 v19, v19, 0, vcc
	v_add_u32_e32 v2, v2, v19
	ds_bpermute_b32 v19, v32, v2
	v_cmp_eq_u32_e32 vcc, 0, v2
	;; [unrolled: 11-line block ×3, first 2 shown]
	s_waitcnt lgkmcnt(1)
	v_cndmask_b32_e32 v18, 0, v18, vcc
	v_cmp_gt_u32_e32 vcc, v35, v5
	v_cndmask_b32_e64 v5, v18, 0, vcc
	v_add_u32_e32 v3, v5, v3
	s_waitcnt lgkmcnt(0)
	v_cndmask_b32_e64 v5, v19, 0, vcc
	v_cmp_eq_u32_e32 vcc, 0, v6
	v_cndmask_b32_e32 v3, 0, v3, vcc
	v_subrev_u32_e32 v14, 64, v14
	v_add3_u32 v2, v2, v6, v5
	v_add_u32_e32 v3, v3, v7
.LBB70_79:                              ; =>This Loop Header: Depth=1
                                        ;     Child Loop BB70_82 Depth 2
                                        ;       Child Loop BB70_83 Depth 3
	v_cmp_ne_u16_sdwa s[30:31], v4, v23 src0_sel:BYTE_0 src1_sel:DWORD
	v_mov_b32_e32 v7, v3
	v_cndmask_b32_e64 v3, 0, 1, s[30:31]
	;;#ASMSTART
	;;#ASMEND
	v_cmp_ne_u32_e32 vcc, 0, v3
	s_cmp_lg_u64 vcc, exec
	v_mov_b32_e32 v6, v2
	s_cbranch_scc1 .LBB70_86
; %bb.80:                               ;   in Loop: Header=BB70_79 Depth=1
	v_lshlrev_b64 v[2:3], 4, v[14:15]
	v_mov_b32_e32 v4, s37
	v_add_co_u32_e32 v18, vcc, s36, v2
	v_addc_co_u32_e32 v19, vcc, v4, v3, vcc
	;;#ASMSTART
	global_load_dwordx4 v[2:5], v[18:19] off glc	
s_waitcnt vmcnt(0)
	;;#ASMEND
	v_and_b32_e32 v5, 0xff, v3
	v_and_b32_e32 v36, 0xff00, v3
	v_or3_b32 v5, 0, v5, v36
	v_or3_b32 v2, v2, 0, 0
	v_and_b32_e32 v36, 0xff000000, v3
	v_and_b32_e32 v3, 0xff0000, v3
	v_or3_b32 v3, v5, v3, v36
	v_or3_b32 v2, v2, 0, 0
	v_cmp_eq_u16_sdwa s[54:55], v4, v15 src0_sel:BYTE_0 src1_sel:DWORD
	s_and_saveexec_b64 s[30:31], s[54:55]
	s_cbranch_execz .LBB70_78
; %bb.81:                               ;   in Loop: Header=BB70_79 Depth=1
	s_mov_b32 s58, 1
	s_mov_b64 s[54:55], 0
.LBB70_82:                              ;   Parent Loop BB70_79 Depth=1
                                        ; =>  This Loop Header: Depth=2
                                        ;       Child Loop BB70_83 Depth 3
	s_max_u32 s59, s58, 1
.LBB70_83:                              ;   Parent Loop BB70_79 Depth=1
                                        ;     Parent Loop BB70_82 Depth=2
                                        ; =>    This Inner Loop Header: Depth=3
	s_add_i32 s59, s59, -1
	s_cmp_eq_u32 s59, 0
	s_sleep 1
	s_cbranch_scc0 .LBB70_83
; %bb.84:                               ;   in Loop: Header=BB70_82 Depth=2
	s_cmp_lt_u32 s58, 32
	s_cselect_b64 s[62:63], -1, 0
	s_cmp_lg_u64 s[62:63], 0
	s_addc_u32 s58, s58, 0
	;;#ASMSTART
	global_load_dwordx4 v[2:5], v[18:19] off glc	
s_waitcnt vmcnt(0)
	;;#ASMEND
	v_cmp_ne_u16_sdwa s[62:63], v4, v15 src0_sel:BYTE_0 src1_sel:DWORD
	s_or_b64 s[54:55], s[62:63], s[54:55]
	s_andn2_b64 exec, exec, s[54:55]
	s_cbranch_execnz .LBB70_82
; %bb.85:                               ;   in Loop: Header=BB70_79 Depth=1
	s_or_b64 exec, exec, s[54:55]
	s_branch .LBB70_78
.LBB70_86:                              ;   in Loop: Header=BB70_79 Depth=1
                                        ; implicit-def: $vgpr3
                                        ; implicit-def: $vgpr2
                                        ; implicit-def: $vgpr4
	s_cbranch_execz .LBB70_79
; %bb.87:
	s_and_saveexec_b64 s[30:31], s[28:29]
	s_cbranch_execz .LBB70_89
; %bb.88:
	s_cmp_eq_u32 s56, 0
	s_cselect_b64 vcc, -1, 0
	s_mov_b32 s55, 0
	v_cndmask_b32_e32 v2, 0, v7, vcc
	s_add_i32 s54, s60, 64
	v_add_u32_e32 v2, s57, v2
	s_lshl_b64 s[54:55], s[54:55], 4
	s_add_u32 s54, s36, s54
	v_and_b32_e32 v3, 0xff000000, v2
	v_and_b32_e32 v4, 0xff0000, v2
	s_addc_u32 s55, s37, s55
	v_or_b32_e32 v3, v4, v3
	v_and_b32_e32 v4, 0xff00, v2
	v_and_b32_e32 v2, 0xff, v2
	v_add_u32_e32 v14, s56, v6
	v_mov_b32_e32 v17, 0
	v_or3_b32 v15, v3, v4, v2
	v_mov_b32_e32 v16, 2
	v_pk_mov_b32 v[2:3], s[54:55], s[54:55] op_sel:[0,1]
	;;#ASMSTART
	global_store_dwordx4 v[2:3], v[14:17] off	
s_waitcnt vmcnt(0)
	;;#ASMEND
	v_mov_b32_e32 v4, s56
	v_mov_b32_e32 v5, s57
	ds_write_b128 v17, v[4:7] offset:512
.LBB70_89:
	s_or_b64 exec, exec, s[30:31]
	s_and_b64 exec, exec, s[0:1]
	s_cbranch_execz .LBB70_91
; %bb.90:
	v_mov_b32_e32 v2, 0
	ds_write_b64 v2, v[6:7] offset:552
.LBB70_91:
	s_or_b64 exec, exec, s[48:49]
	v_mov_b32_e32 v4, 0
	s_waitcnt lgkmcnt(0)
	s_barrier
	ds_read_b64 v[2:3], v4 offset:552
	v_cndmask_b32_e64 v6, v20, v12, s[28:29]
	v_cmp_eq_u32_e32 vcc, 0, v6
	v_cndmask_b32_e64 v5, v22, v13, s[28:29]
	s_waitcnt lgkmcnt(0)
	v_cndmask_b32_e32 v7, 0, v3, vcc
	v_add_u32_e32 v5, v7, v5
	v_cndmask_b32_e64 v51, v5, v3, s[0:1]
	v_cndmask_b32_e64 v3, v6, 0, s[0:1]
	v_cmp_eq_u32_e32 vcc, 0, v78
	v_add_u32_e32 v50, v2, v3
	v_cndmask_b32_e32 v2, 0, v51, vcc
	v_add_u32_e32 v49, v2, v52
	v_cndmask_b32_e64 v2, 0, v49, s[26:27]
	v_add_u32_e32 v47, v2, v52
	v_cndmask_b32_e64 v2, 0, v47, s[24:25]
	;; [unrolled: 2-line block ×7, first 2 shown]
	v_add_u32_e32 v48, v50, v78
	v_add_u32_e32 v35, v2, v52
	v_add_u32_e32 v46, v48, v77
	v_cndmask_b32_e64 v2, 0, v35, s[12:13]
	v_add_u32_e32 v44, v46, v76
	v_add_u32_e32 v33, v2, v52
	v_add_u32_e32 v42, v44, v75
	v_cndmask_b32_e64 v2, 0, v33, s[10:11]
	v_add_u32_e32 v40, v42, v74
	v_add_u32_e32 v31, v2, v52
	v_add_u32_e32 v38, v40, v73
	v_cndmask_b32_e64 v2, 0, v31, s[8:9]
	v_add_u32_e32 v36, v38, v72
	v_add_u32_e32 v29, v2, v52
	s_barrier
	ds_read_b128 v[16:19], v4 offset:512
	v_add_u32_e32 v34, v36, v71
	v_cndmask_b32_e64 v2, 0, v29, s[6:7]
	v_add_u32_e32 v32, v34, v70
	v_add_u32_e32 v27, v2, v52
	v_add_u32_e32 v30, v32, v69
	v_cndmask_b32_e64 v2, 0, v27, s[4:5]
	v_add_u32_e32 v28, v30, v68
	v_add_u32_e32 v23, v2, v52
	;; [unrolled: 1-line block ×3, first 2 shown]
	v_cndmask_b32_e64 v2, 0, v23, s[2:3]
	s_waitcnt lgkmcnt(0)
	v_cmp_eq_u32_e32 vcc, 0, v16
	v_add_u32_e32 v22, v26, v66
	v_add_u32_e32 v25, v2, v52
	v_cndmask_b32_e32 v2, 0, v19, vcc
	v_add_u32_e32 v24, v22, v65
	v_add_u32_e32 v20, v2, v17
	s_branch .LBB70_104
.LBB70_92:
                                        ; implicit-def: $vgpr16
                                        ; implicit-def: $vgpr20
                                        ; implicit-def: $vgpr24_vgpr25
                                        ; implicit-def: $vgpr22_vgpr23
                                        ; implicit-def: $vgpr26_vgpr27
                                        ; implicit-def: $vgpr28_vgpr29
                                        ; implicit-def: $vgpr50_vgpr51
                                        ; implicit-def: $vgpr48_vgpr49
                                        ; implicit-def: $vgpr46_vgpr47
                                        ; implicit-def: $vgpr44_vgpr45
                                        ; implicit-def: $vgpr42_vgpr43
                                        ; implicit-def: $vgpr40_vgpr41
                                        ; implicit-def: $vgpr38_vgpr39
                                        ; implicit-def: $vgpr36_vgpr37
                                        ; implicit-def: $vgpr34_vgpr35
                                        ; implicit-def: $vgpr32_vgpr33
                                        ; implicit-def: $vgpr30_vgpr31
	s_cbranch_execz .LBB70_104
; %bb.93:
	s_and_b64 s[2:3], s[38:39], exec
	s_cselect_b32 s3, 0, s35
	s_cselect_b32 s2, 0, s34
	s_cmp_eq_u64 s[2:3], 0
	v_mov_b32_e32 v6, v52
	s_cbranch_scc1 .LBB70_95
; %bb.94:
	v_mov_b32_e32 v2, 0
	global_load_dword v6, v2, s[2:3]
.LBB70_95:
	v_cmp_eq_u32_e64 s[2:3], 0, v77
	v_cndmask_b32_e64 v2, 0, v52, s[2:3]
	v_add_u32_e32 v2, v2, v52
	v_cmp_eq_u32_e64 s[4:5], 0, v76
	v_cndmask_b32_e64 v2, 0, v2, s[4:5]
	v_add_u32_e32 v2, v2, v52
	;; [unrolled: 3-line block ×11, first 2 shown]
	v_cmp_eq_u32_e64 s[24:25], 0, v66
	v_cndmask_b32_e64 v2, 0, v2, s[24:25]
	v_add3_u32 v3, v81, v73, v72
	v_add_u32_e32 v2, v2, v52
	v_cmp_eq_u32_e32 vcc, 0, v65
	v_add3_u32 v3, v3, v71, v70
	v_cndmask_b32_e32 v2, 0, v2, vcc
	v_add3_u32 v3, v3, v69, v68
	v_add_u32_e32 v2, v2, v52
	v_cmp_eq_u32_e64 s[26:27], 0, v64
	v_add3_u32 v3, v3, v67, v66
	v_cndmask_b32_e64 v2, 0, v2, s[26:27]
	v_add3_u32 v3, v3, v65, v64
	v_add_u32_e32 v2, v2, v53
	v_mbcnt_hi_u32_b32 v7, -1, v80
	v_and_b32_e32 v4, 15, v7
	v_mov_b32_dpp v12, v2 row_shr:1 row_mask:0xf bank_mask:0xf
	v_cmp_eq_u32_e64 s[26:27], 0, v3
	v_mov_b32_dpp v5, v3 row_shr:1 row_mask:0xf bank_mask:0xf
	v_cndmask_b32_e64 v12, 0, v12, s[26:27]
	v_cmp_eq_u32_e64 s[26:27], 0, v4
	v_cndmask_b32_e64 v5, v5, 0, s[26:27]
	v_add_u32_e32 v3, v5, v3
	v_cndmask_b32_e64 v5, v12, 0, s[26:27]
	v_add_u32_e32 v2, v5, v2
	v_cmp_eq_u32_e64 s[26:27], 0, v3
	v_mov_b32_dpp v5, v3 row_shr:2 row_mask:0xf bank_mask:0xf
	v_cmp_lt_u32_e64 s[28:29], 1, v4
	v_mov_b32_dpp v12, v2 row_shr:2 row_mask:0xf bank_mask:0xf
	v_cndmask_b32_e64 v5, 0, v5, s[28:29]
	s_and_b64 s[26:27], s[28:29], s[26:27]
	v_cndmask_b32_e64 v12, 0, v12, s[26:27]
	v_add_u32_e32 v3, v3, v5
	v_add_u32_e32 v2, v12, v2
	v_cmp_eq_u32_e64 s[26:27], 0, v3
	v_mov_b32_dpp v5, v3 row_shr:4 row_mask:0xf bank_mask:0xf
	v_cmp_lt_u32_e64 s[28:29], 3, v4
	v_mov_b32_dpp v12, v2 row_shr:4 row_mask:0xf bank_mask:0xf
	v_cndmask_b32_e64 v5, 0, v5, s[28:29]
	s_and_b64 s[26:27], s[28:29], s[26:27]
	v_cndmask_b32_e64 v12, 0, v12, s[26:27]
	v_add_u32_e32 v3, v5, v3
	v_add_u32_e32 v2, v2, v12
	v_cmp_eq_u32_e64 s[26:27], 0, v3
	v_cmp_lt_u32_e64 s[28:29], 7, v4
	v_mov_b32_dpp v5, v3 row_shr:8 row_mask:0xf bank_mask:0xf
	v_mov_b32_dpp v12, v2 row_shr:8 row_mask:0xf bank_mask:0xf
	s_and_b64 s[26:27], s[28:29], s[26:27]
	v_cndmask_b32_e64 v4, 0, v5, s[28:29]
	v_cndmask_b32_e64 v5, 0, v12, s[26:27]
	v_add_u32_e32 v2, v5, v2
	v_add_u32_e32 v3, v4, v3
	v_bfe_i32 v12, v7, 4, 1
	v_mov_b32_dpp v5, v2 row_bcast:15 row_mask:0xf bank_mask:0xf
	v_mov_b32_dpp v4, v3 row_bcast:15 row_mask:0xf bank_mask:0xf
	v_cmp_eq_u32_e64 s[26:27], 0, v3
	v_cndmask_b32_e64 v5, 0, v5, s[26:27]
	v_and_b32_e32 v4, v12, v4
	v_add_u32_e32 v3, v4, v3
	v_and_b32_e32 v4, v12, v5
	v_add_u32_e32 v4, v4, v2
	v_mov_b32_dpp v2, v3 row_bcast:31 row_mask:0xf bank_mask:0xf
	v_cmp_eq_u32_e64 s[26:27], 0, v3
	v_cmp_lt_u32_e64 s[28:29], 31, v7
	v_mov_b32_dpp v5, v4 row_bcast:31 row_mask:0xf bank_mask:0xf
	v_cndmask_b32_e64 v2, 0, v2, s[28:29]
	s_and_b64 s[26:27], s[28:29], s[26:27]
	v_add_u32_e32 v2, v2, v3
	v_cndmask_b32_e64 v3, 0, v5, s[26:27]
	v_add_u32_e32 v3, v3, v4
	v_cmp_eq_u32_e64 s[26:27], v79, v0
	s_and_saveexec_b64 s[28:29], s[26:27]
	s_cbranch_execz .LBB70_97
; %bb.96:
	v_lshlrev_b32_e32 v4, 3, v54
	ds_write_b64 v4, v[2:3] offset:528
.LBB70_97:
	s_or_b64 exec, exec, s[28:29]
	v_cmp_gt_u32_e64 s[26:27], 4, v0
	s_waitcnt lgkmcnt(0)
	s_barrier
	s_and_saveexec_b64 s[30:31], s[26:27]
	s_cbranch_execz .LBB70_99
; %bb.98:
	v_lshlrev_b32_e32 v12, 3, v0
	ds_read_b64 v[4:5], v12 offset:528
	v_and_b32_e32 v13, 3, v7
	v_cmp_lt_u32_e64 s[28:29], 1, v13
	s_waitcnt lgkmcnt(0)
	v_mov_b32_dpp v15, v5 row_shr:1 row_mask:0xf bank_mask:0xf
	v_cmp_eq_u32_e64 s[26:27], 0, v4
	v_mov_b32_dpp v14, v4 row_shr:1 row_mask:0xf bank_mask:0xf
	v_cndmask_b32_e64 v15, 0, v15, s[26:27]
	v_cmp_eq_u32_e64 s[26:27], 0, v13
	v_cndmask_b32_e64 v14, v14, 0, s[26:27]
	v_add_u32_e32 v4, v14, v4
	v_cndmask_b32_e64 v14, v15, 0, s[26:27]
	v_add_u32_e32 v5, v14, v5
	v_cmp_eq_u32_e64 s[26:27], 0, v4
	v_mov_b32_dpp v14, v4 row_shr:2 row_mask:0xf bank_mask:0xf
	v_mov_b32_dpp v15, v5 row_shr:2 row_mask:0xf bank_mask:0xf
	v_cndmask_b32_e64 v13, 0, v14, s[28:29]
	s_and_b64 s[26:27], s[28:29], s[26:27]
	v_add_u32_e32 v4, v13, v4
	v_cndmask_b32_e64 v13, 0, v15, s[26:27]
	v_add_u32_e32 v5, v13, v5
	ds_write_b64 v12, v[4:5] offset:528
.LBB70_99:
	s_or_b64 exec, exec, s[30:31]
	v_cmp_lt_u32_e64 s[26:27], 63, v0
	v_mov_b32_e32 v12, 0
	v_mov_b32_e32 v4, 0
	s_waitcnt vmcnt(0)
	v_mov_b32_e32 v5, v6
	s_waitcnt lgkmcnt(0)
	s_barrier
	s_and_saveexec_b64 s[28:29], s[26:27]
	s_cbranch_execz .LBB70_101
; %bb.100:
	v_lshlrev_b32_e32 v4, 3, v54
	ds_read_b64 v[4:5], v4 offset:520
	s_waitcnt lgkmcnt(0)
	v_cmp_eq_u32_e64 s[26:27], 0, v4
	v_cndmask_b32_e64 v13, 0, v6, s[26:27]
	v_add_u32_e32 v5, v13, v5
.LBB70_101:
	s_or_b64 exec, exec, s[28:29]
	v_cmp_eq_u32_e64 s[26:27], 0, v2
	v_add_u32_e32 v13, v4, v2
	v_cndmask_b32_e64 v2, 0, v5, s[26:27]
	v_add_u32_e32 v2, v2, v3
	v_add_u32_e32 v3, -1, v7
	v_and_b32_e32 v14, 64, v7
	v_cmp_lt_i32_e64 s[26:27], v3, v14
	v_cndmask_b32_e64 v3, v3, v7, s[26:27]
	v_lshlrev_b32_e32 v3, 2, v3
	ds_bpermute_b32 v2, v3, v2
	ds_bpermute_b32 v13, v3, v13
	v_cmp_eq_u32_e64 s[26:27], 0, v7
	ds_read_b64 v[16:17], v12 offset:552
	s_waitcnt lgkmcnt(2)
	v_cndmask_b32_e64 v2, v2, v5, s[26:27]
	s_waitcnt lgkmcnt(1)
	v_cndmask_b32_e64 v3, v13, v4, s[26:27]
	v_cndmask_b32_e64 v51, v2, v6, s[0:1]
	v_cmp_eq_u32_e64 s[26:27], 0, v78
	v_cndmask_b32_e64 v2, 0, v51, s[26:27]
	v_add_u32_e32 v49, v2, v52
	v_cndmask_b32_e64 v2, 0, v49, s[2:3]
	v_add_u32_e32 v47, v2, v52
	;; [unrolled: 2-line block ×7, first 2 shown]
	v_cndmask_b32_e64 v50, v3, 0, s[0:1]
	v_cndmask_b32_e64 v2, 0, v37, s[14:15]
	v_add_u32_e32 v48, v50, v78
	v_add_u32_e32 v35, v2, v52
	v_add_u32_e32 v46, v48, v77
	v_cndmask_b32_e64 v2, 0, v35, s[16:17]
	v_add_u32_e32 v44, v46, v76
	v_add_u32_e32 v33, v2, v52
	v_add_u32_e32 v42, v44, v75
	;; [unrolled: 4-line block ×6, first 2 shown]
	v_cndmask_b32_e32 v2, 0, v23, vcc
	s_waitcnt lgkmcnt(0)
	v_cmp_eq_u32_e32 vcc, 0, v16
	v_add_u32_e32 v22, v26, v66
	v_add_u32_e32 v25, v2, v52
	v_cndmask_b32_e32 v2, 0, v6, vcc
	v_add_u32_e32 v24, v22, v65
	v_add_u32_e32 v20, v2, v17
	s_and_saveexec_b64 s[2:3], s[0:1]
	s_cbranch_execz .LBB70_103
; %bb.102:
	s_add_u32 s4, s36, 0x400
	v_and_b32_e32 v2, 0xff000000, v20
	v_and_b32_e32 v3, 0xff0000, v20
	s_addc_u32 s5, s37, 0
	v_or_b32_e32 v2, v3, v2
	v_and_b32_e32 v3, 0xff00, v20
	v_and_b32_e32 v4, 0xff, v20
	v_mov_b32_e32 v19, 0
	v_or3_b32 v17, v2, v3, v4
	v_mov_b32_e32 v18, 2
	v_pk_mov_b32 v[2:3], s[4:5], s[4:5] op_sel:[0,1]
	;;#ASMSTART
	global_store_dwordx4 v[2:3], v[16:19] off	
s_waitcnt vmcnt(0)
	;;#ASMEND
.LBB70_103:
	s_or_b64 exec, exec, s[2:3]
	v_mov_b32_e32 v18, 0
.LBB70_104:
	s_and_b64 s[2:3], s[38:39], exec
	s_cselect_b32 s3, 0, s51
	s_cselect_b32 s2, 0, s50
	s_cmp_eq_u64 s[2:3], 0
	v_pk_mov_b32 v[52:53], 0, 0
	s_barrier
	s_cbranch_scc1 .LBB70_106
; %bb.105:
	v_mov_b32_e32 v2, 0
	global_load_dwordx2 v[52:53], v2, s[2:3]
.LBB70_106:
	v_mov_b32_e32 v2, s45
	s_waitcnt vmcnt(0)
	v_add_co_u32_e32 v3, vcc, s44, v52
	v_addc_co_u32_e32 v2, vcc, v2, v53, vcc
	v_add_co_u32_e32 v54, vcc, v3, v18
	v_addc_co_u32_e32 v17, vcc, 0, v2, vcc
	v_cmp_eq_u32_e32 vcc, 0, v78
	v_cndmask_b32_e64 v2, 1, 2, vcc
	v_cmp_eq_u32_e32 vcc, 0, v77
	v_cndmask_b32_e64 v3, 1, 2, vcc
	v_cmp_eq_u32_e32 vcc, 0, v76
	v_and_b32_e32 v2, v3, v2
	v_cndmask_b32_e64 v3, 1, 2, vcc
	v_cmp_eq_u32_e32 vcc, 0, v75
	v_and_b32_e32 v2, v2, v3
	;; [unrolled: 3-line block ×13, first 2 shown]
	v_cndmask_b32_e64 v3, 1, 2, vcc
	s_movk_i32 s34, 0x100
	v_and_b32_e32 v2, v2, v3
	v_cmp_gt_u32_e32 vcc, s34, v16
	v_mov_b32_e32 v19, 0
	v_cmp_ne_u32_e64 s[30:31], 0, v78
	v_cmp_ne_u32_e64 s[28:29], 0, v77
	v_cmp_ne_u32_e64 s[26:27], 0, v76
	v_cmp_ne_u32_e64 s[24:25], 0, v75
	v_cmp_ne_u32_e64 s[22:23], 0, v74
	v_cmp_ne_u32_e64 s[20:21], 0, v73
	v_cmp_ne_u32_e64 s[18:19], 0, v72
	v_cmp_ne_u32_e64 s[16:17], 0, v71
	v_cmp_ne_u32_e64 s[14:15], 0, v70
	v_cmp_ne_u32_e64 s[12:13], 0, v69
	v_cmp_ne_u32_e64 s[10:11], 0, v68
	v_cmp_ne_u32_e64 s[8:9], 0, v67
	v_cmp_ne_u32_e64 s[6:7], 0, v66
	v_cmp_ne_u32_e64 s[4:5], 0, v65
	v_cmp_ne_u32_e64 s[2:3], 0, v64
	s_mov_b64 s[36:37], -1
	v_cmp_gt_i16_e64 s[34:35], 2, v2
	s_cbranch_vccz .LBB70_113
; %bb.107:
	s_and_saveexec_b64 s[36:37], s[34:35]
	s_cbranch_execz .LBB70_112
; %bb.108:
	v_cmp_ne_u16_e32 vcc, 1, v2
	s_mov_b64 s[38:39], 0
	s_and_saveexec_b64 s[34:35], vcc
	s_xor_b64 s[34:35], exec, s[34:35]
	s_cbranch_execnz .LBB70_156
; %bb.109:
	s_andn2_saveexec_b64 s[34:35], s[34:35]
	s_cbranch_execnz .LBB70_172
.LBB70_110:
	s_or_b64 exec, exec, s[34:35]
	s_and_b64 exec, exec, s[38:39]
	s_cbranch_execz .LBB70_112
.LBB70_111:
	v_sub_u32_e32 v3, v24, v18
	v_readfirstlane_b32 s34, v54
	v_readfirstlane_b32 s35, v17
	s_nop 4
	global_store_byte v3, v1, s[34:35]
.LBB70_112:
	s_or_b64 exec, exec, s[36:37]
	s_mov_b64 s[36:37], 0
.LBB70_113:
	s_and_b64 vcc, exec, s[36:37]
	s_cbranch_vccz .LBB70_134
; %bb.114:
	v_cmp_gt_i16_e32 vcc, 2, v2
	s_and_saveexec_b64 s[34:35], vcc
	s_cbranch_execz .LBB70_119
; %bb.115:
	v_cmp_ne_u16_e32 vcc, 1, v2
	s_mov_b64 s[38:39], 0
	s_and_saveexec_b64 s[36:37], vcc
	s_xor_b64 s[36:37], exec, s[36:37]
	s_cbranch_execnz .LBB70_173
; %bb.116:
	s_andn2_saveexec_b64 s[2:3], s[36:37]
	s_cbranch_execnz .LBB70_189
.LBB70_117:
	s_or_b64 exec, exec, s[2:3]
	s_and_b64 exec, exec, s[38:39]
	s_cbranch_execz .LBB70_119
.LBB70_118:
	v_sub_u32_e32 v2, v24, v18
	ds_write_b8 v2, v1
.LBB70_119:
	s_or_b64 exec, exec, s[34:35]
	v_cmp_lt_u32_e32 vcc, v0, v16
	s_waitcnt lgkmcnt(0)
	s_barrier
	s_and_saveexec_b64 s[2:3], vcc
	s_cbranch_execz .LBB70_133
; %bb.120:
	v_xad_u32 v2, v0, -1, v16
	s_movk_i32 s4, 0x1700
	s_movk_i32 s6, 0x16ff
	v_cmp_gt_u32_e64 s[4:5], s4, v2
	v_cmp_lt_u32_e32 vcc, s6, v2
	v_mov_b32_e32 v1, v0
	s_and_saveexec_b64 s[6:7], vcc
	s_cbranch_execz .LBB70_130
; %bb.121:
	v_sub_u32_e32 v1, v0, v16
	v_or_b32_e32 v1, 0xff, v1
	v_cmp_ge_u32_e32 vcc, v1, v0
	s_mov_b64 s[10:11], -1
	v_mov_b32_e32 v1, v0
	s_and_saveexec_b64 s[8:9], vcc
	s_cbranch_execz .LBB70_129
; %bb.122:
	v_lshrrev_b32_e32 v21, 8, v2
	v_or_b32_e32 v7, 0x700, v0
	v_or_b32_e32 v6, 0x600, v0
	;; [unrolled: 1-line block ×7, first 2 shown]
	v_add_u32_e32 v55, -7, v21
	v_pk_mov_b32 v[14:15], v[6:7], v[6:7] op_sel:[0,1]
	v_cmp_lt_u32_e32 vcc, 7, v55
	v_mov_b32_e32 v58, 0
	v_pk_mov_b32 v[12:13], v[4:5], v[4:5] op_sel:[0,1]
	v_pk_mov_b32 v[10:11], v[2:3], v[2:3] op_sel:[0,1]
	v_pk_mov_b32 v[8:9], v[0:1], v[0:1] op_sel:[0,1]
	s_and_saveexec_b64 s[10:11], vcc
	s_cbranch_execz .LBB70_126
; %bb.123:
	v_lshrrev_b32_e32 v8, 3, v55
	v_add_u32_e32 v8, 1, v8
	v_and_b32_e32 v56, 0x3ffffffe, v8
	v_pk_mov_b32 v[14:15], v[6:7], v[6:7] op_sel:[0,1]
	s_mov_b32 s14, 0
	s_mov_b64 s[12:13], 0
	v_mov_b32_e32 v57, v0
	v_pk_mov_b32 v[12:13], v[4:5], v[4:5] op_sel:[0,1]
	v_pk_mov_b32 v[10:11], v[2:3], v[2:3] op_sel:[0,1]
	;; [unrolled: 1-line block ×3, first 2 shown]
.LBB70_124:                             ; =>This Inner Loop Header: Depth=1
	v_add_co_u32_e32 v2, vcc, v54, v8
	v_addc_co_u32_e32 v3, vcc, 0, v17, vcc
	v_add_co_u32_e32 v4, vcc, v54, v9
	v_addc_co_u32_e32 v5, vcc, 0, v17, vcc
	;; [unrolled: 2-line block ×8, first 2 shown]
	v_add_u32_e32 v86, 0x800, v8
	v_add_co_u32_e32 v86, vcc, v54, v86
	v_add_u32_e32 v88, 0x800, v9
	v_addc_co_u32_e32 v87, vcc, 0, v17, vcc
	v_add_co_u32_e32 v88, vcc, v54, v88
	v_add_u32_e32 v90, 0x800, v10
	v_addc_co_u32_e32 v89, vcc, 0, v17, vcc
	;; [unrolled: 3-line block ×6, first 2 shown]
	v_add_co_u32_e32 v98, vcc, v54, v98
	ds_read_u8 v1, v57
	ds_read_u8 v59, v57 offset:256
	ds_read_u8 v79, v57 offset:512
	ds_read_u8 v102, v57 offset:768
	ds_read_u8 v103, v57 offset:1024
	ds_read_u8 v104, v57 offset:1280
	ds_read_u8 v105, v57 offset:1536
	ds_read_u8 v106, v57 offset:1792
	v_add_u32_e32 v58, 0x800, v15
	ds_read_u8 v107, v57 offset:2048
	ds_read_u8 v108, v57 offset:2304
	;; [unrolled: 1-line block ×8, first 2 shown]
	v_addc_co_u32_e32 v99, vcc, 0, v17, vcc
	v_add_co_u32_e32 v100, vcc, v54, v58
	v_add_u32_e32 v56, -2, v56
	v_addc_co_u32_e32 v101, vcc, 0, v17, vcc
	s_add_i32 s14, s14, 16
	v_cmp_eq_u32_e32 vcc, 0, v56
	v_add_u32_e32 v15, 0x1000, v15
	v_add_u32_e32 v14, 0x1000, v14
	;; [unrolled: 1-line block ×9, first 2 shown]
	v_mov_b32_e32 v58, s14
	s_or_b64 s[12:13], vcc, s[12:13]
	s_waitcnt lgkmcnt(14)
	global_store_byte v[2:3], v1, off
	global_store_byte v[4:5], v59, off
	s_waitcnt lgkmcnt(13)
	global_store_byte v[6:7], v79, off
	s_waitcnt lgkmcnt(12)
	;; [unrolled: 2-line block ×14, first 2 shown]
	global_store_byte v[100:101], v114, off
	s_andn2_b64 exec, exec, s[12:13]
	s_cbranch_execnz .LBB70_124
; %bb.125:
	s_or_b64 exec, exec, s[12:13]
.LBB70_126:
	s_or_b64 exec, exec, s[10:11]
	v_and_b32_e32 v1, 8, v55
	v_cmp_eq_u32_e32 vcc, 0, v1
	s_and_saveexec_b64 s[10:11], vcc
	s_cbranch_execz .LBB70_128
; %bb.127:
	v_add_co_u32_e32 v2, vcc, v54, v8
	v_addc_co_u32_e32 v3, vcc, 0, v17, vcc
	v_add_co_u32_e32 v4, vcc, v54, v9
	v_addc_co_u32_e32 v5, vcc, 0, v17, vcc
	;; [unrolled: 2-line block ×4, first 2 shown]
	v_add_co_u32_e32 v10, vcc, v54, v12
	v_lshl_or_b32 v1, v58, 8, v0
	v_addc_co_u32_e32 v11, vcc, 0, v17, vcc
	ds_read_u8 v55, v1
	ds_read_u8 v58, v1 offset:256
	ds_read_u8 v59, v1 offset:512
	;; [unrolled: 1-line block ×7, first 2 shown]
	v_add_co_u32_e32 v12, vcc, v54, v13
	v_addc_co_u32_e32 v13, vcc, 0, v17, vcc
	v_add_co_u32_e32 v56, vcc, v54, v14
	v_addc_co_u32_e32 v57, vcc, 0, v17, vcc
	;; [unrolled: 2-line block ×3, first 2 shown]
	s_waitcnt lgkmcnt(7)
	global_store_byte v[2:3], v55, off
	s_waitcnt lgkmcnt(6)
	global_store_byte v[4:5], v58, off
	;; [unrolled: 2-line block ×8, first 2 shown]
.LBB70_128:
	s_or_b64 exec, exec, s[10:11]
	v_add_u32_e32 v2, 1, v21
	v_and_b32_e32 v3, 0x1fffff8, v2
	v_cmp_ne_u32_e32 vcc, v2, v3
	v_lshl_or_b32 v1, v3, 8, v0
	s_orn2_b64 s[10:11], vcc, exec
.LBB70_129:
	s_or_b64 exec, exec, s[8:9]
	s_andn2_b64 s[4:5], s[4:5], exec
	s_and_b64 s[8:9], s[10:11], exec
	s_or_b64 s[4:5], s[4:5], s[8:9]
.LBB70_130:
	s_or_b64 exec, exec, s[6:7]
	s_and_b64 exec, exec, s[4:5]
	s_cbranch_execz .LBB70_133
; %bb.131:
	s_mov_b64 s[4:5], 0
.LBB70_132:                             ; =>This Inner Loop Header: Depth=1
	ds_read_u8 v2, v1
	v_readfirstlane_b32 s6, v54
	v_readfirstlane_b32 s7, v17
	s_waitcnt lgkmcnt(0)
	s_nop 3
	global_store_byte v1, v2, s[6:7]
	v_add_u32_e32 v1, 0x100, v1
	v_cmp_ge_u32_e32 vcc, v1, v16
	s_or_b64 s[4:5], vcc, s[4:5]
	s_andn2_b64 exec, exec, s[4:5]
	s_cbranch_execnz .LBB70_132
.LBB70_133:
	s_or_b64 exec, exec, s[2:3]
.LBB70_134:
	s_cmpk_lg_i32 s33, 0xf00
	s_cselect_b64 s[2:3], -1, 0
	v_cndmask_b32_e64 v8, 0, 1, s[42:43]
	s_and_b64 s[2:3], s[2:3], s[40:41]
	v_sub_u32_e32 v1, v16, v8
	v_cndmask_b32_e64 v2, 0, 1, s[2:3]
	s_and_b64 s[0:1], s[0:1], s[42:43]
	v_add_u32_e32 v1, v1, v2
	v_cndmask_b32_e64 v2, v78, 0, s[0:1]
	s_mul_hi_u32 s0, s33, 0x88888889
	s_lshr_b32 s0, s0, 3
	v_mad_i32_i24 v3, v0, -15, s33
	v_cmp_eq_u32_e32 vcc, s0, v0
	v_cmp_ne_u32_e64 s[0:1], 0, v3
	v_cndmask_b32_e64 v4, 1, v2, s[0:1]
	v_cmp_ne_u32_e64 s[0:1], 1, v3
	v_cndmask_b32_e64 v5, 1, v77, s[0:1]
	;; [unrolled: 2-line block ×15, first 2 shown]
	s_and_b64 vcc, vcc, s[40:41]
	v_cndmask_b32_e32 v55, v64, v3, vcc
	v_cndmask_b32_e32 v59, v2, v4, vcc
	v_lshlrev_b64 v[2:3], 3, v[52:53]
	v_cndmask_b32_e32 v54, v65, v54, vcc
	v_cndmask_b32_e32 v21, v66, v21, vcc
	;; [unrolled: 1-line block ×13, first 2 shown]
	v_mov_b32_e32 v4, s47
	v_add_co_u32_e32 v5, vcc, s46, v2
	v_addc_co_u32_e32 v6, vcc, v4, v3, vcc
	v_lshlrev_b64 v[2:3], 3, v[18:19]
	v_add_co_u32_e32 v4, vcc, v5, v2
	v_addc_co_u32_e32 v5, vcc, v6, v3, vcc
	v_lshlrev_b32_e32 v2, 3, v8
	v_add_co_u32_e32 v2, vcc, v2, v4
	v_addc_co_u32_e32 v3, vcc, 0, v5, vcc
	v_add_co_u32_e32 v6, vcc, -8, v2
	v_addc_co_u32_e32 v7, vcc, -1, v3, vcc
	v_cmp_eq_u32_e32 vcc, 0, v59
	v_cndmask_b32_e64 v3, 1, 2, vcc
	v_cmp_eq_u32_e32 vcc, 0, v58
	v_add_u32_e32 v2, v18, v8
	v_cndmask_b32_e64 v8, 1, 2, vcc
	v_cmp_eq_u32_e32 vcc, 0, v57
	v_and_b32_e32 v3, v8, v3
	v_cndmask_b32_e64 v8, 1, 2, vcc
	v_cmp_eq_u32_e32 vcc, 0, v56
	v_and_b32_e32 v3, v3, v8
	;; [unrolled: 3-line block ×13, first 2 shown]
	v_cndmask_b32_e64 v8, 1, 2, vcc
	s_movk_i32 s30, 0x100
	v_and_b32_e32 v3, v3, v8
	v_cmp_gt_u32_e32 vcc, s30, v1
	v_cmp_ne_u32_e64 s[28:29], 0, v59
	v_cmp_ne_u32_e64 s[26:27], 0, v58
	;; [unrolled: 1-line block ×15, first 2 shown]
	s_mov_b64 s[34:35], -1
	v_cmp_gt_i16_e64 s[30:31], 2, v3
	s_barrier
	s_cbranch_vccz .LBB70_141
; %bb.135:
	s_and_saveexec_b64 s[34:35], s[30:31]
	s_cbranch_execz .LBB70_140
; %bb.136:
	v_cmp_ne_u16_e32 vcc, 1, v3
	s_mov_b64 s[36:37], 0
	s_and_saveexec_b64 s[30:31], vcc
	s_xor_b64 s[30:31], exec, s[30:31]
	s_cbranch_execnz .LBB70_190
; %bb.137:
	s_andn2_saveexec_b64 s[30:31], s[30:31]
	s_cbranch_execnz .LBB70_206
.LBB70_138:
	s_or_b64 exec, exec, s[30:31]
	s_and_b64 exec, exec, s[36:37]
	s_cbranch_execz .LBB70_140
.LBB70_139:
	v_mov_b32_e32 v9, 0
	v_sub_u32_e32 v10, v24, v2
	v_mov_b32_e32 v11, v9
	v_lshlrev_b64 v[10:11], 3, v[10:11]
	v_add_co_u32_e32 v10, vcc, v6, v10
	v_mov_b32_e32 v8, v25
	v_addc_co_u32_e32 v11, vcc, v7, v11, vcc
	global_store_dwordx2 v[10:11], v[8:9], off
.LBB70_140:
	s_or_b64 exec, exec, s[34:35]
	s_mov_b64 s[34:35], 0
.LBB70_141:
	s_and_b64 vcc, exec, s[34:35]
	s_cbranch_vccz .LBB70_151
; %bb.142:
	v_cmp_gt_i16_e32 vcc, 2, v3
	s_and_saveexec_b64 s[30:31], vcc
	s_cbranch_execz .LBB70_147
; %bb.143:
	v_cmp_ne_u16_e32 vcc, 1, v3
	s_mov_b64 s[36:37], 0
	s_and_saveexec_b64 s[34:35], vcc
	s_xor_b64 s[34:35], exec, s[34:35]
	s_cbranch_execnz .LBB70_207
; %bb.144:
	s_andn2_saveexec_b64 s[0:1], s[34:35]
	s_cbranch_execnz .LBB70_223
.LBB70_145:
	s_or_b64 exec, exec, s[0:1]
	s_and_b64 exec, exec, s[36:37]
	s_cbranch_execz .LBB70_147
.LBB70_146:
	v_sub_u32_e32 v2, v24, v2
	v_lshlrev_b32_e32 v2, 2, v2
	ds_write_b32 v2, v25
.LBB70_147:
	s_or_b64 exec, exec, s[30:31]
	v_cmp_lt_u32_e32 vcc, v0, v1
	s_waitcnt lgkmcnt(0)
	s_barrier
	s_and_saveexec_b64 s[0:1], vcc
	s_cbranch_execz .LBB70_150
; %bb.148:
	v_lshlrev_b32_e32 v8, 2, v0
	s_mov_b64 s[2:3], 0
	v_mov_b32_e32 v3, 0
	v_mov_b32_e32 v2, v0
.LBB70_149:                             ; =>This Inner Loop Header: Depth=1
	ds_read_b32 v10, v8
	v_lshlrev_b64 v[12:13], 3, v[2:3]
	v_add_co_u32_e32 v12, vcc, v6, v12
	v_add_u32_e32 v2, 0x100, v2
	v_addc_co_u32_e32 v13, vcc, v7, v13, vcc
	v_cmp_ge_u32_e32 vcc, v2, v1
	v_mov_b32_e32 v11, v3
	v_add_u32_e32 v8, 0x400, v8
	s_or_b64 s[2:3], vcc, s[2:3]
	s_waitcnt lgkmcnt(0)
	global_store_dwordx2 v[12:13], v[10:11], off
	s_andn2_b64 exec, exec, s[2:3]
	s_cbranch_execnz .LBB70_149
.LBB70_150:
	s_or_b64 exec, exec, s[0:1]
.LBB70_151:
	s_movk_i32 s0, 0xff
	v_cmp_eq_u32_e32 vcc, s0, v0
	s_and_b64 s[0:1], vcc, s[40:41]
	s_and_saveexec_b64 s[2:3], s[0:1]
	s_cbranch_execz .LBB70_154
; %bb.152:
	v_add_co_u32_e32 v0, vcc, v16, v18
	v_addc_co_u32_e64 v1, s[0:1], 0, 0, vcc
	v_add_co_u32_e32 v0, vcc, v0, v52
	v_mov_b32_e32 v17, 0
	v_addc_co_u32_e32 v1, vcc, v1, v53, vcc
	s_cmpk_lg_i32 s33, 0xf00
	global_store_dwordx2 v17, v[0:1], s[52:53]
	s_cbranch_scc1 .LBB70_154
; %bb.153:
	v_lshlrev_b64 v[0:1], 3, v[16:17]
	v_add_co_u32_e32 v0, vcc, v4, v0
	v_mov_b32_e32 v21, v17
	v_addc_co_u32_e32 v1, vcc, v5, v1, vcc
	global_store_dwordx2 v[0:1], v[20:21], off offset:-8
.LBB70_154:
	s_endpgm
.LBB70_155:
	s_or_b64 exec, exec, s[10:11]
	v_mov_b32_e32 v78, s14
	s_and_saveexec_b64 s[2:3], s[6:7]
	s_cbranch_execnz .LBB70_60
	s_branch .LBB70_61
.LBB70_156:
	s_and_saveexec_b64 s[38:39], s[30:31]
	s_cbranch_execnz .LBB70_224
; %bb.157:
	s_or_b64 exec, exec, s[38:39]
	s_and_saveexec_b64 s[38:39], s[28:29]
	s_cbranch_execnz .LBB70_225
.LBB70_158:
	s_or_b64 exec, exec, s[38:39]
	s_and_saveexec_b64 s[38:39], s[26:27]
	s_cbranch_execnz .LBB70_226
.LBB70_159:
	s_or_b64 exec, exec, s[38:39]
	s_and_saveexec_b64 s[38:39], s[24:25]
	s_cbranch_execnz .LBB70_227
.LBB70_160:
	s_or_b64 exec, exec, s[38:39]
	s_and_saveexec_b64 s[38:39], s[22:23]
	s_cbranch_execnz .LBB70_228
.LBB70_161:
	s_or_b64 exec, exec, s[38:39]
	s_and_saveexec_b64 s[38:39], s[20:21]
	s_cbranch_execnz .LBB70_229
.LBB70_162:
	s_or_b64 exec, exec, s[38:39]
	s_and_saveexec_b64 s[38:39], s[18:19]
	s_cbranch_execnz .LBB70_230
.LBB70_163:
	s_or_b64 exec, exec, s[38:39]
	s_and_saveexec_b64 s[38:39], s[16:17]
	s_cbranch_execnz .LBB70_231
.LBB70_164:
	s_or_b64 exec, exec, s[38:39]
	s_and_saveexec_b64 s[38:39], s[14:15]
	s_cbranch_execnz .LBB70_232
.LBB70_165:
	s_or_b64 exec, exec, s[38:39]
	s_and_saveexec_b64 s[38:39], s[12:13]
	s_cbranch_execnz .LBB70_233
.LBB70_166:
	s_or_b64 exec, exec, s[38:39]
	s_and_saveexec_b64 s[38:39], s[10:11]
	s_cbranch_execnz .LBB70_234
.LBB70_167:
	s_or_b64 exec, exec, s[38:39]
	s_and_saveexec_b64 s[38:39], s[8:9]
	s_cbranch_execnz .LBB70_235
.LBB70_168:
	s_or_b64 exec, exec, s[38:39]
	s_and_saveexec_b64 s[38:39], s[6:7]
	s_cbranch_execnz .LBB70_236
.LBB70_169:
	s_or_b64 exec, exec, s[38:39]
	s_and_saveexec_b64 s[38:39], s[4:5]
	s_cbranch_execz .LBB70_171
.LBB70_170:
	v_sub_u32_e32 v3, v22, v18
	v_readfirstlane_b32 s44, v54
	v_readfirstlane_b32 s45, v17
	s_nop 4
	global_store_byte v3, v11, s[44:45]
.LBB70_171:
	s_or_b64 exec, exec, s[38:39]
	s_and_b64 s[38:39], s[2:3], exec
	s_andn2_saveexec_b64 s[34:35], s[34:35]
	s_cbranch_execz .LBB70_110
.LBB70_172:
	v_sub_u32_e32 v3, v50, v18
	v_readfirstlane_b32 s44, v54
	v_readfirstlane_b32 s45, v17
	s_or_b64 s[38:39], s[38:39], exec
	s_nop 3
	global_store_byte v3, v8, s[44:45]
	v_sub_u32_e32 v3, v48, v18
	global_store_byte v3, v63, s[44:45]
	v_sub_u32_e32 v3, v46, v18
	;; [unrolled: 2-line block ×13, first 2 shown]
	global_store_byte v3, v11, s[44:45]
	s_or_b64 exec, exec, s[34:35]
	s_and_b64 exec, exec, s[38:39]
	s_cbranch_execnz .LBB70_111
	s_branch .LBB70_112
.LBB70_173:
	s_and_saveexec_b64 s[38:39], s[30:31]
	s_cbranch_execnz .LBB70_237
; %bb.174:
	s_or_b64 exec, exec, s[38:39]
	s_and_saveexec_b64 s[30:31], s[28:29]
	s_cbranch_execnz .LBB70_238
.LBB70_175:
	s_or_b64 exec, exec, s[30:31]
	s_and_saveexec_b64 s[28:29], s[26:27]
	s_cbranch_execnz .LBB70_239
.LBB70_176:
	s_or_b64 exec, exec, s[28:29]
	s_and_saveexec_b64 s[26:27], s[24:25]
	s_cbranch_execnz .LBB70_240
.LBB70_177:
	s_or_b64 exec, exec, s[26:27]
	s_and_saveexec_b64 s[24:25], s[22:23]
	s_cbranch_execnz .LBB70_241
.LBB70_178:
	s_or_b64 exec, exec, s[24:25]
	s_and_saveexec_b64 s[22:23], s[20:21]
	s_cbranch_execnz .LBB70_242
.LBB70_179:
	s_or_b64 exec, exec, s[22:23]
	s_and_saveexec_b64 s[20:21], s[18:19]
	s_cbranch_execnz .LBB70_243
.LBB70_180:
	s_or_b64 exec, exec, s[20:21]
	s_and_saveexec_b64 s[18:19], s[16:17]
	s_cbranch_execnz .LBB70_244
.LBB70_181:
	s_or_b64 exec, exec, s[18:19]
	s_and_saveexec_b64 s[16:17], s[14:15]
	s_cbranch_execnz .LBB70_245
.LBB70_182:
	s_or_b64 exec, exec, s[16:17]
	s_and_saveexec_b64 s[14:15], s[12:13]
	s_cbranch_execnz .LBB70_246
.LBB70_183:
	s_or_b64 exec, exec, s[14:15]
	s_and_saveexec_b64 s[12:13], s[10:11]
	s_cbranch_execnz .LBB70_247
.LBB70_184:
	s_or_b64 exec, exec, s[12:13]
	s_and_saveexec_b64 s[10:11], s[8:9]
	s_cbranch_execnz .LBB70_248
.LBB70_185:
	s_or_b64 exec, exec, s[10:11]
	s_and_saveexec_b64 s[8:9], s[6:7]
	s_cbranch_execnz .LBB70_249
.LBB70_186:
	s_or_b64 exec, exec, s[8:9]
	s_and_saveexec_b64 s[6:7], s[4:5]
	s_cbranch_execz .LBB70_188
.LBB70_187:
	v_sub_u32_e32 v2, v22, v18
	ds_write_b8 v2, v11
.LBB70_188:
	s_or_b64 exec, exec, s[6:7]
	s_and_b64 s[38:39], s[2:3], exec
                                        ; implicit-def: $vgpr11
                                        ; implicit-def: $vgpr21
                                        ; implicit-def: $vgpr55
                                        ; implicit-def: $vgpr56
                                        ; implicit-def: $vgpr57
                                        ; implicit-def: $vgpr10
                                        ; implicit-def: $vgpr58
                                        ; implicit-def: $vgpr59
                                        ; implicit-def: $vgpr60
                                        ; implicit-def: $vgpr61
                                        ; implicit-def: $vgpr62
                                        ; implicit-def: $vgpr63
	s_andn2_saveexec_b64 s[2:3], s[36:37]
	s_cbranch_execz .LBB70_117
.LBB70_189:
	v_sub_u32_e32 v2, v50, v18
	ds_write_b8 v2, v8
	v_sub_u32_e32 v2, v48, v18
	ds_write_b8 v2, v63
	;; [unrolled: 2-line block ×13, first 2 shown]
	v_sub_u32_e32 v2, v22, v18
	s_or_b64 s[38:39], s[38:39], exec
	ds_write_b8 v2, v11
	s_or_b64 exec, exec, s[2:3]
	s_and_b64 exec, exec, s[38:39]
	s_cbranch_execnz .LBB70_118
	s_branch .LBB70_119
.LBB70_190:
	s_and_saveexec_b64 s[36:37], s[28:29]
	s_cbranch_execnz .LBB70_250
; %bb.191:
	s_or_b64 exec, exec, s[36:37]
	s_and_saveexec_b64 s[36:37], s[26:27]
	s_cbranch_execnz .LBB70_251
.LBB70_192:
	s_or_b64 exec, exec, s[36:37]
	s_and_saveexec_b64 s[36:37], s[24:25]
	s_cbranch_execnz .LBB70_252
.LBB70_193:
	s_or_b64 exec, exec, s[36:37]
	s_and_saveexec_b64 s[36:37], s[22:23]
	s_cbranch_execnz .LBB70_253
.LBB70_194:
	s_or_b64 exec, exec, s[36:37]
	s_and_saveexec_b64 s[36:37], s[20:21]
	s_cbranch_execnz .LBB70_254
.LBB70_195:
	s_or_b64 exec, exec, s[36:37]
	s_and_saveexec_b64 s[36:37], s[18:19]
	s_cbranch_execnz .LBB70_255
.LBB70_196:
	s_or_b64 exec, exec, s[36:37]
	s_and_saveexec_b64 s[36:37], s[16:17]
	s_cbranch_execnz .LBB70_256
.LBB70_197:
	s_or_b64 exec, exec, s[36:37]
	s_and_saveexec_b64 s[36:37], s[14:15]
	s_cbranch_execnz .LBB70_257
.LBB70_198:
	s_or_b64 exec, exec, s[36:37]
	s_and_saveexec_b64 s[36:37], s[12:13]
	s_cbranch_execnz .LBB70_258
.LBB70_199:
	s_or_b64 exec, exec, s[36:37]
	s_and_saveexec_b64 s[36:37], s[10:11]
	s_cbranch_execnz .LBB70_259
.LBB70_200:
	s_or_b64 exec, exec, s[36:37]
	s_and_saveexec_b64 s[36:37], s[8:9]
	s_cbranch_execnz .LBB70_260
.LBB70_201:
	s_or_b64 exec, exec, s[36:37]
	s_and_saveexec_b64 s[36:37], s[6:7]
	s_cbranch_execnz .LBB70_261
.LBB70_202:
	s_or_b64 exec, exec, s[36:37]
	s_and_saveexec_b64 s[36:37], s[4:5]
	s_cbranch_execnz .LBB70_262
.LBB70_203:
	s_or_b64 exec, exec, s[36:37]
	s_and_saveexec_b64 s[36:37], s[2:3]
	s_cbranch_execz .LBB70_205
.LBB70_204:
	v_sub_u32_e32 v8, v22, v2
	v_mov_b32_e32 v9, 0
	v_lshlrev_b64 v[10:11], 3, v[8:9]
	v_add_co_u32_e32 v10, vcc, v6, v10
	v_addc_co_u32_e32 v11, vcc, v7, v11, vcc
	v_mov_b32_e32 v8, v23
	global_store_dwordx2 v[10:11], v[8:9], off
.LBB70_205:
	s_or_b64 exec, exec, s[36:37]
	s_and_b64 s[36:37], s[0:1], exec
	s_andn2_saveexec_b64 s[30:31], s[30:31]
	s_cbranch_execz .LBB70_138
.LBB70_206:
	v_mov_b32_e32 v9, 0
	v_sub_u32_e32 v10, v50, v2
	v_mov_b32_e32 v11, v9
	v_lshlrev_b64 v[10:11], 3, v[10:11]
	v_add_co_u32_e32 v10, vcc, v6, v10
	v_mov_b32_e32 v8, v51
	v_addc_co_u32_e32 v11, vcc, v7, v11, vcc
	global_store_dwordx2 v[10:11], v[8:9], off
	v_sub_u32_e32 v10, v48, v2
	v_mov_b32_e32 v11, v9
	v_lshlrev_b64 v[10:11], 3, v[10:11]
	v_add_co_u32_e32 v10, vcc, v6, v10
	v_mov_b32_e32 v8, v49
	v_addc_co_u32_e32 v11, vcc, v7, v11, vcc
	global_store_dwordx2 v[10:11], v[8:9], off
	;; [unrolled: 7-line block ×13, first 2 shown]
	v_sub_u32_e32 v10, v22, v2
	v_mov_b32_e32 v11, v9
	v_lshlrev_b64 v[10:11], 3, v[10:11]
	v_add_co_u32_e32 v10, vcc, v6, v10
	v_mov_b32_e32 v8, v23
	v_addc_co_u32_e32 v11, vcc, v7, v11, vcc
	s_or_b64 s[36:37], s[36:37], exec
	global_store_dwordx2 v[10:11], v[8:9], off
	s_or_b64 exec, exec, s[30:31]
	s_and_b64 exec, exec, s[36:37]
	s_cbranch_execnz .LBB70_139
	s_branch .LBB70_140
.LBB70_207:
	s_and_saveexec_b64 s[36:37], s[28:29]
	s_cbranch_execnz .LBB70_263
; %bb.208:
	s_or_b64 exec, exec, s[36:37]
	s_and_saveexec_b64 s[28:29], s[26:27]
	s_cbranch_execnz .LBB70_264
.LBB70_209:
	s_or_b64 exec, exec, s[28:29]
	s_and_saveexec_b64 s[26:27], s[24:25]
	s_cbranch_execnz .LBB70_265
.LBB70_210:
	s_or_b64 exec, exec, s[26:27]
	s_and_saveexec_b64 s[24:25], s[22:23]
	s_cbranch_execnz .LBB70_266
.LBB70_211:
	s_or_b64 exec, exec, s[24:25]
	s_and_saveexec_b64 s[22:23], s[20:21]
	s_cbranch_execnz .LBB70_267
.LBB70_212:
	s_or_b64 exec, exec, s[22:23]
	s_and_saveexec_b64 s[20:21], s[18:19]
	s_cbranch_execnz .LBB70_268
.LBB70_213:
	s_or_b64 exec, exec, s[20:21]
	s_and_saveexec_b64 s[18:19], s[16:17]
	s_cbranch_execnz .LBB70_269
.LBB70_214:
	s_or_b64 exec, exec, s[18:19]
	s_and_saveexec_b64 s[16:17], s[14:15]
	s_cbranch_execnz .LBB70_270
.LBB70_215:
	s_or_b64 exec, exec, s[16:17]
	s_and_saveexec_b64 s[14:15], s[12:13]
	s_cbranch_execnz .LBB70_271
.LBB70_216:
	s_or_b64 exec, exec, s[14:15]
	s_and_saveexec_b64 s[12:13], s[10:11]
	s_cbranch_execnz .LBB70_272
.LBB70_217:
	s_or_b64 exec, exec, s[12:13]
	s_and_saveexec_b64 s[10:11], s[8:9]
	s_cbranch_execnz .LBB70_273
.LBB70_218:
	s_or_b64 exec, exec, s[10:11]
	s_and_saveexec_b64 s[8:9], s[6:7]
	s_cbranch_execnz .LBB70_274
.LBB70_219:
	s_or_b64 exec, exec, s[8:9]
	s_and_saveexec_b64 s[6:7], s[4:5]
	s_cbranch_execnz .LBB70_275
.LBB70_220:
	s_or_b64 exec, exec, s[6:7]
	s_and_saveexec_b64 s[4:5], s[2:3]
	s_cbranch_execz .LBB70_222
.LBB70_221:
	v_sub_u32_e32 v3, v22, v2
	v_lshlrev_b32_e32 v3, 2, v3
	ds_write_b32 v3, v23
.LBB70_222:
	s_or_b64 exec, exec, s[4:5]
	s_and_b64 s[36:37], s[0:1], exec
                                        ; implicit-def: $vgpr22_vgpr23
                                        ; implicit-def: $vgpr26_vgpr27
                                        ; implicit-def: $vgpr28_vgpr29
                                        ; implicit-def: $vgpr50_vgpr51
                                        ; implicit-def: $vgpr48_vgpr49
                                        ; implicit-def: $vgpr46_vgpr47
                                        ; implicit-def: $vgpr44_vgpr45
                                        ; implicit-def: $vgpr42_vgpr43
                                        ; implicit-def: $vgpr40_vgpr41
                                        ; implicit-def: $vgpr38_vgpr39
                                        ; implicit-def: $vgpr36_vgpr37
                                        ; implicit-def: $vgpr34_vgpr35
                                        ; implicit-def: $vgpr32_vgpr33
                                        ; implicit-def: $vgpr30_vgpr31
	s_andn2_saveexec_b64 s[0:1], s[34:35]
	s_cbranch_execz .LBB70_145
.LBB70_223:
	v_sub_u32_e32 v3, v50, v2
	v_lshlrev_b32_e32 v3, 2, v3
	ds_write_b32 v3, v51
	v_sub_u32_e32 v3, v48, v2
	v_lshlrev_b32_e32 v3, 2, v3
	ds_write_b32 v3, v49
	v_sub_u32_e32 v3, v46, v2
	v_lshlrev_b32_e32 v3, 2, v3
	ds_write_b32 v3, v47
	v_sub_u32_e32 v3, v44, v2
	v_lshlrev_b32_e32 v3, 2, v3
	ds_write_b32 v3, v45
	v_sub_u32_e32 v3, v42, v2
	v_lshlrev_b32_e32 v3, 2, v3
	ds_write_b32 v3, v43
	v_sub_u32_e32 v3, v40, v2
	v_lshlrev_b32_e32 v3, 2, v3
	ds_write_b32 v3, v41
	v_sub_u32_e32 v3, v38, v2
	v_lshlrev_b32_e32 v3, 2, v3
	ds_write_b32 v3, v39
	v_sub_u32_e32 v3, v36, v2
	v_lshlrev_b32_e32 v3, 2, v3
	ds_write_b32 v3, v37
	v_sub_u32_e32 v3, v34, v2
	v_lshlrev_b32_e32 v3, 2, v3
	ds_write_b32 v3, v35
	v_sub_u32_e32 v3, v32, v2
	v_lshlrev_b32_e32 v3, 2, v3
	ds_write_b32 v3, v33
	v_sub_u32_e32 v3, v30, v2
	v_lshlrev_b32_e32 v3, 2, v3
	ds_write_b32 v3, v31
	v_sub_u32_e32 v3, v28, v2
	v_lshlrev_b32_e32 v3, 2, v3
	ds_write_b32 v3, v29
	v_sub_u32_e32 v3, v26, v2
	v_lshlrev_b32_e32 v3, 2, v3
	ds_write_b32 v3, v27
	v_sub_u32_e32 v3, v22, v2
	v_lshlrev_b32_e32 v3, 2, v3
	s_or_b64 s[36:37], s[36:37], exec
	ds_write_b32 v3, v23
	s_or_b64 exec, exec, s[0:1]
	s_and_b64 exec, exec, s[36:37]
	s_cbranch_execnz .LBB70_146
	s_branch .LBB70_147
.LBB70_224:
	v_sub_u32_e32 v3, v50, v18
	v_readfirstlane_b32 s44, v54
	v_readfirstlane_b32 s45, v17
	s_nop 4
	global_store_byte v3, v8, s[44:45]
	s_or_b64 exec, exec, s[38:39]
	s_and_saveexec_b64 s[38:39], s[28:29]
	s_cbranch_execz .LBB70_158
.LBB70_225:
	v_sub_u32_e32 v3, v48, v18
	v_readfirstlane_b32 s44, v54
	v_readfirstlane_b32 s45, v17
	s_nop 4
	global_store_byte v3, v63, s[44:45]
	s_or_b64 exec, exec, s[38:39]
	s_and_saveexec_b64 s[38:39], s[26:27]
	s_cbranch_execz .LBB70_159
.LBB70_226:
	v_sub_u32_e32 v3, v46, v18
	v_readfirstlane_b32 s44, v54
	v_readfirstlane_b32 s45, v17
	s_nop 4
	global_store_byte v3, v62, s[44:45]
	s_or_b64 exec, exec, s[38:39]
	s_and_saveexec_b64 s[38:39], s[24:25]
	s_cbranch_execz .LBB70_160
.LBB70_227:
	v_sub_u32_e32 v3, v44, v18
	v_readfirstlane_b32 s44, v54
	v_readfirstlane_b32 s45, v17
	s_nop 4
	global_store_byte v3, v61, s[44:45]
	s_or_b64 exec, exec, s[38:39]
	s_and_saveexec_b64 s[38:39], s[22:23]
	s_cbranch_execz .LBB70_161
.LBB70_228:
	v_sub_u32_e32 v3, v42, v18
	v_readfirstlane_b32 s44, v54
	v_readfirstlane_b32 s45, v17
	s_nop 4
	global_store_byte v3, v9, s[44:45]
	s_or_b64 exec, exec, s[38:39]
	s_and_saveexec_b64 s[38:39], s[20:21]
	s_cbranch_execz .LBB70_162
.LBB70_229:
	v_sub_u32_e32 v3, v40, v18
	v_readfirstlane_b32 s44, v54
	v_readfirstlane_b32 s45, v17
	s_nop 4
	global_store_byte v3, v60, s[44:45]
	s_or_b64 exec, exec, s[38:39]
	s_and_saveexec_b64 s[38:39], s[18:19]
	s_cbranch_execz .LBB70_163
.LBB70_230:
	v_sub_u32_e32 v3, v38, v18
	v_readfirstlane_b32 s44, v54
	v_readfirstlane_b32 s45, v17
	s_nop 4
	global_store_byte v3, v59, s[44:45]
	s_or_b64 exec, exec, s[38:39]
	s_and_saveexec_b64 s[38:39], s[16:17]
	s_cbranch_execz .LBB70_164
.LBB70_231:
	v_sub_u32_e32 v3, v36, v18
	v_readfirstlane_b32 s44, v54
	v_readfirstlane_b32 s45, v17
	s_nop 4
	global_store_byte v3, v58, s[44:45]
	s_or_b64 exec, exec, s[38:39]
	s_and_saveexec_b64 s[38:39], s[14:15]
	s_cbranch_execz .LBB70_165
.LBB70_232:
	v_sub_u32_e32 v3, v34, v18
	v_readfirstlane_b32 s44, v54
	v_readfirstlane_b32 s45, v17
	s_nop 4
	global_store_byte v3, v10, s[44:45]
	s_or_b64 exec, exec, s[38:39]
	s_and_saveexec_b64 s[38:39], s[12:13]
	s_cbranch_execz .LBB70_166
.LBB70_233:
	v_sub_u32_e32 v3, v32, v18
	v_readfirstlane_b32 s44, v54
	v_readfirstlane_b32 s45, v17
	s_nop 4
	global_store_byte v3, v57, s[44:45]
	s_or_b64 exec, exec, s[38:39]
	s_and_saveexec_b64 s[38:39], s[10:11]
	s_cbranch_execz .LBB70_167
.LBB70_234:
	v_sub_u32_e32 v3, v30, v18
	v_readfirstlane_b32 s44, v54
	v_readfirstlane_b32 s45, v17
	s_nop 4
	global_store_byte v3, v56, s[44:45]
	s_or_b64 exec, exec, s[38:39]
	s_and_saveexec_b64 s[38:39], s[8:9]
	s_cbranch_execz .LBB70_168
.LBB70_235:
	v_sub_u32_e32 v3, v28, v18
	v_readfirstlane_b32 s44, v54
	v_readfirstlane_b32 s45, v17
	s_nop 4
	global_store_byte v3, v55, s[44:45]
	s_or_b64 exec, exec, s[38:39]
	s_and_saveexec_b64 s[38:39], s[6:7]
	s_cbranch_execz .LBB70_169
.LBB70_236:
	v_sub_u32_e32 v3, v26, v18
	v_readfirstlane_b32 s44, v54
	v_readfirstlane_b32 s45, v17
	s_nop 4
	global_store_byte v3, v21, s[44:45]
	s_or_b64 exec, exec, s[38:39]
	s_and_saveexec_b64 s[38:39], s[4:5]
	s_cbranch_execnz .LBB70_170
	s_branch .LBB70_171
.LBB70_237:
	v_sub_u32_e32 v2, v50, v18
	ds_write_b8 v2, v8
	s_or_b64 exec, exec, s[38:39]
	s_and_saveexec_b64 s[30:31], s[28:29]
	s_cbranch_execz .LBB70_175
.LBB70_238:
	v_sub_u32_e32 v2, v48, v18
	ds_write_b8 v2, v63
	s_or_b64 exec, exec, s[30:31]
	s_and_saveexec_b64 s[28:29], s[26:27]
	s_cbranch_execz .LBB70_176
.LBB70_239:
	v_sub_u32_e32 v2, v46, v18
	ds_write_b8 v2, v62
	s_or_b64 exec, exec, s[28:29]
	s_and_saveexec_b64 s[26:27], s[24:25]
	s_cbranch_execz .LBB70_177
.LBB70_240:
	v_sub_u32_e32 v2, v44, v18
	ds_write_b8 v2, v61
	s_or_b64 exec, exec, s[26:27]
	s_and_saveexec_b64 s[24:25], s[22:23]
	s_cbranch_execz .LBB70_178
.LBB70_241:
	v_sub_u32_e32 v2, v42, v18
	ds_write_b8 v2, v9
	s_or_b64 exec, exec, s[24:25]
	s_and_saveexec_b64 s[22:23], s[20:21]
	s_cbranch_execz .LBB70_179
.LBB70_242:
	v_sub_u32_e32 v2, v40, v18
	ds_write_b8 v2, v60
	s_or_b64 exec, exec, s[22:23]
	s_and_saveexec_b64 s[20:21], s[18:19]
	s_cbranch_execz .LBB70_180
.LBB70_243:
	v_sub_u32_e32 v2, v38, v18
	ds_write_b8 v2, v59
	s_or_b64 exec, exec, s[20:21]
	s_and_saveexec_b64 s[18:19], s[16:17]
	s_cbranch_execz .LBB70_181
.LBB70_244:
	v_sub_u32_e32 v2, v36, v18
	ds_write_b8 v2, v58
	s_or_b64 exec, exec, s[18:19]
	s_and_saveexec_b64 s[16:17], s[14:15]
	s_cbranch_execz .LBB70_182
.LBB70_245:
	v_sub_u32_e32 v2, v34, v18
	ds_write_b8 v2, v10
	s_or_b64 exec, exec, s[16:17]
	s_and_saveexec_b64 s[14:15], s[12:13]
	s_cbranch_execz .LBB70_183
.LBB70_246:
	v_sub_u32_e32 v2, v32, v18
	ds_write_b8 v2, v57
	s_or_b64 exec, exec, s[14:15]
	s_and_saveexec_b64 s[12:13], s[10:11]
	s_cbranch_execz .LBB70_184
.LBB70_247:
	v_sub_u32_e32 v2, v30, v18
	ds_write_b8 v2, v56
	s_or_b64 exec, exec, s[12:13]
	s_and_saveexec_b64 s[10:11], s[8:9]
	s_cbranch_execz .LBB70_185
.LBB70_248:
	v_sub_u32_e32 v2, v28, v18
	ds_write_b8 v2, v55
	s_or_b64 exec, exec, s[10:11]
	s_and_saveexec_b64 s[8:9], s[6:7]
	s_cbranch_execz .LBB70_186
.LBB70_249:
	v_sub_u32_e32 v2, v26, v18
	ds_write_b8 v2, v21
	s_or_b64 exec, exec, s[8:9]
	s_and_saveexec_b64 s[6:7], s[4:5]
	s_cbranch_execnz .LBB70_187
	s_branch .LBB70_188
.LBB70_250:
	v_sub_u32_e32 v8, v50, v2
	v_mov_b32_e32 v9, 0
	v_lshlrev_b64 v[10:11], 3, v[8:9]
	v_add_co_u32_e32 v10, vcc, v6, v10
	v_addc_co_u32_e32 v11, vcc, v7, v11, vcc
	v_mov_b32_e32 v8, v51
	global_store_dwordx2 v[10:11], v[8:9], off
	s_or_b64 exec, exec, s[36:37]
	s_and_saveexec_b64 s[36:37], s[26:27]
	s_cbranch_execz .LBB70_192
.LBB70_251:
	v_sub_u32_e32 v8, v48, v2
	v_mov_b32_e32 v9, 0
	v_lshlrev_b64 v[10:11], 3, v[8:9]
	v_add_co_u32_e32 v10, vcc, v6, v10
	v_addc_co_u32_e32 v11, vcc, v7, v11, vcc
	v_mov_b32_e32 v8, v49
	global_store_dwordx2 v[10:11], v[8:9], off
	s_or_b64 exec, exec, s[36:37]
	s_and_saveexec_b64 s[36:37], s[24:25]
	s_cbranch_execz .LBB70_193
.LBB70_252:
	v_sub_u32_e32 v8, v46, v2
	v_mov_b32_e32 v9, 0
	v_lshlrev_b64 v[10:11], 3, v[8:9]
	v_add_co_u32_e32 v10, vcc, v6, v10
	v_addc_co_u32_e32 v11, vcc, v7, v11, vcc
	v_mov_b32_e32 v8, v47
	global_store_dwordx2 v[10:11], v[8:9], off
	s_or_b64 exec, exec, s[36:37]
	s_and_saveexec_b64 s[36:37], s[22:23]
	s_cbranch_execz .LBB70_194
.LBB70_253:
	v_sub_u32_e32 v8, v44, v2
	v_mov_b32_e32 v9, 0
	v_lshlrev_b64 v[10:11], 3, v[8:9]
	v_add_co_u32_e32 v10, vcc, v6, v10
	v_addc_co_u32_e32 v11, vcc, v7, v11, vcc
	v_mov_b32_e32 v8, v45
	global_store_dwordx2 v[10:11], v[8:9], off
	s_or_b64 exec, exec, s[36:37]
	s_and_saveexec_b64 s[36:37], s[20:21]
	s_cbranch_execz .LBB70_195
.LBB70_254:
	v_sub_u32_e32 v8, v42, v2
	v_mov_b32_e32 v9, 0
	v_lshlrev_b64 v[10:11], 3, v[8:9]
	v_add_co_u32_e32 v10, vcc, v6, v10
	v_addc_co_u32_e32 v11, vcc, v7, v11, vcc
	v_mov_b32_e32 v8, v43
	global_store_dwordx2 v[10:11], v[8:9], off
	s_or_b64 exec, exec, s[36:37]
	s_and_saveexec_b64 s[36:37], s[18:19]
	s_cbranch_execz .LBB70_196
.LBB70_255:
	v_sub_u32_e32 v8, v40, v2
	v_mov_b32_e32 v9, 0
	v_lshlrev_b64 v[10:11], 3, v[8:9]
	v_add_co_u32_e32 v10, vcc, v6, v10
	v_addc_co_u32_e32 v11, vcc, v7, v11, vcc
	v_mov_b32_e32 v8, v41
	global_store_dwordx2 v[10:11], v[8:9], off
	s_or_b64 exec, exec, s[36:37]
	s_and_saveexec_b64 s[36:37], s[16:17]
	s_cbranch_execz .LBB70_197
.LBB70_256:
	v_sub_u32_e32 v8, v38, v2
	v_mov_b32_e32 v9, 0
	v_lshlrev_b64 v[10:11], 3, v[8:9]
	v_add_co_u32_e32 v10, vcc, v6, v10
	v_addc_co_u32_e32 v11, vcc, v7, v11, vcc
	v_mov_b32_e32 v8, v39
	global_store_dwordx2 v[10:11], v[8:9], off
	s_or_b64 exec, exec, s[36:37]
	s_and_saveexec_b64 s[36:37], s[14:15]
	s_cbranch_execz .LBB70_198
.LBB70_257:
	v_sub_u32_e32 v8, v36, v2
	v_mov_b32_e32 v9, 0
	v_lshlrev_b64 v[10:11], 3, v[8:9]
	v_add_co_u32_e32 v10, vcc, v6, v10
	v_addc_co_u32_e32 v11, vcc, v7, v11, vcc
	v_mov_b32_e32 v8, v37
	global_store_dwordx2 v[10:11], v[8:9], off
	s_or_b64 exec, exec, s[36:37]
	s_and_saveexec_b64 s[36:37], s[12:13]
	s_cbranch_execz .LBB70_199
.LBB70_258:
	v_sub_u32_e32 v8, v34, v2
	v_mov_b32_e32 v9, 0
	v_lshlrev_b64 v[10:11], 3, v[8:9]
	v_add_co_u32_e32 v10, vcc, v6, v10
	v_addc_co_u32_e32 v11, vcc, v7, v11, vcc
	v_mov_b32_e32 v8, v35
	global_store_dwordx2 v[10:11], v[8:9], off
	s_or_b64 exec, exec, s[36:37]
	s_and_saveexec_b64 s[36:37], s[10:11]
	s_cbranch_execz .LBB70_200
.LBB70_259:
	v_sub_u32_e32 v8, v32, v2
	v_mov_b32_e32 v9, 0
	v_lshlrev_b64 v[10:11], 3, v[8:9]
	v_add_co_u32_e32 v10, vcc, v6, v10
	v_addc_co_u32_e32 v11, vcc, v7, v11, vcc
	v_mov_b32_e32 v8, v33
	global_store_dwordx2 v[10:11], v[8:9], off
	s_or_b64 exec, exec, s[36:37]
	s_and_saveexec_b64 s[36:37], s[8:9]
	s_cbranch_execz .LBB70_201
.LBB70_260:
	v_sub_u32_e32 v8, v30, v2
	v_mov_b32_e32 v9, 0
	v_lshlrev_b64 v[10:11], 3, v[8:9]
	v_add_co_u32_e32 v10, vcc, v6, v10
	v_addc_co_u32_e32 v11, vcc, v7, v11, vcc
	v_mov_b32_e32 v8, v31
	global_store_dwordx2 v[10:11], v[8:9], off
	s_or_b64 exec, exec, s[36:37]
	s_and_saveexec_b64 s[36:37], s[6:7]
	s_cbranch_execz .LBB70_202
.LBB70_261:
	v_sub_u32_e32 v8, v28, v2
	v_mov_b32_e32 v9, 0
	v_lshlrev_b64 v[10:11], 3, v[8:9]
	v_add_co_u32_e32 v10, vcc, v6, v10
	v_addc_co_u32_e32 v11, vcc, v7, v11, vcc
	v_mov_b32_e32 v8, v29
	global_store_dwordx2 v[10:11], v[8:9], off
	s_or_b64 exec, exec, s[36:37]
	s_and_saveexec_b64 s[36:37], s[4:5]
	s_cbranch_execz .LBB70_203
.LBB70_262:
	v_sub_u32_e32 v8, v26, v2
	v_mov_b32_e32 v9, 0
	v_lshlrev_b64 v[10:11], 3, v[8:9]
	v_add_co_u32_e32 v10, vcc, v6, v10
	v_addc_co_u32_e32 v11, vcc, v7, v11, vcc
	v_mov_b32_e32 v8, v27
	global_store_dwordx2 v[10:11], v[8:9], off
	s_or_b64 exec, exec, s[36:37]
	s_and_saveexec_b64 s[36:37], s[2:3]
	s_cbranch_execnz .LBB70_204
	s_branch .LBB70_205
.LBB70_263:
	v_sub_u32_e32 v3, v50, v2
	v_lshlrev_b32_e32 v3, 2, v3
	ds_write_b32 v3, v51
	s_or_b64 exec, exec, s[36:37]
	s_and_saveexec_b64 s[28:29], s[26:27]
	s_cbranch_execz .LBB70_209
.LBB70_264:
	v_sub_u32_e32 v3, v48, v2
	v_lshlrev_b32_e32 v3, 2, v3
	ds_write_b32 v3, v49
	s_or_b64 exec, exec, s[28:29]
	s_and_saveexec_b64 s[26:27], s[24:25]
	s_cbranch_execz .LBB70_210
.LBB70_265:
	v_sub_u32_e32 v3, v46, v2
	v_lshlrev_b32_e32 v3, 2, v3
	ds_write_b32 v3, v47
	s_or_b64 exec, exec, s[26:27]
	s_and_saveexec_b64 s[24:25], s[22:23]
	s_cbranch_execz .LBB70_211
.LBB70_266:
	v_sub_u32_e32 v3, v44, v2
	v_lshlrev_b32_e32 v3, 2, v3
	ds_write_b32 v3, v45
	s_or_b64 exec, exec, s[24:25]
	s_and_saveexec_b64 s[22:23], s[20:21]
	s_cbranch_execz .LBB70_212
.LBB70_267:
	v_sub_u32_e32 v3, v42, v2
	v_lshlrev_b32_e32 v3, 2, v3
	ds_write_b32 v3, v43
	s_or_b64 exec, exec, s[22:23]
	s_and_saveexec_b64 s[20:21], s[18:19]
	s_cbranch_execz .LBB70_213
.LBB70_268:
	v_sub_u32_e32 v3, v40, v2
	v_lshlrev_b32_e32 v3, 2, v3
	ds_write_b32 v3, v41
	s_or_b64 exec, exec, s[20:21]
	s_and_saveexec_b64 s[18:19], s[16:17]
	s_cbranch_execz .LBB70_214
.LBB70_269:
	v_sub_u32_e32 v3, v38, v2
	v_lshlrev_b32_e32 v3, 2, v3
	ds_write_b32 v3, v39
	s_or_b64 exec, exec, s[18:19]
	s_and_saveexec_b64 s[16:17], s[14:15]
	s_cbranch_execz .LBB70_215
.LBB70_270:
	v_sub_u32_e32 v3, v36, v2
	v_lshlrev_b32_e32 v3, 2, v3
	ds_write_b32 v3, v37
	s_or_b64 exec, exec, s[16:17]
	s_and_saveexec_b64 s[14:15], s[12:13]
	s_cbranch_execz .LBB70_216
.LBB70_271:
	v_sub_u32_e32 v3, v34, v2
	v_lshlrev_b32_e32 v3, 2, v3
	ds_write_b32 v3, v35
	s_or_b64 exec, exec, s[14:15]
	s_and_saveexec_b64 s[12:13], s[10:11]
	s_cbranch_execz .LBB70_217
.LBB70_272:
	v_sub_u32_e32 v3, v32, v2
	v_lshlrev_b32_e32 v3, 2, v3
	ds_write_b32 v3, v33
	s_or_b64 exec, exec, s[12:13]
	s_and_saveexec_b64 s[10:11], s[8:9]
	s_cbranch_execz .LBB70_218
.LBB70_273:
	v_sub_u32_e32 v3, v30, v2
	v_lshlrev_b32_e32 v3, 2, v3
	ds_write_b32 v3, v31
	s_or_b64 exec, exec, s[10:11]
	s_and_saveexec_b64 s[8:9], s[6:7]
	s_cbranch_execz .LBB70_219
.LBB70_274:
	v_sub_u32_e32 v3, v28, v2
	v_lshlrev_b32_e32 v3, 2, v3
	ds_write_b32 v3, v29
	s_or_b64 exec, exec, s[8:9]
	s_and_saveexec_b64 s[6:7], s[4:5]
	s_cbranch_execz .LBB70_220
.LBB70_275:
	v_sub_u32_e32 v3, v26, v2
	v_lshlrev_b32_e32 v3, 2, v3
	ds_write_b32 v3, v27
	s_or_b64 exec, exec, s[6:7]
	s_and_saveexec_b64 s[4:5], s[2:3]
	s_cbranch_execnz .LBB70_221
	s_branch .LBB70_222
	.section	.rodata,"a",@progbits
	.p2align	6, 0x0
	.amdhsa_kernel _ZN7rocprim17ROCPRIM_400000_NS6detail17trampoline_kernelINS0_14default_configENS1_33run_length_encode_config_selectorIbjNS0_4plusIjEEEEZZNS1_33reduce_by_key_impl_wrapped_configILNS1_25lookback_scan_determinismE0ES3_S7_N6hipcub16HIPCUB_304000_NS22TransformInputIteratorIbN2at6native8internal12_GLOBAL__N_110LoadBoolOpEPKhlEENS0_17constant_iteratorIjlEEPbPlSO_S6_NS0_8equal_toIbEEEE10hipError_tPvRmT2_T3_mT4_T5_T6_T7_T8_P12ihipStream_tbENKUlT_T0_E_clISt17integral_constantIbLb1EES18_EEDaS13_S14_EUlS13_E_NS1_11comp_targetILNS1_3genE4ELNS1_11target_archE910ELNS1_3gpuE8ELNS1_3repE0EEENS1_30default_config_static_selectorELNS0_4arch9wavefront6targetE1EEEvT1_
		.amdhsa_group_segment_fixed_size 15360
		.amdhsa_private_segment_fixed_size 0
		.amdhsa_kernarg_size 136
		.amdhsa_user_sgpr_count 6
		.amdhsa_user_sgpr_private_segment_buffer 1
		.amdhsa_user_sgpr_dispatch_ptr 0
		.amdhsa_user_sgpr_queue_ptr 0
		.amdhsa_user_sgpr_kernarg_segment_ptr 1
		.amdhsa_user_sgpr_dispatch_id 0
		.amdhsa_user_sgpr_flat_scratch_init 0
		.amdhsa_user_sgpr_kernarg_preload_length 0
		.amdhsa_user_sgpr_kernarg_preload_offset 0
		.amdhsa_user_sgpr_private_segment_size 0
		.amdhsa_uses_dynamic_stack 0
		.amdhsa_system_sgpr_private_segment_wavefront_offset 0
		.amdhsa_system_sgpr_workgroup_id_x 1
		.amdhsa_system_sgpr_workgroup_id_y 0
		.amdhsa_system_sgpr_workgroup_id_z 0
		.amdhsa_system_sgpr_workgroup_info 0
		.amdhsa_system_vgpr_workitem_id 0
		.amdhsa_next_free_vgpr 115
		.amdhsa_next_free_sgpr 66
		.amdhsa_accum_offset 116
		.amdhsa_reserve_vcc 1
		.amdhsa_reserve_flat_scratch 0
		.amdhsa_float_round_mode_32 0
		.amdhsa_float_round_mode_16_64 0
		.amdhsa_float_denorm_mode_32 3
		.amdhsa_float_denorm_mode_16_64 3
		.amdhsa_dx10_clamp 1
		.amdhsa_ieee_mode 1
		.amdhsa_fp16_overflow 0
		.amdhsa_tg_split 0
		.amdhsa_exception_fp_ieee_invalid_op 0
		.amdhsa_exception_fp_denorm_src 0
		.amdhsa_exception_fp_ieee_div_zero 0
		.amdhsa_exception_fp_ieee_overflow 0
		.amdhsa_exception_fp_ieee_underflow 0
		.amdhsa_exception_fp_ieee_inexact 0
		.amdhsa_exception_int_div_zero 0
	.end_amdhsa_kernel
	.section	.text._ZN7rocprim17ROCPRIM_400000_NS6detail17trampoline_kernelINS0_14default_configENS1_33run_length_encode_config_selectorIbjNS0_4plusIjEEEEZZNS1_33reduce_by_key_impl_wrapped_configILNS1_25lookback_scan_determinismE0ES3_S7_N6hipcub16HIPCUB_304000_NS22TransformInputIteratorIbN2at6native8internal12_GLOBAL__N_110LoadBoolOpEPKhlEENS0_17constant_iteratorIjlEEPbPlSO_S6_NS0_8equal_toIbEEEE10hipError_tPvRmT2_T3_mT4_T5_T6_T7_T8_P12ihipStream_tbENKUlT_T0_E_clISt17integral_constantIbLb1EES18_EEDaS13_S14_EUlS13_E_NS1_11comp_targetILNS1_3genE4ELNS1_11target_archE910ELNS1_3gpuE8ELNS1_3repE0EEENS1_30default_config_static_selectorELNS0_4arch9wavefront6targetE1EEEvT1_,"axG",@progbits,_ZN7rocprim17ROCPRIM_400000_NS6detail17trampoline_kernelINS0_14default_configENS1_33run_length_encode_config_selectorIbjNS0_4plusIjEEEEZZNS1_33reduce_by_key_impl_wrapped_configILNS1_25lookback_scan_determinismE0ES3_S7_N6hipcub16HIPCUB_304000_NS22TransformInputIteratorIbN2at6native8internal12_GLOBAL__N_110LoadBoolOpEPKhlEENS0_17constant_iteratorIjlEEPbPlSO_S6_NS0_8equal_toIbEEEE10hipError_tPvRmT2_T3_mT4_T5_T6_T7_T8_P12ihipStream_tbENKUlT_T0_E_clISt17integral_constantIbLb1EES18_EEDaS13_S14_EUlS13_E_NS1_11comp_targetILNS1_3genE4ELNS1_11target_archE910ELNS1_3gpuE8ELNS1_3repE0EEENS1_30default_config_static_selectorELNS0_4arch9wavefront6targetE1EEEvT1_,comdat
.Lfunc_end70:
	.size	_ZN7rocprim17ROCPRIM_400000_NS6detail17trampoline_kernelINS0_14default_configENS1_33run_length_encode_config_selectorIbjNS0_4plusIjEEEEZZNS1_33reduce_by_key_impl_wrapped_configILNS1_25lookback_scan_determinismE0ES3_S7_N6hipcub16HIPCUB_304000_NS22TransformInputIteratorIbN2at6native8internal12_GLOBAL__N_110LoadBoolOpEPKhlEENS0_17constant_iteratorIjlEEPbPlSO_S6_NS0_8equal_toIbEEEE10hipError_tPvRmT2_T3_mT4_T5_T6_T7_T8_P12ihipStream_tbENKUlT_T0_E_clISt17integral_constantIbLb1EES18_EEDaS13_S14_EUlS13_E_NS1_11comp_targetILNS1_3genE4ELNS1_11target_archE910ELNS1_3gpuE8ELNS1_3repE0EEENS1_30default_config_static_selectorELNS0_4arch9wavefront6targetE1EEEvT1_, .Lfunc_end70-_ZN7rocprim17ROCPRIM_400000_NS6detail17trampoline_kernelINS0_14default_configENS1_33run_length_encode_config_selectorIbjNS0_4plusIjEEEEZZNS1_33reduce_by_key_impl_wrapped_configILNS1_25lookback_scan_determinismE0ES3_S7_N6hipcub16HIPCUB_304000_NS22TransformInputIteratorIbN2at6native8internal12_GLOBAL__N_110LoadBoolOpEPKhlEENS0_17constant_iteratorIjlEEPbPlSO_S6_NS0_8equal_toIbEEEE10hipError_tPvRmT2_T3_mT4_T5_T6_T7_T8_P12ihipStream_tbENKUlT_T0_E_clISt17integral_constantIbLb1EES18_EEDaS13_S14_EUlS13_E_NS1_11comp_targetILNS1_3genE4ELNS1_11target_archE910ELNS1_3gpuE8ELNS1_3repE0EEENS1_30default_config_static_selectorELNS0_4arch9wavefront6targetE1EEEvT1_
                                        ; -- End function
	.section	.AMDGPU.csdata,"",@progbits
; Kernel info:
; codeLenInByte = 15348
; NumSgprs: 70
; NumVgprs: 115
; NumAgprs: 0
; TotalNumVgprs: 115
; ScratchSize: 0
; MemoryBound: 0
; FloatMode: 240
; IeeeMode: 1
; LDSByteSize: 15360 bytes/workgroup (compile time only)
; SGPRBlocks: 8
; VGPRBlocks: 14
; NumSGPRsForWavesPerEU: 70
; NumVGPRsForWavesPerEU: 115
; AccumOffset: 116
; Occupancy: 4
; WaveLimiterHint : 1
; COMPUTE_PGM_RSRC2:SCRATCH_EN: 0
; COMPUTE_PGM_RSRC2:USER_SGPR: 6
; COMPUTE_PGM_RSRC2:TRAP_HANDLER: 0
; COMPUTE_PGM_RSRC2:TGID_X_EN: 1
; COMPUTE_PGM_RSRC2:TGID_Y_EN: 0
; COMPUTE_PGM_RSRC2:TGID_Z_EN: 0
; COMPUTE_PGM_RSRC2:TIDIG_COMP_CNT: 0
; COMPUTE_PGM_RSRC3_GFX90A:ACCUM_OFFSET: 28
; COMPUTE_PGM_RSRC3_GFX90A:TG_SPLIT: 0
	.section	.text._ZN7rocprim17ROCPRIM_400000_NS6detail17trampoline_kernelINS0_14default_configENS1_33run_length_encode_config_selectorIbjNS0_4plusIjEEEEZZNS1_33reduce_by_key_impl_wrapped_configILNS1_25lookback_scan_determinismE0ES3_S7_N6hipcub16HIPCUB_304000_NS22TransformInputIteratorIbN2at6native8internal12_GLOBAL__N_110LoadBoolOpEPKhlEENS0_17constant_iteratorIjlEEPbPlSO_S6_NS0_8equal_toIbEEEE10hipError_tPvRmT2_T3_mT4_T5_T6_T7_T8_P12ihipStream_tbENKUlT_T0_E_clISt17integral_constantIbLb1EES18_EEDaS13_S14_EUlS13_E_NS1_11comp_targetILNS1_3genE3ELNS1_11target_archE908ELNS1_3gpuE7ELNS1_3repE0EEENS1_30default_config_static_selectorELNS0_4arch9wavefront6targetE1EEEvT1_,"axG",@progbits,_ZN7rocprim17ROCPRIM_400000_NS6detail17trampoline_kernelINS0_14default_configENS1_33run_length_encode_config_selectorIbjNS0_4plusIjEEEEZZNS1_33reduce_by_key_impl_wrapped_configILNS1_25lookback_scan_determinismE0ES3_S7_N6hipcub16HIPCUB_304000_NS22TransformInputIteratorIbN2at6native8internal12_GLOBAL__N_110LoadBoolOpEPKhlEENS0_17constant_iteratorIjlEEPbPlSO_S6_NS0_8equal_toIbEEEE10hipError_tPvRmT2_T3_mT4_T5_T6_T7_T8_P12ihipStream_tbENKUlT_T0_E_clISt17integral_constantIbLb1EES18_EEDaS13_S14_EUlS13_E_NS1_11comp_targetILNS1_3genE3ELNS1_11target_archE908ELNS1_3gpuE7ELNS1_3repE0EEENS1_30default_config_static_selectorELNS0_4arch9wavefront6targetE1EEEvT1_,comdat
	.globl	_ZN7rocprim17ROCPRIM_400000_NS6detail17trampoline_kernelINS0_14default_configENS1_33run_length_encode_config_selectorIbjNS0_4plusIjEEEEZZNS1_33reduce_by_key_impl_wrapped_configILNS1_25lookback_scan_determinismE0ES3_S7_N6hipcub16HIPCUB_304000_NS22TransformInputIteratorIbN2at6native8internal12_GLOBAL__N_110LoadBoolOpEPKhlEENS0_17constant_iteratorIjlEEPbPlSO_S6_NS0_8equal_toIbEEEE10hipError_tPvRmT2_T3_mT4_T5_T6_T7_T8_P12ihipStream_tbENKUlT_T0_E_clISt17integral_constantIbLb1EES18_EEDaS13_S14_EUlS13_E_NS1_11comp_targetILNS1_3genE3ELNS1_11target_archE908ELNS1_3gpuE7ELNS1_3repE0EEENS1_30default_config_static_selectorELNS0_4arch9wavefront6targetE1EEEvT1_ ; -- Begin function _ZN7rocprim17ROCPRIM_400000_NS6detail17trampoline_kernelINS0_14default_configENS1_33run_length_encode_config_selectorIbjNS0_4plusIjEEEEZZNS1_33reduce_by_key_impl_wrapped_configILNS1_25lookback_scan_determinismE0ES3_S7_N6hipcub16HIPCUB_304000_NS22TransformInputIteratorIbN2at6native8internal12_GLOBAL__N_110LoadBoolOpEPKhlEENS0_17constant_iteratorIjlEEPbPlSO_S6_NS0_8equal_toIbEEEE10hipError_tPvRmT2_T3_mT4_T5_T6_T7_T8_P12ihipStream_tbENKUlT_T0_E_clISt17integral_constantIbLb1EES18_EEDaS13_S14_EUlS13_E_NS1_11comp_targetILNS1_3genE3ELNS1_11target_archE908ELNS1_3gpuE7ELNS1_3repE0EEENS1_30default_config_static_selectorELNS0_4arch9wavefront6targetE1EEEvT1_
	.p2align	8
	.type	_ZN7rocprim17ROCPRIM_400000_NS6detail17trampoline_kernelINS0_14default_configENS1_33run_length_encode_config_selectorIbjNS0_4plusIjEEEEZZNS1_33reduce_by_key_impl_wrapped_configILNS1_25lookback_scan_determinismE0ES3_S7_N6hipcub16HIPCUB_304000_NS22TransformInputIteratorIbN2at6native8internal12_GLOBAL__N_110LoadBoolOpEPKhlEENS0_17constant_iteratorIjlEEPbPlSO_S6_NS0_8equal_toIbEEEE10hipError_tPvRmT2_T3_mT4_T5_T6_T7_T8_P12ihipStream_tbENKUlT_T0_E_clISt17integral_constantIbLb1EES18_EEDaS13_S14_EUlS13_E_NS1_11comp_targetILNS1_3genE3ELNS1_11target_archE908ELNS1_3gpuE7ELNS1_3repE0EEENS1_30default_config_static_selectorELNS0_4arch9wavefront6targetE1EEEvT1_,@function
_ZN7rocprim17ROCPRIM_400000_NS6detail17trampoline_kernelINS0_14default_configENS1_33run_length_encode_config_selectorIbjNS0_4plusIjEEEEZZNS1_33reduce_by_key_impl_wrapped_configILNS1_25lookback_scan_determinismE0ES3_S7_N6hipcub16HIPCUB_304000_NS22TransformInputIteratorIbN2at6native8internal12_GLOBAL__N_110LoadBoolOpEPKhlEENS0_17constant_iteratorIjlEEPbPlSO_S6_NS0_8equal_toIbEEEE10hipError_tPvRmT2_T3_mT4_T5_T6_T7_T8_P12ihipStream_tbENKUlT_T0_E_clISt17integral_constantIbLb1EES18_EEDaS13_S14_EUlS13_E_NS1_11comp_targetILNS1_3genE3ELNS1_11target_archE908ELNS1_3gpuE7ELNS1_3repE0EEENS1_30default_config_static_selectorELNS0_4arch9wavefront6targetE1EEEvT1_: ; @_ZN7rocprim17ROCPRIM_400000_NS6detail17trampoline_kernelINS0_14default_configENS1_33run_length_encode_config_selectorIbjNS0_4plusIjEEEEZZNS1_33reduce_by_key_impl_wrapped_configILNS1_25lookback_scan_determinismE0ES3_S7_N6hipcub16HIPCUB_304000_NS22TransformInputIteratorIbN2at6native8internal12_GLOBAL__N_110LoadBoolOpEPKhlEENS0_17constant_iteratorIjlEEPbPlSO_S6_NS0_8equal_toIbEEEE10hipError_tPvRmT2_T3_mT4_T5_T6_T7_T8_P12ihipStream_tbENKUlT_T0_E_clISt17integral_constantIbLb1EES18_EEDaS13_S14_EUlS13_E_NS1_11comp_targetILNS1_3genE3ELNS1_11target_archE908ELNS1_3gpuE7ELNS1_3repE0EEENS1_30default_config_static_selectorELNS0_4arch9wavefront6targetE1EEEvT1_
; %bb.0:
	.section	.rodata,"a",@progbits
	.p2align	6, 0x0
	.amdhsa_kernel _ZN7rocprim17ROCPRIM_400000_NS6detail17trampoline_kernelINS0_14default_configENS1_33run_length_encode_config_selectorIbjNS0_4plusIjEEEEZZNS1_33reduce_by_key_impl_wrapped_configILNS1_25lookback_scan_determinismE0ES3_S7_N6hipcub16HIPCUB_304000_NS22TransformInputIteratorIbN2at6native8internal12_GLOBAL__N_110LoadBoolOpEPKhlEENS0_17constant_iteratorIjlEEPbPlSO_S6_NS0_8equal_toIbEEEE10hipError_tPvRmT2_T3_mT4_T5_T6_T7_T8_P12ihipStream_tbENKUlT_T0_E_clISt17integral_constantIbLb1EES18_EEDaS13_S14_EUlS13_E_NS1_11comp_targetILNS1_3genE3ELNS1_11target_archE908ELNS1_3gpuE7ELNS1_3repE0EEENS1_30default_config_static_selectorELNS0_4arch9wavefront6targetE1EEEvT1_
		.amdhsa_group_segment_fixed_size 0
		.amdhsa_private_segment_fixed_size 0
		.amdhsa_kernarg_size 136
		.amdhsa_user_sgpr_count 6
		.amdhsa_user_sgpr_private_segment_buffer 1
		.amdhsa_user_sgpr_dispatch_ptr 0
		.amdhsa_user_sgpr_queue_ptr 0
		.amdhsa_user_sgpr_kernarg_segment_ptr 1
		.amdhsa_user_sgpr_dispatch_id 0
		.amdhsa_user_sgpr_flat_scratch_init 0
		.amdhsa_user_sgpr_kernarg_preload_length 0
		.amdhsa_user_sgpr_kernarg_preload_offset 0
		.amdhsa_user_sgpr_private_segment_size 0
		.amdhsa_uses_dynamic_stack 0
		.amdhsa_system_sgpr_private_segment_wavefront_offset 0
		.amdhsa_system_sgpr_workgroup_id_x 1
		.amdhsa_system_sgpr_workgroup_id_y 0
		.amdhsa_system_sgpr_workgroup_id_z 0
		.amdhsa_system_sgpr_workgroup_info 0
		.amdhsa_system_vgpr_workitem_id 0
		.amdhsa_next_free_vgpr 1
		.amdhsa_next_free_sgpr 0
		.amdhsa_accum_offset 4
		.amdhsa_reserve_vcc 0
		.amdhsa_reserve_flat_scratch 0
		.amdhsa_float_round_mode_32 0
		.amdhsa_float_round_mode_16_64 0
		.amdhsa_float_denorm_mode_32 3
		.amdhsa_float_denorm_mode_16_64 3
		.amdhsa_dx10_clamp 1
		.amdhsa_ieee_mode 1
		.amdhsa_fp16_overflow 0
		.amdhsa_tg_split 0
		.amdhsa_exception_fp_ieee_invalid_op 0
		.amdhsa_exception_fp_denorm_src 0
		.amdhsa_exception_fp_ieee_div_zero 0
		.amdhsa_exception_fp_ieee_overflow 0
		.amdhsa_exception_fp_ieee_underflow 0
		.amdhsa_exception_fp_ieee_inexact 0
		.amdhsa_exception_int_div_zero 0
	.end_amdhsa_kernel
	.section	.text._ZN7rocprim17ROCPRIM_400000_NS6detail17trampoline_kernelINS0_14default_configENS1_33run_length_encode_config_selectorIbjNS0_4plusIjEEEEZZNS1_33reduce_by_key_impl_wrapped_configILNS1_25lookback_scan_determinismE0ES3_S7_N6hipcub16HIPCUB_304000_NS22TransformInputIteratorIbN2at6native8internal12_GLOBAL__N_110LoadBoolOpEPKhlEENS0_17constant_iteratorIjlEEPbPlSO_S6_NS0_8equal_toIbEEEE10hipError_tPvRmT2_T3_mT4_T5_T6_T7_T8_P12ihipStream_tbENKUlT_T0_E_clISt17integral_constantIbLb1EES18_EEDaS13_S14_EUlS13_E_NS1_11comp_targetILNS1_3genE3ELNS1_11target_archE908ELNS1_3gpuE7ELNS1_3repE0EEENS1_30default_config_static_selectorELNS0_4arch9wavefront6targetE1EEEvT1_,"axG",@progbits,_ZN7rocprim17ROCPRIM_400000_NS6detail17trampoline_kernelINS0_14default_configENS1_33run_length_encode_config_selectorIbjNS0_4plusIjEEEEZZNS1_33reduce_by_key_impl_wrapped_configILNS1_25lookback_scan_determinismE0ES3_S7_N6hipcub16HIPCUB_304000_NS22TransformInputIteratorIbN2at6native8internal12_GLOBAL__N_110LoadBoolOpEPKhlEENS0_17constant_iteratorIjlEEPbPlSO_S6_NS0_8equal_toIbEEEE10hipError_tPvRmT2_T3_mT4_T5_T6_T7_T8_P12ihipStream_tbENKUlT_T0_E_clISt17integral_constantIbLb1EES18_EEDaS13_S14_EUlS13_E_NS1_11comp_targetILNS1_3genE3ELNS1_11target_archE908ELNS1_3gpuE7ELNS1_3repE0EEENS1_30default_config_static_selectorELNS0_4arch9wavefront6targetE1EEEvT1_,comdat
.Lfunc_end71:
	.size	_ZN7rocprim17ROCPRIM_400000_NS6detail17trampoline_kernelINS0_14default_configENS1_33run_length_encode_config_selectorIbjNS0_4plusIjEEEEZZNS1_33reduce_by_key_impl_wrapped_configILNS1_25lookback_scan_determinismE0ES3_S7_N6hipcub16HIPCUB_304000_NS22TransformInputIteratorIbN2at6native8internal12_GLOBAL__N_110LoadBoolOpEPKhlEENS0_17constant_iteratorIjlEEPbPlSO_S6_NS0_8equal_toIbEEEE10hipError_tPvRmT2_T3_mT4_T5_T6_T7_T8_P12ihipStream_tbENKUlT_T0_E_clISt17integral_constantIbLb1EES18_EEDaS13_S14_EUlS13_E_NS1_11comp_targetILNS1_3genE3ELNS1_11target_archE908ELNS1_3gpuE7ELNS1_3repE0EEENS1_30default_config_static_selectorELNS0_4arch9wavefront6targetE1EEEvT1_, .Lfunc_end71-_ZN7rocprim17ROCPRIM_400000_NS6detail17trampoline_kernelINS0_14default_configENS1_33run_length_encode_config_selectorIbjNS0_4plusIjEEEEZZNS1_33reduce_by_key_impl_wrapped_configILNS1_25lookback_scan_determinismE0ES3_S7_N6hipcub16HIPCUB_304000_NS22TransformInputIteratorIbN2at6native8internal12_GLOBAL__N_110LoadBoolOpEPKhlEENS0_17constant_iteratorIjlEEPbPlSO_S6_NS0_8equal_toIbEEEE10hipError_tPvRmT2_T3_mT4_T5_T6_T7_T8_P12ihipStream_tbENKUlT_T0_E_clISt17integral_constantIbLb1EES18_EEDaS13_S14_EUlS13_E_NS1_11comp_targetILNS1_3genE3ELNS1_11target_archE908ELNS1_3gpuE7ELNS1_3repE0EEENS1_30default_config_static_selectorELNS0_4arch9wavefront6targetE1EEEvT1_
                                        ; -- End function
	.section	.AMDGPU.csdata,"",@progbits
; Kernel info:
; codeLenInByte = 0
; NumSgprs: 4
; NumVgprs: 0
; NumAgprs: 0
; TotalNumVgprs: 0
; ScratchSize: 0
; MemoryBound: 0
; FloatMode: 240
; IeeeMode: 1
; LDSByteSize: 0 bytes/workgroup (compile time only)
; SGPRBlocks: 0
; VGPRBlocks: 0
; NumSGPRsForWavesPerEU: 4
; NumVGPRsForWavesPerEU: 1
; AccumOffset: 4
; Occupancy: 8
; WaveLimiterHint : 0
; COMPUTE_PGM_RSRC2:SCRATCH_EN: 0
; COMPUTE_PGM_RSRC2:USER_SGPR: 6
; COMPUTE_PGM_RSRC2:TRAP_HANDLER: 0
; COMPUTE_PGM_RSRC2:TGID_X_EN: 1
; COMPUTE_PGM_RSRC2:TGID_Y_EN: 0
; COMPUTE_PGM_RSRC2:TGID_Z_EN: 0
; COMPUTE_PGM_RSRC2:TIDIG_COMP_CNT: 0
; COMPUTE_PGM_RSRC3_GFX90A:ACCUM_OFFSET: 0
; COMPUTE_PGM_RSRC3_GFX90A:TG_SPLIT: 0
	.section	.text._ZN7rocprim17ROCPRIM_400000_NS6detail17trampoline_kernelINS0_14default_configENS1_33run_length_encode_config_selectorIbjNS0_4plusIjEEEEZZNS1_33reduce_by_key_impl_wrapped_configILNS1_25lookback_scan_determinismE0ES3_S7_N6hipcub16HIPCUB_304000_NS22TransformInputIteratorIbN2at6native8internal12_GLOBAL__N_110LoadBoolOpEPKhlEENS0_17constant_iteratorIjlEEPbPlSO_S6_NS0_8equal_toIbEEEE10hipError_tPvRmT2_T3_mT4_T5_T6_T7_T8_P12ihipStream_tbENKUlT_T0_E_clISt17integral_constantIbLb1EES18_EEDaS13_S14_EUlS13_E_NS1_11comp_targetILNS1_3genE2ELNS1_11target_archE906ELNS1_3gpuE6ELNS1_3repE0EEENS1_30default_config_static_selectorELNS0_4arch9wavefront6targetE1EEEvT1_,"axG",@progbits,_ZN7rocprim17ROCPRIM_400000_NS6detail17trampoline_kernelINS0_14default_configENS1_33run_length_encode_config_selectorIbjNS0_4plusIjEEEEZZNS1_33reduce_by_key_impl_wrapped_configILNS1_25lookback_scan_determinismE0ES3_S7_N6hipcub16HIPCUB_304000_NS22TransformInputIteratorIbN2at6native8internal12_GLOBAL__N_110LoadBoolOpEPKhlEENS0_17constant_iteratorIjlEEPbPlSO_S6_NS0_8equal_toIbEEEE10hipError_tPvRmT2_T3_mT4_T5_T6_T7_T8_P12ihipStream_tbENKUlT_T0_E_clISt17integral_constantIbLb1EES18_EEDaS13_S14_EUlS13_E_NS1_11comp_targetILNS1_3genE2ELNS1_11target_archE906ELNS1_3gpuE6ELNS1_3repE0EEENS1_30default_config_static_selectorELNS0_4arch9wavefront6targetE1EEEvT1_,comdat
	.globl	_ZN7rocprim17ROCPRIM_400000_NS6detail17trampoline_kernelINS0_14default_configENS1_33run_length_encode_config_selectorIbjNS0_4plusIjEEEEZZNS1_33reduce_by_key_impl_wrapped_configILNS1_25lookback_scan_determinismE0ES3_S7_N6hipcub16HIPCUB_304000_NS22TransformInputIteratorIbN2at6native8internal12_GLOBAL__N_110LoadBoolOpEPKhlEENS0_17constant_iteratorIjlEEPbPlSO_S6_NS0_8equal_toIbEEEE10hipError_tPvRmT2_T3_mT4_T5_T6_T7_T8_P12ihipStream_tbENKUlT_T0_E_clISt17integral_constantIbLb1EES18_EEDaS13_S14_EUlS13_E_NS1_11comp_targetILNS1_3genE2ELNS1_11target_archE906ELNS1_3gpuE6ELNS1_3repE0EEENS1_30default_config_static_selectorELNS0_4arch9wavefront6targetE1EEEvT1_ ; -- Begin function _ZN7rocprim17ROCPRIM_400000_NS6detail17trampoline_kernelINS0_14default_configENS1_33run_length_encode_config_selectorIbjNS0_4plusIjEEEEZZNS1_33reduce_by_key_impl_wrapped_configILNS1_25lookback_scan_determinismE0ES3_S7_N6hipcub16HIPCUB_304000_NS22TransformInputIteratorIbN2at6native8internal12_GLOBAL__N_110LoadBoolOpEPKhlEENS0_17constant_iteratorIjlEEPbPlSO_S6_NS0_8equal_toIbEEEE10hipError_tPvRmT2_T3_mT4_T5_T6_T7_T8_P12ihipStream_tbENKUlT_T0_E_clISt17integral_constantIbLb1EES18_EEDaS13_S14_EUlS13_E_NS1_11comp_targetILNS1_3genE2ELNS1_11target_archE906ELNS1_3gpuE6ELNS1_3repE0EEENS1_30default_config_static_selectorELNS0_4arch9wavefront6targetE1EEEvT1_
	.p2align	8
	.type	_ZN7rocprim17ROCPRIM_400000_NS6detail17trampoline_kernelINS0_14default_configENS1_33run_length_encode_config_selectorIbjNS0_4plusIjEEEEZZNS1_33reduce_by_key_impl_wrapped_configILNS1_25lookback_scan_determinismE0ES3_S7_N6hipcub16HIPCUB_304000_NS22TransformInputIteratorIbN2at6native8internal12_GLOBAL__N_110LoadBoolOpEPKhlEENS0_17constant_iteratorIjlEEPbPlSO_S6_NS0_8equal_toIbEEEE10hipError_tPvRmT2_T3_mT4_T5_T6_T7_T8_P12ihipStream_tbENKUlT_T0_E_clISt17integral_constantIbLb1EES18_EEDaS13_S14_EUlS13_E_NS1_11comp_targetILNS1_3genE2ELNS1_11target_archE906ELNS1_3gpuE6ELNS1_3repE0EEENS1_30default_config_static_selectorELNS0_4arch9wavefront6targetE1EEEvT1_,@function
_ZN7rocprim17ROCPRIM_400000_NS6detail17trampoline_kernelINS0_14default_configENS1_33run_length_encode_config_selectorIbjNS0_4plusIjEEEEZZNS1_33reduce_by_key_impl_wrapped_configILNS1_25lookback_scan_determinismE0ES3_S7_N6hipcub16HIPCUB_304000_NS22TransformInputIteratorIbN2at6native8internal12_GLOBAL__N_110LoadBoolOpEPKhlEENS0_17constant_iteratorIjlEEPbPlSO_S6_NS0_8equal_toIbEEEE10hipError_tPvRmT2_T3_mT4_T5_T6_T7_T8_P12ihipStream_tbENKUlT_T0_E_clISt17integral_constantIbLb1EES18_EEDaS13_S14_EUlS13_E_NS1_11comp_targetILNS1_3genE2ELNS1_11target_archE906ELNS1_3gpuE6ELNS1_3repE0EEENS1_30default_config_static_selectorELNS0_4arch9wavefront6targetE1EEEvT1_: ; @_ZN7rocprim17ROCPRIM_400000_NS6detail17trampoline_kernelINS0_14default_configENS1_33run_length_encode_config_selectorIbjNS0_4plusIjEEEEZZNS1_33reduce_by_key_impl_wrapped_configILNS1_25lookback_scan_determinismE0ES3_S7_N6hipcub16HIPCUB_304000_NS22TransformInputIteratorIbN2at6native8internal12_GLOBAL__N_110LoadBoolOpEPKhlEENS0_17constant_iteratorIjlEEPbPlSO_S6_NS0_8equal_toIbEEEE10hipError_tPvRmT2_T3_mT4_T5_T6_T7_T8_P12ihipStream_tbENKUlT_T0_E_clISt17integral_constantIbLb1EES18_EEDaS13_S14_EUlS13_E_NS1_11comp_targetILNS1_3genE2ELNS1_11target_archE906ELNS1_3gpuE6ELNS1_3repE0EEENS1_30default_config_static_selectorELNS0_4arch9wavefront6targetE1EEEvT1_
; %bb.0:
	.section	.rodata,"a",@progbits
	.p2align	6, 0x0
	.amdhsa_kernel _ZN7rocprim17ROCPRIM_400000_NS6detail17trampoline_kernelINS0_14default_configENS1_33run_length_encode_config_selectorIbjNS0_4plusIjEEEEZZNS1_33reduce_by_key_impl_wrapped_configILNS1_25lookback_scan_determinismE0ES3_S7_N6hipcub16HIPCUB_304000_NS22TransformInputIteratorIbN2at6native8internal12_GLOBAL__N_110LoadBoolOpEPKhlEENS0_17constant_iteratorIjlEEPbPlSO_S6_NS0_8equal_toIbEEEE10hipError_tPvRmT2_T3_mT4_T5_T6_T7_T8_P12ihipStream_tbENKUlT_T0_E_clISt17integral_constantIbLb1EES18_EEDaS13_S14_EUlS13_E_NS1_11comp_targetILNS1_3genE2ELNS1_11target_archE906ELNS1_3gpuE6ELNS1_3repE0EEENS1_30default_config_static_selectorELNS0_4arch9wavefront6targetE1EEEvT1_
		.amdhsa_group_segment_fixed_size 0
		.amdhsa_private_segment_fixed_size 0
		.amdhsa_kernarg_size 136
		.amdhsa_user_sgpr_count 6
		.amdhsa_user_sgpr_private_segment_buffer 1
		.amdhsa_user_sgpr_dispatch_ptr 0
		.amdhsa_user_sgpr_queue_ptr 0
		.amdhsa_user_sgpr_kernarg_segment_ptr 1
		.amdhsa_user_sgpr_dispatch_id 0
		.amdhsa_user_sgpr_flat_scratch_init 0
		.amdhsa_user_sgpr_kernarg_preload_length 0
		.amdhsa_user_sgpr_kernarg_preload_offset 0
		.amdhsa_user_sgpr_private_segment_size 0
		.amdhsa_uses_dynamic_stack 0
		.amdhsa_system_sgpr_private_segment_wavefront_offset 0
		.amdhsa_system_sgpr_workgroup_id_x 1
		.amdhsa_system_sgpr_workgroup_id_y 0
		.amdhsa_system_sgpr_workgroup_id_z 0
		.amdhsa_system_sgpr_workgroup_info 0
		.amdhsa_system_vgpr_workitem_id 0
		.amdhsa_next_free_vgpr 1
		.amdhsa_next_free_sgpr 0
		.amdhsa_accum_offset 4
		.amdhsa_reserve_vcc 0
		.amdhsa_reserve_flat_scratch 0
		.amdhsa_float_round_mode_32 0
		.amdhsa_float_round_mode_16_64 0
		.amdhsa_float_denorm_mode_32 3
		.amdhsa_float_denorm_mode_16_64 3
		.amdhsa_dx10_clamp 1
		.amdhsa_ieee_mode 1
		.amdhsa_fp16_overflow 0
		.amdhsa_tg_split 0
		.amdhsa_exception_fp_ieee_invalid_op 0
		.amdhsa_exception_fp_denorm_src 0
		.amdhsa_exception_fp_ieee_div_zero 0
		.amdhsa_exception_fp_ieee_overflow 0
		.amdhsa_exception_fp_ieee_underflow 0
		.amdhsa_exception_fp_ieee_inexact 0
		.amdhsa_exception_int_div_zero 0
	.end_amdhsa_kernel
	.section	.text._ZN7rocprim17ROCPRIM_400000_NS6detail17trampoline_kernelINS0_14default_configENS1_33run_length_encode_config_selectorIbjNS0_4plusIjEEEEZZNS1_33reduce_by_key_impl_wrapped_configILNS1_25lookback_scan_determinismE0ES3_S7_N6hipcub16HIPCUB_304000_NS22TransformInputIteratorIbN2at6native8internal12_GLOBAL__N_110LoadBoolOpEPKhlEENS0_17constant_iteratorIjlEEPbPlSO_S6_NS0_8equal_toIbEEEE10hipError_tPvRmT2_T3_mT4_T5_T6_T7_T8_P12ihipStream_tbENKUlT_T0_E_clISt17integral_constantIbLb1EES18_EEDaS13_S14_EUlS13_E_NS1_11comp_targetILNS1_3genE2ELNS1_11target_archE906ELNS1_3gpuE6ELNS1_3repE0EEENS1_30default_config_static_selectorELNS0_4arch9wavefront6targetE1EEEvT1_,"axG",@progbits,_ZN7rocprim17ROCPRIM_400000_NS6detail17trampoline_kernelINS0_14default_configENS1_33run_length_encode_config_selectorIbjNS0_4plusIjEEEEZZNS1_33reduce_by_key_impl_wrapped_configILNS1_25lookback_scan_determinismE0ES3_S7_N6hipcub16HIPCUB_304000_NS22TransformInputIteratorIbN2at6native8internal12_GLOBAL__N_110LoadBoolOpEPKhlEENS0_17constant_iteratorIjlEEPbPlSO_S6_NS0_8equal_toIbEEEE10hipError_tPvRmT2_T3_mT4_T5_T6_T7_T8_P12ihipStream_tbENKUlT_T0_E_clISt17integral_constantIbLb1EES18_EEDaS13_S14_EUlS13_E_NS1_11comp_targetILNS1_3genE2ELNS1_11target_archE906ELNS1_3gpuE6ELNS1_3repE0EEENS1_30default_config_static_selectorELNS0_4arch9wavefront6targetE1EEEvT1_,comdat
.Lfunc_end72:
	.size	_ZN7rocprim17ROCPRIM_400000_NS6detail17trampoline_kernelINS0_14default_configENS1_33run_length_encode_config_selectorIbjNS0_4plusIjEEEEZZNS1_33reduce_by_key_impl_wrapped_configILNS1_25lookback_scan_determinismE0ES3_S7_N6hipcub16HIPCUB_304000_NS22TransformInputIteratorIbN2at6native8internal12_GLOBAL__N_110LoadBoolOpEPKhlEENS0_17constant_iteratorIjlEEPbPlSO_S6_NS0_8equal_toIbEEEE10hipError_tPvRmT2_T3_mT4_T5_T6_T7_T8_P12ihipStream_tbENKUlT_T0_E_clISt17integral_constantIbLb1EES18_EEDaS13_S14_EUlS13_E_NS1_11comp_targetILNS1_3genE2ELNS1_11target_archE906ELNS1_3gpuE6ELNS1_3repE0EEENS1_30default_config_static_selectorELNS0_4arch9wavefront6targetE1EEEvT1_, .Lfunc_end72-_ZN7rocprim17ROCPRIM_400000_NS6detail17trampoline_kernelINS0_14default_configENS1_33run_length_encode_config_selectorIbjNS0_4plusIjEEEEZZNS1_33reduce_by_key_impl_wrapped_configILNS1_25lookback_scan_determinismE0ES3_S7_N6hipcub16HIPCUB_304000_NS22TransformInputIteratorIbN2at6native8internal12_GLOBAL__N_110LoadBoolOpEPKhlEENS0_17constant_iteratorIjlEEPbPlSO_S6_NS0_8equal_toIbEEEE10hipError_tPvRmT2_T3_mT4_T5_T6_T7_T8_P12ihipStream_tbENKUlT_T0_E_clISt17integral_constantIbLb1EES18_EEDaS13_S14_EUlS13_E_NS1_11comp_targetILNS1_3genE2ELNS1_11target_archE906ELNS1_3gpuE6ELNS1_3repE0EEENS1_30default_config_static_selectorELNS0_4arch9wavefront6targetE1EEEvT1_
                                        ; -- End function
	.section	.AMDGPU.csdata,"",@progbits
; Kernel info:
; codeLenInByte = 0
; NumSgprs: 4
; NumVgprs: 0
; NumAgprs: 0
; TotalNumVgprs: 0
; ScratchSize: 0
; MemoryBound: 0
; FloatMode: 240
; IeeeMode: 1
; LDSByteSize: 0 bytes/workgroup (compile time only)
; SGPRBlocks: 0
; VGPRBlocks: 0
; NumSGPRsForWavesPerEU: 4
; NumVGPRsForWavesPerEU: 1
; AccumOffset: 4
; Occupancy: 8
; WaveLimiterHint : 0
; COMPUTE_PGM_RSRC2:SCRATCH_EN: 0
; COMPUTE_PGM_RSRC2:USER_SGPR: 6
; COMPUTE_PGM_RSRC2:TRAP_HANDLER: 0
; COMPUTE_PGM_RSRC2:TGID_X_EN: 1
; COMPUTE_PGM_RSRC2:TGID_Y_EN: 0
; COMPUTE_PGM_RSRC2:TGID_Z_EN: 0
; COMPUTE_PGM_RSRC2:TIDIG_COMP_CNT: 0
; COMPUTE_PGM_RSRC3_GFX90A:ACCUM_OFFSET: 0
; COMPUTE_PGM_RSRC3_GFX90A:TG_SPLIT: 0
	.section	.text._ZN7rocprim17ROCPRIM_400000_NS6detail17trampoline_kernelINS0_14default_configENS1_33run_length_encode_config_selectorIbjNS0_4plusIjEEEEZZNS1_33reduce_by_key_impl_wrapped_configILNS1_25lookback_scan_determinismE0ES3_S7_N6hipcub16HIPCUB_304000_NS22TransformInputIteratorIbN2at6native8internal12_GLOBAL__N_110LoadBoolOpEPKhlEENS0_17constant_iteratorIjlEEPbPlSO_S6_NS0_8equal_toIbEEEE10hipError_tPvRmT2_T3_mT4_T5_T6_T7_T8_P12ihipStream_tbENKUlT_T0_E_clISt17integral_constantIbLb1EES18_EEDaS13_S14_EUlS13_E_NS1_11comp_targetILNS1_3genE10ELNS1_11target_archE1201ELNS1_3gpuE5ELNS1_3repE0EEENS1_30default_config_static_selectorELNS0_4arch9wavefront6targetE1EEEvT1_,"axG",@progbits,_ZN7rocprim17ROCPRIM_400000_NS6detail17trampoline_kernelINS0_14default_configENS1_33run_length_encode_config_selectorIbjNS0_4plusIjEEEEZZNS1_33reduce_by_key_impl_wrapped_configILNS1_25lookback_scan_determinismE0ES3_S7_N6hipcub16HIPCUB_304000_NS22TransformInputIteratorIbN2at6native8internal12_GLOBAL__N_110LoadBoolOpEPKhlEENS0_17constant_iteratorIjlEEPbPlSO_S6_NS0_8equal_toIbEEEE10hipError_tPvRmT2_T3_mT4_T5_T6_T7_T8_P12ihipStream_tbENKUlT_T0_E_clISt17integral_constantIbLb1EES18_EEDaS13_S14_EUlS13_E_NS1_11comp_targetILNS1_3genE10ELNS1_11target_archE1201ELNS1_3gpuE5ELNS1_3repE0EEENS1_30default_config_static_selectorELNS0_4arch9wavefront6targetE1EEEvT1_,comdat
	.globl	_ZN7rocprim17ROCPRIM_400000_NS6detail17trampoline_kernelINS0_14default_configENS1_33run_length_encode_config_selectorIbjNS0_4plusIjEEEEZZNS1_33reduce_by_key_impl_wrapped_configILNS1_25lookback_scan_determinismE0ES3_S7_N6hipcub16HIPCUB_304000_NS22TransformInputIteratorIbN2at6native8internal12_GLOBAL__N_110LoadBoolOpEPKhlEENS0_17constant_iteratorIjlEEPbPlSO_S6_NS0_8equal_toIbEEEE10hipError_tPvRmT2_T3_mT4_T5_T6_T7_T8_P12ihipStream_tbENKUlT_T0_E_clISt17integral_constantIbLb1EES18_EEDaS13_S14_EUlS13_E_NS1_11comp_targetILNS1_3genE10ELNS1_11target_archE1201ELNS1_3gpuE5ELNS1_3repE0EEENS1_30default_config_static_selectorELNS0_4arch9wavefront6targetE1EEEvT1_ ; -- Begin function _ZN7rocprim17ROCPRIM_400000_NS6detail17trampoline_kernelINS0_14default_configENS1_33run_length_encode_config_selectorIbjNS0_4plusIjEEEEZZNS1_33reduce_by_key_impl_wrapped_configILNS1_25lookback_scan_determinismE0ES3_S7_N6hipcub16HIPCUB_304000_NS22TransformInputIteratorIbN2at6native8internal12_GLOBAL__N_110LoadBoolOpEPKhlEENS0_17constant_iteratorIjlEEPbPlSO_S6_NS0_8equal_toIbEEEE10hipError_tPvRmT2_T3_mT4_T5_T6_T7_T8_P12ihipStream_tbENKUlT_T0_E_clISt17integral_constantIbLb1EES18_EEDaS13_S14_EUlS13_E_NS1_11comp_targetILNS1_3genE10ELNS1_11target_archE1201ELNS1_3gpuE5ELNS1_3repE0EEENS1_30default_config_static_selectorELNS0_4arch9wavefront6targetE1EEEvT1_
	.p2align	8
	.type	_ZN7rocprim17ROCPRIM_400000_NS6detail17trampoline_kernelINS0_14default_configENS1_33run_length_encode_config_selectorIbjNS0_4plusIjEEEEZZNS1_33reduce_by_key_impl_wrapped_configILNS1_25lookback_scan_determinismE0ES3_S7_N6hipcub16HIPCUB_304000_NS22TransformInputIteratorIbN2at6native8internal12_GLOBAL__N_110LoadBoolOpEPKhlEENS0_17constant_iteratorIjlEEPbPlSO_S6_NS0_8equal_toIbEEEE10hipError_tPvRmT2_T3_mT4_T5_T6_T7_T8_P12ihipStream_tbENKUlT_T0_E_clISt17integral_constantIbLb1EES18_EEDaS13_S14_EUlS13_E_NS1_11comp_targetILNS1_3genE10ELNS1_11target_archE1201ELNS1_3gpuE5ELNS1_3repE0EEENS1_30default_config_static_selectorELNS0_4arch9wavefront6targetE1EEEvT1_,@function
_ZN7rocprim17ROCPRIM_400000_NS6detail17trampoline_kernelINS0_14default_configENS1_33run_length_encode_config_selectorIbjNS0_4plusIjEEEEZZNS1_33reduce_by_key_impl_wrapped_configILNS1_25lookback_scan_determinismE0ES3_S7_N6hipcub16HIPCUB_304000_NS22TransformInputIteratorIbN2at6native8internal12_GLOBAL__N_110LoadBoolOpEPKhlEENS0_17constant_iteratorIjlEEPbPlSO_S6_NS0_8equal_toIbEEEE10hipError_tPvRmT2_T3_mT4_T5_T6_T7_T8_P12ihipStream_tbENKUlT_T0_E_clISt17integral_constantIbLb1EES18_EEDaS13_S14_EUlS13_E_NS1_11comp_targetILNS1_3genE10ELNS1_11target_archE1201ELNS1_3gpuE5ELNS1_3repE0EEENS1_30default_config_static_selectorELNS0_4arch9wavefront6targetE1EEEvT1_: ; @_ZN7rocprim17ROCPRIM_400000_NS6detail17trampoline_kernelINS0_14default_configENS1_33run_length_encode_config_selectorIbjNS0_4plusIjEEEEZZNS1_33reduce_by_key_impl_wrapped_configILNS1_25lookback_scan_determinismE0ES3_S7_N6hipcub16HIPCUB_304000_NS22TransformInputIteratorIbN2at6native8internal12_GLOBAL__N_110LoadBoolOpEPKhlEENS0_17constant_iteratorIjlEEPbPlSO_S6_NS0_8equal_toIbEEEE10hipError_tPvRmT2_T3_mT4_T5_T6_T7_T8_P12ihipStream_tbENKUlT_T0_E_clISt17integral_constantIbLb1EES18_EEDaS13_S14_EUlS13_E_NS1_11comp_targetILNS1_3genE10ELNS1_11target_archE1201ELNS1_3gpuE5ELNS1_3repE0EEENS1_30default_config_static_selectorELNS0_4arch9wavefront6targetE1EEEvT1_
; %bb.0:
	.section	.rodata,"a",@progbits
	.p2align	6, 0x0
	.amdhsa_kernel _ZN7rocprim17ROCPRIM_400000_NS6detail17trampoline_kernelINS0_14default_configENS1_33run_length_encode_config_selectorIbjNS0_4plusIjEEEEZZNS1_33reduce_by_key_impl_wrapped_configILNS1_25lookback_scan_determinismE0ES3_S7_N6hipcub16HIPCUB_304000_NS22TransformInputIteratorIbN2at6native8internal12_GLOBAL__N_110LoadBoolOpEPKhlEENS0_17constant_iteratorIjlEEPbPlSO_S6_NS0_8equal_toIbEEEE10hipError_tPvRmT2_T3_mT4_T5_T6_T7_T8_P12ihipStream_tbENKUlT_T0_E_clISt17integral_constantIbLb1EES18_EEDaS13_S14_EUlS13_E_NS1_11comp_targetILNS1_3genE10ELNS1_11target_archE1201ELNS1_3gpuE5ELNS1_3repE0EEENS1_30default_config_static_selectorELNS0_4arch9wavefront6targetE1EEEvT1_
		.amdhsa_group_segment_fixed_size 0
		.amdhsa_private_segment_fixed_size 0
		.amdhsa_kernarg_size 136
		.amdhsa_user_sgpr_count 6
		.amdhsa_user_sgpr_private_segment_buffer 1
		.amdhsa_user_sgpr_dispatch_ptr 0
		.amdhsa_user_sgpr_queue_ptr 0
		.amdhsa_user_sgpr_kernarg_segment_ptr 1
		.amdhsa_user_sgpr_dispatch_id 0
		.amdhsa_user_sgpr_flat_scratch_init 0
		.amdhsa_user_sgpr_kernarg_preload_length 0
		.amdhsa_user_sgpr_kernarg_preload_offset 0
		.amdhsa_user_sgpr_private_segment_size 0
		.amdhsa_uses_dynamic_stack 0
		.amdhsa_system_sgpr_private_segment_wavefront_offset 0
		.amdhsa_system_sgpr_workgroup_id_x 1
		.amdhsa_system_sgpr_workgroup_id_y 0
		.amdhsa_system_sgpr_workgroup_id_z 0
		.amdhsa_system_sgpr_workgroup_info 0
		.amdhsa_system_vgpr_workitem_id 0
		.amdhsa_next_free_vgpr 1
		.amdhsa_next_free_sgpr 0
		.amdhsa_accum_offset 4
		.amdhsa_reserve_vcc 0
		.amdhsa_reserve_flat_scratch 0
		.amdhsa_float_round_mode_32 0
		.amdhsa_float_round_mode_16_64 0
		.amdhsa_float_denorm_mode_32 3
		.amdhsa_float_denorm_mode_16_64 3
		.amdhsa_dx10_clamp 1
		.amdhsa_ieee_mode 1
		.amdhsa_fp16_overflow 0
		.amdhsa_tg_split 0
		.amdhsa_exception_fp_ieee_invalid_op 0
		.amdhsa_exception_fp_denorm_src 0
		.amdhsa_exception_fp_ieee_div_zero 0
		.amdhsa_exception_fp_ieee_overflow 0
		.amdhsa_exception_fp_ieee_underflow 0
		.amdhsa_exception_fp_ieee_inexact 0
		.amdhsa_exception_int_div_zero 0
	.end_amdhsa_kernel
	.section	.text._ZN7rocprim17ROCPRIM_400000_NS6detail17trampoline_kernelINS0_14default_configENS1_33run_length_encode_config_selectorIbjNS0_4plusIjEEEEZZNS1_33reduce_by_key_impl_wrapped_configILNS1_25lookback_scan_determinismE0ES3_S7_N6hipcub16HIPCUB_304000_NS22TransformInputIteratorIbN2at6native8internal12_GLOBAL__N_110LoadBoolOpEPKhlEENS0_17constant_iteratorIjlEEPbPlSO_S6_NS0_8equal_toIbEEEE10hipError_tPvRmT2_T3_mT4_T5_T6_T7_T8_P12ihipStream_tbENKUlT_T0_E_clISt17integral_constantIbLb1EES18_EEDaS13_S14_EUlS13_E_NS1_11comp_targetILNS1_3genE10ELNS1_11target_archE1201ELNS1_3gpuE5ELNS1_3repE0EEENS1_30default_config_static_selectorELNS0_4arch9wavefront6targetE1EEEvT1_,"axG",@progbits,_ZN7rocprim17ROCPRIM_400000_NS6detail17trampoline_kernelINS0_14default_configENS1_33run_length_encode_config_selectorIbjNS0_4plusIjEEEEZZNS1_33reduce_by_key_impl_wrapped_configILNS1_25lookback_scan_determinismE0ES3_S7_N6hipcub16HIPCUB_304000_NS22TransformInputIteratorIbN2at6native8internal12_GLOBAL__N_110LoadBoolOpEPKhlEENS0_17constant_iteratorIjlEEPbPlSO_S6_NS0_8equal_toIbEEEE10hipError_tPvRmT2_T3_mT4_T5_T6_T7_T8_P12ihipStream_tbENKUlT_T0_E_clISt17integral_constantIbLb1EES18_EEDaS13_S14_EUlS13_E_NS1_11comp_targetILNS1_3genE10ELNS1_11target_archE1201ELNS1_3gpuE5ELNS1_3repE0EEENS1_30default_config_static_selectorELNS0_4arch9wavefront6targetE1EEEvT1_,comdat
.Lfunc_end73:
	.size	_ZN7rocprim17ROCPRIM_400000_NS6detail17trampoline_kernelINS0_14default_configENS1_33run_length_encode_config_selectorIbjNS0_4plusIjEEEEZZNS1_33reduce_by_key_impl_wrapped_configILNS1_25lookback_scan_determinismE0ES3_S7_N6hipcub16HIPCUB_304000_NS22TransformInputIteratorIbN2at6native8internal12_GLOBAL__N_110LoadBoolOpEPKhlEENS0_17constant_iteratorIjlEEPbPlSO_S6_NS0_8equal_toIbEEEE10hipError_tPvRmT2_T3_mT4_T5_T6_T7_T8_P12ihipStream_tbENKUlT_T0_E_clISt17integral_constantIbLb1EES18_EEDaS13_S14_EUlS13_E_NS1_11comp_targetILNS1_3genE10ELNS1_11target_archE1201ELNS1_3gpuE5ELNS1_3repE0EEENS1_30default_config_static_selectorELNS0_4arch9wavefront6targetE1EEEvT1_, .Lfunc_end73-_ZN7rocprim17ROCPRIM_400000_NS6detail17trampoline_kernelINS0_14default_configENS1_33run_length_encode_config_selectorIbjNS0_4plusIjEEEEZZNS1_33reduce_by_key_impl_wrapped_configILNS1_25lookback_scan_determinismE0ES3_S7_N6hipcub16HIPCUB_304000_NS22TransformInputIteratorIbN2at6native8internal12_GLOBAL__N_110LoadBoolOpEPKhlEENS0_17constant_iteratorIjlEEPbPlSO_S6_NS0_8equal_toIbEEEE10hipError_tPvRmT2_T3_mT4_T5_T6_T7_T8_P12ihipStream_tbENKUlT_T0_E_clISt17integral_constantIbLb1EES18_EEDaS13_S14_EUlS13_E_NS1_11comp_targetILNS1_3genE10ELNS1_11target_archE1201ELNS1_3gpuE5ELNS1_3repE0EEENS1_30default_config_static_selectorELNS0_4arch9wavefront6targetE1EEEvT1_
                                        ; -- End function
	.section	.AMDGPU.csdata,"",@progbits
; Kernel info:
; codeLenInByte = 0
; NumSgprs: 4
; NumVgprs: 0
; NumAgprs: 0
; TotalNumVgprs: 0
; ScratchSize: 0
; MemoryBound: 0
; FloatMode: 240
; IeeeMode: 1
; LDSByteSize: 0 bytes/workgroup (compile time only)
; SGPRBlocks: 0
; VGPRBlocks: 0
; NumSGPRsForWavesPerEU: 4
; NumVGPRsForWavesPerEU: 1
; AccumOffset: 4
; Occupancy: 8
; WaveLimiterHint : 0
; COMPUTE_PGM_RSRC2:SCRATCH_EN: 0
; COMPUTE_PGM_RSRC2:USER_SGPR: 6
; COMPUTE_PGM_RSRC2:TRAP_HANDLER: 0
; COMPUTE_PGM_RSRC2:TGID_X_EN: 1
; COMPUTE_PGM_RSRC2:TGID_Y_EN: 0
; COMPUTE_PGM_RSRC2:TGID_Z_EN: 0
; COMPUTE_PGM_RSRC2:TIDIG_COMP_CNT: 0
; COMPUTE_PGM_RSRC3_GFX90A:ACCUM_OFFSET: 0
; COMPUTE_PGM_RSRC3_GFX90A:TG_SPLIT: 0
	.section	.text._ZN7rocprim17ROCPRIM_400000_NS6detail17trampoline_kernelINS0_14default_configENS1_33run_length_encode_config_selectorIbjNS0_4plusIjEEEEZZNS1_33reduce_by_key_impl_wrapped_configILNS1_25lookback_scan_determinismE0ES3_S7_N6hipcub16HIPCUB_304000_NS22TransformInputIteratorIbN2at6native8internal12_GLOBAL__N_110LoadBoolOpEPKhlEENS0_17constant_iteratorIjlEEPbPlSO_S6_NS0_8equal_toIbEEEE10hipError_tPvRmT2_T3_mT4_T5_T6_T7_T8_P12ihipStream_tbENKUlT_T0_E_clISt17integral_constantIbLb1EES18_EEDaS13_S14_EUlS13_E_NS1_11comp_targetILNS1_3genE10ELNS1_11target_archE1200ELNS1_3gpuE4ELNS1_3repE0EEENS1_30default_config_static_selectorELNS0_4arch9wavefront6targetE1EEEvT1_,"axG",@progbits,_ZN7rocprim17ROCPRIM_400000_NS6detail17trampoline_kernelINS0_14default_configENS1_33run_length_encode_config_selectorIbjNS0_4plusIjEEEEZZNS1_33reduce_by_key_impl_wrapped_configILNS1_25lookback_scan_determinismE0ES3_S7_N6hipcub16HIPCUB_304000_NS22TransformInputIteratorIbN2at6native8internal12_GLOBAL__N_110LoadBoolOpEPKhlEENS0_17constant_iteratorIjlEEPbPlSO_S6_NS0_8equal_toIbEEEE10hipError_tPvRmT2_T3_mT4_T5_T6_T7_T8_P12ihipStream_tbENKUlT_T0_E_clISt17integral_constantIbLb1EES18_EEDaS13_S14_EUlS13_E_NS1_11comp_targetILNS1_3genE10ELNS1_11target_archE1200ELNS1_3gpuE4ELNS1_3repE0EEENS1_30default_config_static_selectorELNS0_4arch9wavefront6targetE1EEEvT1_,comdat
	.globl	_ZN7rocprim17ROCPRIM_400000_NS6detail17trampoline_kernelINS0_14default_configENS1_33run_length_encode_config_selectorIbjNS0_4plusIjEEEEZZNS1_33reduce_by_key_impl_wrapped_configILNS1_25lookback_scan_determinismE0ES3_S7_N6hipcub16HIPCUB_304000_NS22TransformInputIteratorIbN2at6native8internal12_GLOBAL__N_110LoadBoolOpEPKhlEENS0_17constant_iteratorIjlEEPbPlSO_S6_NS0_8equal_toIbEEEE10hipError_tPvRmT2_T3_mT4_T5_T6_T7_T8_P12ihipStream_tbENKUlT_T0_E_clISt17integral_constantIbLb1EES18_EEDaS13_S14_EUlS13_E_NS1_11comp_targetILNS1_3genE10ELNS1_11target_archE1200ELNS1_3gpuE4ELNS1_3repE0EEENS1_30default_config_static_selectorELNS0_4arch9wavefront6targetE1EEEvT1_ ; -- Begin function _ZN7rocprim17ROCPRIM_400000_NS6detail17trampoline_kernelINS0_14default_configENS1_33run_length_encode_config_selectorIbjNS0_4plusIjEEEEZZNS1_33reduce_by_key_impl_wrapped_configILNS1_25lookback_scan_determinismE0ES3_S7_N6hipcub16HIPCUB_304000_NS22TransformInputIteratorIbN2at6native8internal12_GLOBAL__N_110LoadBoolOpEPKhlEENS0_17constant_iteratorIjlEEPbPlSO_S6_NS0_8equal_toIbEEEE10hipError_tPvRmT2_T3_mT4_T5_T6_T7_T8_P12ihipStream_tbENKUlT_T0_E_clISt17integral_constantIbLb1EES18_EEDaS13_S14_EUlS13_E_NS1_11comp_targetILNS1_3genE10ELNS1_11target_archE1200ELNS1_3gpuE4ELNS1_3repE0EEENS1_30default_config_static_selectorELNS0_4arch9wavefront6targetE1EEEvT1_
	.p2align	8
	.type	_ZN7rocprim17ROCPRIM_400000_NS6detail17trampoline_kernelINS0_14default_configENS1_33run_length_encode_config_selectorIbjNS0_4plusIjEEEEZZNS1_33reduce_by_key_impl_wrapped_configILNS1_25lookback_scan_determinismE0ES3_S7_N6hipcub16HIPCUB_304000_NS22TransformInputIteratorIbN2at6native8internal12_GLOBAL__N_110LoadBoolOpEPKhlEENS0_17constant_iteratorIjlEEPbPlSO_S6_NS0_8equal_toIbEEEE10hipError_tPvRmT2_T3_mT4_T5_T6_T7_T8_P12ihipStream_tbENKUlT_T0_E_clISt17integral_constantIbLb1EES18_EEDaS13_S14_EUlS13_E_NS1_11comp_targetILNS1_3genE10ELNS1_11target_archE1200ELNS1_3gpuE4ELNS1_3repE0EEENS1_30default_config_static_selectorELNS0_4arch9wavefront6targetE1EEEvT1_,@function
_ZN7rocprim17ROCPRIM_400000_NS6detail17trampoline_kernelINS0_14default_configENS1_33run_length_encode_config_selectorIbjNS0_4plusIjEEEEZZNS1_33reduce_by_key_impl_wrapped_configILNS1_25lookback_scan_determinismE0ES3_S7_N6hipcub16HIPCUB_304000_NS22TransformInputIteratorIbN2at6native8internal12_GLOBAL__N_110LoadBoolOpEPKhlEENS0_17constant_iteratorIjlEEPbPlSO_S6_NS0_8equal_toIbEEEE10hipError_tPvRmT2_T3_mT4_T5_T6_T7_T8_P12ihipStream_tbENKUlT_T0_E_clISt17integral_constantIbLb1EES18_EEDaS13_S14_EUlS13_E_NS1_11comp_targetILNS1_3genE10ELNS1_11target_archE1200ELNS1_3gpuE4ELNS1_3repE0EEENS1_30default_config_static_selectorELNS0_4arch9wavefront6targetE1EEEvT1_: ; @_ZN7rocprim17ROCPRIM_400000_NS6detail17trampoline_kernelINS0_14default_configENS1_33run_length_encode_config_selectorIbjNS0_4plusIjEEEEZZNS1_33reduce_by_key_impl_wrapped_configILNS1_25lookback_scan_determinismE0ES3_S7_N6hipcub16HIPCUB_304000_NS22TransformInputIteratorIbN2at6native8internal12_GLOBAL__N_110LoadBoolOpEPKhlEENS0_17constant_iteratorIjlEEPbPlSO_S6_NS0_8equal_toIbEEEE10hipError_tPvRmT2_T3_mT4_T5_T6_T7_T8_P12ihipStream_tbENKUlT_T0_E_clISt17integral_constantIbLb1EES18_EEDaS13_S14_EUlS13_E_NS1_11comp_targetILNS1_3genE10ELNS1_11target_archE1200ELNS1_3gpuE4ELNS1_3repE0EEENS1_30default_config_static_selectorELNS0_4arch9wavefront6targetE1EEEvT1_
; %bb.0:
	.section	.rodata,"a",@progbits
	.p2align	6, 0x0
	.amdhsa_kernel _ZN7rocprim17ROCPRIM_400000_NS6detail17trampoline_kernelINS0_14default_configENS1_33run_length_encode_config_selectorIbjNS0_4plusIjEEEEZZNS1_33reduce_by_key_impl_wrapped_configILNS1_25lookback_scan_determinismE0ES3_S7_N6hipcub16HIPCUB_304000_NS22TransformInputIteratorIbN2at6native8internal12_GLOBAL__N_110LoadBoolOpEPKhlEENS0_17constant_iteratorIjlEEPbPlSO_S6_NS0_8equal_toIbEEEE10hipError_tPvRmT2_T3_mT4_T5_T6_T7_T8_P12ihipStream_tbENKUlT_T0_E_clISt17integral_constantIbLb1EES18_EEDaS13_S14_EUlS13_E_NS1_11comp_targetILNS1_3genE10ELNS1_11target_archE1200ELNS1_3gpuE4ELNS1_3repE0EEENS1_30default_config_static_selectorELNS0_4arch9wavefront6targetE1EEEvT1_
		.amdhsa_group_segment_fixed_size 0
		.amdhsa_private_segment_fixed_size 0
		.amdhsa_kernarg_size 136
		.amdhsa_user_sgpr_count 6
		.amdhsa_user_sgpr_private_segment_buffer 1
		.amdhsa_user_sgpr_dispatch_ptr 0
		.amdhsa_user_sgpr_queue_ptr 0
		.amdhsa_user_sgpr_kernarg_segment_ptr 1
		.amdhsa_user_sgpr_dispatch_id 0
		.amdhsa_user_sgpr_flat_scratch_init 0
		.amdhsa_user_sgpr_kernarg_preload_length 0
		.amdhsa_user_sgpr_kernarg_preload_offset 0
		.amdhsa_user_sgpr_private_segment_size 0
		.amdhsa_uses_dynamic_stack 0
		.amdhsa_system_sgpr_private_segment_wavefront_offset 0
		.amdhsa_system_sgpr_workgroup_id_x 1
		.amdhsa_system_sgpr_workgroup_id_y 0
		.amdhsa_system_sgpr_workgroup_id_z 0
		.amdhsa_system_sgpr_workgroup_info 0
		.amdhsa_system_vgpr_workitem_id 0
		.amdhsa_next_free_vgpr 1
		.amdhsa_next_free_sgpr 0
		.amdhsa_accum_offset 4
		.amdhsa_reserve_vcc 0
		.amdhsa_reserve_flat_scratch 0
		.amdhsa_float_round_mode_32 0
		.amdhsa_float_round_mode_16_64 0
		.amdhsa_float_denorm_mode_32 3
		.amdhsa_float_denorm_mode_16_64 3
		.amdhsa_dx10_clamp 1
		.amdhsa_ieee_mode 1
		.amdhsa_fp16_overflow 0
		.amdhsa_tg_split 0
		.amdhsa_exception_fp_ieee_invalid_op 0
		.amdhsa_exception_fp_denorm_src 0
		.amdhsa_exception_fp_ieee_div_zero 0
		.amdhsa_exception_fp_ieee_overflow 0
		.amdhsa_exception_fp_ieee_underflow 0
		.amdhsa_exception_fp_ieee_inexact 0
		.amdhsa_exception_int_div_zero 0
	.end_amdhsa_kernel
	.section	.text._ZN7rocprim17ROCPRIM_400000_NS6detail17trampoline_kernelINS0_14default_configENS1_33run_length_encode_config_selectorIbjNS0_4plusIjEEEEZZNS1_33reduce_by_key_impl_wrapped_configILNS1_25lookback_scan_determinismE0ES3_S7_N6hipcub16HIPCUB_304000_NS22TransformInputIteratorIbN2at6native8internal12_GLOBAL__N_110LoadBoolOpEPKhlEENS0_17constant_iteratorIjlEEPbPlSO_S6_NS0_8equal_toIbEEEE10hipError_tPvRmT2_T3_mT4_T5_T6_T7_T8_P12ihipStream_tbENKUlT_T0_E_clISt17integral_constantIbLb1EES18_EEDaS13_S14_EUlS13_E_NS1_11comp_targetILNS1_3genE10ELNS1_11target_archE1200ELNS1_3gpuE4ELNS1_3repE0EEENS1_30default_config_static_selectorELNS0_4arch9wavefront6targetE1EEEvT1_,"axG",@progbits,_ZN7rocprim17ROCPRIM_400000_NS6detail17trampoline_kernelINS0_14default_configENS1_33run_length_encode_config_selectorIbjNS0_4plusIjEEEEZZNS1_33reduce_by_key_impl_wrapped_configILNS1_25lookback_scan_determinismE0ES3_S7_N6hipcub16HIPCUB_304000_NS22TransformInputIteratorIbN2at6native8internal12_GLOBAL__N_110LoadBoolOpEPKhlEENS0_17constant_iteratorIjlEEPbPlSO_S6_NS0_8equal_toIbEEEE10hipError_tPvRmT2_T3_mT4_T5_T6_T7_T8_P12ihipStream_tbENKUlT_T0_E_clISt17integral_constantIbLb1EES18_EEDaS13_S14_EUlS13_E_NS1_11comp_targetILNS1_3genE10ELNS1_11target_archE1200ELNS1_3gpuE4ELNS1_3repE0EEENS1_30default_config_static_selectorELNS0_4arch9wavefront6targetE1EEEvT1_,comdat
.Lfunc_end74:
	.size	_ZN7rocprim17ROCPRIM_400000_NS6detail17trampoline_kernelINS0_14default_configENS1_33run_length_encode_config_selectorIbjNS0_4plusIjEEEEZZNS1_33reduce_by_key_impl_wrapped_configILNS1_25lookback_scan_determinismE0ES3_S7_N6hipcub16HIPCUB_304000_NS22TransformInputIteratorIbN2at6native8internal12_GLOBAL__N_110LoadBoolOpEPKhlEENS0_17constant_iteratorIjlEEPbPlSO_S6_NS0_8equal_toIbEEEE10hipError_tPvRmT2_T3_mT4_T5_T6_T7_T8_P12ihipStream_tbENKUlT_T0_E_clISt17integral_constantIbLb1EES18_EEDaS13_S14_EUlS13_E_NS1_11comp_targetILNS1_3genE10ELNS1_11target_archE1200ELNS1_3gpuE4ELNS1_3repE0EEENS1_30default_config_static_selectorELNS0_4arch9wavefront6targetE1EEEvT1_, .Lfunc_end74-_ZN7rocprim17ROCPRIM_400000_NS6detail17trampoline_kernelINS0_14default_configENS1_33run_length_encode_config_selectorIbjNS0_4plusIjEEEEZZNS1_33reduce_by_key_impl_wrapped_configILNS1_25lookback_scan_determinismE0ES3_S7_N6hipcub16HIPCUB_304000_NS22TransformInputIteratorIbN2at6native8internal12_GLOBAL__N_110LoadBoolOpEPKhlEENS0_17constant_iteratorIjlEEPbPlSO_S6_NS0_8equal_toIbEEEE10hipError_tPvRmT2_T3_mT4_T5_T6_T7_T8_P12ihipStream_tbENKUlT_T0_E_clISt17integral_constantIbLb1EES18_EEDaS13_S14_EUlS13_E_NS1_11comp_targetILNS1_3genE10ELNS1_11target_archE1200ELNS1_3gpuE4ELNS1_3repE0EEENS1_30default_config_static_selectorELNS0_4arch9wavefront6targetE1EEEvT1_
                                        ; -- End function
	.section	.AMDGPU.csdata,"",@progbits
; Kernel info:
; codeLenInByte = 0
; NumSgprs: 4
; NumVgprs: 0
; NumAgprs: 0
; TotalNumVgprs: 0
; ScratchSize: 0
; MemoryBound: 0
; FloatMode: 240
; IeeeMode: 1
; LDSByteSize: 0 bytes/workgroup (compile time only)
; SGPRBlocks: 0
; VGPRBlocks: 0
; NumSGPRsForWavesPerEU: 4
; NumVGPRsForWavesPerEU: 1
; AccumOffset: 4
; Occupancy: 8
; WaveLimiterHint : 0
; COMPUTE_PGM_RSRC2:SCRATCH_EN: 0
; COMPUTE_PGM_RSRC2:USER_SGPR: 6
; COMPUTE_PGM_RSRC2:TRAP_HANDLER: 0
; COMPUTE_PGM_RSRC2:TGID_X_EN: 1
; COMPUTE_PGM_RSRC2:TGID_Y_EN: 0
; COMPUTE_PGM_RSRC2:TGID_Z_EN: 0
; COMPUTE_PGM_RSRC2:TIDIG_COMP_CNT: 0
; COMPUTE_PGM_RSRC3_GFX90A:ACCUM_OFFSET: 0
; COMPUTE_PGM_RSRC3_GFX90A:TG_SPLIT: 0
	.section	.text._ZN7rocprim17ROCPRIM_400000_NS6detail17trampoline_kernelINS0_14default_configENS1_33run_length_encode_config_selectorIbjNS0_4plusIjEEEEZZNS1_33reduce_by_key_impl_wrapped_configILNS1_25lookback_scan_determinismE0ES3_S7_N6hipcub16HIPCUB_304000_NS22TransformInputIteratorIbN2at6native8internal12_GLOBAL__N_110LoadBoolOpEPKhlEENS0_17constant_iteratorIjlEEPbPlSO_S6_NS0_8equal_toIbEEEE10hipError_tPvRmT2_T3_mT4_T5_T6_T7_T8_P12ihipStream_tbENKUlT_T0_E_clISt17integral_constantIbLb1EES18_EEDaS13_S14_EUlS13_E_NS1_11comp_targetILNS1_3genE9ELNS1_11target_archE1100ELNS1_3gpuE3ELNS1_3repE0EEENS1_30default_config_static_selectorELNS0_4arch9wavefront6targetE1EEEvT1_,"axG",@progbits,_ZN7rocprim17ROCPRIM_400000_NS6detail17trampoline_kernelINS0_14default_configENS1_33run_length_encode_config_selectorIbjNS0_4plusIjEEEEZZNS1_33reduce_by_key_impl_wrapped_configILNS1_25lookback_scan_determinismE0ES3_S7_N6hipcub16HIPCUB_304000_NS22TransformInputIteratorIbN2at6native8internal12_GLOBAL__N_110LoadBoolOpEPKhlEENS0_17constant_iteratorIjlEEPbPlSO_S6_NS0_8equal_toIbEEEE10hipError_tPvRmT2_T3_mT4_T5_T6_T7_T8_P12ihipStream_tbENKUlT_T0_E_clISt17integral_constantIbLb1EES18_EEDaS13_S14_EUlS13_E_NS1_11comp_targetILNS1_3genE9ELNS1_11target_archE1100ELNS1_3gpuE3ELNS1_3repE0EEENS1_30default_config_static_selectorELNS0_4arch9wavefront6targetE1EEEvT1_,comdat
	.globl	_ZN7rocprim17ROCPRIM_400000_NS6detail17trampoline_kernelINS0_14default_configENS1_33run_length_encode_config_selectorIbjNS0_4plusIjEEEEZZNS1_33reduce_by_key_impl_wrapped_configILNS1_25lookback_scan_determinismE0ES3_S7_N6hipcub16HIPCUB_304000_NS22TransformInputIteratorIbN2at6native8internal12_GLOBAL__N_110LoadBoolOpEPKhlEENS0_17constant_iteratorIjlEEPbPlSO_S6_NS0_8equal_toIbEEEE10hipError_tPvRmT2_T3_mT4_T5_T6_T7_T8_P12ihipStream_tbENKUlT_T0_E_clISt17integral_constantIbLb1EES18_EEDaS13_S14_EUlS13_E_NS1_11comp_targetILNS1_3genE9ELNS1_11target_archE1100ELNS1_3gpuE3ELNS1_3repE0EEENS1_30default_config_static_selectorELNS0_4arch9wavefront6targetE1EEEvT1_ ; -- Begin function _ZN7rocprim17ROCPRIM_400000_NS6detail17trampoline_kernelINS0_14default_configENS1_33run_length_encode_config_selectorIbjNS0_4plusIjEEEEZZNS1_33reduce_by_key_impl_wrapped_configILNS1_25lookback_scan_determinismE0ES3_S7_N6hipcub16HIPCUB_304000_NS22TransformInputIteratorIbN2at6native8internal12_GLOBAL__N_110LoadBoolOpEPKhlEENS0_17constant_iteratorIjlEEPbPlSO_S6_NS0_8equal_toIbEEEE10hipError_tPvRmT2_T3_mT4_T5_T6_T7_T8_P12ihipStream_tbENKUlT_T0_E_clISt17integral_constantIbLb1EES18_EEDaS13_S14_EUlS13_E_NS1_11comp_targetILNS1_3genE9ELNS1_11target_archE1100ELNS1_3gpuE3ELNS1_3repE0EEENS1_30default_config_static_selectorELNS0_4arch9wavefront6targetE1EEEvT1_
	.p2align	8
	.type	_ZN7rocprim17ROCPRIM_400000_NS6detail17trampoline_kernelINS0_14default_configENS1_33run_length_encode_config_selectorIbjNS0_4plusIjEEEEZZNS1_33reduce_by_key_impl_wrapped_configILNS1_25lookback_scan_determinismE0ES3_S7_N6hipcub16HIPCUB_304000_NS22TransformInputIteratorIbN2at6native8internal12_GLOBAL__N_110LoadBoolOpEPKhlEENS0_17constant_iteratorIjlEEPbPlSO_S6_NS0_8equal_toIbEEEE10hipError_tPvRmT2_T3_mT4_T5_T6_T7_T8_P12ihipStream_tbENKUlT_T0_E_clISt17integral_constantIbLb1EES18_EEDaS13_S14_EUlS13_E_NS1_11comp_targetILNS1_3genE9ELNS1_11target_archE1100ELNS1_3gpuE3ELNS1_3repE0EEENS1_30default_config_static_selectorELNS0_4arch9wavefront6targetE1EEEvT1_,@function
_ZN7rocprim17ROCPRIM_400000_NS6detail17trampoline_kernelINS0_14default_configENS1_33run_length_encode_config_selectorIbjNS0_4plusIjEEEEZZNS1_33reduce_by_key_impl_wrapped_configILNS1_25lookback_scan_determinismE0ES3_S7_N6hipcub16HIPCUB_304000_NS22TransformInputIteratorIbN2at6native8internal12_GLOBAL__N_110LoadBoolOpEPKhlEENS0_17constant_iteratorIjlEEPbPlSO_S6_NS0_8equal_toIbEEEE10hipError_tPvRmT2_T3_mT4_T5_T6_T7_T8_P12ihipStream_tbENKUlT_T0_E_clISt17integral_constantIbLb1EES18_EEDaS13_S14_EUlS13_E_NS1_11comp_targetILNS1_3genE9ELNS1_11target_archE1100ELNS1_3gpuE3ELNS1_3repE0EEENS1_30default_config_static_selectorELNS0_4arch9wavefront6targetE1EEEvT1_: ; @_ZN7rocprim17ROCPRIM_400000_NS6detail17trampoline_kernelINS0_14default_configENS1_33run_length_encode_config_selectorIbjNS0_4plusIjEEEEZZNS1_33reduce_by_key_impl_wrapped_configILNS1_25lookback_scan_determinismE0ES3_S7_N6hipcub16HIPCUB_304000_NS22TransformInputIteratorIbN2at6native8internal12_GLOBAL__N_110LoadBoolOpEPKhlEENS0_17constant_iteratorIjlEEPbPlSO_S6_NS0_8equal_toIbEEEE10hipError_tPvRmT2_T3_mT4_T5_T6_T7_T8_P12ihipStream_tbENKUlT_T0_E_clISt17integral_constantIbLb1EES18_EEDaS13_S14_EUlS13_E_NS1_11comp_targetILNS1_3genE9ELNS1_11target_archE1100ELNS1_3gpuE3ELNS1_3repE0EEENS1_30default_config_static_selectorELNS0_4arch9wavefront6targetE1EEEvT1_
; %bb.0:
	.section	.rodata,"a",@progbits
	.p2align	6, 0x0
	.amdhsa_kernel _ZN7rocprim17ROCPRIM_400000_NS6detail17trampoline_kernelINS0_14default_configENS1_33run_length_encode_config_selectorIbjNS0_4plusIjEEEEZZNS1_33reduce_by_key_impl_wrapped_configILNS1_25lookback_scan_determinismE0ES3_S7_N6hipcub16HIPCUB_304000_NS22TransformInputIteratorIbN2at6native8internal12_GLOBAL__N_110LoadBoolOpEPKhlEENS0_17constant_iteratorIjlEEPbPlSO_S6_NS0_8equal_toIbEEEE10hipError_tPvRmT2_T3_mT4_T5_T6_T7_T8_P12ihipStream_tbENKUlT_T0_E_clISt17integral_constantIbLb1EES18_EEDaS13_S14_EUlS13_E_NS1_11comp_targetILNS1_3genE9ELNS1_11target_archE1100ELNS1_3gpuE3ELNS1_3repE0EEENS1_30default_config_static_selectorELNS0_4arch9wavefront6targetE1EEEvT1_
		.amdhsa_group_segment_fixed_size 0
		.amdhsa_private_segment_fixed_size 0
		.amdhsa_kernarg_size 136
		.amdhsa_user_sgpr_count 6
		.amdhsa_user_sgpr_private_segment_buffer 1
		.amdhsa_user_sgpr_dispatch_ptr 0
		.amdhsa_user_sgpr_queue_ptr 0
		.amdhsa_user_sgpr_kernarg_segment_ptr 1
		.amdhsa_user_sgpr_dispatch_id 0
		.amdhsa_user_sgpr_flat_scratch_init 0
		.amdhsa_user_sgpr_kernarg_preload_length 0
		.amdhsa_user_sgpr_kernarg_preload_offset 0
		.amdhsa_user_sgpr_private_segment_size 0
		.amdhsa_uses_dynamic_stack 0
		.amdhsa_system_sgpr_private_segment_wavefront_offset 0
		.amdhsa_system_sgpr_workgroup_id_x 1
		.amdhsa_system_sgpr_workgroup_id_y 0
		.amdhsa_system_sgpr_workgroup_id_z 0
		.amdhsa_system_sgpr_workgroup_info 0
		.amdhsa_system_vgpr_workitem_id 0
		.amdhsa_next_free_vgpr 1
		.amdhsa_next_free_sgpr 0
		.amdhsa_accum_offset 4
		.amdhsa_reserve_vcc 0
		.amdhsa_reserve_flat_scratch 0
		.amdhsa_float_round_mode_32 0
		.amdhsa_float_round_mode_16_64 0
		.amdhsa_float_denorm_mode_32 3
		.amdhsa_float_denorm_mode_16_64 3
		.amdhsa_dx10_clamp 1
		.amdhsa_ieee_mode 1
		.amdhsa_fp16_overflow 0
		.amdhsa_tg_split 0
		.amdhsa_exception_fp_ieee_invalid_op 0
		.amdhsa_exception_fp_denorm_src 0
		.amdhsa_exception_fp_ieee_div_zero 0
		.amdhsa_exception_fp_ieee_overflow 0
		.amdhsa_exception_fp_ieee_underflow 0
		.amdhsa_exception_fp_ieee_inexact 0
		.amdhsa_exception_int_div_zero 0
	.end_amdhsa_kernel
	.section	.text._ZN7rocprim17ROCPRIM_400000_NS6detail17trampoline_kernelINS0_14default_configENS1_33run_length_encode_config_selectorIbjNS0_4plusIjEEEEZZNS1_33reduce_by_key_impl_wrapped_configILNS1_25lookback_scan_determinismE0ES3_S7_N6hipcub16HIPCUB_304000_NS22TransformInputIteratorIbN2at6native8internal12_GLOBAL__N_110LoadBoolOpEPKhlEENS0_17constant_iteratorIjlEEPbPlSO_S6_NS0_8equal_toIbEEEE10hipError_tPvRmT2_T3_mT4_T5_T6_T7_T8_P12ihipStream_tbENKUlT_T0_E_clISt17integral_constantIbLb1EES18_EEDaS13_S14_EUlS13_E_NS1_11comp_targetILNS1_3genE9ELNS1_11target_archE1100ELNS1_3gpuE3ELNS1_3repE0EEENS1_30default_config_static_selectorELNS0_4arch9wavefront6targetE1EEEvT1_,"axG",@progbits,_ZN7rocprim17ROCPRIM_400000_NS6detail17trampoline_kernelINS0_14default_configENS1_33run_length_encode_config_selectorIbjNS0_4plusIjEEEEZZNS1_33reduce_by_key_impl_wrapped_configILNS1_25lookback_scan_determinismE0ES3_S7_N6hipcub16HIPCUB_304000_NS22TransformInputIteratorIbN2at6native8internal12_GLOBAL__N_110LoadBoolOpEPKhlEENS0_17constant_iteratorIjlEEPbPlSO_S6_NS0_8equal_toIbEEEE10hipError_tPvRmT2_T3_mT4_T5_T6_T7_T8_P12ihipStream_tbENKUlT_T0_E_clISt17integral_constantIbLb1EES18_EEDaS13_S14_EUlS13_E_NS1_11comp_targetILNS1_3genE9ELNS1_11target_archE1100ELNS1_3gpuE3ELNS1_3repE0EEENS1_30default_config_static_selectorELNS0_4arch9wavefront6targetE1EEEvT1_,comdat
.Lfunc_end75:
	.size	_ZN7rocprim17ROCPRIM_400000_NS6detail17trampoline_kernelINS0_14default_configENS1_33run_length_encode_config_selectorIbjNS0_4plusIjEEEEZZNS1_33reduce_by_key_impl_wrapped_configILNS1_25lookback_scan_determinismE0ES3_S7_N6hipcub16HIPCUB_304000_NS22TransformInputIteratorIbN2at6native8internal12_GLOBAL__N_110LoadBoolOpEPKhlEENS0_17constant_iteratorIjlEEPbPlSO_S6_NS0_8equal_toIbEEEE10hipError_tPvRmT2_T3_mT4_T5_T6_T7_T8_P12ihipStream_tbENKUlT_T0_E_clISt17integral_constantIbLb1EES18_EEDaS13_S14_EUlS13_E_NS1_11comp_targetILNS1_3genE9ELNS1_11target_archE1100ELNS1_3gpuE3ELNS1_3repE0EEENS1_30default_config_static_selectorELNS0_4arch9wavefront6targetE1EEEvT1_, .Lfunc_end75-_ZN7rocprim17ROCPRIM_400000_NS6detail17trampoline_kernelINS0_14default_configENS1_33run_length_encode_config_selectorIbjNS0_4plusIjEEEEZZNS1_33reduce_by_key_impl_wrapped_configILNS1_25lookback_scan_determinismE0ES3_S7_N6hipcub16HIPCUB_304000_NS22TransformInputIteratorIbN2at6native8internal12_GLOBAL__N_110LoadBoolOpEPKhlEENS0_17constant_iteratorIjlEEPbPlSO_S6_NS0_8equal_toIbEEEE10hipError_tPvRmT2_T3_mT4_T5_T6_T7_T8_P12ihipStream_tbENKUlT_T0_E_clISt17integral_constantIbLb1EES18_EEDaS13_S14_EUlS13_E_NS1_11comp_targetILNS1_3genE9ELNS1_11target_archE1100ELNS1_3gpuE3ELNS1_3repE0EEENS1_30default_config_static_selectorELNS0_4arch9wavefront6targetE1EEEvT1_
                                        ; -- End function
	.section	.AMDGPU.csdata,"",@progbits
; Kernel info:
; codeLenInByte = 0
; NumSgprs: 4
; NumVgprs: 0
; NumAgprs: 0
; TotalNumVgprs: 0
; ScratchSize: 0
; MemoryBound: 0
; FloatMode: 240
; IeeeMode: 1
; LDSByteSize: 0 bytes/workgroup (compile time only)
; SGPRBlocks: 0
; VGPRBlocks: 0
; NumSGPRsForWavesPerEU: 4
; NumVGPRsForWavesPerEU: 1
; AccumOffset: 4
; Occupancy: 8
; WaveLimiterHint : 0
; COMPUTE_PGM_RSRC2:SCRATCH_EN: 0
; COMPUTE_PGM_RSRC2:USER_SGPR: 6
; COMPUTE_PGM_RSRC2:TRAP_HANDLER: 0
; COMPUTE_PGM_RSRC2:TGID_X_EN: 1
; COMPUTE_PGM_RSRC2:TGID_Y_EN: 0
; COMPUTE_PGM_RSRC2:TGID_Z_EN: 0
; COMPUTE_PGM_RSRC2:TIDIG_COMP_CNT: 0
; COMPUTE_PGM_RSRC3_GFX90A:ACCUM_OFFSET: 0
; COMPUTE_PGM_RSRC3_GFX90A:TG_SPLIT: 0
	.section	.text._ZN7rocprim17ROCPRIM_400000_NS6detail17trampoline_kernelINS0_14default_configENS1_33run_length_encode_config_selectorIbjNS0_4plusIjEEEEZZNS1_33reduce_by_key_impl_wrapped_configILNS1_25lookback_scan_determinismE0ES3_S7_N6hipcub16HIPCUB_304000_NS22TransformInputIteratorIbN2at6native8internal12_GLOBAL__N_110LoadBoolOpEPKhlEENS0_17constant_iteratorIjlEEPbPlSO_S6_NS0_8equal_toIbEEEE10hipError_tPvRmT2_T3_mT4_T5_T6_T7_T8_P12ihipStream_tbENKUlT_T0_E_clISt17integral_constantIbLb1EES18_EEDaS13_S14_EUlS13_E_NS1_11comp_targetILNS1_3genE8ELNS1_11target_archE1030ELNS1_3gpuE2ELNS1_3repE0EEENS1_30default_config_static_selectorELNS0_4arch9wavefront6targetE1EEEvT1_,"axG",@progbits,_ZN7rocprim17ROCPRIM_400000_NS6detail17trampoline_kernelINS0_14default_configENS1_33run_length_encode_config_selectorIbjNS0_4plusIjEEEEZZNS1_33reduce_by_key_impl_wrapped_configILNS1_25lookback_scan_determinismE0ES3_S7_N6hipcub16HIPCUB_304000_NS22TransformInputIteratorIbN2at6native8internal12_GLOBAL__N_110LoadBoolOpEPKhlEENS0_17constant_iteratorIjlEEPbPlSO_S6_NS0_8equal_toIbEEEE10hipError_tPvRmT2_T3_mT4_T5_T6_T7_T8_P12ihipStream_tbENKUlT_T0_E_clISt17integral_constantIbLb1EES18_EEDaS13_S14_EUlS13_E_NS1_11comp_targetILNS1_3genE8ELNS1_11target_archE1030ELNS1_3gpuE2ELNS1_3repE0EEENS1_30default_config_static_selectorELNS0_4arch9wavefront6targetE1EEEvT1_,comdat
	.globl	_ZN7rocprim17ROCPRIM_400000_NS6detail17trampoline_kernelINS0_14default_configENS1_33run_length_encode_config_selectorIbjNS0_4plusIjEEEEZZNS1_33reduce_by_key_impl_wrapped_configILNS1_25lookback_scan_determinismE0ES3_S7_N6hipcub16HIPCUB_304000_NS22TransformInputIteratorIbN2at6native8internal12_GLOBAL__N_110LoadBoolOpEPKhlEENS0_17constant_iteratorIjlEEPbPlSO_S6_NS0_8equal_toIbEEEE10hipError_tPvRmT2_T3_mT4_T5_T6_T7_T8_P12ihipStream_tbENKUlT_T0_E_clISt17integral_constantIbLb1EES18_EEDaS13_S14_EUlS13_E_NS1_11comp_targetILNS1_3genE8ELNS1_11target_archE1030ELNS1_3gpuE2ELNS1_3repE0EEENS1_30default_config_static_selectorELNS0_4arch9wavefront6targetE1EEEvT1_ ; -- Begin function _ZN7rocprim17ROCPRIM_400000_NS6detail17trampoline_kernelINS0_14default_configENS1_33run_length_encode_config_selectorIbjNS0_4plusIjEEEEZZNS1_33reduce_by_key_impl_wrapped_configILNS1_25lookback_scan_determinismE0ES3_S7_N6hipcub16HIPCUB_304000_NS22TransformInputIteratorIbN2at6native8internal12_GLOBAL__N_110LoadBoolOpEPKhlEENS0_17constant_iteratorIjlEEPbPlSO_S6_NS0_8equal_toIbEEEE10hipError_tPvRmT2_T3_mT4_T5_T6_T7_T8_P12ihipStream_tbENKUlT_T0_E_clISt17integral_constantIbLb1EES18_EEDaS13_S14_EUlS13_E_NS1_11comp_targetILNS1_3genE8ELNS1_11target_archE1030ELNS1_3gpuE2ELNS1_3repE0EEENS1_30default_config_static_selectorELNS0_4arch9wavefront6targetE1EEEvT1_
	.p2align	8
	.type	_ZN7rocprim17ROCPRIM_400000_NS6detail17trampoline_kernelINS0_14default_configENS1_33run_length_encode_config_selectorIbjNS0_4plusIjEEEEZZNS1_33reduce_by_key_impl_wrapped_configILNS1_25lookback_scan_determinismE0ES3_S7_N6hipcub16HIPCUB_304000_NS22TransformInputIteratorIbN2at6native8internal12_GLOBAL__N_110LoadBoolOpEPKhlEENS0_17constant_iteratorIjlEEPbPlSO_S6_NS0_8equal_toIbEEEE10hipError_tPvRmT2_T3_mT4_T5_T6_T7_T8_P12ihipStream_tbENKUlT_T0_E_clISt17integral_constantIbLb1EES18_EEDaS13_S14_EUlS13_E_NS1_11comp_targetILNS1_3genE8ELNS1_11target_archE1030ELNS1_3gpuE2ELNS1_3repE0EEENS1_30default_config_static_selectorELNS0_4arch9wavefront6targetE1EEEvT1_,@function
_ZN7rocprim17ROCPRIM_400000_NS6detail17trampoline_kernelINS0_14default_configENS1_33run_length_encode_config_selectorIbjNS0_4plusIjEEEEZZNS1_33reduce_by_key_impl_wrapped_configILNS1_25lookback_scan_determinismE0ES3_S7_N6hipcub16HIPCUB_304000_NS22TransformInputIteratorIbN2at6native8internal12_GLOBAL__N_110LoadBoolOpEPKhlEENS0_17constant_iteratorIjlEEPbPlSO_S6_NS0_8equal_toIbEEEE10hipError_tPvRmT2_T3_mT4_T5_T6_T7_T8_P12ihipStream_tbENKUlT_T0_E_clISt17integral_constantIbLb1EES18_EEDaS13_S14_EUlS13_E_NS1_11comp_targetILNS1_3genE8ELNS1_11target_archE1030ELNS1_3gpuE2ELNS1_3repE0EEENS1_30default_config_static_selectorELNS0_4arch9wavefront6targetE1EEEvT1_: ; @_ZN7rocprim17ROCPRIM_400000_NS6detail17trampoline_kernelINS0_14default_configENS1_33run_length_encode_config_selectorIbjNS0_4plusIjEEEEZZNS1_33reduce_by_key_impl_wrapped_configILNS1_25lookback_scan_determinismE0ES3_S7_N6hipcub16HIPCUB_304000_NS22TransformInputIteratorIbN2at6native8internal12_GLOBAL__N_110LoadBoolOpEPKhlEENS0_17constant_iteratorIjlEEPbPlSO_S6_NS0_8equal_toIbEEEE10hipError_tPvRmT2_T3_mT4_T5_T6_T7_T8_P12ihipStream_tbENKUlT_T0_E_clISt17integral_constantIbLb1EES18_EEDaS13_S14_EUlS13_E_NS1_11comp_targetILNS1_3genE8ELNS1_11target_archE1030ELNS1_3gpuE2ELNS1_3repE0EEENS1_30default_config_static_selectorELNS0_4arch9wavefront6targetE1EEEvT1_
; %bb.0:
	.section	.rodata,"a",@progbits
	.p2align	6, 0x0
	.amdhsa_kernel _ZN7rocprim17ROCPRIM_400000_NS6detail17trampoline_kernelINS0_14default_configENS1_33run_length_encode_config_selectorIbjNS0_4plusIjEEEEZZNS1_33reduce_by_key_impl_wrapped_configILNS1_25lookback_scan_determinismE0ES3_S7_N6hipcub16HIPCUB_304000_NS22TransformInputIteratorIbN2at6native8internal12_GLOBAL__N_110LoadBoolOpEPKhlEENS0_17constant_iteratorIjlEEPbPlSO_S6_NS0_8equal_toIbEEEE10hipError_tPvRmT2_T3_mT4_T5_T6_T7_T8_P12ihipStream_tbENKUlT_T0_E_clISt17integral_constantIbLb1EES18_EEDaS13_S14_EUlS13_E_NS1_11comp_targetILNS1_3genE8ELNS1_11target_archE1030ELNS1_3gpuE2ELNS1_3repE0EEENS1_30default_config_static_selectorELNS0_4arch9wavefront6targetE1EEEvT1_
		.amdhsa_group_segment_fixed_size 0
		.amdhsa_private_segment_fixed_size 0
		.amdhsa_kernarg_size 136
		.amdhsa_user_sgpr_count 6
		.amdhsa_user_sgpr_private_segment_buffer 1
		.amdhsa_user_sgpr_dispatch_ptr 0
		.amdhsa_user_sgpr_queue_ptr 0
		.amdhsa_user_sgpr_kernarg_segment_ptr 1
		.amdhsa_user_sgpr_dispatch_id 0
		.amdhsa_user_sgpr_flat_scratch_init 0
		.amdhsa_user_sgpr_kernarg_preload_length 0
		.amdhsa_user_sgpr_kernarg_preload_offset 0
		.amdhsa_user_sgpr_private_segment_size 0
		.amdhsa_uses_dynamic_stack 0
		.amdhsa_system_sgpr_private_segment_wavefront_offset 0
		.amdhsa_system_sgpr_workgroup_id_x 1
		.amdhsa_system_sgpr_workgroup_id_y 0
		.amdhsa_system_sgpr_workgroup_id_z 0
		.amdhsa_system_sgpr_workgroup_info 0
		.amdhsa_system_vgpr_workitem_id 0
		.amdhsa_next_free_vgpr 1
		.amdhsa_next_free_sgpr 0
		.amdhsa_accum_offset 4
		.amdhsa_reserve_vcc 0
		.amdhsa_reserve_flat_scratch 0
		.amdhsa_float_round_mode_32 0
		.amdhsa_float_round_mode_16_64 0
		.amdhsa_float_denorm_mode_32 3
		.amdhsa_float_denorm_mode_16_64 3
		.amdhsa_dx10_clamp 1
		.amdhsa_ieee_mode 1
		.amdhsa_fp16_overflow 0
		.amdhsa_tg_split 0
		.amdhsa_exception_fp_ieee_invalid_op 0
		.amdhsa_exception_fp_denorm_src 0
		.amdhsa_exception_fp_ieee_div_zero 0
		.amdhsa_exception_fp_ieee_overflow 0
		.amdhsa_exception_fp_ieee_underflow 0
		.amdhsa_exception_fp_ieee_inexact 0
		.amdhsa_exception_int_div_zero 0
	.end_amdhsa_kernel
	.section	.text._ZN7rocprim17ROCPRIM_400000_NS6detail17trampoline_kernelINS0_14default_configENS1_33run_length_encode_config_selectorIbjNS0_4plusIjEEEEZZNS1_33reduce_by_key_impl_wrapped_configILNS1_25lookback_scan_determinismE0ES3_S7_N6hipcub16HIPCUB_304000_NS22TransformInputIteratorIbN2at6native8internal12_GLOBAL__N_110LoadBoolOpEPKhlEENS0_17constant_iteratorIjlEEPbPlSO_S6_NS0_8equal_toIbEEEE10hipError_tPvRmT2_T3_mT4_T5_T6_T7_T8_P12ihipStream_tbENKUlT_T0_E_clISt17integral_constantIbLb1EES18_EEDaS13_S14_EUlS13_E_NS1_11comp_targetILNS1_3genE8ELNS1_11target_archE1030ELNS1_3gpuE2ELNS1_3repE0EEENS1_30default_config_static_selectorELNS0_4arch9wavefront6targetE1EEEvT1_,"axG",@progbits,_ZN7rocprim17ROCPRIM_400000_NS6detail17trampoline_kernelINS0_14default_configENS1_33run_length_encode_config_selectorIbjNS0_4plusIjEEEEZZNS1_33reduce_by_key_impl_wrapped_configILNS1_25lookback_scan_determinismE0ES3_S7_N6hipcub16HIPCUB_304000_NS22TransformInputIteratorIbN2at6native8internal12_GLOBAL__N_110LoadBoolOpEPKhlEENS0_17constant_iteratorIjlEEPbPlSO_S6_NS0_8equal_toIbEEEE10hipError_tPvRmT2_T3_mT4_T5_T6_T7_T8_P12ihipStream_tbENKUlT_T0_E_clISt17integral_constantIbLb1EES18_EEDaS13_S14_EUlS13_E_NS1_11comp_targetILNS1_3genE8ELNS1_11target_archE1030ELNS1_3gpuE2ELNS1_3repE0EEENS1_30default_config_static_selectorELNS0_4arch9wavefront6targetE1EEEvT1_,comdat
.Lfunc_end76:
	.size	_ZN7rocprim17ROCPRIM_400000_NS6detail17trampoline_kernelINS0_14default_configENS1_33run_length_encode_config_selectorIbjNS0_4plusIjEEEEZZNS1_33reduce_by_key_impl_wrapped_configILNS1_25lookback_scan_determinismE0ES3_S7_N6hipcub16HIPCUB_304000_NS22TransformInputIteratorIbN2at6native8internal12_GLOBAL__N_110LoadBoolOpEPKhlEENS0_17constant_iteratorIjlEEPbPlSO_S6_NS0_8equal_toIbEEEE10hipError_tPvRmT2_T3_mT4_T5_T6_T7_T8_P12ihipStream_tbENKUlT_T0_E_clISt17integral_constantIbLb1EES18_EEDaS13_S14_EUlS13_E_NS1_11comp_targetILNS1_3genE8ELNS1_11target_archE1030ELNS1_3gpuE2ELNS1_3repE0EEENS1_30default_config_static_selectorELNS0_4arch9wavefront6targetE1EEEvT1_, .Lfunc_end76-_ZN7rocprim17ROCPRIM_400000_NS6detail17trampoline_kernelINS0_14default_configENS1_33run_length_encode_config_selectorIbjNS0_4plusIjEEEEZZNS1_33reduce_by_key_impl_wrapped_configILNS1_25lookback_scan_determinismE0ES3_S7_N6hipcub16HIPCUB_304000_NS22TransformInputIteratorIbN2at6native8internal12_GLOBAL__N_110LoadBoolOpEPKhlEENS0_17constant_iteratorIjlEEPbPlSO_S6_NS0_8equal_toIbEEEE10hipError_tPvRmT2_T3_mT4_T5_T6_T7_T8_P12ihipStream_tbENKUlT_T0_E_clISt17integral_constantIbLb1EES18_EEDaS13_S14_EUlS13_E_NS1_11comp_targetILNS1_3genE8ELNS1_11target_archE1030ELNS1_3gpuE2ELNS1_3repE0EEENS1_30default_config_static_selectorELNS0_4arch9wavefront6targetE1EEEvT1_
                                        ; -- End function
	.section	.AMDGPU.csdata,"",@progbits
; Kernel info:
; codeLenInByte = 0
; NumSgprs: 4
; NumVgprs: 0
; NumAgprs: 0
; TotalNumVgprs: 0
; ScratchSize: 0
; MemoryBound: 0
; FloatMode: 240
; IeeeMode: 1
; LDSByteSize: 0 bytes/workgroup (compile time only)
; SGPRBlocks: 0
; VGPRBlocks: 0
; NumSGPRsForWavesPerEU: 4
; NumVGPRsForWavesPerEU: 1
; AccumOffset: 4
; Occupancy: 8
; WaveLimiterHint : 0
; COMPUTE_PGM_RSRC2:SCRATCH_EN: 0
; COMPUTE_PGM_RSRC2:USER_SGPR: 6
; COMPUTE_PGM_RSRC2:TRAP_HANDLER: 0
; COMPUTE_PGM_RSRC2:TGID_X_EN: 1
; COMPUTE_PGM_RSRC2:TGID_Y_EN: 0
; COMPUTE_PGM_RSRC2:TGID_Z_EN: 0
; COMPUTE_PGM_RSRC2:TIDIG_COMP_CNT: 0
; COMPUTE_PGM_RSRC3_GFX90A:ACCUM_OFFSET: 0
; COMPUTE_PGM_RSRC3_GFX90A:TG_SPLIT: 0
	.section	.text._ZN7rocprim17ROCPRIM_400000_NS6detail25reduce_by_key_init_kernelINS1_19lookback_scan_stateINS0_5tupleIJjjEEELb1ELb1EEEjNS1_16block_id_wrapperIjLb0EEEEEvT_jbjPmPT0_T1_,"axG",@progbits,_ZN7rocprim17ROCPRIM_400000_NS6detail25reduce_by_key_init_kernelINS1_19lookback_scan_stateINS0_5tupleIJjjEEELb1ELb1EEEjNS1_16block_id_wrapperIjLb0EEEEEvT_jbjPmPT0_T1_,comdat
	.protected	_ZN7rocprim17ROCPRIM_400000_NS6detail25reduce_by_key_init_kernelINS1_19lookback_scan_stateINS0_5tupleIJjjEEELb1ELb1EEEjNS1_16block_id_wrapperIjLb0EEEEEvT_jbjPmPT0_T1_ ; -- Begin function _ZN7rocprim17ROCPRIM_400000_NS6detail25reduce_by_key_init_kernelINS1_19lookback_scan_stateINS0_5tupleIJjjEEELb1ELb1EEEjNS1_16block_id_wrapperIjLb0EEEEEvT_jbjPmPT0_T1_
	.globl	_ZN7rocprim17ROCPRIM_400000_NS6detail25reduce_by_key_init_kernelINS1_19lookback_scan_stateINS0_5tupleIJjjEEELb1ELb1EEEjNS1_16block_id_wrapperIjLb0EEEEEvT_jbjPmPT0_T1_
	.p2align	8
	.type	_ZN7rocprim17ROCPRIM_400000_NS6detail25reduce_by_key_init_kernelINS1_19lookback_scan_stateINS0_5tupleIJjjEEELb1ELb1EEEjNS1_16block_id_wrapperIjLb0EEEEEvT_jbjPmPT0_T1_,@function
_ZN7rocprim17ROCPRIM_400000_NS6detail25reduce_by_key_init_kernelINS1_19lookback_scan_stateINS0_5tupleIJjjEEELb1ELb1EEEjNS1_16block_id_wrapperIjLb0EEEEEvT_jbjPmPT0_T1_: ; @_ZN7rocprim17ROCPRIM_400000_NS6detail25reduce_by_key_init_kernelINS1_19lookback_scan_stateINS0_5tupleIJjjEEELb1ELb1EEEjNS1_16block_id_wrapperIjLb0EEEEEvT_jbjPmPT0_T1_
; %bb.0:
	s_load_dwordx8 s[8:15], s[4:5], 0x8
	s_load_dword s2, s[4:5], 0x3c
	s_load_dwordx2 s[0:1], s[4:5], 0x0
	s_waitcnt lgkmcnt(0)
	s_and_b32 s3, s9, 1
	s_and_b32 s2, s2, 0xffff
	s_mul_i32 s6, s6, s2
	s_cmp_eq_u32 s3, 0
	v_add_u32_e32 v0, s6, v0
	s_mov_b64 s[2:3], -1
	s_cbranch_scc1 .LBB77_5
; %bb.1:
	s_andn2_b64 vcc, exec, s[2:3]
	s_cbranch_vccz .LBB77_14
.LBB77_2:
	v_cmp_gt_u32_e32 vcc, s8, v0
	s_and_saveexec_b64 s[2:3], vcc
	s_cbranch_execnz .LBB77_17
.LBB77_3:
	s_or_b64 exec, exec, s[2:3]
	v_cmp_gt_u32_e32 vcc, 64, v0
	s_and_saveexec_b64 s[2:3], vcc
	s_cbranch_execnz .LBB77_18
.LBB77_4:
	s_endpgm
.LBB77_5:
	s_cmp_lt_u32 s10, s8
	s_cselect_b32 s2, s10, 0
	v_cmp_eq_u32_e32 vcc, s2, v0
	s_and_saveexec_b64 s[2:3], vcc
	s_cbranch_execz .LBB77_13
; %bb.6:
	s_add_i32 s4, s10, 64
	s_mov_b32 s5, 0
	s_lshl_b64 s[4:5], s[4:5], 4
	s_add_u32 s10, s0, s4
	s_addc_u32 s11, s1, s5
	v_pk_mov_b32 v[2:3], s[10:11], s[10:11] op_sel:[0,1]
	;;#ASMSTART
	global_load_dwordx4 v[2:5], v[2:3] off glc	
s_waitcnt vmcnt(0)
	;;#ASMEND
	v_mov_b32_e32 v7, 0
	v_and_b32_e32 v6, 0xff, v4
	s_mov_b64 s[6:7], 0
	v_cmp_eq_u64_e32 vcc, 0, v[6:7]
	s_and_saveexec_b64 s[4:5], vcc
	s_cbranch_execz .LBB77_12
; %bb.7:
	s_mov_b32 s9, 1
	v_pk_mov_b32 v[8:9], s[10:11], s[10:11] op_sel:[0,1]
.LBB77_8:                               ; =>This Loop Header: Depth=1
                                        ;     Child Loop BB77_9 Depth 2
	s_max_u32 s10, s9, 1
.LBB77_9:                               ;   Parent Loop BB77_8 Depth=1
                                        ; =>  This Inner Loop Header: Depth=2
	s_add_i32 s10, s10, -1
	s_cmp_eq_u32 s10, 0
	s_sleep 1
	s_cbranch_scc0 .LBB77_9
; %bb.10:                               ;   in Loop: Header=BB77_8 Depth=1
	s_cmp_lt_u32 s9, 32
	s_cselect_b64 s[10:11], -1, 0
	s_cmp_lg_u64 s[10:11], 0
	;;#ASMSTART
	global_load_dwordx4 v[2:5], v[8:9] off glc	
s_waitcnt vmcnt(0)
	;;#ASMEND
	v_and_b32_e32 v6, 0xff, v4
	s_addc_u32 s9, s9, 0
	v_cmp_ne_u64_e32 vcc, 0, v[6:7]
	s_or_b64 s[6:7], vcc, s[6:7]
	s_andn2_b64 exec, exec, s[6:7]
	s_cbranch_execnz .LBB77_8
; %bb.11:
	s_or_b64 exec, exec, s[6:7]
.LBB77_12:
	s_or_b64 exec, exec, s[4:5]
	v_mov_b32_e32 v1, 0
	global_load_dwordx2 v[4:5], v1, s[12:13]
	s_waitcnt vmcnt(0)
	v_add_co_u32_e32 v4, vcc, v4, v2
	v_addc_co_u32_e32 v5, vcc, 0, v5, vcc
	global_store_dwordx2 v1, v[4:5], s[12:13]
	global_store_dword v1, v3, s[14:15]
.LBB77_13:
	s_or_b64 exec, exec, s[2:3]
	s_cbranch_execnz .LBB77_2
.LBB77_14:
	s_cmp_lg_u64 s[12:13], 0
	s_cselect_b64 s[2:3], -1, 0
	v_cmp_eq_u32_e32 vcc, 0, v0
	s_and_b64 s[4:5], s[2:3], vcc
	s_and_saveexec_b64 s[2:3], s[4:5]
	s_cbranch_execz .LBB77_16
; %bb.15:
	v_mov_b32_e32 v2, 0
	v_mov_b32_e32 v3, v2
	global_store_dwordx2 v2, v[2:3], s[12:13]
.LBB77_16:
	s_or_b64 exec, exec, s[2:3]
	v_cmp_gt_u32_e32 vcc, s8, v0
	s_and_saveexec_b64 s[2:3], vcc
	s_cbranch_execz .LBB77_3
.LBB77_17:
	v_add_u32_e32 v2, 64, v0
	v_mov_b32_e32 v3, 0
	v_lshlrev_b64 v[4:5], 4, v[2:3]
	v_mov_b32_e32 v1, s1
	v_add_co_u32_e32 v6, vcc, s0, v4
	v_addc_co_u32_e32 v7, vcc, v1, v5, vcc
	v_mov_b32_e32 v2, v3
	v_mov_b32_e32 v4, v3
	;; [unrolled: 1-line block ×3, first 2 shown]
	global_store_dwordx4 v[6:7], v[2:5], off
	s_or_b64 exec, exec, s[2:3]
	v_cmp_gt_u32_e32 vcc, 64, v0
	s_and_saveexec_b64 s[2:3], vcc
	s_cbranch_execz .LBB77_4
.LBB77_18:
	v_mov_b32_e32 v1, 0
	v_lshlrev_b64 v[2:3], 4, v[0:1]
	v_mov_b32_e32 v0, s1
	v_add_co_u32_e32 v4, vcc, s0, v2
	v_addc_co_u32_e32 v5, vcc, v0, v3, vcc
	v_mov_b32_e32 v2, 0xff
	v_mov_b32_e32 v0, v1
	;; [unrolled: 1-line block ×3, first 2 shown]
	global_store_dwordx4 v[4:5], v[0:3], off
	s_endpgm
	.section	.rodata,"a",@progbits
	.p2align	6, 0x0
	.amdhsa_kernel _ZN7rocprim17ROCPRIM_400000_NS6detail25reduce_by_key_init_kernelINS1_19lookback_scan_stateINS0_5tupleIJjjEEELb1ELb1EEEjNS1_16block_id_wrapperIjLb0EEEEEvT_jbjPmPT0_T1_
		.amdhsa_group_segment_fixed_size 0
		.amdhsa_private_segment_fixed_size 0
		.amdhsa_kernarg_size 304
		.amdhsa_user_sgpr_count 6
		.amdhsa_user_sgpr_private_segment_buffer 1
		.amdhsa_user_sgpr_dispatch_ptr 0
		.amdhsa_user_sgpr_queue_ptr 0
		.amdhsa_user_sgpr_kernarg_segment_ptr 1
		.amdhsa_user_sgpr_dispatch_id 0
		.amdhsa_user_sgpr_flat_scratch_init 0
		.amdhsa_user_sgpr_kernarg_preload_length 0
		.amdhsa_user_sgpr_kernarg_preload_offset 0
		.amdhsa_user_sgpr_private_segment_size 0
		.amdhsa_uses_dynamic_stack 0
		.amdhsa_system_sgpr_private_segment_wavefront_offset 0
		.amdhsa_system_sgpr_workgroup_id_x 1
		.amdhsa_system_sgpr_workgroup_id_y 0
		.amdhsa_system_sgpr_workgroup_id_z 0
		.amdhsa_system_sgpr_workgroup_info 0
		.amdhsa_system_vgpr_workitem_id 0
		.amdhsa_next_free_vgpr 10
		.amdhsa_next_free_sgpr 16
		.amdhsa_accum_offset 12
		.amdhsa_reserve_vcc 1
		.amdhsa_reserve_flat_scratch 0
		.amdhsa_float_round_mode_32 0
		.amdhsa_float_round_mode_16_64 0
		.amdhsa_float_denorm_mode_32 3
		.amdhsa_float_denorm_mode_16_64 3
		.amdhsa_dx10_clamp 1
		.amdhsa_ieee_mode 1
		.amdhsa_fp16_overflow 0
		.amdhsa_tg_split 0
		.amdhsa_exception_fp_ieee_invalid_op 0
		.amdhsa_exception_fp_denorm_src 0
		.amdhsa_exception_fp_ieee_div_zero 0
		.amdhsa_exception_fp_ieee_overflow 0
		.amdhsa_exception_fp_ieee_underflow 0
		.amdhsa_exception_fp_ieee_inexact 0
		.amdhsa_exception_int_div_zero 0
	.end_amdhsa_kernel
	.section	.text._ZN7rocprim17ROCPRIM_400000_NS6detail25reduce_by_key_init_kernelINS1_19lookback_scan_stateINS0_5tupleIJjjEEELb1ELb1EEEjNS1_16block_id_wrapperIjLb0EEEEEvT_jbjPmPT0_T1_,"axG",@progbits,_ZN7rocprim17ROCPRIM_400000_NS6detail25reduce_by_key_init_kernelINS1_19lookback_scan_stateINS0_5tupleIJjjEEELb1ELb1EEEjNS1_16block_id_wrapperIjLb0EEEEEvT_jbjPmPT0_T1_,comdat
.Lfunc_end77:
	.size	_ZN7rocprim17ROCPRIM_400000_NS6detail25reduce_by_key_init_kernelINS1_19lookback_scan_stateINS0_5tupleIJjjEEELb1ELb1EEEjNS1_16block_id_wrapperIjLb0EEEEEvT_jbjPmPT0_T1_, .Lfunc_end77-_ZN7rocprim17ROCPRIM_400000_NS6detail25reduce_by_key_init_kernelINS1_19lookback_scan_stateINS0_5tupleIJjjEEELb1ELb1EEEjNS1_16block_id_wrapperIjLb0EEEEEvT_jbjPmPT0_T1_
                                        ; -- End function
	.section	.AMDGPU.csdata,"",@progbits
; Kernel info:
; codeLenInByte = 508
; NumSgprs: 20
; NumVgprs: 10
; NumAgprs: 0
; TotalNumVgprs: 10
; ScratchSize: 0
; MemoryBound: 0
; FloatMode: 240
; IeeeMode: 1
; LDSByteSize: 0 bytes/workgroup (compile time only)
; SGPRBlocks: 2
; VGPRBlocks: 1
; NumSGPRsForWavesPerEU: 20
; NumVGPRsForWavesPerEU: 10
; AccumOffset: 12
; Occupancy: 8
; WaveLimiterHint : 0
; COMPUTE_PGM_RSRC2:SCRATCH_EN: 0
; COMPUTE_PGM_RSRC2:USER_SGPR: 6
; COMPUTE_PGM_RSRC2:TRAP_HANDLER: 0
; COMPUTE_PGM_RSRC2:TGID_X_EN: 1
; COMPUTE_PGM_RSRC2:TGID_Y_EN: 0
; COMPUTE_PGM_RSRC2:TGID_Z_EN: 0
; COMPUTE_PGM_RSRC2:TIDIG_COMP_CNT: 0
; COMPUTE_PGM_RSRC3_GFX90A:ACCUM_OFFSET: 2
; COMPUTE_PGM_RSRC3_GFX90A:TG_SPLIT: 0
	.section	.text._ZN7rocprim17ROCPRIM_400000_NS6detail17trampoline_kernelINS0_14default_configENS1_33run_length_encode_config_selectorIbjNS0_4plusIjEEEEZZNS1_33reduce_by_key_impl_wrapped_configILNS1_25lookback_scan_determinismE0ES3_S7_N6hipcub16HIPCUB_304000_NS22TransformInputIteratorIbN2at6native8internal12_GLOBAL__N_110LoadBoolOpEPKhlEENS0_17constant_iteratorIjlEEPbPlSO_S6_NS0_8equal_toIbEEEE10hipError_tPvRmT2_T3_mT4_T5_T6_T7_T8_P12ihipStream_tbENKUlT_T0_E_clISt17integral_constantIbLb1EES17_IbLb0EEEEDaS13_S14_EUlS13_E_NS1_11comp_targetILNS1_3genE0ELNS1_11target_archE4294967295ELNS1_3gpuE0ELNS1_3repE0EEENS1_30default_config_static_selectorELNS0_4arch9wavefront6targetE1EEEvT1_,"axG",@progbits,_ZN7rocprim17ROCPRIM_400000_NS6detail17trampoline_kernelINS0_14default_configENS1_33run_length_encode_config_selectorIbjNS0_4plusIjEEEEZZNS1_33reduce_by_key_impl_wrapped_configILNS1_25lookback_scan_determinismE0ES3_S7_N6hipcub16HIPCUB_304000_NS22TransformInputIteratorIbN2at6native8internal12_GLOBAL__N_110LoadBoolOpEPKhlEENS0_17constant_iteratorIjlEEPbPlSO_S6_NS0_8equal_toIbEEEE10hipError_tPvRmT2_T3_mT4_T5_T6_T7_T8_P12ihipStream_tbENKUlT_T0_E_clISt17integral_constantIbLb1EES17_IbLb0EEEEDaS13_S14_EUlS13_E_NS1_11comp_targetILNS1_3genE0ELNS1_11target_archE4294967295ELNS1_3gpuE0ELNS1_3repE0EEENS1_30default_config_static_selectorELNS0_4arch9wavefront6targetE1EEEvT1_,comdat
	.globl	_ZN7rocprim17ROCPRIM_400000_NS6detail17trampoline_kernelINS0_14default_configENS1_33run_length_encode_config_selectorIbjNS0_4plusIjEEEEZZNS1_33reduce_by_key_impl_wrapped_configILNS1_25lookback_scan_determinismE0ES3_S7_N6hipcub16HIPCUB_304000_NS22TransformInputIteratorIbN2at6native8internal12_GLOBAL__N_110LoadBoolOpEPKhlEENS0_17constant_iteratorIjlEEPbPlSO_S6_NS0_8equal_toIbEEEE10hipError_tPvRmT2_T3_mT4_T5_T6_T7_T8_P12ihipStream_tbENKUlT_T0_E_clISt17integral_constantIbLb1EES17_IbLb0EEEEDaS13_S14_EUlS13_E_NS1_11comp_targetILNS1_3genE0ELNS1_11target_archE4294967295ELNS1_3gpuE0ELNS1_3repE0EEENS1_30default_config_static_selectorELNS0_4arch9wavefront6targetE1EEEvT1_ ; -- Begin function _ZN7rocprim17ROCPRIM_400000_NS6detail17trampoline_kernelINS0_14default_configENS1_33run_length_encode_config_selectorIbjNS0_4plusIjEEEEZZNS1_33reduce_by_key_impl_wrapped_configILNS1_25lookback_scan_determinismE0ES3_S7_N6hipcub16HIPCUB_304000_NS22TransformInputIteratorIbN2at6native8internal12_GLOBAL__N_110LoadBoolOpEPKhlEENS0_17constant_iteratorIjlEEPbPlSO_S6_NS0_8equal_toIbEEEE10hipError_tPvRmT2_T3_mT4_T5_T6_T7_T8_P12ihipStream_tbENKUlT_T0_E_clISt17integral_constantIbLb1EES17_IbLb0EEEEDaS13_S14_EUlS13_E_NS1_11comp_targetILNS1_3genE0ELNS1_11target_archE4294967295ELNS1_3gpuE0ELNS1_3repE0EEENS1_30default_config_static_selectorELNS0_4arch9wavefront6targetE1EEEvT1_
	.p2align	8
	.type	_ZN7rocprim17ROCPRIM_400000_NS6detail17trampoline_kernelINS0_14default_configENS1_33run_length_encode_config_selectorIbjNS0_4plusIjEEEEZZNS1_33reduce_by_key_impl_wrapped_configILNS1_25lookback_scan_determinismE0ES3_S7_N6hipcub16HIPCUB_304000_NS22TransformInputIteratorIbN2at6native8internal12_GLOBAL__N_110LoadBoolOpEPKhlEENS0_17constant_iteratorIjlEEPbPlSO_S6_NS0_8equal_toIbEEEE10hipError_tPvRmT2_T3_mT4_T5_T6_T7_T8_P12ihipStream_tbENKUlT_T0_E_clISt17integral_constantIbLb1EES17_IbLb0EEEEDaS13_S14_EUlS13_E_NS1_11comp_targetILNS1_3genE0ELNS1_11target_archE4294967295ELNS1_3gpuE0ELNS1_3repE0EEENS1_30default_config_static_selectorELNS0_4arch9wavefront6targetE1EEEvT1_,@function
_ZN7rocprim17ROCPRIM_400000_NS6detail17trampoline_kernelINS0_14default_configENS1_33run_length_encode_config_selectorIbjNS0_4plusIjEEEEZZNS1_33reduce_by_key_impl_wrapped_configILNS1_25lookback_scan_determinismE0ES3_S7_N6hipcub16HIPCUB_304000_NS22TransformInputIteratorIbN2at6native8internal12_GLOBAL__N_110LoadBoolOpEPKhlEENS0_17constant_iteratorIjlEEPbPlSO_S6_NS0_8equal_toIbEEEE10hipError_tPvRmT2_T3_mT4_T5_T6_T7_T8_P12ihipStream_tbENKUlT_T0_E_clISt17integral_constantIbLb1EES17_IbLb0EEEEDaS13_S14_EUlS13_E_NS1_11comp_targetILNS1_3genE0ELNS1_11target_archE4294967295ELNS1_3gpuE0ELNS1_3repE0EEENS1_30default_config_static_selectorELNS0_4arch9wavefront6targetE1EEEvT1_: ; @_ZN7rocprim17ROCPRIM_400000_NS6detail17trampoline_kernelINS0_14default_configENS1_33run_length_encode_config_selectorIbjNS0_4plusIjEEEEZZNS1_33reduce_by_key_impl_wrapped_configILNS1_25lookback_scan_determinismE0ES3_S7_N6hipcub16HIPCUB_304000_NS22TransformInputIteratorIbN2at6native8internal12_GLOBAL__N_110LoadBoolOpEPKhlEENS0_17constant_iteratorIjlEEPbPlSO_S6_NS0_8equal_toIbEEEE10hipError_tPvRmT2_T3_mT4_T5_T6_T7_T8_P12ihipStream_tbENKUlT_T0_E_clISt17integral_constantIbLb1EES17_IbLb0EEEEDaS13_S14_EUlS13_E_NS1_11comp_targetILNS1_3genE0ELNS1_11target_archE4294967295ELNS1_3gpuE0ELNS1_3repE0EEENS1_30default_config_static_selectorELNS0_4arch9wavefront6targetE1EEEvT1_
; %bb.0:
	.section	.rodata,"a",@progbits
	.p2align	6, 0x0
	.amdhsa_kernel _ZN7rocprim17ROCPRIM_400000_NS6detail17trampoline_kernelINS0_14default_configENS1_33run_length_encode_config_selectorIbjNS0_4plusIjEEEEZZNS1_33reduce_by_key_impl_wrapped_configILNS1_25lookback_scan_determinismE0ES3_S7_N6hipcub16HIPCUB_304000_NS22TransformInputIteratorIbN2at6native8internal12_GLOBAL__N_110LoadBoolOpEPKhlEENS0_17constant_iteratorIjlEEPbPlSO_S6_NS0_8equal_toIbEEEE10hipError_tPvRmT2_T3_mT4_T5_T6_T7_T8_P12ihipStream_tbENKUlT_T0_E_clISt17integral_constantIbLb1EES17_IbLb0EEEEDaS13_S14_EUlS13_E_NS1_11comp_targetILNS1_3genE0ELNS1_11target_archE4294967295ELNS1_3gpuE0ELNS1_3repE0EEENS1_30default_config_static_selectorELNS0_4arch9wavefront6targetE1EEEvT1_
		.amdhsa_group_segment_fixed_size 0
		.amdhsa_private_segment_fixed_size 0
		.amdhsa_kernarg_size 136
		.amdhsa_user_sgpr_count 6
		.amdhsa_user_sgpr_private_segment_buffer 1
		.amdhsa_user_sgpr_dispatch_ptr 0
		.amdhsa_user_sgpr_queue_ptr 0
		.amdhsa_user_sgpr_kernarg_segment_ptr 1
		.amdhsa_user_sgpr_dispatch_id 0
		.amdhsa_user_sgpr_flat_scratch_init 0
		.amdhsa_user_sgpr_kernarg_preload_length 0
		.amdhsa_user_sgpr_kernarg_preload_offset 0
		.amdhsa_user_sgpr_private_segment_size 0
		.amdhsa_uses_dynamic_stack 0
		.amdhsa_system_sgpr_private_segment_wavefront_offset 0
		.amdhsa_system_sgpr_workgroup_id_x 1
		.amdhsa_system_sgpr_workgroup_id_y 0
		.amdhsa_system_sgpr_workgroup_id_z 0
		.amdhsa_system_sgpr_workgroup_info 0
		.amdhsa_system_vgpr_workitem_id 0
		.amdhsa_next_free_vgpr 1
		.amdhsa_next_free_sgpr 0
		.amdhsa_accum_offset 4
		.amdhsa_reserve_vcc 0
		.amdhsa_reserve_flat_scratch 0
		.amdhsa_float_round_mode_32 0
		.amdhsa_float_round_mode_16_64 0
		.amdhsa_float_denorm_mode_32 3
		.amdhsa_float_denorm_mode_16_64 3
		.amdhsa_dx10_clamp 1
		.amdhsa_ieee_mode 1
		.amdhsa_fp16_overflow 0
		.amdhsa_tg_split 0
		.amdhsa_exception_fp_ieee_invalid_op 0
		.amdhsa_exception_fp_denorm_src 0
		.amdhsa_exception_fp_ieee_div_zero 0
		.amdhsa_exception_fp_ieee_overflow 0
		.amdhsa_exception_fp_ieee_underflow 0
		.amdhsa_exception_fp_ieee_inexact 0
		.amdhsa_exception_int_div_zero 0
	.end_amdhsa_kernel
	.section	.text._ZN7rocprim17ROCPRIM_400000_NS6detail17trampoline_kernelINS0_14default_configENS1_33run_length_encode_config_selectorIbjNS0_4plusIjEEEEZZNS1_33reduce_by_key_impl_wrapped_configILNS1_25lookback_scan_determinismE0ES3_S7_N6hipcub16HIPCUB_304000_NS22TransformInputIteratorIbN2at6native8internal12_GLOBAL__N_110LoadBoolOpEPKhlEENS0_17constant_iteratorIjlEEPbPlSO_S6_NS0_8equal_toIbEEEE10hipError_tPvRmT2_T3_mT4_T5_T6_T7_T8_P12ihipStream_tbENKUlT_T0_E_clISt17integral_constantIbLb1EES17_IbLb0EEEEDaS13_S14_EUlS13_E_NS1_11comp_targetILNS1_3genE0ELNS1_11target_archE4294967295ELNS1_3gpuE0ELNS1_3repE0EEENS1_30default_config_static_selectorELNS0_4arch9wavefront6targetE1EEEvT1_,"axG",@progbits,_ZN7rocprim17ROCPRIM_400000_NS6detail17trampoline_kernelINS0_14default_configENS1_33run_length_encode_config_selectorIbjNS0_4plusIjEEEEZZNS1_33reduce_by_key_impl_wrapped_configILNS1_25lookback_scan_determinismE0ES3_S7_N6hipcub16HIPCUB_304000_NS22TransformInputIteratorIbN2at6native8internal12_GLOBAL__N_110LoadBoolOpEPKhlEENS0_17constant_iteratorIjlEEPbPlSO_S6_NS0_8equal_toIbEEEE10hipError_tPvRmT2_T3_mT4_T5_T6_T7_T8_P12ihipStream_tbENKUlT_T0_E_clISt17integral_constantIbLb1EES17_IbLb0EEEEDaS13_S14_EUlS13_E_NS1_11comp_targetILNS1_3genE0ELNS1_11target_archE4294967295ELNS1_3gpuE0ELNS1_3repE0EEENS1_30default_config_static_selectorELNS0_4arch9wavefront6targetE1EEEvT1_,comdat
.Lfunc_end78:
	.size	_ZN7rocprim17ROCPRIM_400000_NS6detail17trampoline_kernelINS0_14default_configENS1_33run_length_encode_config_selectorIbjNS0_4plusIjEEEEZZNS1_33reduce_by_key_impl_wrapped_configILNS1_25lookback_scan_determinismE0ES3_S7_N6hipcub16HIPCUB_304000_NS22TransformInputIteratorIbN2at6native8internal12_GLOBAL__N_110LoadBoolOpEPKhlEENS0_17constant_iteratorIjlEEPbPlSO_S6_NS0_8equal_toIbEEEE10hipError_tPvRmT2_T3_mT4_T5_T6_T7_T8_P12ihipStream_tbENKUlT_T0_E_clISt17integral_constantIbLb1EES17_IbLb0EEEEDaS13_S14_EUlS13_E_NS1_11comp_targetILNS1_3genE0ELNS1_11target_archE4294967295ELNS1_3gpuE0ELNS1_3repE0EEENS1_30default_config_static_selectorELNS0_4arch9wavefront6targetE1EEEvT1_, .Lfunc_end78-_ZN7rocprim17ROCPRIM_400000_NS6detail17trampoline_kernelINS0_14default_configENS1_33run_length_encode_config_selectorIbjNS0_4plusIjEEEEZZNS1_33reduce_by_key_impl_wrapped_configILNS1_25lookback_scan_determinismE0ES3_S7_N6hipcub16HIPCUB_304000_NS22TransformInputIteratorIbN2at6native8internal12_GLOBAL__N_110LoadBoolOpEPKhlEENS0_17constant_iteratorIjlEEPbPlSO_S6_NS0_8equal_toIbEEEE10hipError_tPvRmT2_T3_mT4_T5_T6_T7_T8_P12ihipStream_tbENKUlT_T0_E_clISt17integral_constantIbLb1EES17_IbLb0EEEEDaS13_S14_EUlS13_E_NS1_11comp_targetILNS1_3genE0ELNS1_11target_archE4294967295ELNS1_3gpuE0ELNS1_3repE0EEENS1_30default_config_static_selectorELNS0_4arch9wavefront6targetE1EEEvT1_
                                        ; -- End function
	.section	.AMDGPU.csdata,"",@progbits
; Kernel info:
; codeLenInByte = 0
; NumSgprs: 4
; NumVgprs: 0
; NumAgprs: 0
; TotalNumVgprs: 0
; ScratchSize: 0
; MemoryBound: 0
; FloatMode: 240
; IeeeMode: 1
; LDSByteSize: 0 bytes/workgroup (compile time only)
; SGPRBlocks: 0
; VGPRBlocks: 0
; NumSGPRsForWavesPerEU: 4
; NumVGPRsForWavesPerEU: 1
; AccumOffset: 4
; Occupancy: 8
; WaveLimiterHint : 0
; COMPUTE_PGM_RSRC2:SCRATCH_EN: 0
; COMPUTE_PGM_RSRC2:USER_SGPR: 6
; COMPUTE_PGM_RSRC2:TRAP_HANDLER: 0
; COMPUTE_PGM_RSRC2:TGID_X_EN: 1
; COMPUTE_PGM_RSRC2:TGID_Y_EN: 0
; COMPUTE_PGM_RSRC2:TGID_Z_EN: 0
; COMPUTE_PGM_RSRC2:TIDIG_COMP_CNT: 0
; COMPUTE_PGM_RSRC3_GFX90A:ACCUM_OFFSET: 0
; COMPUTE_PGM_RSRC3_GFX90A:TG_SPLIT: 0
	.section	.text._ZN7rocprim17ROCPRIM_400000_NS6detail17trampoline_kernelINS0_14default_configENS1_33run_length_encode_config_selectorIbjNS0_4plusIjEEEEZZNS1_33reduce_by_key_impl_wrapped_configILNS1_25lookback_scan_determinismE0ES3_S7_N6hipcub16HIPCUB_304000_NS22TransformInputIteratorIbN2at6native8internal12_GLOBAL__N_110LoadBoolOpEPKhlEENS0_17constant_iteratorIjlEEPbPlSO_S6_NS0_8equal_toIbEEEE10hipError_tPvRmT2_T3_mT4_T5_T6_T7_T8_P12ihipStream_tbENKUlT_T0_E_clISt17integral_constantIbLb1EES17_IbLb0EEEEDaS13_S14_EUlS13_E_NS1_11comp_targetILNS1_3genE5ELNS1_11target_archE942ELNS1_3gpuE9ELNS1_3repE0EEENS1_30default_config_static_selectorELNS0_4arch9wavefront6targetE1EEEvT1_,"axG",@progbits,_ZN7rocprim17ROCPRIM_400000_NS6detail17trampoline_kernelINS0_14default_configENS1_33run_length_encode_config_selectorIbjNS0_4plusIjEEEEZZNS1_33reduce_by_key_impl_wrapped_configILNS1_25lookback_scan_determinismE0ES3_S7_N6hipcub16HIPCUB_304000_NS22TransformInputIteratorIbN2at6native8internal12_GLOBAL__N_110LoadBoolOpEPKhlEENS0_17constant_iteratorIjlEEPbPlSO_S6_NS0_8equal_toIbEEEE10hipError_tPvRmT2_T3_mT4_T5_T6_T7_T8_P12ihipStream_tbENKUlT_T0_E_clISt17integral_constantIbLb1EES17_IbLb0EEEEDaS13_S14_EUlS13_E_NS1_11comp_targetILNS1_3genE5ELNS1_11target_archE942ELNS1_3gpuE9ELNS1_3repE0EEENS1_30default_config_static_selectorELNS0_4arch9wavefront6targetE1EEEvT1_,comdat
	.globl	_ZN7rocprim17ROCPRIM_400000_NS6detail17trampoline_kernelINS0_14default_configENS1_33run_length_encode_config_selectorIbjNS0_4plusIjEEEEZZNS1_33reduce_by_key_impl_wrapped_configILNS1_25lookback_scan_determinismE0ES3_S7_N6hipcub16HIPCUB_304000_NS22TransformInputIteratorIbN2at6native8internal12_GLOBAL__N_110LoadBoolOpEPKhlEENS0_17constant_iteratorIjlEEPbPlSO_S6_NS0_8equal_toIbEEEE10hipError_tPvRmT2_T3_mT4_T5_T6_T7_T8_P12ihipStream_tbENKUlT_T0_E_clISt17integral_constantIbLb1EES17_IbLb0EEEEDaS13_S14_EUlS13_E_NS1_11comp_targetILNS1_3genE5ELNS1_11target_archE942ELNS1_3gpuE9ELNS1_3repE0EEENS1_30default_config_static_selectorELNS0_4arch9wavefront6targetE1EEEvT1_ ; -- Begin function _ZN7rocprim17ROCPRIM_400000_NS6detail17trampoline_kernelINS0_14default_configENS1_33run_length_encode_config_selectorIbjNS0_4plusIjEEEEZZNS1_33reduce_by_key_impl_wrapped_configILNS1_25lookback_scan_determinismE0ES3_S7_N6hipcub16HIPCUB_304000_NS22TransformInputIteratorIbN2at6native8internal12_GLOBAL__N_110LoadBoolOpEPKhlEENS0_17constant_iteratorIjlEEPbPlSO_S6_NS0_8equal_toIbEEEE10hipError_tPvRmT2_T3_mT4_T5_T6_T7_T8_P12ihipStream_tbENKUlT_T0_E_clISt17integral_constantIbLb1EES17_IbLb0EEEEDaS13_S14_EUlS13_E_NS1_11comp_targetILNS1_3genE5ELNS1_11target_archE942ELNS1_3gpuE9ELNS1_3repE0EEENS1_30default_config_static_selectorELNS0_4arch9wavefront6targetE1EEEvT1_
	.p2align	8
	.type	_ZN7rocprim17ROCPRIM_400000_NS6detail17trampoline_kernelINS0_14default_configENS1_33run_length_encode_config_selectorIbjNS0_4plusIjEEEEZZNS1_33reduce_by_key_impl_wrapped_configILNS1_25lookback_scan_determinismE0ES3_S7_N6hipcub16HIPCUB_304000_NS22TransformInputIteratorIbN2at6native8internal12_GLOBAL__N_110LoadBoolOpEPKhlEENS0_17constant_iteratorIjlEEPbPlSO_S6_NS0_8equal_toIbEEEE10hipError_tPvRmT2_T3_mT4_T5_T6_T7_T8_P12ihipStream_tbENKUlT_T0_E_clISt17integral_constantIbLb1EES17_IbLb0EEEEDaS13_S14_EUlS13_E_NS1_11comp_targetILNS1_3genE5ELNS1_11target_archE942ELNS1_3gpuE9ELNS1_3repE0EEENS1_30default_config_static_selectorELNS0_4arch9wavefront6targetE1EEEvT1_,@function
_ZN7rocprim17ROCPRIM_400000_NS6detail17trampoline_kernelINS0_14default_configENS1_33run_length_encode_config_selectorIbjNS0_4plusIjEEEEZZNS1_33reduce_by_key_impl_wrapped_configILNS1_25lookback_scan_determinismE0ES3_S7_N6hipcub16HIPCUB_304000_NS22TransformInputIteratorIbN2at6native8internal12_GLOBAL__N_110LoadBoolOpEPKhlEENS0_17constant_iteratorIjlEEPbPlSO_S6_NS0_8equal_toIbEEEE10hipError_tPvRmT2_T3_mT4_T5_T6_T7_T8_P12ihipStream_tbENKUlT_T0_E_clISt17integral_constantIbLb1EES17_IbLb0EEEEDaS13_S14_EUlS13_E_NS1_11comp_targetILNS1_3genE5ELNS1_11target_archE942ELNS1_3gpuE9ELNS1_3repE0EEENS1_30default_config_static_selectorELNS0_4arch9wavefront6targetE1EEEvT1_: ; @_ZN7rocprim17ROCPRIM_400000_NS6detail17trampoline_kernelINS0_14default_configENS1_33run_length_encode_config_selectorIbjNS0_4plusIjEEEEZZNS1_33reduce_by_key_impl_wrapped_configILNS1_25lookback_scan_determinismE0ES3_S7_N6hipcub16HIPCUB_304000_NS22TransformInputIteratorIbN2at6native8internal12_GLOBAL__N_110LoadBoolOpEPKhlEENS0_17constant_iteratorIjlEEPbPlSO_S6_NS0_8equal_toIbEEEE10hipError_tPvRmT2_T3_mT4_T5_T6_T7_T8_P12ihipStream_tbENKUlT_T0_E_clISt17integral_constantIbLb1EES17_IbLb0EEEEDaS13_S14_EUlS13_E_NS1_11comp_targetILNS1_3genE5ELNS1_11target_archE942ELNS1_3gpuE9ELNS1_3repE0EEENS1_30default_config_static_selectorELNS0_4arch9wavefront6targetE1EEEvT1_
; %bb.0:
	.section	.rodata,"a",@progbits
	.p2align	6, 0x0
	.amdhsa_kernel _ZN7rocprim17ROCPRIM_400000_NS6detail17trampoline_kernelINS0_14default_configENS1_33run_length_encode_config_selectorIbjNS0_4plusIjEEEEZZNS1_33reduce_by_key_impl_wrapped_configILNS1_25lookback_scan_determinismE0ES3_S7_N6hipcub16HIPCUB_304000_NS22TransformInputIteratorIbN2at6native8internal12_GLOBAL__N_110LoadBoolOpEPKhlEENS0_17constant_iteratorIjlEEPbPlSO_S6_NS0_8equal_toIbEEEE10hipError_tPvRmT2_T3_mT4_T5_T6_T7_T8_P12ihipStream_tbENKUlT_T0_E_clISt17integral_constantIbLb1EES17_IbLb0EEEEDaS13_S14_EUlS13_E_NS1_11comp_targetILNS1_3genE5ELNS1_11target_archE942ELNS1_3gpuE9ELNS1_3repE0EEENS1_30default_config_static_selectorELNS0_4arch9wavefront6targetE1EEEvT1_
		.amdhsa_group_segment_fixed_size 0
		.amdhsa_private_segment_fixed_size 0
		.amdhsa_kernarg_size 136
		.amdhsa_user_sgpr_count 6
		.amdhsa_user_sgpr_private_segment_buffer 1
		.amdhsa_user_sgpr_dispatch_ptr 0
		.amdhsa_user_sgpr_queue_ptr 0
		.amdhsa_user_sgpr_kernarg_segment_ptr 1
		.amdhsa_user_sgpr_dispatch_id 0
		.amdhsa_user_sgpr_flat_scratch_init 0
		.amdhsa_user_sgpr_kernarg_preload_length 0
		.amdhsa_user_sgpr_kernarg_preload_offset 0
		.amdhsa_user_sgpr_private_segment_size 0
		.amdhsa_uses_dynamic_stack 0
		.amdhsa_system_sgpr_private_segment_wavefront_offset 0
		.amdhsa_system_sgpr_workgroup_id_x 1
		.amdhsa_system_sgpr_workgroup_id_y 0
		.amdhsa_system_sgpr_workgroup_id_z 0
		.amdhsa_system_sgpr_workgroup_info 0
		.amdhsa_system_vgpr_workitem_id 0
		.amdhsa_next_free_vgpr 1
		.amdhsa_next_free_sgpr 0
		.amdhsa_accum_offset 4
		.amdhsa_reserve_vcc 0
		.amdhsa_reserve_flat_scratch 0
		.amdhsa_float_round_mode_32 0
		.amdhsa_float_round_mode_16_64 0
		.amdhsa_float_denorm_mode_32 3
		.amdhsa_float_denorm_mode_16_64 3
		.amdhsa_dx10_clamp 1
		.amdhsa_ieee_mode 1
		.amdhsa_fp16_overflow 0
		.amdhsa_tg_split 0
		.amdhsa_exception_fp_ieee_invalid_op 0
		.amdhsa_exception_fp_denorm_src 0
		.amdhsa_exception_fp_ieee_div_zero 0
		.amdhsa_exception_fp_ieee_overflow 0
		.amdhsa_exception_fp_ieee_underflow 0
		.amdhsa_exception_fp_ieee_inexact 0
		.amdhsa_exception_int_div_zero 0
	.end_amdhsa_kernel
	.section	.text._ZN7rocprim17ROCPRIM_400000_NS6detail17trampoline_kernelINS0_14default_configENS1_33run_length_encode_config_selectorIbjNS0_4plusIjEEEEZZNS1_33reduce_by_key_impl_wrapped_configILNS1_25lookback_scan_determinismE0ES3_S7_N6hipcub16HIPCUB_304000_NS22TransformInputIteratorIbN2at6native8internal12_GLOBAL__N_110LoadBoolOpEPKhlEENS0_17constant_iteratorIjlEEPbPlSO_S6_NS0_8equal_toIbEEEE10hipError_tPvRmT2_T3_mT4_T5_T6_T7_T8_P12ihipStream_tbENKUlT_T0_E_clISt17integral_constantIbLb1EES17_IbLb0EEEEDaS13_S14_EUlS13_E_NS1_11comp_targetILNS1_3genE5ELNS1_11target_archE942ELNS1_3gpuE9ELNS1_3repE0EEENS1_30default_config_static_selectorELNS0_4arch9wavefront6targetE1EEEvT1_,"axG",@progbits,_ZN7rocprim17ROCPRIM_400000_NS6detail17trampoline_kernelINS0_14default_configENS1_33run_length_encode_config_selectorIbjNS0_4plusIjEEEEZZNS1_33reduce_by_key_impl_wrapped_configILNS1_25lookback_scan_determinismE0ES3_S7_N6hipcub16HIPCUB_304000_NS22TransformInputIteratorIbN2at6native8internal12_GLOBAL__N_110LoadBoolOpEPKhlEENS0_17constant_iteratorIjlEEPbPlSO_S6_NS0_8equal_toIbEEEE10hipError_tPvRmT2_T3_mT4_T5_T6_T7_T8_P12ihipStream_tbENKUlT_T0_E_clISt17integral_constantIbLb1EES17_IbLb0EEEEDaS13_S14_EUlS13_E_NS1_11comp_targetILNS1_3genE5ELNS1_11target_archE942ELNS1_3gpuE9ELNS1_3repE0EEENS1_30default_config_static_selectorELNS0_4arch9wavefront6targetE1EEEvT1_,comdat
.Lfunc_end79:
	.size	_ZN7rocprim17ROCPRIM_400000_NS6detail17trampoline_kernelINS0_14default_configENS1_33run_length_encode_config_selectorIbjNS0_4plusIjEEEEZZNS1_33reduce_by_key_impl_wrapped_configILNS1_25lookback_scan_determinismE0ES3_S7_N6hipcub16HIPCUB_304000_NS22TransformInputIteratorIbN2at6native8internal12_GLOBAL__N_110LoadBoolOpEPKhlEENS0_17constant_iteratorIjlEEPbPlSO_S6_NS0_8equal_toIbEEEE10hipError_tPvRmT2_T3_mT4_T5_T6_T7_T8_P12ihipStream_tbENKUlT_T0_E_clISt17integral_constantIbLb1EES17_IbLb0EEEEDaS13_S14_EUlS13_E_NS1_11comp_targetILNS1_3genE5ELNS1_11target_archE942ELNS1_3gpuE9ELNS1_3repE0EEENS1_30default_config_static_selectorELNS0_4arch9wavefront6targetE1EEEvT1_, .Lfunc_end79-_ZN7rocprim17ROCPRIM_400000_NS6detail17trampoline_kernelINS0_14default_configENS1_33run_length_encode_config_selectorIbjNS0_4plusIjEEEEZZNS1_33reduce_by_key_impl_wrapped_configILNS1_25lookback_scan_determinismE0ES3_S7_N6hipcub16HIPCUB_304000_NS22TransformInputIteratorIbN2at6native8internal12_GLOBAL__N_110LoadBoolOpEPKhlEENS0_17constant_iteratorIjlEEPbPlSO_S6_NS0_8equal_toIbEEEE10hipError_tPvRmT2_T3_mT4_T5_T6_T7_T8_P12ihipStream_tbENKUlT_T0_E_clISt17integral_constantIbLb1EES17_IbLb0EEEEDaS13_S14_EUlS13_E_NS1_11comp_targetILNS1_3genE5ELNS1_11target_archE942ELNS1_3gpuE9ELNS1_3repE0EEENS1_30default_config_static_selectorELNS0_4arch9wavefront6targetE1EEEvT1_
                                        ; -- End function
	.section	.AMDGPU.csdata,"",@progbits
; Kernel info:
; codeLenInByte = 0
; NumSgprs: 4
; NumVgprs: 0
; NumAgprs: 0
; TotalNumVgprs: 0
; ScratchSize: 0
; MemoryBound: 0
; FloatMode: 240
; IeeeMode: 1
; LDSByteSize: 0 bytes/workgroup (compile time only)
; SGPRBlocks: 0
; VGPRBlocks: 0
; NumSGPRsForWavesPerEU: 4
; NumVGPRsForWavesPerEU: 1
; AccumOffset: 4
; Occupancy: 8
; WaveLimiterHint : 0
; COMPUTE_PGM_RSRC2:SCRATCH_EN: 0
; COMPUTE_PGM_RSRC2:USER_SGPR: 6
; COMPUTE_PGM_RSRC2:TRAP_HANDLER: 0
; COMPUTE_PGM_RSRC2:TGID_X_EN: 1
; COMPUTE_PGM_RSRC2:TGID_Y_EN: 0
; COMPUTE_PGM_RSRC2:TGID_Z_EN: 0
; COMPUTE_PGM_RSRC2:TIDIG_COMP_CNT: 0
; COMPUTE_PGM_RSRC3_GFX90A:ACCUM_OFFSET: 0
; COMPUTE_PGM_RSRC3_GFX90A:TG_SPLIT: 0
	.section	.text._ZN7rocprim17ROCPRIM_400000_NS6detail17trampoline_kernelINS0_14default_configENS1_33run_length_encode_config_selectorIbjNS0_4plusIjEEEEZZNS1_33reduce_by_key_impl_wrapped_configILNS1_25lookback_scan_determinismE0ES3_S7_N6hipcub16HIPCUB_304000_NS22TransformInputIteratorIbN2at6native8internal12_GLOBAL__N_110LoadBoolOpEPKhlEENS0_17constant_iteratorIjlEEPbPlSO_S6_NS0_8equal_toIbEEEE10hipError_tPvRmT2_T3_mT4_T5_T6_T7_T8_P12ihipStream_tbENKUlT_T0_E_clISt17integral_constantIbLb1EES17_IbLb0EEEEDaS13_S14_EUlS13_E_NS1_11comp_targetILNS1_3genE4ELNS1_11target_archE910ELNS1_3gpuE8ELNS1_3repE0EEENS1_30default_config_static_selectorELNS0_4arch9wavefront6targetE1EEEvT1_,"axG",@progbits,_ZN7rocprim17ROCPRIM_400000_NS6detail17trampoline_kernelINS0_14default_configENS1_33run_length_encode_config_selectorIbjNS0_4plusIjEEEEZZNS1_33reduce_by_key_impl_wrapped_configILNS1_25lookback_scan_determinismE0ES3_S7_N6hipcub16HIPCUB_304000_NS22TransformInputIteratorIbN2at6native8internal12_GLOBAL__N_110LoadBoolOpEPKhlEENS0_17constant_iteratorIjlEEPbPlSO_S6_NS0_8equal_toIbEEEE10hipError_tPvRmT2_T3_mT4_T5_T6_T7_T8_P12ihipStream_tbENKUlT_T0_E_clISt17integral_constantIbLb1EES17_IbLb0EEEEDaS13_S14_EUlS13_E_NS1_11comp_targetILNS1_3genE4ELNS1_11target_archE910ELNS1_3gpuE8ELNS1_3repE0EEENS1_30default_config_static_selectorELNS0_4arch9wavefront6targetE1EEEvT1_,comdat
	.globl	_ZN7rocprim17ROCPRIM_400000_NS6detail17trampoline_kernelINS0_14default_configENS1_33run_length_encode_config_selectorIbjNS0_4plusIjEEEEZZNS1_33reduce_by_key_impl_wrapped_configILNS1_25lookback_scan_determinismE0ES3_S7_N6hipcub16HIPCUB_304000_NS22TransformInputIteratorIbN2at6native8internal12_GLOBAL__N_110LoadBoolOpEPKhlEENS0_17constant_iteratorIjlEEPbPlSO_S6_NS0_8equal_toIbEEEE10hipError_tPvRmT2_T3_mT4_T5_T6_T7_T8_P12ihipStream_tbENKUlT_T0_E_clISt17integral_constantIbLb1EES17_IbLb0EEEEDaS13_S14_EUlS13_E_NS1_11comp_targetILNS1_3genE4ELNS1_11target_archE910ELNS1_3gpuE8ELNS1_3repE0EEENS1_30default_config_static_selectorELNS0_4arch9wavefront6targetE1EEEvT1_ ; -- Begin function _ZN7rocprim17ROCPRIM_400000_NS6detail17trampoline_kernelINS0_14default_configENS1_33run_length_encode_config_selectorIbjNS0_4plusIjEEEEZZNS1_33reduce_by_key_impl_wrapped_configILNS1_25lookback_scan_determinismE0ES3_S7_N6hipcub16HIPCUB_304000_NS22TransformInputIteratorIbN2at6native8internal12_GLOBAL__N_110LoadBoolOpEPKhlEENS0_17constant_iteratorIjlEEPbPlSO_S6_NS0_8equal_toIbEEEE10hipError_tPvRmT2_T3_mT4_T5_T6_T7_T8_P12ihipStream_tbENKUlT_T0_E_clISt17integral_constantIbLb1EES17_IbLb0EEEEDaS13_S14_EUlS13_E_NS1_11comp_targetILNS1_3genE4ELNS1_11target_archE910ELNS1_3gpuE8ELNS1_3repE0EEENS1_30default_config_static_selectorELNS0_4arch9wavefront6targetE1EEEvT1_
	.p2align	8
	.type	_ZN7rocprim17ROCPRIM_400000_NS6detail17trampoline_kernelINS0_14default_configENS1_33run_length_encode_config_selectorIbjNS0_4plusIjEEEEZZNS1_33reduce_by_key_impl_wrapped_configILNS1_25lookback_scan_determinismE0ES3_S7_N6hipcub16HIPCUB_304000_NS22TransformInputIteratorIbN2at6native8internal12_GLOBAL__N_110LoadBoolOpEPKhlEENS0_17constant_iteratorIjlEEPbPlSO_S6_NS0_8equal_toIbEEEE10hipError_tPvRmT2_T3_mT4_T5_T6_T7_T8_P12ihipStream_tbENKUlT_T0_E_clISt17integral_constantIbLb1EES17_IbLb0EEEEDaS13_S14_EUlS13_E_NS1_11comp_targetILNS1_3genE4ELNS1_11target_archE910ELNS1_3gpuE8ELNS1_3repE0EEENS1_30default_config_static_selectorELNS0_4arch9wavefront6targetE1EEEvT1_,@function
_ZN7rocprim17ROCPRIM_400000_NS6detail17trampoline_kernelINS0_14default_configENS1_33run_length_encode_config_selectorIbjNS0_4plusIjEEEEZZNS1_33reduce_by_key_impl_wrapped_configILNS1_25lookback_scan_determinismE0ES3_S7_N6hipcub16HIPCUB_304000_NS22TransformInputIteratorIbN2at6native8internal12_GLOBAL__N_110LoadBoolOpEPKhlEENS0_17constant_iteratorIjlEEPbPlSO_S6_NS0_8equal_toIbEEEE10hipError_tPvRmT2_T3_mT4_T5_T6_T7_T8_P12ihipStream_tbENKUlT_T0_E_clISt17integral_constantIbLb1EES17_IbLb0EEEEDaS13_S14_EUlS13_E_NS1_11comp_targetILNS1_3genE4ELNS1_11target_archE910ELNS1_3gpuE8ELNS1_3repE0EEENS1_30default_config_static_selectorELNS0_4arch9wavefront6targetE1EEEvT1_: ; @_ZN7rocprim17ROCPRIM_400000_NS6detail17trampoline_kernelINS0_14default_configENS1_33run_length_encode_config_selectorIbjNS0_4plusIjEEEEZZNS1_33reduce_by_key_impl_wrapped_configILNS1_25lookback_scan_determinismE0ES3_S7_N6hipcub16HIPCUB_304000_NS22TransformInputIteratorIbN2at6native8internal12_GLOBAL__N_110LoadBoolOpEPKhlEENS0_17constant_iteratorIjlEEPbPlSO_S6_NS0_8equal_toIbEEEE10hipError_tPvRmT2_T3_mT4_T5_T6_T7_T8_P12ihipStream_tbENKUlT_T0_E_clISt17integral_constantIbLb1EES17_IbLb0EEEEDaS13_S14_EUlS13_E_NS1_11comp_targetILNS1_3genE4ELNS1_11target_archE910ELNS1_3gpuE8ELNS1_3repE0EEENS1_30default_config_static_selectorELNS0_4arch9wavefront6targetE1EEEvT1_
; %bb.0:
	s_load_dwordx2 s[0:1], s[4:5], 0x0
	s_load_dwordx2 s[2:3], s[4:5], 0x10
	s_load_dwordx8 s[36:43], s[4:5], 0x48
	s_load_dword s7, s[4:5], 0x18
	s_load_dwordx4 s[44:47], s[4:5], 0x68
	s_mul_i32 s8, s6, 0xf00
	s_waitcnt lgkmcnt(0)
	s_add_u32 s0, s0, s2
	s_addc_u32 s1, s1, s3
	s_mul_i32 s2, s40, s39
	s_mul_hi_u32 s3, s40, s38
	s_add_i32 s2, s3, s2
	s_mul_i32 s3, s41, s38
	s_add_i32 s3, s2, s3
	s_add_u32 s0, s0, s8
	s_mul_i32 s2, s40, s38
	s_addc_u32 s1, s1, 0
	s_add_u32 s2, s2, s6
	s_addc_u32 s3, s3, 0
	s_add_u32 s8, s42, -1
	s_addc_u32 s9, s43, -1
	s_cmp_eq_u64 s[2:3], s[8:9]
	s_cselect_b64 s[34:35], -1, 0
	s_cmp_lg_u64 s[2:3], s[8:9]
	s_mov_b64 s[12:13], -1
	s_cselect_b64 s[10:11], -1, 0
	s_mul_i32 s33, s8, 0xfffff100
	s_and_b64 vcc, exec, s[34:35]
	v_mad_u32_u24 v2, v0, 14, v0
	s_cbranch_vccnz .LBB80_2
; %bb.1:
	global_load_ubyte v1, v0, s[0:1]
	global_load_ubyte v3, v0, s[0:1] offset:256
	global_load_ubyte v4, v0, s[0:1] offset:512
	;; [unrolled: 1-line block ×14, first 2 shown]
	s_mov_b64 s[8:9], -1
	s_waitcnt vmcnt(14)
	v_cmp_ne_u16_e32 vcc, 0, v1
	v_cndmask_b32_e64 v1, 0, 1, vcc
	s_waitcnt vmcnt(13)
	v_cmp_ne_u16_e32 vcc, 0, v3
	v_cndmask_b32_e64 v3, 0, 1, vcc
	;; [unrolled: 3-line block ×15, first 2 shown]
	ds_write_b8 v0, v1
	ds_write_b8 v0, v3 offset:256
	ds_write_b8 v0, v4 offset:512
	ds_write_b8 v0, v5 offset:768
	ds_write_b8 v0, v6 offset:1024
	ds_write_b8 v0, v7 offset:1280
	ds_write_b8 v0, v8 offset:1536
	ds_write_b8 v0, v9 offset:1792
	ds_write_b8 v0, v10 offset:2048
	ds_write_b8 v0, v11 offset:2304
	ds_write_b8 v0, v12 offset:2560
	ds_write_b8 v0, v13 offset:2816
	ds_write_b8 v0, v14 offset:3072
	ds_write_b8 v0, v15 offset:3328
	ds_write_b8 v0, v16 offset:3584
	s_waitcnt lgkmcnt(0)
	s_barrier
	ds_read_b96 v[8:10], v2
	ds_read_u8 v21, v2 offset:12
	ds_read_u8 v11, v2 offset:13
	;; [unrolled: 1-line block ×3, first 2 shown]
	s_waitcnt lgkmcnt(3)
	v_lshrrev_b32_e32 v63, 8, v8
	v_lshrrev_b32_e32 v62, 16, v8
	;; [unrolled: 1-line block ×9, first 2 shown]
	s_add_i32 s33, s33, s44
	s_cbranch_execz .LBB80_3
	s_branch .LBB80_34
.LBB80_2:
	s_mov_b64 s[8:9], 0
                                        ; implicit-def: $vgpr8
                                        ; implicit-def: $vgpr63
                                        ; implicit-def: $vgpr62
                                        ; implicit-def: $vgpr61
                                        ; implicit-def: $vgpr60
                                        ; implicit-def: $vgpr59
                                        ; implicit-def: $vgpr58
                                        ; implicit-def: $vgpr57
                                        ; implicit-def: $vgpr56
                                        ; implicit-def: $vgpr55
                                        ; implicit-def: $vgpr21
                                        ; implicit-def: $vgpr11
                                        ; implicit-def: $vgpr1
	s_add_i32 s33, s33, s44
	s_andn2_b64 vcc, exec, s[12:13]
	s_cbranch_vccnz .LBB80_34
.LBB80_3:
	v_cmp_gt_u32_e32 vcc, s33, v0
                                        ; implicit-def: $vgpr1
	s_and_saveexec_b64 s[8:9], vcc
	s_cbranch_execz .LBB80_5
; %bb.4:
	s_waitcnt lgkmcnt(0)
	global_load_ubyte v1, v0, s[0:1]
	s_waitcnt vmcnt(0)
	v_cmp_ne_u16_e32 vcc, 0, v1
	v_cndmask_b32_e64 v1, 0, 1, vcc
.LBB80_5:
	s_or_b64 exec, exec, s[8:9]
	v_or_b32_e32 v3, 0x100, v0
	v_cmp_gt_u32_e32 vcc, s33, v3
                                        ; implicit-def: $vgpr3
	s_and_saveexec_b64 s[8:9], vcc
	s_cbranch_execz .LBB80_7
; %bb.6:
	global_load_ubyte v3, v0, s[0:1] offset:256
	s_waitcnt vmcnt(0)
	v_cmp_ne_u16_e32 vcc, 0, v3
	v_cndmask_b32_e64 v3, 0, 1, vcc
.LBB80_7:
	s_or_b64 exec, exec, s[8:9]
	v_or_b32_e32 v4, 0x200, v0
	v_cmp_gt_u32_e32 vcc, s33, v4
                                        ; implicit-def: $vgpr4
	s_and_saveexec_b64 s[8:9], vcc
	s_cbranch_execz .LBB80_9
; %bb.8:
	global_load_ubyte v4, v0, s[0:1] offset:512
	s_waitcnt vmcnt(0)
	v_cmp_ne_u16_e32 vcc, 0, v4
	v_cndmask_b32_e64 v4, 0, 1, vcc
.LBB80_9:
	s_or_b64 exec, exec, s[8:9]
	v_or_b32_e32 v5, 0x300, v0
	v_cmp_gt_u32_e32 vcc, s33, v5
                                        ; implicit-def: $vgpr5
	s_and_saveexec_b64 s[8:9], vcc
	s_cbranch_execz .LBB80_11
; %bb.10:
	global_load_ubyte v5, v0, s[0:1] offset:768
	s_waitcnt vmcnt(0)
	v_cmp_ne_u16_e32 vcc, 0, v5
	v_cndmask_b32_e64 v5, 0, 1, vcc
.LBB80_11:
	s_or_b64 exec, exec, s[8:9]
	v_or_b32_e32 v6, 0x400, v0
	v_cmp_gt_u32_e32 vcc, s33, v6
                                        ; implicit-def: $vgpr6
	s_and_saveexec_b64 s[8:9], vcc
	s_cbranch_execz .LBB80_13
; %bb.12:
	global_load_ubyte v6, v0, s[0:1] offset:1024
	s_waitcnt vmcnt(0)
	v_cmp_ne_u16_e32 vcc, 0, v6
	v_cndmask_b32_e64 v6, 0, 1, vcc
.LBB80_13:
	s_or_b64 exec, exec, s[8:9]
	v_or_b32_e32 v7, 0x500, v0
	v_cmp_gt_u32_e32 vcc, s33, v7
                                        ; implicit-def: $vgpr7
	s_and_saveexec_b64 s[8:9], vcc
	s_cbranch_execz .LBB80_15
; %bb.14:
	global_load_ubyte v7, v0, s[0:1] offset:1280
	s_waitcnt vmcnt(0)
	v_cmp_ne_u16_e32 vcc, 0, v7
	v_cndmask_b32_e64 v7, 0, 1, vcc
.LBB80_15:
	s_or_b64 exec, exec, s[8:9]
	v_or_b32_e32 v8, 0x600, v0
	v_cmp_gt_u32_e32 vcc, s33, v8
                                        ; implicit-def: $vgpr8
	s_and_saveexec_b64 s[8:9], vcc
	s_cbranch_execz .LBB80_17
; %bb.16:
	global_load_ubyte v8, v0, s[0:1] offset:1536
	s_waitcnt vmcnt(0)
	v_cmp_ne_u16_e32 vcc, 0, v8
	v_cndmask_b32_e64 v8, 0, 1, vcc
.LBB80_17:
	s_or_b64 exec, exec, s[8:9]
	v_or_b32_e32 v9, 0x700, v0
	v_cmp_gt_u32_e32 vcc, s33, v9
                                        ; implicit-def: $vgpr9
	s_and_saveexec_b64 s[8:9], vcc
	s_cbranch_execz .LBB80_19
; %bb.18:
	global_load_ubyte v9, v0, s[0:1] offset:1792
	s_waitcnt vmcnt(0)
	v_cmp_ne_u16_e32 vcc, 0, v9
	v_cndmask_b32_e64 v9, 0, 1, vcc
.LBB80_19:
	s_or_b64 exec, exec, s[8:9]
	v_or_b32_e32 v10, 0x800, v0
	v_cmp_gt_u32_e32 vcc, s33, v10
                                        ; implicit-def: $vgpr10
	s_and_saveexec_b64 s[8:9], vcc
	s_cbranch_execz .LBB80_21
; %bb.20:
	global_load_ubyte v10, v0, s[0:1] offset:2048
	s_waitcnt vmcnt(0)
	v_cmp_ne_u16_e32 vcc, 0, v10
	v_cndmask_b32_e64 v10, 0, 1, vcc
.LBB80_21:
	s_or_b64 exec, exec, s[8:9]
	s_waitcnt lgkmcnt(1)
	v_or_b32_e32 v11, 0x900, v0
	v_cmp_gt_u32_e32 vcc, s33, v11
                                        ; implicit-def: $vgpr11
	s_and_saveexec_b64 s[8:9], vcc
	s_cbranch_execz .LBB80_23
; %bb.22:
	global_load_ubyte v11, v0, s[0:1] offset:2304
	s_waitcnt vmcnt(0)
	v_cmp_ne_u16_e32 vcc, 0, v11
	v_cndmask_b32_e64 v11, 0, 1, vcc
.LBB80_23:
	s_or_b64 exec, exec, s[8:9]
	v_or_b32_e32 v12, 0xa00, v0
	v_cmp_gt_u32_e32 vcc, s33, v12
                                        ; implicit-def: $vgpr12
	s_and_saveexec_b64 s[8:9], vcc
	s_cbranch_execz .LBB80_25
; %bb.24:
	global_load_ubyte v12, v0, s[0:1] offset:2560
	s_waitcnt vmcnt(0)
	v_cmp_ne_u16_e32 vcc, 0, v12
	v_cndmask_b32_e64 v12, 0, 1, vcc
.LBB80_25:
	s_or_b64 exec, exec, s[8:9]
	v_or_b32_e32 v13, 0xb00, v0
	v_cmp_gt_u32_e32 vcc, s33, v13
                                        ; implicit-def: $vgpr13
	s_and_saveexec_b64 s[8:9], vcc
	s_cbranch_execz .LBB80_27
; %bb.26:
	global_load_ubyte v13, v0, s[0:1] offset:2816
	s_waitcnt vmcnt(0)
	v_cmp_ne_u16_e32 vcc, 0, v13
	v_cndmask_b32_e64 v13, 0, 1, vcc
.LBB80_27:
	s_or_b64 exec, exec, s[8:9]
	v_or_b32_e32 v14, 0xc00, v0
	v_cmp_gt_u32_e32 vcc, s33, v14
                                        ; implicit-def: $vgpr14
	s_and_saveexec_b64 s[8:9], vcc
	s_cbranch_execz .LBB80_29
; %bb.28:
	global_load_ubyte v14, v0, s[0:1] offset:3072
	s_waitcnt vmcnt(0)
	v_cmp_ne_u16_e32 vcc, 0, v14
	v_cndmask_b32_e64 v14, 0, 1, vcc
.LBB80_29:
	s_or_b64 exec, exec, s[8:9]
	v_or_b32_e32 v15, 0xd00, v0
	v_cmp_gt_u32_e32 vcc, s33, v15
                                        ; implicit-def: $vgpr15
	s_and_saveexec_b64 s[8:9], vcc
	s_cbranch_execz .LBB80_31
; %bb.30:
	global_load_ubyte v15, v0, s[0:1] offset:3328
	s_waitcnt vmcnt(0)
	v_cmp_ne_u16_e32 vcc, 0, v15
	v_cndmask_b32_e64 v15, 0, 1, vcc
.LBB80_31:
	s_or_b64 exec, exec, s[8:9]
	v_or_b32_e32 v16, 0xe00, v0
	v_cmp_gt_u32_e32 vcc, s33, v16
                                        ; implicit-def: $vgpr16
	s_and_saveexec_b64 s[8:9], vcc
	s_cbranch_execz .LBB80_33
; %bb.32:
	global_load_ubyte v16, v0, s[0:1] offset:3584
	s_waitcnt vmcnt(0)
	v_cmp_ne_u16_e32 vcc, 0, v16
	v_cndmask_b32_e64 v16, 0, 1, vcc
.LBB80_33:
	s_or_b64 exec, exec, s[8:9]
	s_waitcnt lgkmcnt(0)
	ds_write_b8 v0, v1
	ds_write_b8 v0, v3 offset:256
	ds_write_b8 v0, v4 offset:512
	;; [unrolled: 1-line block ×14, first 2 shown]
	s_waitcnt lgkmcnt(0)
	s_barrier
	ds_read_b96 v[8:10], v2
	ds_read_u8 v21, v2 offset:12
	ds_read_u8 v11, v2 offset:13
	;; [unrolled: 1-line block ×3, first 2 shown]
	v_mad_u32_u24 v2, v0, 15, 14
	s_waitcnt lgkmcnt(3)
	v_lshrrev_b32_e32 v63, 8, v8
	v_lshrrev_b32_e32 v62, 16, v8
	;; [unrolled: 1-line block ×9, first 2 shown]
	v_cmp_gt_u32_e64 s[8:9], s33, v2
.LBB80_34:
	v_mov_b32_e32 v52, s7
                                        ; implicit-def: $vgpr53
	s_and_saveexec_b64 s[12:13], s[8:9]
; %bb.35:
	v_mov_b32_e32 v53, s7
; %bb.36:
	s_or_b64 exec, exec, s[12:13]
	s_load_dwordx2 s[50:51], s[4:5], 0x78
	s_cmp_eq_u64 s[2:3], 0
	s_cselect_b64 s[48:49], -1, 0
	s_cmp_lg_u64 s[2:3], 0
	s_mov_b64 s[8:9], 0
	s_cselect_b64 s[12:13], -1, 0
	s_and_b64 vcc, exec, s[10:11]
	s_waitcnt lgkmcnt(0)
	s_barrier
	s_cbranch_vccz .LBB80_42
; %bb.37:
	s_and_b64 vcc, exec, s[12:13]
	s_cbranch_vccz .LBB80_43
; %bb.38:
	v_mov_b32_e32 v2, 0
	global_load_ubyte v2, v2, s[0:1] offset:-1
	v_cmp_ne_u16_sdwa s[8:9], v11, v1 src0_sel:BYTE_0 src1_sel:BYTE_0
	v_cmp_ne_u16_sdwa s[10:11], v21, v11 src0_sel:BYTE_0 src1_sel:BYTE_0
	;; [unrolled: 1-line block ×14, first 2 shown]
	ds_write_b8 v0, v1
	s_waitcnt lgkmcnt(0)
	s_barrier
	s_waitcnt vmcnt(0)
	v_cmp_ne_u16_e32 vcc, 0, v2
	v_cndmask_b32_e64 v2, 0, 1, vcc
	v_cmp_ne_u32_e32 vcc, 0, v0
	s_and_saveexec_b64 s[54:55], vcc
	s_cbranch_execz .LBB80_40
; %bb.39:
	v_add_u32_e32 v2, -1, v0
	ds_read_u8 v2, v2
.LBB80_40:
	s_or_b64 exec, exec, s[54:55]
	s_waitcnt lgkmcnt(0)
	v_and_b32_e32 v2, 0xff, v2
	v_cndmask_b32_e64 v64, 0, 1, s[8:9]
	v_cndmask_b32_e64 v65, 0, 1, s[10:11]
	;; [unrolled: 1-line block ×14, first 2 shown]
	v_cmp_ne_u16_sdwa s[10:11], v2, v8 src0_sel:DWORD src1_sel:BYTE_0
	s_mov_b64 s[8:9], -1
.LBB80_41:
                                        ; implicit-def: $sgpr7
	s_branch .LBB80_55
.LBB80_42:
                                        ; implicit-def: $sgpr10_sgpr11
                                        ; implicit-def: $vgpr64
                                        ; implicit-def: $vgpr65
                                        ; implicit-def: $vgpr66
                                        ; implicit-def: $vgpr67
                                        ; implicit-def: $vgpr68
                                        ; implicit-def: $vgpr69
                                        ; implicit-def: $vgpr70
                                        ; implicit-def: $vgpr71
                                        ; implicit-def: $vgpr72
                                        ; implicit-def: $vgpr73
                                        ; implicit-def: $vgpr74
                                        ; implicit-def: $vgpr75
                                        ; implicit-def: $vgpr76
                                        ; implicit-def: $vgpr77
                                        ; implicit-def: $sgpr7
	s_cbranch_execnz .LBB80_47
	s_branch .LBB80_55
.LBB80_43:
                                        ; implicit-def: $sgpr10_sgpr11
                                        ; implicit-def: $vgpr64
                                        ; implicit-def: $vgpr65
                                        ; implicit-def: $vgpr66
                                        ; implicit-def: $vgpr67
                                        ; implicit-def: $vgpr68
                                        ; implicit-def: $vgpr69
                                        ; implicit-def: $vgpr70
                                        ; implicit-def: $vgpr71
                                        ; implicit-def: $vgpr72
                                        ; implicit-def: $vgpr73
                                        ; implicit-def: $vgpr74
                                        ; implicit-def: $vgpr75
                                        ; implicit-def: $vgpr76
                                        ; implicit-def: $vgpr77
	s_cbranch_execz .LBB80_41
; %bb.44:
	v_cmp_ne_u16_sdwa s[10:11], v11, v1 src0_sel:BYTE_0 src1_sel:BYTE_0
	v_cndmask_b32_e64 v64, 0, 1, s[10:11]
	v_cmp_ne_u16_sdwa s[10:11], v21, v11 src0_sel:BYTE_0 src1_sel:BYTE_0
	v_cndmask_b32_e64 v65, 0, 1, s[10:11]
	;; [unrolled: 2-line block ×14, first 2 shown]
	v_cmp_ne_u32_e32 vcc, 0, v0
	ds_write_b8 v0, v1
	s_waitcnt lgkmcnt(0)
	s_barrier
	s_waitcnt lgkmcnt(0)
                                        ; implicit-def: $sgpr10_sgpr11
	s_and_saveexec_b64 s[14:15], vcc
	s_xor_b64 s[14:15], exec, s[14:15]
	s_cbranch_execz .LBB80_46
; %bb.45:
	v_add_u32_e32 v2, -1, v0
	ds_read_u8 v2, v2
	s_or_b64 s[8:9], s[8:9], exec
	s_waitcnt lgkmcnt(0)
	v_cmp_ne_u16_sdwa s[10:11], v2, v8 src0_sel:DWORD src1_sel:BYTE_0
	s_and_b64 s[10:11], s[10:11], exec
.LBB80_46:
	s_or_b64 exec, exec, s[14:15]
	s_mov_b32 s7, 1
	s_branch .LBB80_55
.LBB80_47:
	s_mul_hi_u32 s7, s2, 0xfffff100
	s_mulk_i32 s3, 0xf100
	s_sub_i32 s7, s7, s2
	s_add_i32 s7, s7, s3
	s_mulk_i32 s2, 0xf100
	s_add_u32 s2, s2, s44
	s_addc_u32 s3, s7, s45
	s_and_b64 vcc, exec, s[12:13]
	s_cbranch_vccz .LBB80_52
; %bb.48:
	v_mov_b32_e32 v3, 0
	global_load_ubyte v5, v3, s[0:1] offset:-1
	v_mad_u32_u24 v2, v0, 15, 14
	v_cmp_ne_u16_sdwa s[0:1], v11, v1 src0_sel:BYTE_0 src1_sel:BYTE_0
	v_cmp_gt_u64_e32 vcc, s[2:3], v[2:3]
	v_mad_u32_u24 v2, v0, 15, 13
	v_cmp_ne_u16_sdwa s[8:9], v21, v11 src0_sel:BYTE_0 src1_sel:BYTE_0
	s_and_b64 s[0:1], vcc, s[0:1]
	v_cmp_gt_u64_e32 vcc, s[2:3], v[2:3]
	v_mad_u32_u24 v2, v0, 15, 12
	v_cmp_ne_u16_sdwa s[10:11], v55, v21 src0_sel:BYTE_0 src1_sel:BYTE_0
	s_and_b64 s[8:9], vcc, s[8:9]
	;; [unrolled: 4-line block ×13, first 2 shown]
	v_cmp_gt_u64_e32 vcc, s[2:3], v[2:3]
	s_and_b64 s[40:41], vcc, s[40:41]
	v_mul_u32_u24_e32 v4, 15, v0
	ds_write_b8 v0, v1
	s_waitcnt lgkmcnt(0)
	s_barrier
	s_waitcnt vmcnt(0)
	v_cmp_ne_u16_e32 vcc, 0, v5
	v_cndmask_b32_e64 v2, 0, 1, vcc
	v_cmp_ne_u32_e32 vcc, 0, v0
	s_and_saveexec_b64 s[42:43], vcc
	s_cbranch_execz .LBB80_50
; %bb.49:
	v_add_u32_e32 v2, -1, v0
	ds_read_u8 v2, v2
.LBB80_50:
	s_or_b64 exec, exec, s[42:43]
	v_mov_b32_e32 v5, v3
	s_waitcnt lgkmcnt(0)
	v_and_b32_e32 v2, 0xff, v2
	v_cndmask_b32_e64 v64, 0, 1, s[0:1]
	v_cmp_gt_u64_e32 vcc, s[2:3], v[4:5]
	v_cmp_ne_u16_sdwa s[0:1], v2, v8 src0_sel:DWORD src1_sel:BYTE_0
	v_cndmask_b32_e64 v65, 0, 1, s[8:9]
	v_cndmask_b32_e64 v66, 0, 1, s[10:11]
	;; [unrolled: 1-line block ×13, first 2 shown]
	s_and_b64 s[10:11], vcc, s[0:1]
	s_mov_b64 s[8:9], -1
.LBB80_51:
                                        ; implicit-def: $sgpr7
	v_mov_b32_e32 v78, s7
	s_and_saveexec_b64 s[0:1], s[8:9]
	s_cbranch_execnz .LBB80_56
	s_branch .LBB80_57
.LBB80_52:
                                        ; implicit-def: $sgpr10_sgpr11
                                        ; implicit-def: $vgpr64
                                        ; implicit-def: $vgpr65
                                        ; implicit-def: $vgpr66
                                        ; implicit-def: $vgpr67
                                        ; implicit-def: $vgpr68
                                        ; implicit-def: $vgpr69
                                        ; implicit-def: $vgpr70
                                        ; implicit-def: $vgpr71
                                        ; implicit-def: $vgpr72
                                        ; implicit-def: $vgpr73
                                        ; implicit-def: $vgpr74
                                        ; implicit-def: $vgpr75
                                        ; implicit-def: $vgpr76
                                        ; implicit-def: $vgpr77
	s_cbranch_execz .LBB80_51
; %bb.53:
	v_mad_u32_u24 v2, v0, 15, 14
	v_mov_b32_e32 v3, 0
	v_cmp_gt_u64_e32 vcc, s[2:3], v[2:3]
	v_cmp_ne_u16_sdwa s[0:1], v11, v1 src0_sel:BYTE_0 src1_sel:BYTE_0
	s_and_b64 s[0:1], vcc, s[0:1]
	v_mad_u32_u24 v2, v0, 15, 13
	v_cndmask_b32_e64 v64, 0, 1, s[0:1]
	v_cmp_gt_u64_e32 vcc, s[2:3], v[2:3]
	v_cmp_ne_u16_sdwa s[0:1], v21, v11 src0_sel:BYTE_0 src1_sel:BYTE_0
	s_and_b64 s[0:1], vcc, s[0:1]
	v_mad_u32_u24 v2, v0, 15, 12
	v_cndmask_b32_e64 v65, 0, 1, s[0:1]
	v_cmp_gt_u64_e32 vcc, s[2:3], v[2:3]
	v_cmp_ne_u16_sdwa s[0:1], v55, v21 src0_sel:BYTE_0 src1_sel:BYTE_0
	s_and_b64 s[0:1], vcc, s[0:1]
	v_mad_u32_u24 v2, v0, 15, 11
	v_cndmask_b32_e64 v66, 0, 1, s[0:1]
	v_cmp_gt_u64_e32 vcc, s[2:3], v[2:3]
	v_cmp_ne_u16_sdwa s[0:1], v56, v55 src0_sel:BYTE_0 src1_sel:BYTE_0
	s_and_b64 s[0:1], vcc, s[0:1]
	v_mad_u32_u24 v2, v0, 15, 10
	v_cndmask_b32_e64 v67, 0, 1, s[0:1]
	v_cmp_gt_u64_e32 vcc, s[2:3], v[2:3]
	v_cmp_ne_u16_sdwa s[0:1], v57, v56 src0_sel:BYTE_0 src1_sel:BYTE_0
	s_and_b64 s[0:1], vcc, s[0:1]
	v_mad_u32_u24 v2, v0, 15, 9
	v_cndmask_b32_e64 v68, 0, 1, s[0:1]
	v_cmp_gt_u64_e32 vcc, s[2:3], v[2:3]
	v_cmp_ne_u16_sdwa s[0:1], v10, v57 src0_sel:BYTE_0 src1_sel:BYTE_0
	s_and_b64 s[0:1], vcc, s[0:1]
	v_mad_u32_u24 v2, v0, 15, 8
	v_cndmask_b32_e64 v69, 0, 1, s[0:1]
	v_cmp_gt_u64_e32 vcc, s[2:3], v[2:3]
	v_cmp_ne_u16_sdwa s[0:1], v58, v10 src0_sel:BYTE_0 src1_sel:BYTE_0
	s_and_b64 s[0:1], vcc, s[0:1]
	v_mad_u32_u24 v2, v0, 15, 7
	v_cndmask_b32_e64 v70, 0, 1, s[0:1]
	v_cmp_gt_u64_e32 vcc, s[2:3], v[2:3]
	v_cmp_ne_u16_sdwa s[0:1], v59, v58 src0_sel:BYTE_0 src1_sel:BYTE_0
	s_and_b64 s[0:1], vcc, s[0:1]
	v_mad_u32_u24 v2, v0, 15, 6
	v_cndmask_b32_e64 v71, 0, 1, s[0:1]
	v_cmp_gt_u64_e32 vcc, s[2:3], v[2:3]
	v_cmp_ne_u16_sdwa s[0:1], v60, v59 src0_sel:BYTE_0 src1_sel:BYTE_0
	s_and_b64 s[0:1], vcc, s[0:1]
	v_mad_u32_u24 v2, v0, 15, 5
	v_cndmask_b32_e64 v72, 0, 1, s[0:1]
	v_cmp_gt_u64_e32 vcc, s[2:3], v[2:3]
	v_cmp_ne_u16_sdwa s[0:1], v9, v60 src0_sel:BYTE_0 src1_sel:BYTE_0
	s_and_b64 s[0:1], vcc, s[0:1]
	v_mad_u32_u24 v2, v0, 15, 4
	v_cndmask_b32_e64 v73, 0, 1, s[0:1]
	v_cmp_gt_u64_e32 vcc, s[2:3], v[2:3]
	v_cmp_ne_u16_sdwa s[0:1], v61, v9 src0_sel:BYTE_0 src1_sel:BYTE_0
	s_and_b64 s[0:1], vcc, s[0:1]
	v_mad_u32_u24 v2, v0, 15, 3
	v_cndmask_b32_e64 v74, 0, 1, s[0:1]
	v_cmp_gt_u64_e32 vcc, s[2:3], v[2:3]
	v_cmp_ne_u16_sdwa s[0:1], v62, v61 src0_sel:BYTE_0 src1_sel:BYTE_0
	s_and_b64 s[0:1], vcc, s[0:1]
	v_mad_u32_u24 v2, v0, 15, 2
	v_cndmask_b32_e64 v75, 0, 1, s[0:1]
	v_cmp_gt_u64_e32 vcc, s[2:3], v[2:3]
	v_cmp_ne_u16_sdwa s[0:1], v63, v62 src0_sel:BYTE_0 src1_sel:BYTE_0
	s_and_b64 s[0:1], vcc, s[0:1]
	v_mad_u32_u24 v2, v0, 15, 1
	v_cndmask_b32_e64 v76, 0, 1, s[0:1]
	v_cmp_gt_u64_e32 vcc, s[2:3], v[2:3]
	v_cmp_ne_u16_sdwa s[0:1], v8, v63 src0_sel:BYTE_0 src1_sel:BYTE_0
	s_and_b64 s[0:1], vcc, s[0:1]
	s_mov_b32 s7, 1
	v_cndmask_b32_e64 v77, 0, 1, s[0:1]
	v_cmp_ne_u32_e32 vcc, 0, v0
	ds_write_b8 v0, v1
	s_waitcnt lgkmcnt(0)
	s_barrier
	s_waitcnt lgkmcnt(0)
                                        ; implicit-def: $sgpr10_sgpr11
	s_and_saveexec_b64 s[0:1], vcc
	s_cbranch_execz .LBB80_151
; %bb.54:
	v_add_u32_e32 v2, -1, v0
	ds_read_u8 v4, v2
	v_mul_u32_u24_e32 v2, 15, v0
	v_cmp_gt_u64_e32 vcc, s[2:3], v[2:3]
	s_or_b64 s[8:9], s[8:9], exec
	s_waitcnt lgkmcnt(0)
	v_and_b32_e32 v2, 0xff, v4
	v_cmp_ne_u16_sdwa s[2:3], v2, v8 src0_sel:DWORD src1_sel:BYTE_0
	s_and_b64 s[2:3], vcc, s[2:3]
	s_and_b64 s[10:11], s[2:3], exec
	s_or_b64 exec, exec, s[0:1]
.LBB80_55:
	v_mov_b32_e32 v78, s7
	s_and_saveexec_b64 s[0:1], s[8:9]
.LBB80_56:
	v_cndmask_b32_e64 v78, 0, 1, s[10:11]
.LBB80_57:
	s_or_b64 exec, exec, s[0:1]
	s_load_dwordx4 s[40:43], s[4:5], 0x28
	s_load_dwordx2 s[44:45], s[4:5], 0x38
	s_cmp_eq_u64 s[38:39], 0
	v_add3_u32 v2, v77, v78, v76
	s_cselect_b64 s[38:39], -1, 0
	s_cmp_lg_u32 s6, 0
	v_cmp_eq_u32_e64 s[24:25], 0, v77
	v_cmp_eq_u32_e64 s[22:23], 0, v76
	;; [unrolled: 1-line block ×3, first 2 shown]
	v_add3_u32 v81, v2, v75, v74
	v_cmp_eq_u32_e64 s[18:19], 0, v74
	v_cmp_eq_u32_e64 s[16:17], 0, v73
	v_cmp_eq_u32_e64 s[14:15], 0, v72
	v_cmp_eq_u32_e64 s[12:13], 0, v71
	v_cmp_eq_u32_e64 s[10:11], 0, v70
	v_cmp_eq_u32_e64 s[8:9], 0, v69
	v_cmp_eq_u32_e64 s[28:29], 0, v68
	v_cmp_eq_u32_e64 s[4:5], 0, v67
	v_cmp_eq_u32_e64 s[2:3], 0, v66
	v_cmp_eq_u32_e64 s[0:1], 0, v65
	v_cmp_eq_u32_e32 vcc, 0, v64
	v_mbcnt_lo_u32_b32 v80, -1, 0
	v_lshrrev_b32_e32 v54, 6, v0
	v_or_b32_e32 v79, 63, v0
	s_cbranch_scc0 .LBB80_88
; %bb.58:
	v_cndmask_b32_e64 v2, 0, v52, s[24:25]
	v_add_u32_e32 v2, v2, v52
	v_cndmask_b32_e64 v2, 0, v2, s[22:23]
	v_add_u32_e32 v2, v2, v52
	;; [unrolled: 2-line block ×11, first 2 shown]
	v_cndmask_b32_e64 v2, 0, v2, s[2:3]
	v_add3_u32 v3, v81, v73, v72
	v_add_u32_e32 v2, v2, v52
	v_add3_u32 v3, v3, v71, v70
	v_cndmask_b32_e64 v2, 0, v2, s[0:1]
	v_add3_u32 v3, v3, v69, v68
	v_add_u32_e32 v2, v2, v52
	v_add3_u32 v3, v3, v67, v66
	v_cndmask_b32_e32 v2, 0, v2, vcc
	v_add3_u32 v3, v3, v65, v64
	v_add_u32_e32 v2, v2, v53
	v_mbcnt_hi_u32_b32 v15, -1, v80
	v_and_b32_e32 v4, 15, v15
	v_mov_b32_dpp v6, v2 row_shr:1 row_mask:0xf bank_mask:0xf
	v_cmp_eq_u32_e32 vcc, 0, v3
	v_mov_b32_dpp v5, v3 row_shr:1 row_mask:0xf bank_mask:0xf
	v_cndmask_b32_e32 v6, 0, v6, vcc
	v_cmp_eq_u32_e32 vcc, 0, v4
	v_cndmask_b32_e64 v5, v5, 0, vcc
	v_add_u32_e32 v3, v5, v3
	v_cndmask_b32_e64 v5, v6, 0, vcc
	v_add_u32_e32 v2, v5, v2
	v_cmp_eq_u32_e32 vcc, 0, v3
	v_mov_b32_dpp v5, v3 row_shr:2 row_mask:0xf bank_mask:0xf
	v_cmp_lt_u32_e64 s[26:27], 1, v4
	v_mov_b32_dpp v6, v2 row_shr:2 row_mask:0xf bank_mask:0xf
	v_cndmask_b32_e64 v5, 0, v5, s[26:27]
	s_and_b64 vcc, s[26:27], vcc
	v_cndmask_b32_e32 v6, 0, v6, vcc
	v_add_u32_e32 v3, v3, v5
	v_add_u32_e32 v2, v6, v2
	v_cmp_eq_u32_e32 vcc, 0, v3
	v_mov_b32_dpp v5, v3 row_shr:4 row_mask:0xf bank_mask:0xf
	v_cmp_lt_u32_e64 s[26:27], 3, v4
	v_mov_b32_dpp v6, v2 row_shr:4 row_mask:0xf bank_mask:0xf
	v_cndmask_b32_e64 v5, 0, v5, s[26:27]
	s_and_b64 vcc, s[26:27], vcc
	v_cndmask_b32_e32 v6, 0, v6, vcc
	v_add_u32_e32 v3, v5, v3
	v_add_u32_e32 v2, v2, v6
	v_cmp_eq_u32_e32 vcc, 0, v3
	v_cmp_lt_u32_e64 s[26:27], 7, v4
	v_mov_b32_dpp v5, v3 row_shr:8 row_mask:0xf bank_mask:0xf
	v_mov_b32_dpp v6, v2 row_shr:8 row_mask:0xf bank_mask:0xf
	s_and_b64 vcc, s[26:27], vcc
	v_cndmask_b32_e64 v4, 0, v5, s[26:27]
	v_cndmask_b32_e32 v5, 0, v6, vcc
	v_add_u32_e32 v2, v5, v2
	v_add_u32_e32 v3, v4, v3
	v_bfe_i32 v6, v15, 4, 1
	v_mov_b32_dpp v5, v2 row_bcast:15 row_mask:0xf bank_mask:0xf
	v_mov_b32_dpp v4, v3 row_bcast:15 row_mask:0xf bank_mask:0xf
	v_cmp_eq_u32_e32 vcc, 0, v3
	v_cndmask_b32_e32 v5, 0, v5, vcc
	v_and_b32_e32 v4, v6, v4
	v_add_u32_e32 v3, v4, v3
	v_and_b32_e32 v4, v6, v5
	v_add_u32_e32 v4, v4, v2
	v_mov_b32_dpp v2, v3 row_bcast:31 row_mask:0xf bank_mask:0xf
	v_cmp_eq_u32_e32 vcc, 0, v3
	v_cmp_lt_u32_e64 s[26:27], 31, v15
	v_mov_b32_dpp v5, v4 row_bcast:31 row_mask:0xf bank_mask:0xf
	v_cndmask_b32_e64 v2, 0, v2, s[26:27]
	s_and_b64 vcc, s[26:27], vcc
	v_add_u32_e32 v2, v2, v3
	v_cndmask_b32_e32 v3, 0, v5, vcc
	v_add_u32_e32 v3, v3, v4
	v_cmp_eq_u32_e32 vcc, v79, v0
	v_lshlrev_b32_e32 v4, 3, v54
	s_and_saveexec_b64 s[26:27], vcc
	s_cbranch_execz .LBB80_60
; %bb.59:
	ds_write_b64 v4, v[2:3] offset:528
.LBB80_60:
	s_or_b64 exec, exec, s[26:27]
	v_cmp_gt_u32_e32 vcc, 4, v0
	s_waitcnt lgkmcnt(0)
	s_barrier
	s_and_saveexec_b64 s[30:31], vcc
	s_cbranch_execz .LBB80_62
; %bb.61:
	v_lshlrev_b32_e32 v5, 3, v0
	ds_read_b64 v[6:7], v5 offset:528
	v_and_b32_e32 v12, 3, v15
	v_cmp_lt_u32_e64 s[26:27], 1, v12
	s_waitcnt lgkmcnt(0)
	v_mov_b32_dpp v14, v7 row_shr:1 row_mask:0xf bank_mask:0xf
	v_cmp_eq_u32_e32 vcc, 0, v6
	v_mov_b32_dpp v13, v6 row_shr:1 row_mask:0xf bank_mask:0xf
	v_cndmask_b32_e32 v14, 0, v14, vcc
	v_cmp_eq_u32_e32 vcc, 0, v12
	v_cndmask_b32_e64 v13, v13, 0, vcc
	v_add_u32_e32 v6, v13, v6
	v_cndmask_b32_e64 v13, v14, 0, vcc
	v_add_u32_e32 v7, v13, v7
	v_cmp_eq_u32_e32 vcc, 0, v6
	v_mov_b32_dpp v13, v6 row_shr:2 row_mask:0xf bank_mask:0xf
	v_mov_b32_dpp v14, v7 row_shr:2 row_mask:0xf bank_mask:0xf
	v_cndmask_b32_e64 v12, 0, v13, s[26:27]
	s_and_b64 vcc, s[26:27], vcc
	v_add_u32_e32 v6, v12, v6
	v_cndmask_b32_e32 v12, 0, v14, vcc
	v_add_u32_e32 v7, v12, v7
	ds_write_b64 v5, v[6:7] offset:528
.LBB80_62:
	s_or_b64 exec, exec, s[30:31]
	v_cmp_gt_u32_e32 vcc, 64, v0
	v_cmp_lt_u32_e64 s[26:27], 63, v0
	v_mov_b32_e32 v12, 0
	v_mov_b32_e32 v13, 0
	s_waitcnt lgkmcnt(0)
	s_barrier
	s_and_saveexec_b64 s[30:31], s[26:27]
	s_cbranch_execz .LBB80_64
; %bb.63:
	ds_read_b64 v[12:13], v4 offset:520
	v_cmp_eq_u32_e64 s[26:27], 0, v2
	s_waitcnt lgkmcnt(0)
	v_add_u32_e32 v4, v12, v2
	v_cndmask_b32_e64 v2, 0, v13, s[26:27]
	v_add_u32_e32 v3, v2, v3
	v_mov_b32_e32 v2, v4
.LBB80_64:
	s_or_b64 exec, exec, s[30:31]
	v_add_u32_e32 v4, -1, v15
	v_and_b32_e32 v5, 64, v15
	v_cmp_lt_i32_e64 s[26:27], v4, v5
	v_cndmask_b32_e64 v4, v4, v15, s[26:27]
	v_lshlrev_b32_e32 v4, 2, v4
	ds_bpermute_b32 v20, v4, v2
	ds_bpermute_b32 v22, v4, v3
	v_cmp_eq_u32_e64 s[26:27], 0, v15
	s_and_saveexec_b64 s[52:53], vcc
	s_cbranch_execz .LBB80_87
; %bb.65:
	v_mov_b32_e32 v7, 0
	ds_read_b64 v[2:3], v7 offset:552
	s_waitcnt lgkmcnt(0)
	v_readfirstlane_b32 s7, v2
	v_readfirstlane_b32 s56, v3
	s_and_saveexec_b64 s[30:31], s[26:27]
	s_cbranch_execz .LBB80_67
; %bb.66:
	s_add_i32 s54, s6, 64
	s_mov_b32 s55, 0
	s_lshl_b64 s[58:59], s[54:55], 4
	s_add_u32 s58, s36, s58
	s_addc_u32 s59, s37, s59
	s_and_b32 s61, s56, 0xff000000
	s_mov_b32 s60, s55
	s_and_b32 s63, s56, 0xff0000
	s_mov_b32 s62, s55
	s_or_b64 s[60:61], s[62:63], s[60:61]
	s_and_b32 s63, s56, 0xff00
	s_or_b64 s[60:61], s[60:61], s[62:63]
	s_and_b32 s63, s56, 0xff
	s_or_b64 s[54:55], s[60:61], s[62:63]
	v_mov_b32_e32 v4, s7
	v_mov_b32_e32 v5, s55
	;; [unrolled: 1-line block ×3, first 2 shown]
	v_pk_mov_b32 v[2:3], s[58:59], s[58:59] op_sel:[0,1]
	;;#ASMSTART
	global_store_dwordx4 v[2:3], v[4:7] off	
s_waitcnt vmcnt(0)
	;;#ASMEND
.LBB80_67:
	s_or_b64 exec, exec, s[30:31]
	v_xad_u32 v14, v15, -1, s6
	v_add_u32_e32 v6, 64, v14
	v_lshlrev_b64 v[2:3], 4, v[6:7]
	v_mov_b32_e32 v4, s37
	v_add_co_u32_e32 v16, vcc, s36, v2
	v_addc_co_u32_e32 v17, vcc, v4, v3, vcc
	;;#ASMSTART
	global_load_dwordx4 v[2:5], v[16:17] off glc	
s_waitcnt vmcnt(0)
	;;#ASMEND
	v_and_b32_e32 v5, 0xff, v3
	v_and_b32_e32 v6, 0xff00, v3
	v_or3_b32 v5, 0, v5, v6
	v_or3_b32 v2, v2, 0, 0
	v_and_b32_e32 v6, 0xff000000, v3
	v_and_b32_e32 v3, 0xff0000, v3
	v_or3_b32 v3, v5, v3, v6
	v_or3_b32 v2, v2, 0, 0
	v_cmp_eq_u16_sdwa s[54:55], v4, v7 src0_sel:BYTE_0 src1_sel:DWORD
	s_and_saveexec_b64 s[30:31], s[54:55]
	s_cbranch_execz .LBB80_73
; %bb.68:
	s_mov_b32 s57, 1
	s_mov_b64 s[54:55], 0
	v_mov_b32_e32 v6, 0
.LBB80_69:                              ; =>This Loop Header: Depth=1
                                        ;     Child Loop BB80_70 Depth 2
	s_max_u32 s58, s57, 1
.LBB80_70:                              ;   Parent Loop BB80_69 Depth=1
                                        ; =>  This Inner Loop Header: Depth=2
	s_add_i32 s58, s58, -1
	s_cmp_eq_u32 s58, 0
	s_sleep 1
	s_cbranch_scc0 .LBB80_70
; %bb.71:                               ;   in Loop: Header=BB80_69 Depth=1
	s_cmp_lt_u32 s57, 32
	s_cselect_b64 s[58:59], -1, 0
	s_cmp_lg_u64 s[58:59], 0
	s_addc_u32 s57, s57, 0
	;;#ASMSTART
	global_load_dwordx4 v[2:5], v[16:17] off glc	
s_waitcnt vmcnt(0)
	;;#ASMEND
	v_cmp_ne_u16_sdwa s[58:59], v4, v6 src0_sel:BYTE_0 src1_sel:DWORD
	s_or_b64 s[54:55], s[58:59], s[54:55]
	s_andn2_b64 exec, exec, s[54:55]
	s_cbranch_execnz .LBB80_69
; %bb.72:
	s_or_b64 exec, exec, s[54:55]
.LBB80_73:
	s_or_b64 exec, exec, s[30:31]
	v_mov_b32_e32 v23, 2
	v_cmp_eq_u16_sdwa s[30:31], v4, v23 src0_sel:BYTE_0 src1_sel:DWORD
	v_lshlrev_b64 v[16:17], v15, -1
	v_and_b32_e32 v5, s31, v17
	v_and_b32_e32 v24, 63, v15
	v_or_b32_e32 v5, 0x80000000, v5
	v_cmp_ne_u32_e32 vcc, 63, v24
	v_and_b32_e32 v6, s30, v16
	v_ffbl_b32_e32 v5, v5
	v_addc_co_u32_e32 v7, vcc, 0, v15, vcc
	v_add_u32_e32 v5, 32, v5
	v_ffbl_b32_e32 v6, v6
	v_lshlrev_b32_e32 v25, 2, v7
	v_min_u32_e32 v5, v6, v5
	ds_bpermute_b32 v6, v25, v3
	v_cmp_eq_u32_e32 vcc, 0, v2
	v_cmp_lt_u32_e64 s[30:31], v24, v5
	ds_bpermute_b32 v7, v25, v2
	s_and_b64 vcc, s[30:31], vcc
	s_waitcnt lgkmcnt(1)
	v_cndmask_b32_e32 v6, 0, v6, vcc
	v_cmp_gt_u32_e32 vcc, 62, v24
	v_add_u32_e32 v3, v6, v3
	v_cndmask_b32_e64 v6, 0, 1, vcc
	v_lshlrev_b32_e32 v6, 1, v6
	v_add_lshl_u32 v26, v6, v15, 2
	s_waitcnt lgkmcnt(0)
	v_cndmask_b32_e64 v7, 0, v7, s[30:31]
	ds_bpermute_b32 v6, v26, v3
	v_add_u32_e32 v2, v7, v2
	ds_bpermute_b32 v7, v26, v2
	v_add_u32_e32 v27, 2, v24
	v_cmp_eq_u32_e32 vcc, 0, v2
	s_waitcnt lgkmcnt(1)
	v_cndmask_b32_e32 v6, 0, v6, vcc
	v_cmp_gt_u32_e32 vcc, v27, v5
	v_cndmask_b32_e64 v6, v6, 0, vcc
	v_add_u32_e32 v3, v6, v3
	s_waitcnt lgkmcnt(0)
	v_cndmask_b32_e64 v6, v7, 0, vcc
	v_cmp_gt_u32_e32 vcc, 60, v24
	v_cndmask_b32_e64 v7, 0, 1, vcc
	v_lshlrev_b32_e32 v7, 2, v7
	v_add_lshl_u32 v28, v7, v15, 2
	ds_bpermute_b32 v7, v28, v3
	v_add_u32_e32 v2, v2, v6
	ds_bpermute_b32 v6, v28, v2
	v_add_u32_e32 v29, 4, v24
	v_cmp_eq_u32_e32 vcc, 0, v2
	s_waitcnt lgkmcnt(1)
	v_cndmask_b32_e32 v7, 0, v7, vcc
	v_cmp_gt_u32_e32 vcc, v29, v5
	v_cndmask_b32_e64 v7, v7, 0, vcc
	s_waitcnt lgkmcnt(0)
	v_cndmask_b32_e64 v6, v6, 0, vcc
	v_cmp_gt_u32_e32 vcc, 56, v24
	v_add_u32_e32 v3, v3, v7
	v_cndmask_b32_e64 v7, 0, 1, vcc
	v_lshlrev_b32_e32 v7, 3, v7
	v_add_lshl_u32 v30, v7, v15, 2
	ds_bpermute_b32 v7, v30, v3
	v_add_u32_e32 v2, v2, v6
	ds_bpermute_b32 v6, v30, v2
	v_add_u32_e32 v31, 8, v24
	v_cmp_eq_u32_e32 vcc, 0, v2
	s_waitcnt lgkmcnt(1)
	v_cndmask_b32_e32 v7, 0, v7, vcc
	v_cmp_gt_u32_e32 vcc, v31, v5
	v_cndmask_b32_e64 v7, v7, 0, vcc
	s_waitcnt lgkmcnt(0)
	v_cndmask_b32_e64 v6, v6, 0, vcc
	v_cmp_gt_u32_e32 vcc, 48, v24
	v_add_u32_e32 v3, v3, v7
	;; [unrolled: 16-line block ×3, first 2 shown]
	v_cndmask_b32_e64 v7, 0, 1, vcc
	v_lshlrev_b32_e32 v7, 5, v7
	v_add_lshl_u32 v34, v7, v15, 2
	ds_bpermute_b32 v7, v34, v3
	v_add_u32_e32 v2, v2, v6
	ds_bpermute_b32 v6, v34, v2
	v_add_u32_e32 v35, 32, v24
	v_cmp_eq_u32_e32 vcc, 0, v2
	s_waitcnt lgkmcnt(1)
	v_cndmask_b32_e32 v7, 0, v7, vcc
	v_cmp_gt_u32_e32 vcc, v35, v5
	v_cndmask_b32_e64 v5, v7, 0, vcc
	v_add_u32_e32 v3, v5, v3
	s_waitcnt lgkmcnt(0)
	v_cndmask_b32_e64 v5, v6, 0, vcc
	v_add_u32_e32 v2, v5, v2
	v_mov_b32_e32 v15, 0
	s_branch .LBB80_75
.LBB80_74:                              ;   in Loop: Header=BB80_75 Depth=1
	s_or_b64 exec, exec, s[30:31]
	v_cmp_eq_u16_sdwa s[30:31], v4, v23 src0_sel:BYTE_0 src1_sel:DWORD
	v_and_b32_e32 v5, s31, v17
	v_or_b32_e32 v5, 0x80000000, v5
	v_and_b32_e32 v18, s30, v16
	v_ffbl_b32_e32 v5, v5
	v_add_u32_e32 v5, 32, v5
	v_ffbl_b32_e32 v18, v18
	v_min_u32_e32 v5, v18, v5
	ds_bpermute_b32 v18, v25, v3
	v_cmp_eq_u32_e32 vcc, 0, v2
	v_cmp_lt_u32_e64 s[30:31], v24, v5
	ds_bpermute_b32 v19, v25, v2
	s_and_b64 vcc, s[30:31], vcc
	s_waitcnt lgkmcnt(1)
	v_cndmask_b32_e32 v18, 0, v18, vcc
	v_add_u32_e32 v3, v18, v3
	ds_bpermute_b32 v18, v26, v3
	s_waitcnt lgkmcnt(1)
	v_cndmask_b32_e64 v19, 0, v19, s[30:31]
	v_add_u32_e32 v2, v19, v2
	v_cmp_eq_u32_e32 vcc, 0, v2
	ds_bpermute_b32 v19, v26, v2
	s_waitcnt lgkmcnt(1)
	v_cndmask_b32_e32 v18, 0, v18, vcc
	v_cmp_gt_u32_e32 vcc, v27, v5
	v_cndmask_b32_e64 v18, v18, 0, vcc
	v_add_u32_e32 v3, v18, v3
	ds_bpermute_b32 v18, v28, v3
	s_waitcnt lgkmcnt(1)
	v_cndmask_b32_e64 v19, v19, 0, vcc
	v_add_u32_e32 v2, v2, v19
	v_cmp_eq_u32_e32 vcc, 0, v2
	ds_bpermute_b32 v19, v28, v2
	s_waitcnt lgkmcnt(1)
	v_cndmask_b32_e32 v18, 0, v18, vcc
	v_cmp_gt_u32_e32 vcc, v29, v5
	v_cndmask_b32_e64 v18, v18, 0, vcc
	v_add_u32_e32 v3, v3, v18
	ds_bpermute_b32 v18, v30, v3
	s_waitcnt lgkmcnt(1)
	v_cndmask_b32_e64 v19, v19, 0, vcc
	v_add_u32_e32 v2, v2, v19
	ds_bpermute_b32 v19, v30, v2
	v_cmp_eq_u32_e32 vcc, 0, v2
	s_waitcnt lgkmcnt(1)
	v_cndmask_b32_e32 v18, 0, v18, vcc
	v_cmp_gt_u32_e32 vcc, v31, v5
	v_cndmask_b32_e64 v18, v18, 0, vcc
	v_add_u32_e32 v3, v3, v18
	ds_bpermute_b32 v18, v32, v3
	s_waitcnt lgkmcnt(1)
	v_cndmask_b32_e64 v19, v19, 0, vcc
	v_add_u32_e32 v2, v2, v19
	ds_bpermute_b32 v19, v32, v2
	v_cmp_eq_u32_e32 vcc, 0, v2
	;; [unrolled: 11-line block ×3, first 2 shown]
	s_waitcnt lgkmcnt(1)
	v_cndmask_b32_e32 v18, 0, v18, vcc
	v_cmp_gt_u32_e32 vcc, v35, v5
	v_cndmask_b32_e64 v5, v18, 0, vcc
	v_add_u32_e32 v3, v5, v3
	s_waitcnt lgkmcnt(0)
	v_cndmask_b32_e64 v5, v19, 0, vcc
	v_cmp_eq_u32_e32 vcc, 0, v6
	v_cndmask_b32_e32 v3, 0, v3, vcc
	v_subrev_u32_e32 v14, 64, v14
	v_add3_u32 v2, v2, v6, v5
	v_add_u32_e32 v3, v3, v7
.LBB80_75:                              ; =>This Loop Header: Depth=1
                                        ;     Child Loop BB80_78 Depth 2
                                        ;       Child Loop BB80_79 Depth 3
	v_cmp_ne_u16_sdwa s[30:31], v4, v23 src0_sel:BYTE_0 src1_sel:DWORD
	v_mov_b32_e32 v7, v3
	v_cndmask_b32_e64 v3, 0, 1, s[30:31]
	;;#ASMSTART
	;;#ASMEND
	v_cmp_ne_u32_e32 vcc, 0, v3
	s_cmp_lg_u64 vcc, exec
	v_mov_b32_e32 v6, v2
	s_cbranch_scc1 .LBB80_82
; %bb.76:                               ;   in Loop: Header=BB80_75 Depth=1
	v_lshlrev_b64 v[2:3], 4, v[14:15]
	v_mov_b32_e32 v4, s37
	v_add_co_u32_e32 v18, vcc, s36, v2
	v_addc_co_u32_e32 v19, vcc, v4, v3, vcc
	;;#ASMSTART
	global_load_dwordx4 v[2:5], v[18:19] off glc	
s_waitcnt vmcnt(0)
	;;#ASMEND
	v_and_b32_e32 v5, 0xff, v3
	v_and_b32_e32 v36, 0xff00, v3
	v_or3_b32 v5, 0, v5, v36
	v_or3_b32 v2, v2, 0, 0
	v_and_b32_e32 v36, 0xff000000, v3
	v_and_b32_e32 v3, 0xff0000, v3
	v_or3_b32 v3, v5, v3, v36
	v_or3_b32 v2, v2, 0, 0
	v_cmp_eq_u16_sdwa s[54:55], v4, v15 src0_sel:BYTE_0 src1_sel:DWORD
	s_and_saveexec_b64 s[30:31], s[54:55]
	s_cbranch_execz .LBB80_74
; %bb.77:                               ;   in Loop: Header=BB80_75 Depth=1
	s_mov_b32 s57, 1
	s_mov_b64 s[54:55], 0
.LBB80_78:                              ;   Parent Loop BB80_75 Depth=1
                                        ; =>  This Loop Header: Depth=2
                                        ;       Child Loop BB80_79 Depth 3
	s_max_u32 s58, s57, 1
.LBB80_79:                              ;   Parent Loop BB80_75 Depth=1
                                        ;     Parent Loop BB80_78 Depth=2
                                        ; =>    This Inner Loop Header: Depth=3
	s_add_i32 s58, s58, -1
	s_cmp_eq_u32 s58, 0
	s_sleep 1
	s_cbranch_scc0 .LBB80_79
; %bb.80:                               ;   in Loop: Header=BB80_78 Depth=2
	s_cmp_lt_u32 s57, 32
	s_cselect_b64 s[58:59], -1, 0
	s_cmp_lg_u64 s[58:59], 0
	s_addc_u32 s57, s57, 0
	;;#ASMSTART
	global_load_dwordx4 v[2:5], v[18:19] off glc	
s_waitcnt vmcnt(0)
	;;#ASMEND
	v_cmp_ne_u16_sdwa s[58:59], v4, v15 src0_sel:BYTE_0 src1_sel:DWORD
	s_or_b64 s[54:55], s[58:59], s[54:55]
	s_andn2_b64 exec, exec, s[54:55]
	s_cbranch_execnz .LBB80_78
; %bb.81:                               ;   in Loop: Header=BB80_75 Depth=1
	s_or_b64 exec, exec, s[54:55]
	s_branch .LBB80_74
.LBB80_82:                              ;   in Loop: Header=BB80_75 Depth=1
                                        ; implicit-def: $vgpr3
                                        ; implicit-def: $vgpr2
                                        ; implicit-def: $vgpr4
	s_cbranch_execz .LBB80_75
; %bb.83:
	s_and_saveexec_b64 s[30:31], s[26:27]
	s_cbranch_execz .LBB80_85
; %bb.84:
	s_cmp_eq_u32 s7, 0
	s_cselect_b64 vcc, -1, 0
	s_mov_b32 s55, 0
	v_cndmask_b32_e32 v2, 0, v7, vcc
	s_add_i32 s54, s6, 64
	v_add_u32_e32 v2, s56, v2
	s_lshl_b64 s[54:55], s[54:55], 4
	s_add_u32 s54, s36, s54
	v_and_b32_e32 v3, 0xff000000, v2
	v_and_b32_e32 v4, 0xff0000, v2
	s_addc_u32 s55, s37, s55
	v_or_b32_e32 v3, v4, v3
	v_and_b32_e32 v4, 0xff00, v2
	v_and_b32_e32 v2, 0xff, v2
	v_add_u32_e32 v14, s7, v6
	v_mov_b32_e32 v17, 0
	v_or3_b32 v15, v3, v4, v2
	v_mov_b32_e32 v16, 2
	v_pk_mov_b32 v[2:3], s[54:55], s[54:55] op_sel:[0,1]
	;;#ASMSTART
	global_store_dwordx4 v[2:3], v[14:17] off	
s_waitcnt vmcnt(0)
	;;#ASMEND
	v_mov_b32_e32 v4, s7
	v_mov_b32_e32 v5, s56
	ds_write_b128 v17, v[4:7] offset:512
.LBB80_85:
	s_or_b64 exec, exec, s[30:31]
	v_cmp_eq_u32_e32 vcc, 0, v0
	s_and_b64 exec, exec, vcc
	s_cbranch_execz .LBB80_87
; %bb.86:
	v_mov_b32_e32 v2, 0
	ds_write_b64 v2, v[6:7] offset:552
.LBB80_87:
	s_or_b64 exec, exec, s[52:53]
	v_mov_b32_e32 v4, 0
	s_waitcnt lgkmcnt(0)
	s_barrier
	ds_read_b64 v[2:3], v4 offset:552
	v_cndmask_b32_e64 v6, v20, v12, s[26:27]
	v_cmp_eq_u32_e32 vcc, 0, v6
	v_cndmask_b32_e64 v5, v22, v13, s[26:27]
	s_waitcnt lgkmcnt(0)
	v_cndmask_b32_e32 v7, 0, v3, vcc
	v_add_u32_e32 v5, v7, v5
	v_cmp_eq_u32_e32 vcc, 0, v0
	v_cndmask_b32_e32 v51, v5, v3, vcc
	v_cndmask_b32_e64 v3, v6, 0, vcc
	v_cmp_eq_u32_e32 vcc, 0, v78
	v_add_u32_e32 v50, v2, v3
	v_cndmask_b32_e32 v2, 0, v51, vcc
	v_add_u32_e32 v49, v2, v52
	v_cndmask_b32_e64 v2, 0, v49, s[24:25]
	v_add_u32_e32 v47, v2, v52
	v_cndmask_b32_e64 v2, 0, v47, s[22:23]
	;; [unrolled: 2-line block ×7, first 2 shown]
	v_add_u32_e32 v48, v50, v78
	v_add_u32_e32 v35, v2, v52
	v_add_u32_e32 v46, v48, v77
	v_cndmask_b32_e64 v2, 0, v35, s[10:11]
	v_add_u32_e32 v44, v46, v76
	v_add_u32_e32 v33, v2, v52
	v_add_u32_e32 v42, v44, v75
	v_cndmask_b32_e64 v2, 0, v33, s[8:9]
	;; [unrolled: 4-line block ×3, first 2 shown]
	v_add_u32_e32 v36, v38, v72
	v_add_u32_e32 v29, v2, v52
	s_barrier
	ds_read_b128 v[16:19], v4 offset:512
	v_add_u32_e32 v34, v36, v71
	v_cndmask_b32_e64 v2, 0, v29, s[4:5]
	v_add_u32_e32 v32, v34, v70
	v_add_u32_e32 v27, v2, v52
	;; [unrolled: 1-line block ×3, first 2 shown]
	v_cndmask_b32_e64 v2, 0, v27, s[2:3]
	v_add_u32_e32 v28, v30, v68
	v_add_u32_e32 v23, v2, v52
	;; [unrolled: 1-line block ×3, first 2 shown]
	v_cndmask_b32_e64 v2, 0, v23, s[0:1]
	s_waitcnt lgkmcnt(0)
	v_cmp_eq_u32_e32 vcc, 0, v16
	v_add_u32_e32 v22, v26, v66
	v_add_u32_e32 v25, v2, v52
	v_cndmask_b32_e32 v2, 0, v19, vcc
	v_add_u32_e32 v24, v22, v65
	v_add_u32_e32 v20, v2, v17
	s_branch .LBB80_100
.LBB80_88:
                                        ; implicit-def: $vgpr16
                                        ; implicit-def: $vgpr20
                                        ; implicit-def: $vgpr24_vgpr25
                                        ; implicit-def: $vgpr22_vgpr23
                                        ; implicit-def: $vgpr26_vgpr27
                                        ; implicit-def: $vgpr28_vgpr29
                                        ; implicit-def: $vgpr50_vgpr51
                                        ; implicit-def: $vgpr48_vgpr49
                                        ; implicit-def: $vgpr46_vgpr47
                                        ; implicit-def: $vgpr44_vgpr45
                                        ; implicit-def: $vgpr42_vgpr43
                                        ; implicit-def: $vgpr40_vgpr41
                                        ; implicit-def: $vgpr38_vgpr39
                                        ; implicit-def: $vgpr36_vgpr37
                                        ; implicit-def: $vgpr34_vgpr35
                                        ; implicit-def: $vgpr32_vgpr33
                                        ; implicit-def: $vgpr30_vgpr31
	s_cbranch_execz .LBB80_100
; %bb.89:
	s_and_b64 s[0:1], s[38:39], exec
	s_cselect_b32 s1, 0, s51
	s_cselect_b32 s0, 0, s50
	s_cmp_eq_u64 s[0:1], 0
	v_mov_b32_e32 v6, v52
	s_cbranch_scc1 .LBB80_91
; %bb.90:
	v_mov_b32_e32 v2, 0
	global_load_dword v6, v2, s[0:1]
.LBB80_91:
	v_cmp_eq_u32_e64 s[0:1], 0, v77
	v_cndmask_b32_e64 v2, 0, v52, s[0:1]
	v_add_u32_e32 v2, v2, v52
	v_cmp_eq_u32_e64 s[2:3], 0, v76
	v_cndmask_b32_e64 v2, 0, v2, s[2:3]
	v_add_u32_e32 v2, v2, v52
	;; [unrolled: 3-line block ×11, first 2 shown]
	v_cmp_eq_u32_e64 s[22:23], 0, v66
	v_cndmask_b32_e64 v2, 0, v2, s[22:23]
	v_add3_u32 v3, v81, v73, v72
	v_add_u32_e32 v2, v2, v52
	v_cmp_eq_u32_e32 vcc, 0, v65
	v_add3_u32 v3, v3, v71, v70
	v_cndmask_b32_e32 v2, 0, v2, vcc
	v_add3_u32 v3, v3, v69, v68
	v_add_u32_e32 v2, v2, v52
	v_cmp_eq_u32_e64 s[24:25], 0, v64
	v_add3_u32 v3, v3, v67, v66
	v_cndmask_b32_e64 v2, 0, v2, s[24:25]
	v_add3_u32 v3, v3, v65, v64
	v_add_u32_e32 v2, v2, v53
	v_mbcnt_hi_u32_b32 v7, -1, v80
	v_and_b32_e32 v4, 15, v7
	v_mov_b32_dpp v12, v2 row_shr:1 row_mask:0xf bank_mask:0xf
	v_cmp_eq_u32_e64 s[24:25], 0, v3
	v_mov_b32_dpp v5, v3 row_shr:1 row_mask:0xf bank_mask:0xf
	v_cndmask_b32_e64 v12, 0, v12, s[24:25]
	v_cmp_eq_u32_e64 s[24:25], 0, v4
	v_cndmask_b32_e64 v5, v5, 0, s[24:25]
	v_add_u32_e32 v3, v5, v3
	v_cndmask_b32_e64 v5, v12, 0, s[24:25]
	v_add_u32_e32 v2, v5, v2
	v_cmp_eq_u32_e64 s[24:25], 0, v3
	v_mov_b32_dpp v5, v3 row_shr:2 row_mask:0xf bank_mask:0xf
	v_cmp_lt_u32_e64 s[26:27], 1, v4
	v_mov_b32_dpp v12, v2 row_shr:2 row_mask:0xf bank_mask:0xf
	v_cndmask_b32_e64 v5, 0, v5, s[26:27]
	s_and_b64 s[24:25], s[26:27], s[24:25]
	v_cndmask_b32_e64 v12, 0, v12, s[24:25]
	v_add_u32_e32 v3, v3, v5
	v_add_u32_e32 v2, v12, v2
	v_cmp_eq_u32_e64 s[24:25], 0, v3
	v_mov_b32_dpp v5, v3 row_shr:4 row_mask:0xf bank_mask:0xf
	v_cmp_lt_u32_e64 s[26:27], 3, v4
	v_mov_b32_dpp v12, v2 row_shr:4 row_mask:0xf bank_mask:0xf
	v_cndmask_b32_e64 v5, 0, v5, s[26:27]
	s_and_b64 s[24:25], s[26:27], s[24:25]
	v_cndmask_b32_e64 v12, 0, v12, s[24:25]
	v_add_u32_e32 v3, v5, v3
	v_add_u32_e32 v2, v2, v12
	v_cmp_eq_u32_e64 s[24:25], 0, v3
	v_cmp_lt_u32_e64 s[26:27], 7, v4
	v_mov_b32_dpp v5, v3 row_shr:8 row_mask:0xf bank_mask:0xf
	v_mov_b32_dpp v12, v2 row_shr:8 row_mask:0xf bank_mask:0xf
	s_and_b64 s[24:25], s[26:27], s[24:25]
	v_cndmask_b32_e64 v4, 0, v5, s[26:27]
	v_cndmask_b32_e64 v5, 0, v12, s[24:25]
	v_add_u32_e32 v2, v5, v2
	v_add_u32_e32 v3, v4, v3
	v_bfe_i32 v12, v7, 4, 1
	v_mov_b32_dpp v5, v2 row_bcast:15 row_mask:0xf bank_mask:0xf
	v_mov_b32_dpp v4, v3 row_bcast:15 row_mask:0xf bank_mask:0xf
	v_cmp_eq_u32_e64 s[24:25], 0, v3
	v_cndmask_b32_e64 v5, 0, v5, s[24:25]
	v_and_b32_e32 v4, v12, v4
	v_add_u32_e32 v3, v4, v3
	v_and_b32_e32 v4, v12, v5
	v_add_u32_e32 v4, v4, v2
	v_mov_b32_dpp v2, v3 row_bcast:31 row_mask:0xf bank_mask:0xf
	v_cmp_eq_u32_e64 s[24:25], 0, v3
	v_cmp_lt_u32_e64 s[26:27], 31, v7
	v_mov_b32_dpp v5, v4 row_bcast:31 row_mask:0xf bank_mask:0xf
	v_cndmask_b32_e64 v2, 0, v2, s[26:27]
	s_and_b64 s[24:25], s[26:27], s[24:25]
	v_add_u32_e32 v2, v2, v3
	v_cndmask_b32_e64 v3, 0, v5, s[24:25]
	v_add_u32_e32 v3, v3, v4
	v_cmp_eq_u32_e64 s[24:25], v79, v0
	s_and_saveexec_b64 s[26:27], s[24:25]
	s_cbranch_execz .LBB80_93
; %bb.92:
	v_lshlrev_b32_e32 v4, 3, v54
	ds_write_b64 v4, v[2:3] offset:528
.LBB80_93:
	s_or_b64 exec, exec, s[26:27]
	v_cmp_gt_u32_e64 s[24:25], 4, v0
	s_waitcnt lgkmcnt(0)
	s_barrier
	s_and_saveexec_b64 s[28:29], s[24:25]
	s_cbranch_execz .LBB80_95
; %bb.94:
	v_lshlrev_b32_e32 v12, 3, v0
	ds_read_b64 v[4:5], v12 offset:528
	v_and_b32_e32 v13, 3, v7
	v_cmp_lt_u32_e64 s[26:27], 1, v13
	s_waitcnt lgkmcnt(0)
	v_mov_b32_dpp v15, v5 row_shr:1 row_mask:0xf bank_mask:0xf
	v_cmp_eq_u32_e64 s[24:25], 0, v4
	v_mov_b32_dpp v14, v4 row_shr:1 row_mask:0xf bank_mask:0xf
	v_cndmask_b32_e64 v15, 0, v15, s[24:25]
	v_cmp_eq_u32_e64 s[24:25], 0, v13
	v_cndmask_b32_e64 v14, v14, 0, s[24:25]
	v_add_u32_e32 v4, v14, v4
	v_cndmask_b32_e64 v14, v15, 0, s[24:25]
	v_add_u32_e32 v5, v14, v5
	v_cmp_eq_u32_e64 s[24:25], 0, v4
	v_mov_b32_dpp v14, v4 row_shr:2 row_mask:0xf bank_mask:0xf
	v_mov_b32_dpp v15, v5 row_shr:2 row_mask:0xf bank_mask:0xf
	v_cndmask_b32_e64 v13, 0, v14, s[26:27]
	s_and_b64 s[24:25], s[26:27], s[24:25]
	v_add_u32_e32 v4, v13, v4
	v_cndmask_b32_e64 v13, 0, v15, s[24:25]
	v_add_u32_e32 v5, v13, v5
	ds_write_b64 v12, v[4:5] offset:528
.LBB80_95:
	s_or_b64 exec, exec, s[28:29]
	v_cmp_lt_u32_e64 s[24:25], 63, v0
	v_mov_b32_e32 v12, 0
	v_mov_b32_e32 v4, 0
	s_waitcnt vmcnt(0)
	v_mov_b32_e32 v5, v6
	s_waitcnt lgkmcnt(0)
	s_barrier
	s_and_saveexec_b64 s[26:27], s[24:25]
	s_cbranch_execz .LBB80_97
; %bb.96:
	v_lshlrev_b32_e32 v4, 3, v54
	ds_read_b64 v[4:5], v4 offset:520
	s_waitcnt lgkmcnt(0)
	v_cmp_eq_u32_e64 s[24:25], 0, v4
	v_cndmask_b32_e64 v13, 0, v6, s[24:25]
	v_add_u32_e32 v5, v13, v5
.LBB80_97:
	s_or_b64 exec, exec, s[26:27]
	v_cmp_eq_u32_e64 s[24:25], 0, v2
	v_add_u32_e32 v13, v4, v2
	v_cndmask_b32_e64 v2, 0, v5, s[24:25]
	v_add_u32_e32 v2, v2, v3
	v_add_u32_e32 v3, -1, v7
	v_and_b32_e32 v14, 64, v7
	v_cmp_lt_i32_e64 s[24:25], v3, v14
	v_cndmask_b32_e64 v3, v3, v7, s[24:25]
	v_lshlrev_b32_e32 v3, 2, v3
	ds_bpermute_b32 v13, v3, v13
	ds_bpermute_b32 v2, v3, v2
	v_cmp_eq_u32_e64 s[24:25], 0, v7
	v_cmp_eq_u32_e64 s[26:27], 0, v78
	ds_read_b64 v[16:17], v12 offset:552
	s_waitcnt lgkmcnt(2)
	v_cndmask_b32_e64 v3, v13, v4, s[24:25]
	s_waitcnt lgkmcnt(1)
	v_cndmask_b32_e64 v2, v2, v5, s[24:25]
	v_cmp_eq_u32_e64 s[24:25], 0, v0
	v_cndmask_b32_e64 v51, v2, v6, s[24:25]
	v_cndmask_b32_e64 v2, 0, v51, s[26:27]
	v_add_u32_e32 v49, v2, v52
	v_cndmask_b32_e64 v2, 0, v49, s[0:1]
	v_add_u32_e32 v47, v2, v52
	v_cndmask_b32_e64 v2, 0, v47, s[2:3]
	v_add_u32_e32 v45, v2, v52
	v_cndmask_b32_e64 v2, 0, v45, s[4:5]
	v_add_u32_e32 v43, v2, v52
	v_cndmask_b32_e64 v2, 0, v43, s[6:7]
	v_add_u32_e32 v41, v2, v52
	v_cndmask_b32_e64 v2, 0, v41, s[8:9]
	v_add_u32_e32 v39, v2, v52
	v_cndmask_b32_e64 v2, 0, v39, s[10:11]
	v_add_u32_e32 v37, v2, v52
	v_cndmask_b32_e64 v50, v3, 0, s[24:25]
	v_cndmask_b32_e64 v2, 0, v37, s[12:13]
	v_add_u32_e32 v48, v50, v78
	v_add_u32_e32 v35, v2, v52
	v_add_u32_e32 v46, v48, v77
	v_cndmask_b32_e64 v2, 0, v35, s[14:15]
	v_add_u32_e32 v44, v46, v76
	v_add_u32_e32 v33, v2, v52
	v_add_u32_e32 v42, v44, v75
	;; [unrolled: 4-line block ×6, first 2 shown]
	v_cndmask_b32_e32 v2, 0, v23, vcc
	s_waitcnt lgkmcnt(0)
	v_cmp_eq_u32_e32 vcc, 0, v16
	v_add_u32_e32 v22, v26, v66
	v_add_u32_e32 v25, v2, v52
	v_cndmask_b32_e32 v2, 0, v6, vcc
	v_add_u32_e32 v24, v22, v65
	v_add_u32_e32 v20, v2, v17
	s_and_saveexec_b64 s[0:1], s[24:25]
	s_cbranch_execz .LBB80_99
; %bb.98:
	s_add_u32 s2, s36, 0x400
	v_and_b32_e32 v2, 0xff000000, v20
	v_and_b32_e32 v3, 0xff0000, v20
	s_addc_u32 s3, s37, 0
	v_or_b32_e32 v2, v3, v2
	v_and_b32_e32 v3, 0xff00, v20
	v_and_b32_e32 v4, 0xff, v20
	v_mov_b32_e32 v19, 0
	v_or3_b32 v17, v2, v3, v4
	v_mov_b32_e32 v18, 2
	v_pk_mov_b32 v[2:3], s[2:3], s[2:3] op_sel:[0,1]
	;;#ASMSTART
	global_store_dwordx4 v[2:3], v[16:19] off	
s_waitcnt vmcnt(0)
	;;#ASMEND
.LBB80_99:
	s_or_b64 exec, exec, s[0:1]
	v_mov_b32_e32 v18, 0
.LBB80_100:
	s_and_b64 s[0:1], s[38:39], exec
	s_cselect_b32 s1, 0, s47
	s_cselect_b32 s0, 0, s46
	s_cmp_eq_u64 s[0:1], 0
	v_pk_mov_b32 v[52:53], 0, 0
	s_waitcnt lgkmcnt(0)
	s_barrier
	s_cbranch_scc1 .LBB80_102
; %bb.101:
	v_mov_b32_e32 v2, 0
	global_load_dwordx2 v[52:53], v2, s[0:1]
.LBB80_102:
	v_mov_b32_e32 v2, s41
	s_waitcnt vmcnt(0)
	v_add_co_u32_e32 v3, vcc, s40, v52
	v_addc_co_u32_e32 v2, vcc, v2, v53, vcc
	v_add_co_u32_e32 v54, vcc, v3, v18
	v_addc_co_u32_e32 v17, vcc, 0, v2, vcc
	v_cmp_eq_u32_e32 vcc, 0, v78
	v_cndmask_b32_e64 v2, 1, 2, vcc
	v_cmp_eq_u32_e32 vcc, 0, v77
	v_cndmask_b32_e64 v3, 1, 2, vcc
	v_cmp_eq_u32_e32 vcc, 0, v76
	v_and_b32_e32 v2, v3, v2
	v_cndmask_b32_e64 v3, 1, 2, vcc
	v_cmp_eq_u32_e32 vcc, 0, v75
	v_and_b32_e32 v2, v2, v3
	;; [unrolled: 3-line block ×13, first 2 shown]
	v_cndmask_b32_e64 v3, 1, 2, vcc
	s_movk_i32 s30, 0x100
	v_and_b32_e32 v2, v2, v3
	v_cmp_gt_u32_e32 vcc, s30, v16
	v_mov_b32_e32 v19, 0
	v_cmp_ne_u32_e64 s[28:29], 0, v78
	v_cmp_ne_u32_e64 s[26:27], 0, v77
	;; [unrolled: 1-line block ×15, first 2 shown]
	s_mov_b64 s[36:37], -1
	v_cmp_gt_i16_e64 s[30:31], 2, v2
	s_cbranch_vccz .LBB80_109
; %bb.103:
	s_and_saveexec_b64 s[36:37], s[30:31]
	s_cbranch_execz .LBB80_108
; %bb.104:
	v_cmp_ne_u16_e32 vcc, 1, v2
	s_mov_b64 s[38:39], 0
	s_and_saveexec_b64 s[30:31], vcc
	s_xor_b64 s[30:31], exec, s[30:31]
	s_cbranch_execnz .LBB80_152
; %bb.105:
	s_andn2_saveexec_b64 s[30:31], s[30:31]
	s_cbranch_execnz .LBB80_168
.LBB80_106:
	s_or_b64 exec, exec, s[30:31]
	s_and_b64 exec, exec, s[38:39]
	s_cbranch_execz .LBB80_108
.LBB80_107:
	v_sub_u32_e32 v3, v24, v18
	v_readfirstlane_b32 s30, v54
	v_readfirstlane_b32 s31, v17
	s_nop 4
	global_store_byte v3, v1, s[30:31]
.LBB80_108:
	s_or_b64 exec, exec, s[36:37]
	s_mov_b64 s[36:37], 0
.LBB80_109:
	s_and_b64 vcc, exec, s[36:37]
	s_cbranch_vccz .LBB80_130
; %bb.110:
	v_cmp_gt_i16_e32 vcc, 2, v2
	s_and_saveexec_b64 s[30:31], vcc
	s_cbranch_execz .LBB80_115
; %bb.111:
	v_cmp_ne_u16_e32 vcc, 1, v2
	s_mov_b64 s[38:39], 0
	s_and_saveexec_b64 s[36:37], vcc
	s_xor_b64 s[36:37], exec, s[36:37]
	s_cbranch_execnz .LBB80_169
; %bb.112:
	s_andn2_saveexec_b64 s[0:1], s[36:37]
	s_cbranch_execnz .LBB80_185
.LBB80_113:
	s_or_b64 exec, exec, s[0:1]
	s_and_b64 exec, exec, s[38:39]
	s_cbranch_execz .LBB80_115
.LBB80_114:
	v_sub_u32_e32 v2, v24, v18
	ds_write_b8 v2, v1
.LBB80_115:
	s_or_b64 exec, exec, s[30:31]
	v_cmp_lt_u32_e32 vcc, v0, v16
	s_waitcnt lgkmcnt(0)
	s_barrier
	s_and_saveexec_b64 s[0:1], vcc
	s_cbranch_execz .LBB80_129
; %bb.116:
	v_xad_u32 v2, v0, -1, v16
	s_movk_i32 s2, 0x1700
	s_movk_i32 s4, 0x16ff
	v_cmp_gt_u32_e64 s[2:3], s2, v2
	v_cmp_lt_u32_e32 vcc, s4, v2
	v_mov_b32_e32 v1, v0
	s_and_saveexec_b64 s[4:5], vcc
	s_cbranch_execz .LBB80_126
; %bb.117:
	v_sub_u32_e32 v1, v0, v16
	v_or_b32_e32 v1, 0xff, v1
	v_cmp_ge_u32_e32 vcc, v1, v0
	s_mov_b64 s[8:9], -1
	v_mov_b32_e32 v1, v0
	s_and_saveexec_b64 s[6:7], vcc
	s_cbranch_execz .LBB80_125
; %bb.118:
	v_lshrrev_b32_e32 v21, 8, v2
	v_or_b32_e32 v7, 0x700, v0
	v_or_b32_e32 v6, 0x600, v0
	;; [unrolled: 1-line block ×7, first 2 shown]
	v_add_u32_e32 v55, -7, v21
	v_pk_mov_b32 v[14:15], v[6:7], v[6:7] op_sel:[0,1]
	v_cmp_lt_u32_e32 vcc, 7, v55
	v_mov_b32_e32 v58, 0
	v_pk_mov_b32 v[12:13], v[4:5], v[4:5] op_sel:[0,1]
	v_pk_mov_b32 v[10:11], v[2:3], v[2:3] op_sel:[0,1]
	;; [unrolled: 1-line block ×3, first 2 shown]
	s_and_saveexec_b64 s[8:9], vcc
	s_cbranch_execz .LBB80_122
; %bb.119:
	v_lshrrev_b32_e32 v8, 3, v55
	v_add_u32_e32 v8, 1, v8
	v_and_b32_e32 v56, 0x3ffffffe, v8
	v_pk_mov_b32 v[14:15], v[6:7], v[6:7] op_sel:[0,1]
	s_mov_b32 s12, 0
	s_mov_b64 s[10:11], 0
	v_mov_b32_e32 v57, v0
	v_pk_mov_b32 v[12:13], v[4:5], v[4:5] op_sel:[0,1]
	v_pk_mov_b32 v[10:11], v[2:3], v[2:3] op_sel:[0,1]
	;; [unrolled: 1-line block ×3, first 2 shown]
.LBB80_120:                             ; =>This Inner Loop Header: Depth=1
	v_add_co_u32_e32 v2, vcc, v54, v8
	v_addc_co_u32_e32 v3, vcc, 0, v17, vcc
	v_add_co_u32_e32 v4, vcc, v54, v9
	v_addc_co_u32_e32 v5, vcc, 0, v17, vcc
	;; [unrolled: 2-line block ×8, first 2 shown]
	v_add_u32_e32 v86, 0x800, v8
	v_add_co_u32_e32 v86, vcc, v54, v86
	v_add_u32_e32 v88, 0x800, v9
	v_addc_co_u32_e32 v87, vcc, 0, v17, vcc
	v_add_co_u32_e32 v88, vcc, v54, v88
	v_add_u32_e32 v90, 0x800, v10
	v_addc_co_u32_e32 v89, vcc, 0, v17, vcc
	v_add_co_u32_e32 v90, vcc, v54, v90
	v_add_u32_e32 v92, 0x800, v11
	v_addc_co_u32_e32 v91, vcc, 0, v17, vcc
	v_add_co_u32_e32 v92, vcc, v54, v92
	v_add_u32_e32 v94, 0x800, v12
	v_addc_co_u32_e32 v93, vcc, 0, v17, vcc
	v_add_co_u32_e32 v94, vcc, v54, v94
	v_add_u32_e32 v96, 0x800, v13
	v_addc_co_u32_e32 v95, vcc, 0, v17, vcc
	v_add_co_u32_e32 v96, vcc, v54, v96
	v_add_u32_e32 v98, 0x800, v14
	v_addc_co_u32_e32 v97, vcc, 0, v17, vcc
	v_add_co_u32_e32 v98, vcc, v54, v98
	ds_read_u8 v1, v57
	ds_read_u8 v59, v57 offset:256
	ds_read_u8 v79, v57 offset:512
	;; [unrolled: 1-line block ×7, first 2 shown]
	v_add_u32_e32 v58, 0x800, v15
	ds_read_u8 v107, v57 offset:2048
	ds_read_u8 v108, v57 offset:2304
	;; [unrolled: 1-line block ×8, first 2 shown]
	v_addc_co_u32_e32 v99, vcc, 0, v17, vcc
	v_add_co_u32_e32 v100, vcc, v54, v58
	v_add_u32_e32 v56, -2, v56
	v_addc_co_u32_e32 v101, vcc, 0, v17, vcc
	s_add_i32 s12, s12, 16
	v_cmp_eq_u32_e32 vcc, 0, v56
	v_add_u32_e32 v15, 0x1000, v15
	v_add_u32_e32 v14, 0x1000, v14
	;; [unrolled: 1-line block ×9, first 2 shown]
	v_mov_b32_e32 v58, s12
	s_or_b64 s[10:11], vcc, s[10:11]
	s_waitcnt lgkmcnt(14)
	global_store_byte v[2:3], v1, off
	global_store_byte v[4:5], v59, off
	s_waitcnt lgkmcnt(13)
	global_store_byte v[6:7], v79, off
	s_waitcnt lgkmcnt(12)
	;; [unrolled: 2-line block ×14, first 2 shown]
	global_store_byte v[100:101], v114, off
	s_andn2_b64 exec, exec, s[10:11]
	s_cbranch_execnz .LBB80_120
; %bb.121:
	s_or_b64 exec, exec, s[10:11]
.LBB80_122:
	s_or_b64 exec, exec, s[8:9]
	v_and_b32_e32 v1, 8, v55
	v_cmp_eq_u32_e32 vcc, 0, v1
	s_and_saveexec_b64 s[8:9], vcc
	s_cbranch_execz .LBB80_124
; %bb.123:
	v_add_co_u32_e32 v2, vcc, v54, v8
	v_addc_co_u32_e32 v3, vcc, 0, v17, vcc
	v_add_co_u32_e32 v4, vcc, v54, v9
	v_addc_co_u32_e32 v5, vcc, 0, v17, vcc
	;; [unrolled: 2-line block ×4, first 2 shown]
	v_add_co_u32_e32 v10, vcc, v54, v12
	v_lshl_or_b32 v1, v58, 8, v0
	v_addc_co_u32_e32 v11, vcc, 0, v17, vcc
	ds_read_u8 v55, v1
	ds_read_u8 v58, v1 offset:256
	ds_read_u8 v59, v1 offset:512
	;; [unrolled: 1-line block ×7, first 2 shown]
	v_add_co_u32_e32 v12, vcc, v54, v13
	v_addc_co_u32_e32 v13, vcc, 0, v17, vcc
	v_add_co_u32_e32 v56, vcc, v54, v14
	v_addc_co_u32_e32 v57, vcc, 0, v17, vcc
	;; [unrolled: 2-line block ×3, first 2 shown]
	s_waitcnt lgkmcnt(7)
	global_store_byte v[2:3], v55, off
	s_waitcnt lgkmcnt(6)
	global_store_byte v[4:5], v58, off
	;; [unrolled: 2-line block ×8, first 2 shown]
.LBB80_124:
	s_or_b64 exec, exec, s[8:9]
	v_add_u32_e32 v2, 1, v21
	v_and_b32_e32 v3, 0x1fffff8, v2
	v_cmp_ne_u32_e32 vcc, v2, v3
	v_lshl_or_b32 v1, v3, 8, v0
	s_orn2_b64 s[8:9], vcc, exec
.LBB80_125:
	s_or_b64 exec, exec, s[6:7]
	s_andn2_b64 s[2:3], s[2:3], exec
	s_and_b64 s[6:7], s[8:9], exec
	s_or_b64 s[2:3], s[2:3], s[6:7]
.LBB80_126:
	s_or_b64 exec, exec, s[4:5]
	s_and_b64 exec, exec, s[2:3]
	s_cbranch_execz .LBB80_129
; %bb.127:
	s_mov_b64 s[2:3], 0
.LBB80_128:                             ; =>This Inner Loop Header: Depth=1
	ds_read_u8 v2, v1
	v_readfirstlane_b32 s4, v54
	v_readfirstlane_b32 s5, v17
	s_waitcnt lgkmcnt(0)
	s_nop 3
	global_store_byte v1, v2, s[4:5]
	v_add_u32_e32 v1, 0x100, v1
	v_cmp_ge_u32_e32 vcc, v1, v16
	s_or_b64 s[2:3], vcc, s[2:3]
	s_andn2_b64 exec, exec, s[2:3]
	s_cbranch_execnz .LBB80_128
.LBB80_129:
	s_or_b64 exec, exec, s[0:1]
.LBB80_130:
	s_cmpk_lg_i32 s33, 0xf00
	s_cselect_b64 s[0:1], -1, 0
	v_cndmask_b32_e64 v8, 0, 1, s[48:49]
	s_and_b64 s[0:1], s[34:35], s[0:1]
	v_cmp_eq_u32_e32 vcc, 0, v0
	v_sub_u32_e32 v1, v16, v8
	v_cndmask_b32_e64 v2, 0, 1, s[0:1]
	s_and_b64 s[0:1], vcc, s[48:49]
	v_add_u32_e32 v1, v1, v2
	v_cndmask_b32_e64 v2, v78, 0, s[0:1]
	s_mul_hi_u32 s0, s33, 0x88888889
	s_lshr_b32 s0, s0, 3
	v_mad_i32_i24 v3, v0, -15, s33
	v_cmp_eq_u32_e32 vcc, s0, v0
	v_cmp_ne_u32_e64 s[0:1], 0, v3
	v_cndmask_b32_e64 v4, 1, v2, s[0:1]
	v_cmp_ne_u32_e64 s[0:1], 1, v3
	v_cndmask_b32_e64 v5, 1, v77, s[0:1]
	;; [unrolled: 2-line block ×15, first 2 shown]
	s_and_b64 vcc, s[34:35], vcc
	v_cndmask_b32_e32 v55, v64, v3, vcc
	v_cndmask_b32_e32 v59, v2, v4, vcc
	v_lshlrev_b64 v[2:3], 3, v[52:53]
	v_cndmask_b32_e32 v54, v65, v54, vcc
	v_cndmask_b32_e32 v21, v66, v21, vcc
	;; [unrolled: 1-line block ×13, first 2 shown]
	v_mov_b32_e32 v4, s43
	v_add_co_u32_e32 v5, vcc, s42, v2
	v_addc_co_u32_e32 v6, vcc, v4, v3, vcc
	v_lshlrev_b64 v[2:3], 3, v[18:19]
	v_add_co_u32_e32 v4, vcc, v5, v2
	v_addc_co_u32_e32 v5, vcc, v6, v3, vcc
	v_lshlrev_b32_e32 v2, 3, v8
	v_add_co_u32_e32 v2, vcc, v2, v4
	v_addc_co_u32_e32 v3, vcc, 0, v5, vcc
	v_add_co_u32_e32 v6, vcc, -8, v2
	v_addc_co_u32_e32 v7, vcc, -1, v3, vcc
	v_cmp_eq_u32_e32 vcc, 0, v59
	v_cndmask_b32_e64 v3, 1, 2, vcc
	v_cmp_eq_u32_e32 vcc, 0, v58
	v_add_u32_e32 v2, v18, v8
	v_cndmask_b32_e64 v8, 1, 2, vcc
	v_cmp_eq_u32_e32 vcc, 0, v57
	v_and_b32_e32 v3, v8, v3
	v_cndmask_b32_e64 v8, 1, 2, vcc
	v_cmp_eq_u32_e32 vcc, 0, v56
	v_and_b32_e32 v3, v3, v8
	;; [unrolled: 3-line block ×13, first 2 shown]
	v_cndmask_b32_e64 v8, 1, 2, vcc
	s_movk_i32 s30, 0x100
	v_and_b32_e32 v3, v3, v8
	v_cmp_gt_u32_e32 vcc, s30, v1
	v_cmp_ne_u32_e64 s[28:29], 0, v59
	v_cmp_ne_u32_e64 s[26:27], 0, v58
	;; [unrolled: 1-line block ×15, first 2 shown]
	s_mov_b64 s[36:37], -1
	v_cmp_gt_i16_e64 s[30:31], 2, v3
	s_barrier
	s_cbranch_vccz .LBB80_137
; %bb.131:
	s_and_saveexec_b64 s[36:37], s[30:31]
	s_cbranch_execz .LBB80_136
; %bb.132:
	v_cmp_ne_u16_e32 vcc, 1, v3
	s_mov_b64 s[38:39], 0
	s_and_saveexec_b64 s[30:31], vcc
	s_xor_b64 s[30:31], exec, s[30:31]
	s_cbranch_execnz .LBB80_186
; %bb.133:
	s_andn2_saveexec_b64 s[30:31], s[30:31]
	s_cbranch_execnz .LBB80_202
.LBB80_134:
	s_or_b64 exec, exec, s[30:31]
	s_and_b64 exec, exec, s[38:39]
	s_cbranch_execz .LBB80_136
.LBB80_135:
	v_mov_b32_e32 v9, 0
	v_sub_u32_e32 v10, v24, v2
	v_mov_b32_e32 v11, v9
	v_lshlrev_b64 v[10:11], 3, v[10:11]
	v_add_co_u32_e32 v10, vcc, v6, v10
	v_mov_b32_e32 v8, v25
	v_addc_co_u32_e32 v11, vcc, v7, v11, vcc
	global_store_dwordx2 v[10:11], v[8:9], off
.LBB80_136:
	s_or_b64 exec, exec, s[36:37]
	s_mov_b64 s[36:37], 0
.LBB80_137:
	s_and_b64 vcc, exec, s[36:37]
	s_cbranch_vccz .LBB80_147
; %bb.138:
	v_cmp_gt_i16_e32 vcc, 2, v3
	s_and_saveexec_b64 s[30:31], vcc
	s_cbranch_execz .LBB80_143
; %bb.139:
	v_cmp_ne_u16_e32 vcc, 1, v3
	s_mov_b64 s[38:39], 0
	s_and_saveexec_b64 s[36:37], vcc
	s_xor_b64 s[36:37], exec, s[36:37]
	s_cbranch_execnz .LBB80_203
; %bb.140:
	s_andn2_saveexec_b64 s[0:1], s[36:37]
	s_cbranch_execnz .LBB80_219
.LBB80_141:
	s_or_b64 exec, exec, s[0:1]
	s_and_b64 exec, exec, s[38:39]
	s_cbranch_execz .LBB80_143
.LBB80_142:
	v_sub_u32_e32 v2, v24, v2
	v_lshlrev_b32_e32 v2, 2, v2
	ds_write_b32 v2, v25
.LBB80_143:
	s_or_b64 exec, exec, s[30:31]
	v_cmp_lt_u32_e32 vcc, v0, v1
	s_waitcnt lgkmcnt(0)
	s_barrier
	s_and_saveexec_b64 s[0:1], vcc
	s_cbranch_execz .LBB80_146
; %bb.144:
	v_lshlrev_b32_e32 v8, 2, v0
	s_mov_b64 s[2:3], 0
	v_mov_b32_e32 v3, 0
	v_mov_b32_e32 v2, v0
.LBB80_145:                             ; =>This Inner Loop Header: Depth=1
	ds_read_b32 v10, v8
	v_lshlrev_b64 v[12:13], 3, v[2:3]
	v_add_co_u32_e32 v12, vcc, v6, v12
	v_add_u32_e32 v2, 0x100, v2
	v_addc_co_u32_e32 v13, vcc, v7, v13, vcc
	v_cmp_ge_u32_e32 vcc, v2, v1
	v_mov_b32_e32 v11, v3
	v_add_u32_e32 v8, 0x400, v8
	s_or_b64 s[2:3], vcc, s[2:3]
	s_waitcnt lgkmcnt(0)
	global_store_dwordx2 v[12:13], v[10:11], off
	s_andn2_b64 exec, exec, s[2:3]
	s_cbranch_execnz .LBB80_145
.LBB80_146:
	s_or_b64 exec, exec, s[0:1]
.LBB80_147:
	s_movk_i32 s0, 0xff
	v_cmp_eq_u32_e32 vcc, s0, v0
	s_and_b64 s[0:1], vcc, s[34:35]
	s_and_saveexec_b64 s[2:3], s[0:1]
	s_cbranch_execz .LBB80_150
; %bb.148:
	v_add_co_u32_e32 v0, vcc, v16, v18
	v_addc_co_u32_e64 v1, s[0:1], 0, 0, vcc
	v_add_co_u32_e32 v0, vcc, v0, v52
	v_mov_b32_e32 v17, 0
	v_addc_co_u32_e32 v1, vcc, v1, v53, vcc
	s_cmpk_lg_i32 s33, 0xf00
	global_store_dwordx2 v17, v[0:1], s[44:45]
	s_cbranch_scc1 .LBB80_150
; %bb.149:
	v_lshlrev_b64 v[0:1], 3, v[16:17]
	v_add_co_u32_e32 v0, vcc, v4, v0
	v_mov_b32_e32 v21, v17
	v_addc_co_u32_e32 v1, vcc, v5, v1, vcc
	global_store_dwordx2 v[0:1], v[20:21], off offset:-8
.LBB80_150:
	s_endpgm
.LBB80_151:
	s_or_b64 exec, exec, s[0:1]
	v_mov_b32_e32 v78, s7
	s_and_saveexec_b64 s[0:1], s[8:9]
	s_cbranch_execnz .LBB80_56
	s_branch .LBB80_57
.LBB80_152:
	s_and_saveexec_b64 s[38:39], s[28:29]
	s_cbranch_execnz .LBB80_220
; %bb.153:
	s_or_b64 exec, exec, s[38:39]
	s_and_saveexec_b64 s[38:39], s[26:27]
	s_cbranch_execnz .LBB80_221
.LBB80_154:
	s_or_b64 exec, exec, s[38:39]
	s_and_saveexec_b64 s[38:39], s[24:25]
	s_cbranch_execnz .LBB80_222
.LBB80_155:
	s_or_b64 exec, exec, s[38:39]
	s_and_saveexec_b64 s[38:39], s[22:23]
	s_cbranch_execnz .LBB80_223
.LBB80_156:
	s_or_b64 exec, exec, s[38:39]
	s_and_saveexec_b64 s[38:39], s[20:21]
	s_cbranch_execnz .LBB80_224
.LBB80_157:
	s_or_b64 exec, exec, s[38:39]
	s_and_saveexec_b64 s[38:39], s[18:19]
	s_cbranch_execnz .LBB80_225
.LBB80_158:
	s_or_b64 exec, exec, s[38:39]
	s_and_saveexec_b64 s[38:39], s[16:17]
	s_cbranch_execnz .LBB80_226
.LBB80_159:
	s_or_b64 exec, exec, s[38:39]
	s_and_saveexec_b64 s[38:39], s[14:15]
	s_cbranch_execnz .LBB80_227
.LBB80_160:
	s_or_b64 exec, exec, s[38:39]
	s_and_saveexec_b64 s[38:39], s[12:13]
	s_cbranch_execnz .LBB80_228
.LBB80_161:
	s_or_b64 exec, exec, s[38:39]
	s_and_saveexec_b64 s[38:39], s[10:11]
	s_cbranch_execnz .LBB80_229
.LBB80_162:
	s_or_b64 exec, exec, s[38:39]
	s_and_saveexec_b64 s[38:39], s[8:9]
	s_cbranch_execnz .LBB80_230
.LBB80_163:
	s_or_b64 exec, exec, s[38:39]
	s_and_saveexec_b64 s[38:39], s[6:7]
	s_cbranch_execnz .LBB80_231
.LBB80_164:
	s_or_b64 exec, exec, s[38:39]
	s_and_saveexec_b64 s[38:39], s[4:5]
	s_cbranch_execnz .LBB80_232
.LBB80_165:
	s_or_b64 exec, exec, s[38:39]
	s_and_saveexec_b64 s[38:39], s[2:3]
	s_cbranch_execz .LBB80_167
.LBB80_166:
	v_sub_u32_e32 v3, v22, v18
	v_readfirstlane_b32 s40, v54
	v_readfirstlane_b32 s41, v17
	s_nop 4
	global_store_byte v3, v11, s[40:41]
.LBB80_167:
	s_or_b64 exec, exec, s[38:39]
	s_and_b64 s[38:39], s[0:1], exec
	s_andn2_saveexec_b64 s[30:31], s[30:31]
	s_cbranch_execz .LBB80_106
.LBB80_168:
	v_sub_u32_e32 v3, v50, v18
	v_readfirstlane_b32 s40, v54
	v_readfirstlane_b32 s41, v17
	s_or_b64 s[38:39], s[38:39], exec
	s_nop 3
	global_store_byte v3, v8, s[40:41]
	v_sub_u32_e32 v3, v48, v18
	global_store_byte v3, v63, s[40:41]
	v_sub_u32_e32 v3, v46, v18
	;; [unrolled: 2-line block ×13, first 2 shown]
	global_store_byte v3, v11, s[40:41]
	s_or_b64 exec, exec, s[30:31]
	s_and_b64 exec, exec, s[38:39]
	s_cbranch_execnz .LBB80_107
	s_branch .LBB80_108
.LBB80_169:
	s_and_saveexec_b64 s[38:39], s[28:29]
	s_cbranch_execnz .LBB80_233
; %bb.170:
	s_or_b64 exec, exec, s[38:39]
	s_and_saveexec_b64 s[28:29], s[26:27]
	s_cbranch_execnz .LBB80_234
.LBB80_171:
	s_or_b64 exec, exec, s[28:29]
	s_and_saveexec_b64 s[26:27], s[24:25]
	s_cbranch_execnz .LBB80_235
.LBB80_172:
	s_or_b64 exec, exec, s[26:27]
	s_and_saveexec_b64 s[24:25], s[22:23]
	s_cbranch_execnz .LBB80_236
.LBB80_173:
	s_or_b64 exec, exec, s[24:25]
	s_and_saveexec_b64 s[22:23], s[20:21]
	s_cbranch_execnz .LBB80_237
.LBB80_174:
	s_or_b64 exec, exec, s[22:23]
	s_and_saveexec_b64 s[20:21], s[18:19]
	s_cbranch_execnz .LBB80_238
.LBB80_175:
	s_or_b64 exec, exec, s[20:21]
	s_and_saveexec_b64 s[18:19], s[16:17]
	s_cbranch_execnz .LBB80_239
.LBB80_176:
	s_or_b64 exec, exec, s[18:19]
	s_and_saveexec_b64 s[16:17], s[14:15]
	s_cbranch_execnz .LBB80_240
.LBB80_177:
	s_or_b64 exec, exec, s[16:17]
	s_and_saveexec_b64 s[14:15], s[12:13]
	s_cbranch_execnz .LBB80_241
.LBB80_178:
	s_or_b64 exec, exec, s[14:15]
	s_and_saveexec_b64 s[12:13], s[10:11]
	s_cbranch_execnz .LBB80_242
.LBB80_179:
	s_or_b64 exec, exec, s[12:13]
	s_and_saveexec_b64 s[10:11], s[8:9]
	s_cbranch_execnz .LBB80_243
.LBB80_180:
	s_or_b64 exec, exec, s[10:11]
	s_and_saveexec_b64 s[8:9], s[6:7]
	s_cbranch_execnz .LBB80_244
.LBB80_181:
	s_or_b64 exec, exec, s[8:9]
	s_and_saveexec_b64 s[6:7], s[4:5]
	s_cbranch_execnz .LBB80_245
.LBB80_182:
	s_or_b64 exec, exec, s[6:7]
	s_and_saveexec_b64 s[4:5], s[2:3]
	s_cbranch_execz .LBB80_184
.LBB80_183:
	v_sub_u32_e32 v2, v22, v18
	ds_write_b8 v2, v11
.LBB80_184:
	s_or_b64 exec, exec, s[4:5]
	s_and_b64 s[38:39], s[0:1], exec
                                        ; implicit-def: $vgpr11
                                        ; implicit-def: $vgpr21
                                        ; implicit-def: $vgpr55
                                        ; implicit-def: $vgpr56
                                        ; implicit-def: $vgpr57
                                        ; implicit-def: $vgpr10
                                        ; implicit-def: $vgpr58
                                        ; implicit-def: $vgpr59
                                        ; implicit-def: $vgpr60
                                        ; implicit-def: $vgpr61
                                        ; implicit-def: $vgpr62
                                        ; implicit-def: $vgpr63
	s_andn2_saveexec_b64 s[0:1], s[36:37]
	s_cbranch_execz .LBB80_113
.LBB80_185:
	v_sub_u32_e32 v2, v50, v18
	ds_write_b8 v2, v8
	v_sub_u32_e32 v2, v48, v18
	ds_write_b8 v2, v63
	;; [unrolled: 2-line block ×13, first 2 shown]
	v_sub_u32_e32 v2, v22, v18
	s_or_b64 s[38:39], s[38:39], exec
	ds_write_b8 v2, v11
	s_or_b64 exec, exec, s[0:1]
	s_and_b64 exec, exec, s[38:39]
	s_cbranch_execnz .LBB80_114
	s_branch .LBB80_115
.LBB80_186:
	s_and_saveexec_b64 s[38:39], s[28:29]
	s_cbranch_execnz .LBB80_246
; %bb.187:
	s_or_b64 exec, exec, s[38:39]
	s_and_saveexec_b64 s[38:39], s[26:27]
	s_cbranch_execnz .LBB80_247
.LBB80_188:
	s_or_b64 exec, exec, s[38:39]
	s_and_saveexec_b64 s[38:39], s[24:25]
	s_cbranch_execnz .LBB80_248
.LBB80_189:
	s_or_b64 exec, exec, s[38:39]
	s_and_saveexec_b64 s[38:39], s[22:23]
	s_cbranch_execnz .LBB80_249
.LBB80_190:
	s_or_b64 exec, exec, s[38:39]
	s_and_saveexec_b64 s[38:39], s[20:21]
	s_cbranch_execnz .LBB80_250
.LBB80_191:
	s_or_b64 exec, exec, s[38:39]
	s_and_saveexec_b64 s[38:39], s[18:19]
	s_cbranch_execnz .LBB80_251
.LBB80_192:
	s_or_b64 exec, exec, s[38:39]
	s_and_saveexec_b64 s[38:39], s[16:17]
	s_cbranch_execnz .LBB80_252
.LBB80_193:
	s_or_b64 exec, exec, s[38:39]
	s_and_saveexec_b64 s[38:39], s[14:15]
	s_cbranch_execnz .LBB80_253
.LBB80_194:
	s_or_b64 exec, exec, s[38:39]
	s_and_saveexec_b64 s[38:39], s[12:13]
	s_cbranch_execnz .LBB80_254
.LBB80_195:
	s_or_b64 exec, exec, s[38:39]
	s_and_saveexec_b64 s[38:39], s[10:11]
	s_cbranch_execnz .LBB80_255
.LBB80_196:
	s_or_b64 exec, exec, s[38:39]
	s_and_saveexec_b64 s[38:39], s[8:9]
	s_cbranch_execnz .LBB80_256
.LBB80_197:
	s_or_b64 exec, exec, s[38:39]
	s_and_saveexec_b64 s[38:39], s[6:7]
	s_cbranch_execnz .LBB80_257
.LBB80_198:
	s_or_b64 exec, exec, s[38:39]
	s_and_saveexec_b64 s[38:39], s[4:5]
	s_cbranch_execnz .LBB80_258
.LBB80_199:
	s_or_b64 exec, exec, s[38:39]
	s_and_saveexec_b64 s[38:39], s[2:3]
	s_cbranch_execz .LBB80_201
.LBB80_200:
	v_sub_u32_e32 v8, v22, v2
	v_mov_b32_e32 v9, 0
	v_lshlrev_b64 v[10:11], 3, v[8:9]
	v_add_co_u32_e32 v10, vcc, v6, v10
	v_addc_co_u32_e32 v11, vcc, v7, v11, vcc
	v_mov_b32_e32 v8, v23
	global_store_dwordx2 v[10:11], v[8:9], off
.LBB80_201:
	s_or_b64 exec, exec, s[38:39]
	s_and_b64 s[38:39], s[0:1], exec
	s_andn2_saveexec_b64 s[30:31], s[30:31]
	s_cbranch_execz .LBB80_134
.LBB80_202:
	v_mov_b32_e32 v9, 0
	v_sub_u32_e32 v10, v50, v2
	v_mov_b32_e32 v11, v9
	v_lshlrev_b64 v[10:11], 3, v[10:11]
	v_add_co_u32_e32 v10, vcc, v6, v10
	v_mov_b32_e32 v8, v51
	v_addc_co_u32_e32 v11, vcc, v7, v11, vcc
	global_store_dwordx2 v[10:11], v[8:9], off
	v_sub_u32_e32 v10, v48, v2
	v_mov_b32_e32 v11, v9
	v_lshlrev_b64 v[10:11], 3, v[10:11]
	v_add_co_u32_e32 v10, vcc, v6, v10
	v_mov_b32_e32 v8, v49
	v_addc_co_u32_e32 v11, vcc, v7, v11, vcc
	global_store_dwordx2 v[10:11], v[8:9], off
	;; [unrolled: 7-line block ×13, first 2 shown]
	v_sub_u32_e32 v10, v22, v2
	v_mov_b32_e32 v11, v9
	v_lshlrev_b64 v[10:11], 3, v[10:11]
	v_add_co_u32_e32 v10, vcc, v6, v10
	v_mov_b32_e32 v8, v23
	v_addc_co_u32_e32 v11, vcc, v7, v11, vcc
	s_or_b64 s[38:39], s[38:39], exec
	global_store_dwordx2 v[10:11], v[8:9], off
	s_or_b64 exec, exec, s[30:31]
	s_and_b64 exec, exec, s[38:39]
	s_cbranch_execnz .LBB80_135
	s_branch .LBB80_136
.LBB80_203:
	s_and_saveexec_b64 s[38:39], s[28:29]
	s_cbranch_execnz .LBB80_259
; %bb.204:
	s_or_b64 exec, exec, s[38:39]
	s_and_saveexec_b64 s[28:29], s[26:27]
	s_cbranch_execnz .LBB80_260
.LBB80_205:
	s_or_b64 exec, exec, s[28:29]
	s_and_saveexec_b64 s[26:27], s[24:25]
	s_cbranch_execnz .LBB80_261
.LBB80_206:
	s_or_b64 exec, exec, s[26:27]
	s_and_saveexec_b64 s[24:25], s[22:23]
	s_cbranch_execnz .LBB80_262
.LBB80_207:
	s_or_b64 exec, exec, s[24:25]
	s_and_saveexec_b64 s[22:23], s[20:21]
	s_cbranch_execnz .LBB80_263
.LBB80_208:
	s_or_b64 exec, exec, s[22:23]
	s_and_saveexec_b64 s[20:21], s[18:19]
	s_cbranch_execnz .LBB80_264
.LBB80_209:
	s_or_b64 exec, exec, s[20:21]
	s_and_saveexec_b64 s[18:19], s[16:17]
	s_cbranch_execnz .LBB80_265
.LBB80_210:
	s_or_b64 exec, exec, s[18:19]
	s_and_saveexec_b64 s[16:17], s[14:15]
	s_cbranch_execnz .LBB80_266
.LBB80_211:
	s_or_b64 exec, exec, s[16:17]
	s_and_saveexec_b64 s[14:15], s[12:13]
	s_cbranch_execnz .LBB80_267
.LBB80_212:
	s_or_b64 exec, exec, s[14:15]
	s_and_saveexec_b64 s[12:13], s[10:11]
	s_cbranch_execnz .LBB80_268
.LBB80_213:
	s_or_b64 exec, exec, s[12:13]
	s_and_saveexec_b64 s[10:11], s[8:9]
	s_cbranch_execnz .LBB80_269
.LBB80_214:
	s_or_b64 exec, exec, s[10:11]
	s_and_saveexec_b64 s[8:9], s[6:7]
	s_cbranch_execnz .LBB80_270
.LBB80_215:
	s_or_b64 exec, exec, s[8:9]
	s_and_saveexec_b64 s[6:7], s[4:5]
	s_cbranch_execnz .LBB80_271
.LBB80_216:
	s_or_b64 exec, exec, s[6:7]
	s_and_saveexec_b64 s[4:5], s[2:3]
	s_cbranch_execz .LBB80_218
.LBB80_217:
	v_sub_u32_e32 v3, v22, v2
	v_lshlrev_b32_e32 v3, 2, v3
	ds_write_b32 v3, v23
.LBB80_218:
	s_or_b64 exec, exec, s[4:5]
	s_and_b64 s[38:39], s[0:1], exec
                                        ; implicit-def: $vgpr22_vgpr23
                                        ; implicit-def: $vgpr26_vgpr27
                                        ; implicit-def: $vgpr28_vgpr29
                                        ; implicit-def: $vgpr50_vgpr51
                                        ; implicit-def: $vgpr48_vgpr49
                                        ; implicit-def: $vgpr46_vgpr47
                                        ; implicit-def: $vgpr44_vgpr45
                                        ; implicit-def: $vgpr42_vgpr43
                                        ; implicit-def: $vgpr40_vgpr41
                                        ; implicit-def: $vgpr38_vgpr39
                                        ; implicit-def: $vgpr36_vgpr37
                                        ; implicit-def: $vgpr34_vgpr35
                                        ; implicit-def: $vgpr32_vgpr33
                                        ; implicit-def: $vgpr30_vgpr31
	s_andn2_saveexec_b64 s[0:1], s[36:37]
	s_cbranch_execz .LBB80_141
.LBB80_219:
	v_sub_u32_e32 v3, v50, v2
	v_lshlrev_b32_e32 v3, 2, v3
	ds_write_b32 v3, v51
	v_sub_u32_e32 v3, v48, v2
	v_lshlrev_b32_e32 v3, 2, v3
	ds_write_b32 v3, v49
	;; [unrolled: 3-line block ×13, first 2 shown]
	v_sub_u32_e32 v3, v22, v2
	v_lshlrev_b32_e32 v3, 2, v3
	s_or_b64 s[38:39], s[38:39], exec
	ds_write_b32 v3, v23
	s_or_b64 exec, exec, s[0:1]
	s_and_b64 exec, exec, s[38:39]
	s_cbranch_execnz .LBB80_142
	s_branch .LBB80_143
.LBB80_220:
	v_sub_u32_e32 v3, v50, v18
	v_readfirstlane_b32 s40, v54
	v_readfirstlane_b32 s41, v17
	s_nop 4
	global_store_byte v3, v8, s[40:41]
	s_or_b64 exec, exec, s[38:39]
	s_and_saveexec_b64 s[38:39], s[26:27]
	s_cbranch_execz .LBB80_154
.LBB80_221:
	v_sub_u32_e32 v3, v48, v18
	v_readfirstlane_b32 s40, v54
	v_readfirstlane_b32 s41, v17
	s_nop 4
	global_store_byte v3, v63, s[40:41]
	s_or_b64 exec, exec, s[38:39]
	s_and_saveexec_b64 s[38:39], s[24:25]
	s_cbranch_execz .LBB80_155
.LBB80_222:
	v_sub_u32_e32 v3, v46, v18
	v_readfirstlane_b32 s40, v54
	v_readfirstlane_b32 s41, v17
	s_nop 4
	global_store_byte v3, v62, s[40:41]
	s_or_b64 exec, exec, s[38:39]
	s_and_saveexec_b64 s[38:39], s[22:23]
	s_cbranch_execz .LBB80_156
.LBB80_223:
	v_sub_u32_e32 v3, v44, v18
	v_readfirstlane_b32 s40, v54
	v_readfirstlane_b32 s41, v17
	s_nop 4
	global_store_byte v3, v61, s[40:41]
	s_or_b64 exec, exec, s[38:39]
	s_and_saveexec_b64 s[38:39], s[20:21]
	s_cbranch_execz .LBB80_157
.LBB80_224:
	v_sub_u32_e32 v3, v42, v18
	v_readfirstlane_b32 s40, v54
	v_readfirstlane_b32 s41, v17
	s_nop 4
	global_store_byte v3, v9, s[40:41]
	s_or_b64 exec, exec, s[38:39]
	s_and_saveexec_b64 s[38:39], s[18:19]
	s_cbranch_execz .LBB80_158
.LBB80_225:
	v_sub_u32_e32 v3, v40, v18
	v_readfirstlane_b32 s40, v54
	v_readfirstlane_b32 s41, v17
	s_nop 4
	global_store_byte v3, v60, s[40:41]
	s_or_b64 exec, exec, s[38:39]
	s_and_saveexec_b64 s[38:39], s[16:17]
	s_cbranch_execz .LBB80_159
.LBB80_226:
	v_sub_u32_e32 v3, v38, v18
	v_readfirstlane_b32 s40, v54
	v_readfirstlane_b32 s41, v17
	s_nop 4
	global_store_byte v3, v59, s[40:41]
	s_or_b64 exec, exec, s[38:39]
	s_and_saveexec_b64 s[38:39], s[14:15]
	s_cbranch_execz .LBB80_160
.LBB80_227:
	v_sub_u32_e32 v3, v36, v18
	v_readfirstlane_b32 s40, v54
	v_readfirstlane_b32 s41, v17
	s_nop 4
	global_store_byte v3, v58, s[40:41]
	s_or_b64 exec, exec, s[38:39]
	s_and_saveexec_b64 s[38:39], s[12:13]
	s_cbranch_execz .LBB80_161
.LBB80_228:
	v_sub_u32_e32 v3, v34, v18
	v_readfirstlane_b32 s40, v54
	v_readfirstlane_b32 s41, v17
	s_nop 4
	global_store_byte v3, v10, s[40:41]
	s_or_b64 exec, exec, s[38:39]
	s_and_saveexec_b64 s[38:39], s[10:11]
	s_cbranch_execz .LBB80_162
.LBB80_229:
	v_sub_u32_e32 v3, v32, v18
	v_readfirstlane_b32 s40, v54
	v_readfirstlane_b32 s41, v17
	s_nop 4
	global_store_byte v3, v57, s[40:41]
	s_or_b64 exec, exec, s[38:39]
	s_and_saveexec_b64 s[38:39], s[8:9]
	s_cbranch_execz .LBB80_163
.LBB80_230:
	v_sub_u32_e32 v3, v30, v18
	v_readfirstlane_b32 s40, v54
	v_readfirstlane_b32 s41, v17
	s_nop 4
	global_store_byte v3, v56, s[40:41]
	s_or_b64 exec, exec, s[38:39]
	s_and_saveexec_b64 s[38:39], s[6:7]
	s_cbranch_execz .LBB80_164
.LBB80_231:
	v_sub_u32_e32 v3, v28, v18
	v_readfirstlane_b32 s40, v54
	v_readfirstlane_b32 s41, v17
	s_nop 4
	global_store_byte v3, v55, s[40:41]
	s_or_b64 exec, exec, s[38:39]
	s_and_saveexec_b64 s[38:39], s[4:5]
	s_cbranch_execz .LBB80_165
.LBB80_232:
	v_sub_u32_e32 v3, v26, v18
	v_readfirstlane_b32 s40, v54
	v_readfirstlane_b32 s41, v17
	s_nop 4
	global_store_byte v3, v21, s[40:41]
	s_or_b64 exec, exec, s[38:39]
	s_and_saveexec_b64 s[38:39], s[2:3]
	s_cbranch_execnz .LBB80_166
	s_branch .LBB80_167
.LBB80_233:
	v_sub_u32_e32 v2, v50, v18
	ds_write_b8 v2, v8
	s_or_b64 exec, exec, s[38:39]
	s_and_saveexec_b64 s[28:29], s[26:27]
	s_cbranch_execz .LBB80_171
.LBB80_234:
	v_sub_u32_e32 v2, v48, v18
	ds_write_b8 v2, v63
	s_or_b64 exec, exec, s[28:29]
	s_and_saveexec_b64 s[26:27], s[24:25]
	s_cbranch_execz .LBB80_172
.LBB80_235:
	v_sub_u32_e32 v2, v46, v18
	ds_write_b8 v2, v62
	s_or_b64 exec, exec, s[26:27]
	s_and_saveexec_b64 s[24:25], s[22:23]
	s_cbranch_execz .LBB80_173
.LBB80_236:
	v_sub_u32_e32 v2, v44, v18
	ds_write_b8 v2, v61
	s_or_b64 exec, exec, s[24:25]
	s_and_saveexec_b64 s[22:23], s[20:21]
	s_cbranch_execz .LBB80_174
.LBB80_237:
	v_sub_u32_e32 v2, v42, v18
	ds_write_b8 v2, v9
	s_or_b64 exec, exec, s[22:23]
	s_and_saveexec_b64 s[20:21], s[18:19]
	s_cbranch_execz .LBB80_175
.LBB80_238:
	v_sub_u32_e32 v2, v40, v18
	ds_write_b8 v2, v60
	s_or_b64 exec, exec, s[20:21]
	s_and_saveexec_b64 s[18:19], s[16:17]
	s_cbranch_execz .LBB80_176
.LBB80_239:
	v_sub_u32_e32 v2, v38, v18
	ds_write_b8 v2, v59
	s_or_b64 exec, exec, s[18:19]
	s_and_saveexec_b64 s[16:17], s[14:15]
	s_cbranch_execz .LBB80_177
.LBB80_240:
	v_sub_u32_e32 v2, v36, v18
	ds_write_b8 v2, v58
	s_or_b64 exec, exec, s[16:17]
	s_and_saveexec_b64 s[14:15], s[12:13]
	s_cbranch_execz .LBB80_178
.LBB80_241:
	v_sub_u32_e32 v2, v34, v18
	ds_write_b8 v2, v10
	s_or_b64 exec, exec, s[14:15]
	s_and_saveexec_b64 s[12:13], s[10:11]
	s_cbranch_execz .LBB80_179
.LBB80_242:
	v_sub_u32_e32 v2, v32, v18
	ds_write_b8 v2, v57
	s_or_b64 exec, exec, s[12:13]
	s_and_saveexec_b64 s[10:11], s[8:9]
	s_cbranch_execz .LBB80_180
.LBB80_243:
	v_sub_u32_e32 v2, v30, v18
	ds_write_b8 v2, v56
	s_or_b64 exec, exec, s[10:11]
	s_and_saveexec_b64 s[8:9], s[6:7]
	s_cbranch_execz .LBB80_181
.LBB80_244:
	v_sub_u32_e32 v2, v28, v18
	ds_write_b8 v2, v55
	s_or_b64 exec, exec, s[8:9]
	s_and_saveexec_b64 s[6:7], s[4:5]
	s_cbranch_execz .LBB80_182
.LBB80_245:
	v_sub_u32_e32 v2, v26, v18
	ds_write_b8 v2, v21
	s_or_b64 exec, exec, s[6:7]
	s_and_saveexec_b64 s[4:5], s[2:3]
	s_cbranch_execnz .LBB80_183
	s_branch .LBB80_184
.LBB80_246:
	v_sub_u32_e32 v8, v50, v2
	v_mov_b32_e32 v9, 0
	v_lshlrev_b64 v[10:11], 3, v[8:9]
	v_add_co_u32_e32 v10, vcc, v6, v10
	v_addc_co_u32_e32 v11, vcc, v7, v11, vcc
	v_mov_b32_e32 v8, v51
	global_store_dwordx2 v[10:11], v[8:9], off
	s_or_b64 exec, exec, s[38:39]
	s_and_saveexec_b64 s[38:39], s[26:27]
	s_cbranch_execz .LBB80_188
.LBB80_247:
	v_sub_u32_e32 v8, v48, v2
	v_mov_b32_e32 v9, 0
	v_lshlrev_b64 v[10:11], 3, v[8:9]
	v_add_co_u32_e32 v10, vcc, v6, v10
	v_addc_co_u32_e32 v11, vcc, v7, v11, vcc
	v_mov_b32_e32 v8, v49
	global_store_dwordx2 v[10:11], v[8:9], off
	s_or_b64 exec, exec, s[38:39]
	s_and_saveexec_b64 s[38:39], s[24:25]
	s_cbranch_execz .LBB80_189
.LBB80_248:
	v_sub_u32_e32 v8, v46, v2
	v_mov_b32_e32 v9, 0
	v_lshlrev_b64 v[10:11], 3, v[8:9]
	v_add_co_u32_e32 v10, vcc, v6, v10
	v_addc_co_u32_e32 v11, vcc, v7, v11, vcc
	v_mov_b32_e32 v8, v47
	global_store_dwordx2 v[10:11], v[8:9], off
	s_or_b64 exec, exec, s[38:39]
	s_and_saveexec_b64 s[38:39], s[22:23]
	s_cbranch_execz .LBB80_190
.LBB80_249:
	v_sub_u32_e32 v8, v44, v2
	v_mov_b32_e32 v9, 0
	v_lshlrev_b64 v[10:11], 3, v[8:9]
	v_add_co_u32_e32 v10, vcc, v6, v10
	v_addc_co_u32_e32 v11, vcc, v7, v11, vcc
	v_mov_b32_e32 v8, v45
	global_store_dwordx2 v[10:11], v[8:9], off
	s_or_b64 exec, exec, s[38:39]
	s_and_saveexec_b64 s[38:39], s[20:21]
	s_cbranch_execz .LBB80_191
.LBB80_250:
	v_sub_u32_e32 v8, v42, v2
	v_mov_b32_e32 v9, 0
	v_lshlrev_b64 v[10:11], 3, v[8:9]
	v_add_co_u32_e32 v10, vcc, v6, v10
	v_addc_co_u32_e32 v11, vcc, v7, v11, vcc
	v_mov_b32_e32 v8, v43
	global_store_dwordx2 v[10:11], v[8:9], off
	s_or_b64 exec, exec, s[38:39]
	s_and_saveexec_b64 s[38:39], s[18:19]
	s_cbranch_execz .LBB80_192
.LBB80_251:
	v_sub_u32_e32 v8, v40, v2
	v_mov_b32_e32 v9, 0
	v_lshlrev_b64 v[10:11], 3, v[8:9]
	v_add_co_u32_e32 v10, vcc, v6, v10
	v_addc_co_u32_e32 v11, vcc, v7, v11, vcc
	v_mov_b32_e32 v8, v41
	global_store_dwordx2 v[10:11], v[8:9], off
	s_or_b64 exec, exec, s[38:39]
	s_and_saveexec_b64 s[38:39], s[16:17]
	s_cbranch_execz .LBB80_193
.LBB80_252:
	v_sub_u32_e32 v8, v38, v2
	v_mov_b32_e32 v9, 0
	v_lshlrev_b64 v[10:11], 3, v[8:9]
	v_add_co_u32_e32 v10, vcc, v6, v10
	v_addc_co_u32_e32 v11, vcc, v7, v11, vcc
	v_mov_b32_e32 v8, v39
	global_store_dwordx2 v[10:11], v[8:9], off
	s_or_b64 exec, exec, s[38:39]
	s_and_saveexec_b64 s[38:39], s[14:15]
	s_cbranch_execz .LBB80_194
.LBB80_253:
	v_sub_u32_e32 v8, v36, v2
	v_mov_b32_e32 v9, 0
	v_lshlrev_b64 v[10:11], 3, v[8:9]
	v_add_co_u32_e32 v10, vcc, v6, v10
	v_addc_co_u32_e32 v11, vcc, v7, v11, vcc
	v_mov_b32_e32 v8, v37
	global_store_dwordx2 v[10:11], v[8:9], off
	s_or_b64 exec, exec, s[38:39]
	s_and_saveexec_b64 s[38:39], s[12:13]
	s_cbranch_execz .LBB80_195
.LBB80_254:
	v_sub_u32_e32 v8, v34, v2
	v_mov_b32_e32 v9, 0
	v_lshlrev_b64 v[10:11], 3, v[8:9]
	v_add_co_u32_e32 v10, vcc, v6, v10
	v_addc_co_u32_e32 v11, vcc, v7, v11, vcc
	v_mov_b32_e32 v8, v35
	global_store_dwordx2 v[10:11], v[8:9], off
	s_or_b64 exec, exec, s[38:39]
	s_and_saveexec_b64 s[38:39], s[10:11]
	s_cbranch_execz .LBB80_196
.LBB80_255:
	v_sub_u32_e32 v8, v32, v2
	v_mov_b32_e32 v9, 0
	v_lshlrev_b64 v[10:11], 3, v[8:9]
	v_add_co_u32_e32 v10, vcc, v6, v10
	v_addc_co_u32_e32 v11, vcc, v7, v11, vcc
	v_mov_b32_e32 v8, v33
	global_store_dwordx2 v[10:11], v[8:9], off
	s_or_b64 exec, exec, s[38:39]
	s_and_saveexec_b64 s[38:39], s[8:9]
	s_cbranch_execz .LBB80_197
.LBB80_256:
	v_sub_u32_e32 v8, v30, v2
	v_mov_b32_e32 v9, 0
	v_lshlrev_b64 v[10:11], 3, v[8:9]
	v_add_co_u32_e32 v10, vcc, v6, v10
	v_addc_co_u32_e32 v11, vcc, v7, v11, vcc
	v_mov_b32_e32 v8, v31
	global_store_dwordx2 v[10:11], v[8:9], off
	s_or_b64 exec, exec, s[38:39]
	s_and_saveexec_b64 s[38:39], s[6:7]
	s_cbranch_execz .LBB80_198
.LBB80_257:
	v_sub_u32_e32 v8, v28, v2
	v_mov_b32_e32 v9, 0
	v_lshlrev_b64 v[10:11], 3, v[8:9]
	v_add_co_u32_e32 v10, vcc, v6, v10
	v_addc_co_u32_e32 v11, vcc, v7, v11, vcc
	v_mov_b32_e32 v8, v29
	global_store_dwordx2 v[10:11], v[8:9], off
	s_or_b64 exec, exec, s[38:39]
	s_and_saveexec_b64 s[38:39], s[4:5]
	s_cbranch_execz .LBB80_199
.LBB80_258:
	v_sub_u32_e32 v8, v26, v2
	v_mov_b32_e32 v9, 0
	v_lshlrev_b64 v[10:11], 3, v[8:9]
	v_add_co_u32_e32 v10, vcc, v6, v10
	v_addc_co_u32_e32 v11, vcc, v7, v11, vcc
	v_mov_b32_e32 v8, v27
	global_store_dwordx2 v[10:11], v[8:9], off
	s_or_b64 exec, exec, s[38:39]
	s_and_saveexec_b64 s[38:39], s[2:3]
	s_cbranch_execnz .LBB80_200
	s_branch .LBB80_201
.LBB80_259:
	v_sub_u32_e32 v3, v50, v2
	v_lshlrev_b32_e32 v3, 2, v3
	ds_write_b32 v3, v51
	s_or_b64 exec, exec, s[38:39]
	s_and_saveexec_b64 s[28:29], s[26:27]
	s_cbranch_execz .LBB80_205
.LBB80_260:
	v_sub_u32_e32 v3, v48, v2
	v_lshlrev_b32_e32 v3, 2, v3
	ds_write_b32 v3, v49
	s_or_b64 exec, exec, s[28:29]
	s_and_saveexec_b64 s[26:27], s[24:25]
	s_cbranch_execz .LBB80_206
.LBB80_261:
	v_sub_u32_e32 v3, v46, v2
	v_lshlrev_b32_e32 v3, 2, v3
	ds_write_b32 v3, v47
	s_or_b64 exec, exec, s[26:27]
	s_and_saveexec_b64 s[24:25], s[22:23]
	s_cbranch_execz .LBB80_207
.LBB80_262:
	v_sub_u32_e32 v3, v44, v2
	v_lshlrev_b32_e32 v3, 2, v3
	ds_write_b32 v3, v45
	s_or_b64 exec, exec, s[24:25]
	s_and_saveexec_b64 s[22:23], s[20:21]
	s_cbranch_execz .LBB80_208
.LBB80_263:
	v_sub_u32_e32 v3, v42, v2
	v_lshlrev_b32_e32 v3, 2, v3
	ds_write_b32 v3, v43
	s_or_b64 exec, exec, s[22:23]
	s_and_saveexec_b64 s[20:21], s[18:19]
	s_cbranch_execz .LBB80_209
.LBB80_264:
	v_sub_u32_e32 v3, v40, v2
	v_lshlrev_b32_e32 v3, 2, v3
	ds_write_b32 v3, v41
	s_or_b64 exec, exec, s[20:21]
	s_and_saveexec_b64 s[18:19], s[16:17]
	s_cbranch_execz .LBB80_210
.LBB80_265:
	v_sub_u32_e32 v3, v38, v2
	v_lshlrev_b32_e32 v3, 2, v3
	ds_write_b32 v3, v39
	s_or_b64 exec, exec, s[18:19]
	s_and_saveexec_b64 s[16:17], s[14:15]
	s_cbranch_execz .LBB80_211
.LBB80_266:
	v_sub_u32_e32 v3, v36, v2
	v_lshlrev_b32_e32 v3, 2, v3
	ds_write_b32 v3, v37
	s_or_b64 exec, exec, s[16:17]
	s_and_saveexec_b64 s[14:15], s[12:13]
	s_cbranch_execz .LBB80_212
.LBB80_267:
	v_sub_u32_e32 v3, v34, v2
	v_lshlrev_b32_e32 v3, 2, v3
	ds_write_b32 v3, v35
	s_or_b64 exec, exec, s[14:15]
	s_and_saveexec_b64 s[12:13], s[10:11]
	s_cbranch_execz .LBB80_213
.LBB80_268:
	v_sub_u32_e32 v3, v32, v2
	v_lshlrev_b32_e32 v3, 2, v3
	ds_write_b32 v3, v33
	s_or_b64 exec, exec, s[12:13]
	s_and_saveexec_b64 s[10:11], s[8:9]
	s_cbranch_execz .LBB80_214
.LBB80_269:
	v_sub_u32_e32 v3, v30, v2
	v_lshlrev_b32_e32 v3, 2, v3
	ds_write_b32 v3, v31
	s_or_b64 exec, exec, s[10:11]
	s_and_saveexec_b64 s[8:9], s[6:7]
	s_cbranch_execz .LBB80_215
.LBB80_270:
	v_sub_u32_e32 v3, v28, v2
	v_lshlrev_b32_e32 v3, 2, v3
	ds_write_b32 v3, v29
	s_or_b64 exec, exec, s[8:9]
	s_and_saveexec_b64 s[6:7], s[4:5]
	s_cbranch_execz .LBB80_216
.LBB80_271:
	v_sub_u32_e32 v3, v26, v2
	v_lshlrev_b32_e32 v3, 2, v3
	ds_write_b32 v3, v27
	s_or_b64 exec, exec, s[6:7]
	s_and_saveexec_b64 s[4:5], s[2:3]
	s_cbranch_execnz .LBB80_217
	s_branch .LBB80_218
	.section	.rodata,"a",@progbits
	.p2align	6, 0x0
	.amdhsa_kernel _ZN7rocprim17ROCPRIM_400000_NS6detail17trampoline_kernelINS0_14default_configENS1_33run_length_encode_config_selectorIbjNS0_4plusIjEEEEZZNS1_33reduce_by_key_impl_wrapped_configILNS1_25lookback_scan_determinismE0ES3_S7_N6hipcub16HIPCUB_304000_NS22TransformInputIteratorIbN2at6native8internal12_GLOBAL__N_110LoadBoolOpEPKhlEENS0_17constant_iteratorIjlEEPbPlSO_S6_NS0_8equal_toIbEEEE10hipError_tPvRmT2_T3_mT4_T5_T6_T7_T8_P12ihipStream_tbENKUlT_T0_E_clISt17integral_constantIbLb1EES17_IbLb0EEEEDaS13_S14_EUlS13_E_NS1_11comp_targetILNS1_3genE4ELNS1_11target_archE910ELNS1_3gpuE8ELNS1_3repE0EEENS1_30default_config_static_selectorELNS0_4arch9wavefront6targetE1EEEvT1_
		.amdhsa_group_segment_fixed_size 15360
		.amdhsa_private_segment_fixed_size 0
		.amdhsa_kernarg_size 136
		.amdhsa_user_sgpr_count 6
		.amdhsa_user_sgpr_private_segment_buffer 1
		.amdhsa_user_sgpr_dispatch_ptr 0
		.amdhsa_user_sgpr_queue_ptr 0
		.amdhsa_user_sgpr_kernarg_segment_ptr 1
		.amdhsa_user_sgpr_dispatch_id 0
		.amdhsa_user_sgpr_flat_scratch_init 0
		.amdhsa_user_sgpr_kernarg_preload_length 0
		.amdhsa_user_sgpr_kernarg_preload_offset 0
		.amdhsa_user_sgpr_private_segment_size 0
		.amdhsa_uses_dynamic_stack 0
		.amdhsa_system_sgpr_private_segment_wavefront_offset 0
		.amdhsa_system_sgpr_workgroup_id_x 1
		.amdhsa_system_sgpr_workgroup_id_y 0
		.amdhsa_system_sgpr_workgroup_id_z 0
		.amdhsa_system_sgpr_workgroup_info 0
		.amdhsa_system_vgpr_workitem_id 0
		.amdhsa_next_free_vgpr 115
		.amdhsa_next_free_sgpr 64
		.amdhsa_accum_offset 116
		.amdhsa_reserve_vcc 1
		.amdhsa_reserve_flat_scratch 0
		.amdhsa_float_round_mode_32 0
		.amdhsa_float_round_mode_16_64 0
		.amdhsa_float_denorm_mode_32 3
		.amdhsa_float_denorm_mode_16_64 3
		.amdhsa_dx10_clamp 1
		.amdhsa_ieee_mode 1
		.amdhsa_fp16_overflow 0
		.amdhsa_tg_split 0
		.amdhsa_exception_fp_ieee_invalid_op 0
		.amdhsa_exception_fp_denorm_src 0
		.amdhsa_exception_fp_ieee_div_zero 0
		.amdhsa_exception_fp_ieee_overflow 0
		.amdhsa_exception_fp_ieee_underflow 0
		.amdhsa_exception_fp_ieee_inexact 0
		.amdhsa_exception_int_div_zero 0
	.end_amdhsa_kernel
	.section	.text._ZN7rocprim17ROCPRIM_400000_NS6detail17trampoline_kernelINS0_14default_configENS1_33run_length_encode_config_selectorIbjNS0_4plusIjEEEEZZNS1_33reduce_by_key_impl_wrapped_configILNS1_25lookback_scan_determinismE0ES3_S7_N6hipcub16HIPCUB_304000_NS22TransformInputIteratorIbN2at6native8internal12_GLOBAL__N_110LoadBoolOpEPKhlEENS0_17constant_iteratorIjlEEPbPlSO_S6_NS0_8equal_toIbEEEE10hipError_tPvRmT2_T3_mT4_T5_T6_T7_T8_P12ihipStream_tbENKUlT_T0_E_clISt17integral_constantIbLb1EES17_IbLb0EEEEDaS13_S14_EUlS13_E_NS1_11comp_targetILNS1_3genE4ELNS1_11target_archE910ELNS1_3gpuE8ELNS1_3repE0EEENS1_30default_config_static_selectorELNS0_4arch9wavefront6targetE1EEEvT1_,"axG",@progbits,_ZN7rocprim17ROCPRIM_400000_NS6detail17trampoline_kernelINS0_14default_configENS1_33run_length_encode_config_selectorIbjNS0_4plusIjEEEEZZNS1_33reduce_by_key_impl_wrapped_configILNS1_25lookback_scan_determinismE0ES3_S7_N6hipcub16HIPCUB_304000_NS22TransformInputIteratorIbN2at6native8internal12_GLOBAL__N_110LoadBoolOpEPKhlEENS0_17constant_iteratorIjlEEPbPlSO_S6_NS0_8equal_toIbEEEE10hipError_tPvRmT2_T3_mT4_T5_T6_T7_T8_P12ihipStream_tbENKUlT_T0_E_clISt17integral_constantIbLb1EES17_IbLb0EEEEDaS13_S14_EUlS13_E_NS1_11comp_targetILNS1_3genE4ELNS1_11target_archE910ELNS1_3gpuE8ELNS1_3repE0EEENS1_30default_config_static_selectorELNS0_4arch9wavefront6targetE1EEEvT1_,comdat
.Lfunc_end80:
	.size	_ZN7rocprim17ROCPRIM_400000_NS6detail17trampoline_kernelINS0_14default_configENS1_33run_length_encode_config_selectorIbjNS0_4plusIjEEEEZZNS1_33reduce_by_key_impl_wrapped_configILNS1_25lookback_scan_determinismE0ES3_S7_N6hipcub16HIPCUB_304000_NS22TransformInputIteratorIbN2at6native8internal12_GLOBAL__N_110LoadBoolOpEPKhlEENS0_17constant_iteratorIjlEEPbPlSO_S6_NS0_8equal_toIbEEEE10hipError_tPvRmT2_T3_mT4_T5_T6_T7_T8_P12ihipStream_tbENKUlT_T0_E_clISt17integral_constantIbLb1EES17_IbLb0EEEEDaS13_S14_EUlS13_E_NS1_11comp_targetILNS1_3genE4ELNS1_11target_archE910ELNS1_3gpuE8ELNS1_3repE0EEENS1_30default_config_static_selectorELNS0_4arch9wavefront6targetE1EEEvT1_, .Lfunc_end80-_ZN7rocprim17ROCPRIM_400000_NS6detail17trampoline_kernelINS0_14default_configENS1_33run_length_encode_config_selectorIbjNS0_4plusIjEEEEZZNS1_33reduce_by_key_impl_wrapped_configILNS1_25lookback_scan_determinismE0ES3_S7_N6hipcub16HIPCUB_304000_NS22TransformInputIteratorIbN2at6native8internal12_GLOBAL__N_110LoadBoolOpEPKhlEENS0_17constant_iteratorIjlEEPbPlSO_S6_NS0_8equal_toIbEEEE10hipError_tPvRmT2_T3_mT4_T5_T6_T7_T8_P12ihipStream_tbENKUlT_T0_E_clISt17integral_constantIbLb1EES17_IbLb0EEEEDaS13_S14_EUlS13_E_NS1_11comp_targetILNS1_3genE4ELNS1_11target_archE910ELNS1_3gpuE8ELNS1_3repE0EEENS1_30default_config_static_selectorELNS0_4arch9wavefront6targetE1EEEvT1_
                                        ; -- End function
	.section	.AMDGPU.csdata,"",@progbits
; Kernel info:
; codeLenInByte = 15040
; NumSgprs: 68
; NumVgprs: 115
; NumAgprs: 0
; TotalNumVgprs: 115
; ScratchSize: 0
; MemoryBound: 0
; FloatMode: 240
; IeeeMode: 1
; LDSByteSize: 15360 bytes/workgroup (compile time only)
; SGPRBlocks: 8
; VGPRBlocks: 14
; NumSGPRsForWavesPerEU: 68
; NumVGPRsForWavesPerEU: 115
; AccumOffset: 116
; Occupancy: 4
; WaveLimiterHint : 1
; COMPUTE_PGM_RSRC2:SCRATCH_EN: 0
; COMPUTE_PGM_RSRC2:USER_SGPR: 6
; COMPUTE_PGM_RSRC2:TRAP_HANDLER: 0
; COMPUTE_PGM_RSRC2:TGID_X_EN: 1
; COMPUTE_PGM_RSRC2:TGID_Y_EN: 0
; COMPUTE_PGM_RSRC2:TGID_Z_EN: 0
; COMPUTE_PGM_RSRC2:TIDIG_COMP_CNT: 0
; COMPUTE_PGM_RSRC3_GFX90A:ACCUM_OFFSET: 28
; COMPUTE_PGM_RSRC3_GFX90A:TG_SPLIT: 0
	.section	.text._ZN7rocprim17ROCPRIM_400000_NS6detail17trampoline_kernelINS0_14default_configENS1_33run_length_encode_config_selectorIbjNS0_4plusIjEEEEZZNS1_33reduce_by_key_impl_wrapped_configILNS1_25lookback_scan_determinismE0ES3_S7_N6hipcub16HIPCUB_304000_NS22TransformInputIteratorIbN2at6native8internal12_GLOBAL__N_110LoadBoolOpEPKhlEENS0_17constant_iteratorIjlEEPbPlSO_S6_NS0_8equal_toIbEEEE10hipError_tPvRmT2_T3_mT4_T5_T6_T7_T8_P12ihipStream_tbENKUlT_T0_E_clISt17integral_constantIbLb1EES17_IbLb0EEEEDaS13_S14_EUlS13_E_NS1_11comp_targetILNS1_3genE3ELNS1_11target_archE908ELNS1_3gpuE7ELNS1_3repE0EEENS1_30default_config_static_selectorELNS0_4arch9wavefront6targetE1EEEvT1_,"axG",@progbits,_ZN7rocprim17ROCPRIM_400000_NS6detail17trampoline_kernelINS0_14default_configENS1_33run_length_encode_config_selectorIbjNS0_4plusIjEEEEZZNS1_33reduce_by_key_impl_wrapped_configILNS1_25lookback_scan_determinismE0ES3_S7_N6hipcub16HIPCUB_304000_NS22TransformInputIteratorIbN2at6native8internal12_GLOBAL__N_110LoadBoolOpEPKhlEENS0_17constant_iteratorIjlEEPbPlSO_S6_NS0_8equal_toIbEEEE10hipError_tPvRmT2_T3_mT4_T5_T6_T7_T8_P12ihipStream_tbENKUlT_T0_E_clISt17integral_constantIbLb1EES17_IbLb0EEEEDaS13_S14_EUlS13_E_NS1_11comp_targetILNS1_3genE3ELNS1_11target_archE908ELNS1_3gpuE7ELNS1_3repE0EEENS1_30default_config_static_selectorELNS0_4arch9wavefront6targetE1EEEvT1_,comdat
	.globl	_ZN7rocprim17ROCPRIM_400000_NS6detail17trampoline_kernelINS0_14default_configENS1_33run_length_encode_config_selectorIbjNS0_4plusIjEEEEZZNS1_33reduce_by_key_impl_wrapped_configILNS1_25lookback_scan_determinismE0ES3_S7_N6hipcub16HIPCUB_304000_NS22TransformInputIteratorIbN2at6native8internal12_GLOBAL__N_110LoadBoolOpEPKhlEENS0_17constant_iteratorIjlEEPbPlSO_S6_NS0_8equal_toIbEEEE10hipError_tPvRmT2_T3_mT4_T5_T6_T7_T8_P12ihipStream_tbENKUlT_T0_E_clISt17integral_constantIbLb1EES17_IbLb0EEEEDaS13_S14_EUlS13_E_NS1_11comp_targetILNS1_3genE3ELNS1_11target_archE908ELNS1_3gpuE7ELNS1_3repE0EEENS1_30default_config_static_selectorELNS0_4arch9wavefront6targetE1EEEvT1_ ; -- Begin function _ZN7rocprim17ROCPRIM_400000_NS6detail17trampoline_kernelINS0_14default_configENS1_33run_length_encode_config_selectorIbjNS0_4plusIjEEEEZZNS1_33reduce_by_key_impl_wrapped_configILNS1_25lookback_scan_determinismE0ES3_S7_N6hipcub16HIPCUB_304000_NS22TransformInputIteratorIbN2at6native8internal12_GLOBAL__N_110LoadBoolOpEPKhlEENS0_17constant_iteratorIjlEEPbPlSO_S6_NS0_8equal_toIbEEEE10hipError_tPvRmT2_T3_mT4_T5_T6_T7_T8_P12ihipStream_tbENKUlT_T0_E_clISt17integral_constantIbLb1EES17_IbLb0EEEEDaS13_S14_EUlS13_E_NS1_11comp_targetILNS1_3genE3ELNS1_11target_archE908ELNS1_3gpuE7ELNS1_3repE0EEENS1_30default_config_static_selectorELNS0_4arch9wavefront6targetE1EEEvT1_
	.p2align	8
	.type	_ZN7rocprim17ROCPRIM_400000_NS6detail17trampoline_kernelINS0_14default_configENS1_33run_length_encode_config_selectorIbjNS0_4plusIjEEEEZZNS1_33reduce_by_key_impl_wrapped_configILNS1_25lookback_scan_determinismE0ES3_S7_N6hipcub16HIPCUB_304000_NS22TransformInputIteratorIbN2at6native8internal12_GLOBAL__N_110LoadBoolOpEPKhlEENS0_17constant_iteratorIjlEEPbPlSO_S6_NS0_8equal_toIbEEEE10hipError_tPvRmT2_T3_mT4_T5_T6_T7_T8_P12ihipStream_tbENKUlT_T0_E_clISt17integral_constantIbLb1EES17_IbLb0EEEEDaS13_S14_EUlS13_E_NS1_11comp_targetILNS1_3genE3ELNS1_11target_archE908ELNS1_3gpuE7ELNS1_3repE0EEENS1_30default_config_static_selectorELNS0_4arch9wavefront6targetE1EEEvT1_,@function
_ZN7rocprim17ROCPRIM_400000_NS6detail17trampoline_kernelINS0_14default_configENS1_33run_length_encode_config_selectorIbjNS0_4plusIjEEEEZZNS1_33reduce_by_key_impl_wrapped_configILNS1_25lookback_scan_determinismE0ES3_S7_N6hipcub16HIPCUB_304000_NS22TransformInputIteratorIbN2at6native8internal12_GLOBAL__N_110LoadBoolOpEPKhlEENS0_17constant_iteratorIjlEEPbPlSO_S6_NS0_8equal_toIbEEEE10hipError_tPvRmT2_T3_mT4_T5_T6_T7_T8_P12ihipStream_tbENKUlT_T0_E_clISt17integral_constantIbLb1EES17_IbLb0EEEEDaS13_S14_EUlS13_E_NS1_11comp_targetILNS1_3genE3ELNS1_11target_archE908ELNS1_3gpuE7ELNS1_3repE0EEENS1_30default_config_static_selectorELNS0_4arch9wavefront6targetE1EEEvT1_: ; @_ZN7rocprim17ROCPRIM_400000_NS6detail17trampoline_kernelINS0_14default_configENS1_33run_length_encode_config_selectorIbjNS0_4plusIjEEEEZZNS1_33reduce_by_key_impl_wrapped_configILNS1_25lookback_scan_determinismE0ES3_S7_N6hipcub16HIPCUB_304000_NS22TransformInputIteratorIbN2at6native8internal12_GLOBAL__N_110LoadBoolOpEPKhlEENS0_17constant_iteratorIjlEEPbPlSO_S6_NS0_8equal_toIbEEEE10hipError_tPvRmT2_T3_mT4_T5_T6_T7_T8_P12ihipStream_tbENKUlT_T0_E_clISt17integral_constantIbLb1EES17_IbLb0EEEEDaS13_S14_EUlS13_E_NS1_11comp_targetILNS1_3genE3ELNS1_11target_archE908ELNS1_3gpuE7ELNS1_3repE0EEENS1_30default_config_static_selectorELNS0_4arch9wavefront6targetE1EEEvT1_
; %bb.0:
	.section	.rodata,"a",@progbits
	.p2align	6, 0x0
	.amdhsa_kernel _ZN7rocprim17ROCPRIM_400000_NS6detail17trampoline_kernelINS0_14default_configENS1_33run_length_encode_config_selectorIbjNS0_4plusIjEEEEZZNS1_33reduce_by_key_impl_wrapped_configILNS1_25lookback_scan_determinismE0ES3_S7_N6hipcub16HIPCUB_304000_NS22TransformInputIteratorIbN2at6native8internal12_GLOBAL__N_110LoadBoolOpEPKhlEENS0_17constant_iteratorIjlEEPbPlSO_S6_NS0_8equal_toIbEEEE10hipError_tPvRmT2_T3_mT4_T5_T6_T7_T8_P12ihipStream_tbENKUlT_T0_E_clISt17integral_constantIbLb1EES17_IbLb0EEEEDaS13_S14_EUlS13_E_NS1_11comp_targetILNS1_3genE3ELNS1_11target_archE908ELNS1_3gpuE7ELNS1_3repE0EEENS1_30default_config_static_selectorELNS0_4arch9wavefront6targetE1EEEvT1_
		.amdhsa_group_segment_fixed_size 0
		.amdhsa_private_segment_fixed_size 0
		.amdhsa_kernarg_size 136
		.amdhsa_user_sgpr_count 6
		.amdhsa_user_sgpr_private_segment_buffer 1
		.amdhsa_user_sgpr_dispatch_ptr 0
		.amdhsa_user_sgpr_queue_ptr 0
		.amdhsa_user_sgpr_kernarg_segment_ptr 1
		.amdhsa_user_sgpr_dispatch_id 0
		.amdhsa_user_sgpr_flat_scratch_init 0
		.amdhsa_user_sgpr_kernarg_preload_length 0
		.amdhsa_user_sgpr_kernarg_preload_offset 0
		.amdhsa_user_sgpr_private_segment_size 0
		.amdhsa_uses_dynamic_stack 0
		.amdhsa_system_sgpr_private_segment_wavefront_offset 0
		.amdhsa_system_sgpr_workgroup_id_x 1
		.amdhsa_system_sgpr_workgroup_id_y 0
		.amdhsa_system_sgpr_workgroup_id_z 0
		.amdhsa_system_sgpr_workgroup_info 0
		.amdhsa_system_vgpr_workitem_id 0
		.amdhsa_next_free_vgpr 1
		.amdhsa_next_free_sgpr 0
		.amdhsa_accum_offset 4
		.amdhsa_reserve_vcc 0
		.amdhsa_reserve_flat_scratch 0
		.amdhsa_float_round_mode_32 0
		.amdhsa_float_round_mode_16_64 0
		.amdhsa_float_denorm_mode_32 3
		.amdhsa_float_denorm_mode_16_64 3
		.amdhsa_dx10_clamp 1
		.amdhsa_ieee_mode 1
		.amdhsa_fp16_overflow 0
		.amdhsa_tg_split 0
		.amdhsa_exception_fp_ieee_invalid_op 0
		.amdhsa_exception_fp_denorm_src 0
		.amdhsa_exception_fp_ieee_div_zero 0
		.amdhsa_exception_fp_ieee_overflow 0
		.amdhsa_exception_fp_ieee_underflow 0
		.amdhsa_exception_fp_ieee_inexact 0
		.amdhsa_exception_int_div_zero 0
	.end_amdhsa_kernel
	.section	.text._ZN7rocprim17ROCPRIM_400000_NS6detail17trampoline_kernelINS0_14default_configENS1_33run_length_encode_config_selectorIbjNS0_4plusIjEEEEZZNS1_33reduce_by_key_impl_wrapped_configILNS1_25lookback_scan_determinismE0ES3_S7_N6hipcub16HIPCUB_304000_NS22TransformInputIteratorIbN2at6native8internal12_GLOBAL__N_110LoadBoolOpEPKhlEENS0_17constant_iteratorIjlEEPbPlSO_S6_NS0_8equal_toIbEEEE10hipError_tPvRmT2_T3_mT4_T5_T6_T7_T8_P12ihipStream_tbENKUlT_T0_E_clISt17integral_constantIbLb1EES17_IbLb0EEEEDaS13_S14_EUlS13_E_NS1_11comp_targetILNS1_3genE3ELNS1_11target_archE908ELNS1_3gpuE7ELNS1_3repE0EEENS1_30default_config_static_selectorELNS0_4arch9wavefront6targetE1EEEvT1_,"axG",@progbits,_ZN7rocprim17ROCPRIM_400000_NS6detail17trampoline_kernelINS0_14default_configENS1_33run_length_encode_config_selectorIbjNS0_4plusIjEEEEZZNS1_33reduce_by_key_impl_wrapped_configILNS1_25lookback_scan_determinismE0ES3_S7_N6hipcub16HIPCUB_304000_NS22TransformInputIteratorIbN2at6native8internal12_GLOBAL__N_110LoadBoolOpEPKhlEENS0_17constant_iteratorIjlEEPbPlSO_S6_NS0_8equal_toIbEEEE10hipError_tPvRmT2_T3_mT4_T5_T6_T7_T8_P12ihipStream_tbENKUlT_T0_E_clISt17integral_constantIbLb1EES17_IbLb0EEEEDaS13_S14_EUlS13_E_NS1_11comp_targetILNS1_3genE3ELNS1_11target_archE908ELNS1_3gpuE7ELNS1_3repE0EEENS1_30default_config_static_selectorELNS0_4arch9wavefront6targetE1EEEvT1_,comdat
.Lfunc_end81:
	.size	_ZN7rocprim17ROCPRIM_400000_NS6detail17trampoline_kernelINS0_14default_configENS1_33run_length_encode_config_selectorIbjNS0_4plusIjEEEEZZNS1_33reduce_by_key_impl_wrapped_configILNS1_25lookback_scan_determinismE0ES3_S7_N6hipcub16HIPCUB_304000_NS22TransformInputIteratorIbN2at6native8internal12_GLOBAL__N_110LoadBoolOpEPKhlEENS0_17constant_iteratorIjlEEPbPlSO_S6_NS0_8equal_toIbEEEE10hipError_tPvRmT2_T3_mT4_T5_T6_T7_T8_P12ihipStream_tbENKUlT_T0_E_clISt17integral_constantIbLb1EES17_IbLb0EEEEDaS13_S14_EUlS13_E_NS1_11comp_targetILNS1_3genE3ELNS1_11target_archE908ELNS1_3gpuE7ELNS1_3repE0EEENS1_30default_config_static_selectorELNS0_4arch9wavefront6targetE1EEEvT1_, .Lfunc_end81-_ZN7rocprim17ROCPRIM_400000_NS6detail17trampoline_kernelINS0_14default_configENS1_33run_length_encode_config_selectorIbjNS0_4plusIjEEEEZZNS1_33reduce_by_key_impl_wrapped_configILNS1_25lookback_scan_determinismE0ES3_S7_N6hipcub16HIPCUB_304000_NS22TransformInputIteratorIbN2at6native8internal12_GLOBAL__N_110LoadBoolOpEPKhlEENS0_17constant_iteratorIjlEEPbPlSO_S6_NS0_8equal_toIbEEEE10hipError_tPvRmT2_T3_mT4_T5_T6_T7_T8_P12ihipStream_tbENKUlT_T0_E_clISt17integral_constantIbLb1EES17_IbLb0EEEEDaS13_S14_EUlS13_E_NS1_11comp_targetILNS1_3genE3ELNS1_11target_archE908ELNS1_3gpuE7ELNS1_3repE0EEENS1_30default_config_static_selectorELNS0_4arch9wavefront6targetE1EEEvT1_
                                        ; -- End function
	.section	.AMDGPU.csdata,"",@progbits
; Kernel info:
; codeLenInByte = 0
; NumSgprs: 4
; NumVgprs: 0
; NumAgprs: 0
; TotalNumVgprs: 0
; ScratchSize: 0
; MemoryBound: 0
; FloatMode: 240
; IeeeMode: 1
; LDSByteSize: 0 bytes/workgroup (compile time only)
; SGPRBlocks: 0
; VGPRBlocks: 0
; NumSGPRsForWavesPerEU: 4
; NumVGPRsForWavesPerEU: 1
; AccumOffset: 4
; Occupancy: 8
; WaveLimiterHint : 0
; COMPUTE_PGM_RSRC2:SCRATCH_EN: 0
; COMPUTE_PGM_RSRC2:USER_SGPR: 6
; COMPUTE_PGM_RSRC2:TRAP_HANDLER: 0
; COMPUTE_PGM_RSRC2:TGID_X_EN: 1
; COMPUTE_PGM_RSRC2:TGID_Y_EN: 0
; COMPUTE_PGM_RSRC2:TGID_Z_EN: 0
; COMPUTE_PGM_RSRC2:TIDIG_COMP_CNT: 0
; COMPUTE_PGM_RSRC3_GFX90A:ACCUM_OFFSET: 0
; COMPUTE_PGM_RSRC3_GFX90A:TG_SPLIT: 0
	.section	.text._ZN7rocprim17ROCPRIM_400000_NS6detail17trampoline_kernelINS0_14default_configENS1_33run_length_encode_config_selectorIbjNS0_4plusIjEEEEZZNS1_33reduce_by_key_impl_wrapped_configILNS1_25lookback_scan_determinismE0ES3_S7_N6hipcub16HIPCUB_304000_NS22TransformInputIteratorIbN2at6native8internal12_GLOBAL__N_110LoadBoolOpEPKhlEENS0_17constant_iteratorIjlEEPbPlSO_S6_NS0_8equal_toIbEEEE10hipError_tPvRmT2_T3_mT4_T5_T6_T7_T8_P12ihipStream_tbENKUlT_T0_E_clISt17integral_constantIbLb1EES17_IbLb0EEEEDaS13_S14_EUlS13_E_NS1_11comp_targetILNS1_3genE2ELNS1_11target_archE906ELNS1_3gpuE6ELNS1_3repE0EEENS1_30default_config_static_selectorELNS0_4arch9wavefront6targetE1EEEvT1_,"axG",@progbits,_ZN7rocprim17ROCPRIM_400000_NS6detail17trampoline_kernelINS0_14default_configENS1_33run_length_encode_config_selectorIbjNS0_4plusIjEEEEZZNS1_33reduce_by_key_impl_wrapped_configILNS1_25lookback_scan_determinismE0ES3_S7_N6hipcub16HIPCUB_304000_NS22TransformInputIteratorIbN2at6native8internal12_GLOBAL__N_110LoadBoolOpEPKhlEENS0_17constant_iteratorIjlEEPbPlSO_S6_NS0_8equal_toIbEEEE10hipError_tPvRmT2_T3_mT4_T5_T6_T7_T8_P12ihipStream_tbENKUlT_T0_E_clISt17integral_constantIbLb1EES17_IbLb0EEEEDaS13_S14_EUlS13_E_NS1_11comp_targetILNS1_3genE2ELNS1_11target_archE906ELNS1_3gpuE6ELNS1_3repE0EEENS1_30default_config_static_selectorELNS0_4arch9wavefront6targetE1EEEvT1_,comdat
	.globl	_ZN7rocprim17ROCPRIM_400000_NS6detail17trampoline_kernelINS0_14default_configENS1_33run_length_encode_config_selectorIbjNS0_4plusIjEEEEZZNS1_33reduce_by_key_impl_wrapped_configILNS1_25lookback_scan_determinismE0ES3_S7_N6hipcub16HIPCUB_304000_NS22TransformInputIteratorIbN2at6native8internal12_GLOBAL__N_110LoadBoolOpEPKhlEENS0_17constant_iteratorIjlEEPbPlSO_S6_NS0_8equal_toIbEEEE10hipError_tPvRmT2_T3_mT4_T5_T6_T7_T8_P12ihipStream_tbENKUlT_T0_E_clISt17integral_constantIbLb1EES17_IbLb0EEEEDaS13_S14_EUlS13_E_NS1_11comp_targetILNS1_3genE2ELNS1_11target_archE906ELNS1_3gpuE6ELNS1_3repE0EEENS1_30default_config_static_selectorELNS0_4arch9wavefront6targetE1EEEvT1_ ; -- Begin function _ZN7rocprim17ROCPRIM_400000_NS6detail17trampoline_kernelINS0_14default_configENS1_33run_length_encode_config_selectorIbjNS0_4plusIjEEEEZZNS1_33reduce_by_key_impl_wrapped_configILNS1_25lookback_scan_determinismE0ES3_S7_N6hipcub16HIPCUB_304000_NS22TransformInputIteratorIbN2at6native8internal12_GLOBAL__N_110LoadBoolOpEPKhlEENS0_17constant_iteratorIjlEEPbPlSO_S6_NS0_8equal_toIbEEEE10hipError_tPvRmT2_T3_mT4_T5_T6_T7_T8_P12ihipStream_tbENKUlT_T0_E_clISt17integral_constantIbLb1EES17_IbLb0EEEEDaS13_S14_EUlS13_E_NS1_11comp_targetILNS1_3genE2ELNS1_11target_archE906ELNS1_3gpuE6ELNS1_3repE0EEENS1_30default_config_static_selectorELNS0_4arch9wavefront6targetE1EEEvT1_
	.p2align	8
	.type	_ZN7rocprim17ROCPRIM_400000_NS6detail17trampoline_kernelINS0_14default_configENS1_33run_length_encode_config_selectorIbjNS0_4plusIjEEEEZZNS1_33reduce_by_key_impl_wrapped_configILNS1_25lookback_scan_determinismE0ES3_S7_N6hipcub16HIPCUB_304000_NS22TransformInputIteratorIbN2at6native8internal12_GLOBAL__N_110LoadBoolOpEPKhlEENS0_17constant_iteratorIjlEEPbPlSO_S6_NS0_8equal_toIbEEEE10hipError_tPvRmT2_T3_mT4_T5_T6_T7_T8_P12ihipStream_tbENKUlT_T0_E_clISt17integral_constantIbLb1EES17_IbLb0EEEEDaS13_S14_EUlS13_E_NS1_11comp_targetILNS1_3genE2ELNS1_11target_archE906ELNS1_3gpuE6ELNS1_3repE0EEENS1_30default_config_static_selectorELNS0_4arch9wavefront6targetE1EEEvT1_,@function
_ZN7rocprim17ROCPRIM_400000_NS6detail17trampoline_kernelINS0_14default_configENS1_33run_length_encode_config_selectorIbjNS0_4plusIjEEEEZZNS1_33reduce_by_key_impl_wrapped_configILNS1_25lookback_scan_determinismE0ES3_S7_N6hipcub16HIPCUB_304000_NS22TransformInputIteratorIbN2at6native8internal12_GLOBAL__N_110LoadBoolOpEPKhlEENS0_17constant_iteratorIjlEEPbPlSO_S6_NS0_8equal_toIbEEEE10hipError_tPvRmT2_T3_mT4_T5_T6_T7_T8_P12ihipStream_tbENKUlT_T0_E_clISt17integral_constantIbLb1EES17_IbLb0EEEEDaS13_S14_EUlS13_E_NS1_11comp_targetILNS1_3genE2ELNS1_11target_archE906ELNS1_3gpuE6ELNS1_3repE0EEENS1_30default_config_static_selectorELNS0_4arch9wavefront6targetE1EEEvT1_: ; @_ZN7rocprim17ROCPRIM_400000_NS6detail17trampoline_kernelINS0_14default_configENS1_33run_length_encode_config_selectorIbjNS0_4plusIjEEEEZZNS1_33reduce_by_key_impl_wrapped_configILNS1_25lookback_scan_determinismE0ES3_S7_N6hipcub16HIPCUB_304000_NS22TransformInputIteratorIbN2at6native8internal12_GLOBAL__N_110LoadBoolOpEPKhlEENS0_17constant_iteratorIjlEEPbPlSO_S6_NS0_8equal_toIbEEEE10hipError_tPvRmT2_T3_mT4_T5_T6_T7_T8_P12ihipStream_tbENKUlT_T0_E_clISt17integral_constantIbLb1EES17_IbLb0EEEEDaS13_S14_EUlS13_E_NS1_11comp_targetILNS1_3genE2ELNS1_11target_archE906ELNS1_3gpuE6ELNS1_3repE0EEENS1_30default_config_static_selectorELNS0_4arch9wavefront6targetE1EEEvT1_
; %bb.0:
	.section	.rodata,"a",@progbits
	.p2align	6, 0x0
	.amdhsa_kernel _ZN7rocprim17ROCPRIM_400000_NS6detail17trampoline_kernelINS0_14default_configENS1_33run_length_encode_config_selectorIbjNS0_4plusIjEEEEZZNS1_33reduce_by_key_impl_wrapped_configILNS1_25lookback_scan_determinismE0ES3_S7_N6hipcub16HIPCUB_304000_NS22TransformInputIteratorIbN2at6native8internal12_GLOBAL__N_110LoadBoolOpEPKhlEENS0_17constant_iteratorIjlEEPbPlSO_S6_NS0_8equal_toIbEEEE10hipError_tPvRmT2_T3_mT4_T5_T6_T7_T8_P12ihipStream_tbENKUlT_T0_E_clISt17integral_constantIbLb1EES17_IbLb0EEEEDaS13_S14_EUlS13_E_NS1_11comp_targetILNS1_3genE2ELNS1_11target_archE906ELNS1_3gpuE6ELNS1_3repE0EEENS1_30default_config_static_selectorELNS0_4arch9wavefront6targetE1EEEvT1_
		.amdhsa_group_segment_fixed_size 0
		.amdhsa_private_segment_fixed_size 0
		.amdhsa_kernarg_size 136
		.amdhsa_user_sgpr_count 6
		.amdhsa_user_sgpr_private_segment_buffer 1
		.amdhsa_user_sgpr_dispatch_ptr 0
		.amdhsa_user_sgpr_queue_ptr 0
		.amdhsa_user_sgpr_kernarg_segment_ptr 1
		.amdhsa_user_sgpr_dispatch_id 0
		.amdhsa_user_sgpr_flat_scratch_init 0
		.amdhsa_user_sgpr_kernarg_preload_length 0
		.amdhsa_user_sgpr_kernarg_preload_offset 0
		.amdhsa_user_sgpr_private_segment_size 0
		.amdhsa_uses_dynamic_stack 0
		.amdhsa_system_sgpr_private_segment_wavefront_offset 0
		.amdhsa_system_sgpr_workgroup_id_x 1
		.amdhsa_system_sgpr_workgroup_id_y 0
		.amdhsa_system_sgpr_workgroup_id_z 0
		.amdhsa_system_sgpr_workgroup_info 0
		.amdhsa_system_vgpr_workitem_id 0
		.amdhsa_next_free_vgpr 1
		.amdhsa_next_free_sgpr 0
		.amdhsa_accum_offset 4
		.amdhsa_reserve_vcc 0
		.amdhsa_reserve_flat_scratch 0
		.amdhsa_float_round_mode_32 0
		.amdhsa_float_round_mode_16_64 0
		.amdhsa_float_denorm_mode_32 3
		.amdhsa_float_denorm_mode_16_64 3
		.amdhsa_dx10_clamp 1
		.amdhsa_ieee_mode 1
		.amdhsa_fp16_overflow 0
		.amdhsa_tg_split 0
		.amdhsa_exception_fp_ieee_invalid_op 0
		.amdhsa_exception_fp_denorm_src 0
		.amdhsa_exception_fp_ieee_div_zero 0
		.amdhsa_exception_fp_ieee_overflow 0
		.amdhsa_exception_fp_ieee_underflow 0
		.amdhsa_exception_fp_ieee_inexact 0
		.amdhsa_exception_int_div_zero 0
	.end_amdhsa_kernel
	.section	.text._ZN7rocprim17ROCPRIM_400000_NS6detail17trampoline_kernelINS0_14default_configENS1_33run_length_encode_config_selectorIbjNS0_4plusIjEEEEZZNS1_33reduce_by_key_impl_wrapped_configILNS1_25lookback_scan_determinismE0ES3_S7_N6hipcub16HIPCUB_304000_NS22TransformInputIteratorIbN2at6native8internal12_GLOBAL__N_110LoadBoolOpEPKhlEENS0_17constant_iteratorIjlEEPbPlSO_S6_NS0_8equal_toIbEEEE10hipError_tPvRmT2_T3_mT4_T5_T6_T7_T8_P12ihipStream_tbENKUlT_T0_E_clISt17integral_constantIbLb1EES17_IbLb0EEEEDaS13_S14_EUlS13_E_NS1_11comp_targetILNS1_3genE2ELNS1_11target_archE906ELNS1_3gpuE6ELNS1_3repE0EEENS1_30default_config_static_selectorELNS0_4arch9wavefront6targetE1EEEvT1_,"axG",@progbits,_ZN7rocprim17ROCPRIM_400000_NS6detail17trampoline_kernelINS0_14default_configENS1_33run_length_encode_config_selectorIbjNS0_4plusIjEEEEZZNS1_33reduce_by_key_impl_wrapped_configILNS1_25lookback_scan_determinismE0ES3_S7_N6hipcub16HIPCUB_304000_NS22TransformInputIteratorIbN2at6native8internal12_GLOBAL__N_110LoadBoolOpEPKhlEENS0_17constant_iteratorIjlEEPbPlSO_S6_NS0_8equal_toIbEEEE10hipError_tPvRmT2_T3_mT4_T5_T6_T7_T8_P12ihipStream_tbENKUlT_T0_E_clISt17integral_constantIbLb1EES17_IbLb0EEEEDaS13_S14_EUlS13_E_NS1_11comp_targetILNS1_3genE2ELNS1_11target_archE906ELNS1_3gpuE6ELNS1_3repE0EEENS1_30default_config_static_selectorELNS0_4arch9wavefront6targetE1EEEvT1_,comdat
.Lfunc_end82:
	.size	_ZN7rocprim17ROCPRIM_400000_NS6detail17trampoline_kernelINS0_14default_configENS1_33run_length_encode_config_selectorIbjNS0_4plusIjEEEEZZNS1_33reduce_by_key_impl_wrapped_configILNS1_25lookback_scan_determinismE0ES3_S7_N6hipcub16HIPCUB_304000_NS22TransformInputIteratorIbN2at6native8internal12_GLOBAL__N_110LoadBoolOpEPKhlEENS0_17constant_iteratorIjlEEPbPlSO_S6_NS0_8equal_toIbEEEE10hipError_tPvRmT2_T3_mT4_T5_T6_T7_T8_P12ihipStream_tbENKUlT_T0_E_clISt17integral_constantIbLb1EES17_IbLb0EEEEDaS13_S14_EUlS13_E_NS1_11comp_targetILNS1_3genE2ELNS1_11target_archE906ELNS1_3gpuE6ELNS1_3repE0EEENS1_30default_config_static_selectorELNS0_4arch9wavefront6targetE1EEEvT1_, .Lfunc_end82-_ZN7rocprim17ROCPRIM_400000_NS6detail17trampoline_kernelINS0_14default_configENS1_33run_length_encode_config_selectorIbjNS0_4plusIjEEEEZZNS1_33reduce_by_key_impl_wrapped_configILNS1_25lookback_scan_determinismE0ES3_S7_N6hipcub16HIPCUB_304000_NS22TransformInputIteratorIbN2at6native8internal12_GLOBAL__N_110LoadBoolOpEPKhlEENS0_17constant_iteratorIjlEEPbPlSO_S6_NS0_8equal_toIbEEEE10hipError_tPvRmT2_T3_mT4_T5_T6_T7_T8_P12ihipStream_tbENKUlT_T0_E_clISt17integral_constantIbLb1EES17_IbLb0EEEEDaS13_S14_EUlS13_E_NS1_11comp_targetILNS1_3genE2ELNS1_11target_archE906ELNS1_3gpuE6ELNS1_3repE0EEENS1_30default_config_static_selectorELNS0_4arch9wavefront6targetE1EEEvT1_
                                        ; -- End function
	.section	.AMDGPU.csdata,"",@progbits
; Kernel info:
; codeLenInByte = 0
; NumSgprs: 4
; NumVgprs: 0
; NumAgprs: 0
; TotalNumVgprs: 0
; ScratchSize: 0
; MemoryBound: 0
; FloatMode: 240
; IeeeMode: 1
; LDSByteSize: 0 bytes/workgroup (compile time only)
; SGPRBlocks: 0
; VGPRBlocks: 0
; NumSGPRsForWavesPerEU: 4
; NumVGPRsForWavesPerEU: 1
; AccumOffset: 4
; Occupancy: 8
; WaveLimiterHint : 0
; COMPUTE_PGM_RSRC2:SCRATCH_EN: 0
; COMPUTE_PGM_RSRC2:USER_SGPR: 6
; COMPUTE_PGM_RSRC2:TRAP_HANDLER: 0
; COMPUTE_PGM_RSRC2:TGID_X_EN: 1
; COMPUTE_PGM_RSRC2:TGID_Y_EN: 0
; COMPUTE_PGM_RSRC2:TGID_Z_EN: 0
; COMPUTE_PGM_RSRC2:TIDIG_COMP_CNT: 0
; COMPUTE_PGM_RSRC3_GFX90A:ACCUM_OFFSET: 0
; COMPUTE_PGM_RSRC3_GFX90A:TG_SPLIT: 0
	.section	.text._ZN7rocprim17ROCPRIM_400000_NS6detail17trampoline_kernelINS0_14default_configENS1_33run_length_encode_config_selectorIbjNS0_4plusIjEEEEZZNS1_33reduce_by_key_impl_wrapped_configILNS1_25lookback_scan_determinismE0ES3_S7_N6hipcub16HIPCUB_304000_NS22TransformInputIteratorIbN2at6native8internal12_GLOBAL__N_110LoadBoolOpEPKhlEENS0_17constant_iteratorIjlEEPbPlSO_S6_NS0_8equal_toIbEEEE10hipError_tPvRmT2_T3_mT4_T5_T6_T7_T8_P12ihipStream_tbENKUlT_T0_E_clISt17integral_constantIbLb1EES17_IbLb0EEEEDaS13_S14_EUlS13_E_NS1_11comp_targetILNS1_3genE10ELNS1_11target_archE1201ELNS1_3gpuE5ELNS1_3repE0EEENS1_30default_config_static_selectorELNS0_4arch9wavefront6targetE1EEEvT1_,"axG",@progbits,_ZN7rocprim17ROCPRIM_400000_NS6detail17trampoline_kernelINS0_14default_configENS1_33run_length_encode_config_selectorIbjNS0_4plusIjEEEEZZNS1_33reduce_by_key_impl_wrapped_configILNS1_25lookback_scan_determinismE0ES3_S7_N6hipcub16HIPCUB_304000_NS22TransformInputIteratorIbN2at6native8internal12_GLOBAL__N_110LoadBoolOpEPKhlEENS0_17constant_iteratorIjlEEPbPlSO_S6_NS0_8equal_toIbEEEE10hipError_tPvRmT2_T3_mT4_T5_T6_T7_T8_P12ihipStream_tbENKUlT_T0_E_clISt17integral_constantIbLb1EES17_IbLb0EEEEDaS13_S14_EUlS13_E_NS1_11comp_targetILNS1_3genE10ELNS1_11target_archE1201ELNS1_3gpuE5ELNS1_3repE0EEENS1_30default_config_static_selectorELNS0_4arch9wavefront6targetE1EEEvT1_,comdat
	.globl	_ZN7rocprim17ROCPRIM_400000_NS6detail17trampoline_kernelINS0_14default_configENS1_33run_length_encode_config_selectorIbjNS0_4plusIjEEEEZZNS1_33reduce_by_key_impl_wrapped_configILNS1_25lookback_scan_determinismE0ES3_S7_N6hipcub16HIPCUB_304000_NS22TransformInputIteratorIbN2at6native8internal12_GLOBAL__N_110LoadBoolOpEPKhlEENS0_17constant_iteratorIjlEEPbPlSO_S6_NS0_8equal_toIbEEEE10hipError_tPvRmT2_T3_mT4_T5_T6_T7_T8_P12ihipStream_tbENKUlT_T0_E_clISt17integral_constantIbLb1EES17_IbLb0EEEEDaS13_S14_EUlS13_E_NS1_11comp_targetILNS1_3genE10ELNS1_11target_archE1201ELNS1_3gpuE5ELNS1_3repE0EEENS1_30default_config_static_selectorELNS0_4arch9wavefront6targetE1EEEvT1_ ; -- Begin function _ZN7rocprim17ROCPRIM_400000_NS6detail17trampoline_kernelINS0_14default_configENS1_33run_length_encode_config_selectorIbjNS0_4plusIjEEEEZZNS1_33reduce_by_key_impl_wrapped_configILNS1_25lookback_scan_determinismE0ES3_S7_N6hipcub16HIPCUB_304000_NS22TransformInputIteratorIbN2at6native8internal12_GLOBAL__N_110LoadBoolOpEPKhlEENS0_17constant_iteratorIjlEEPbPlSO_S6_NS0_8equal_toIbEEEE10hipError_tPvRmT2_T3_mT4_T5_T6_T7_T8_P12ihipStream_tbENKUlT_T0_E_clISt17integral_constantIbLb1EES17_IbLb0EEEEDaS13_S14_EUlS13_E_NS1_11comp_targetILNS1_3genE10ELNS1_11target_archE1201ELNS1_3gpuE5ELNS1_3repE0EEENS1_30default_config_static_selectorELNS0_4arch9wavefront6targetE1EEEvT1_
	.p2align	8
	.type	_ZN7rocprim17ROCPRIM_400000_NS6detail17trampoline_kernelINS0_14default_configENS1_33run_length_encode_config_selectorIbjNS0_4plusIjEEEEZZNS1_33reduce_by_key_impl_wrapped_configILNS1_25lookback_scan_determinismE0ES3_S7_N6hipcub16HIPCUB_304000_NS22TransformInputIteratorIbN2at6native8internal12_GLOBAL__N_110LoadBoolOpEPKhlEENS0_17constant_iteratorIjlEEPbPlSO_S6_NS0_8equal_toIbEEEE10hipError_tPvRmT2_T3_mT4_T5_T6_T7_T8_P12ihipStream_tbENKUlT_T0_E_clISt17integral_constantIbLb1EES17_IbLb0EEEEDaS13_S14_EUlS13_E_NS1_11comp_targetILNS1_3genE10ELNS1_11target_archE1201ELNS1_3gpuE5ELNS1_3repE0EEENS1_30default_config_static_selectorELNS0_4arch9wavefront6targetE1EEEvT1_,@function
_ZN7rocprim17ROCPRIM_400000_NS6detail17trampoline_kernelINS0_14default_configENS1_33run_length_encode_config_selectorIbjNS0_4plusIjEEEEZZNS1_33reduce_by_key_impl_wrapped_configILNS1_25lookback_scan_determinismE0ES3_S7_N6hipcub16HIPCUB_304000_NS22TransformInputIteratorIbN2at6native8internal12_GLOBAL__N_110LoadBoolOpEPKhlEENS0_17constant_iteratorIjlEEPbPlSO_S6_NS0_8equal_toIbEEEE10hipError_tPvRmT2_T3_mT4_T5_T6_T7_T8_P12ihipStream_tbENKUlT_T0_E_clISt17integral_constantIbLb1EES17_IbLb0EEEEDaS13_S14_EUlS13_E_NS1_11comp_targetILNS1_3genE10ELNS1_11target_archE1201ELNS1_3gpuE5ELNS1_3repE0EEENS1_30default_config_static_selectorELNS0_4arch9wavefront6targetE1EEEvT1_: ; @_ZN7rocprim17ROCPRIM_400000_NS6detail17trampoline_kernelINS0_14default_configENS1_33run_length_encode_config_selectorIbjNS0_4plusIjEEEEZZNS1_33reduce_by_key_impl_wrapped_configILNS1_25lookback_scan_determinismE0ES3_S7_N6hipcub16HIPCUB_304000_NS22TransformInputIteratorIbN2at6native8internal12_GLOBAL__N_110LoadBoolOpEPKhlEENS0_17constant_iteratorIjlEEPbPlSO_S6_NS0_8equal_toIbEEEE10hipError_tPvRmT2_T3_mT4_T5_T6_T7_T8_P12ihipStream_tbENKUlT_T0_E_clISt17integral_constantIbLb1EES17_IbLb0EEEEDaS13_S14_EUlS13_E_NS1_11comp_targetILNS1_3genE10ELNS1_11target_archE1201ELNS1_3gpuE5ELNS1_3repE0EEENS1_30default_config_static_selectorELNS0_4arch9wavefront6targetE1EEEvT1_
; %bb.0:
	.section	.rodata,"a",@progbits
	.p2align	6, 0x0
	.amdhsa_kernel _ZN7rocprim17ROCPRIM_400000_NS6detail17trampoline_kernelINS0_14default_configENS1_33run_length_encode_config_selectorIbjNS0_4plusIjEEEEZZNS1_33reduce_by_key_impl_wrapped_configILNS1_25lookback_scan_determinismE0ES3_S7_N6hipcub16HIPCUB_304000_NS22TransformInputIteratorIbN2at6native8internal12_GLOBAL__N_110LoadBoolOpEPKhlEENS0_17constant_iteratorIjlEEPbPlSO_S6_NS0_8equal_toIbEEEE10hipError_tPvRmT2_T3_mT4_T5_T6_T7_T8_P12ihipStream_tbENKUlT_T0_E_clISt17integral_constantIbLb1EES17_IbLb0EEEEDaS13_S14_EUlS13_E_NS1_11comp_targetILNS1_3genE10ELNS1_11target_archE1201ELNS1_3gpuE5ELNS1_3repE0EEENS1_30default_config_static_selectorELNS0_4arch9wavefront6targetE1EEEvT1_
		.amdhsa_group_segment_fixed_size 0
		.amdhsa_private_segment_fixed_size 0
		.amdhsa_kernarg_size 136
		.amdhsa_user_sgpr_count 6
		.amdhsa_user_sgpr_private_segment_buffer 1
		.amdhsa_user_sgpr_dispatch_ptr 0
		.amdhsa_user_sgpr_queue_ptr 0
		.amdhsa_user_sgpr_kernarg_segment_ptr 1
		.amdhsa_user_sgpr_dispatch_id 0
		.amdhsa_user_sgpr_flat_scratch_init 0
		.amdhsa_user_sgpr_kernarg_preload_length 0
		.amdhsa_user_sgpr_kernarg_preload_offset 0
		.amdhsa_user_sgpr_private_segment_size 0
		.amdhsa_uses_dynamic_stack 0
		.amdhsa_system_sgpr_private_segment_wavefront_offset 0
		.amdhsa_system_sgpr_workgroup_id_x 1
		.amdhsa_system_sgpr_workgroup_id_y 0
		.amdhsa_system_sgpr_workgroup_id_z 0
		.amdhsa_system_sgpr_workgroup_info 0
		.amdhsa_system_vgpr_workitem_id 0
		.amdhsa_next_free_vgpr 1
		.amdhsa_next_free_sgpr 0
		.amdhsa_accum_offset 4
		.amdhsa_reserve_vcc 0
		.amdhsa_reserve_flat_scratch 0
		.amdhsa_float_round_mode_32 0
		.amdhsa_float_round_mode_16_64 0
		.amdhsa_float_denorm_mode_32 3
		.amdhsa_float_denorm_mode_16_64 3
		.amdhsa_dx10_clamp 1
		.amdhsa_ieee_mode 1
		.amdhsa_fp16_overflow 0
		.amdhsa_tg_split 0
		.amdhsa_exception_fp_ieee_invalid_op 0
		.amdhsa_exception_fp_denorm_src 0
		.amdhsa_exception_fp_ieee_div_zero 0
		.amdhsa_exception_fp_ieee_overflow 0
		.amdhsa_exception_fp_ieee_underflow 0
		.amdhsa_exception_fp_ieee_inexact 0
		.amdhsa_exception_int_div_zero 0
	.end_amdhsa_kernel
	.section	.text._ZN7rocprim17ROCPRIM_400000_NS6detail17trampoline_kernelINS0_14default_configENS1_33run_length_encode_config_selectorIbjNS0_4plusIjEEEEZZNS1_33reduce_by_key_impl_wrapped_configILNS1_25lookback_scan_determinismE0ES3_S7_N6hipcub16HIPCUB_304000_NS22TransformInputIteratorIbN2at6native8internal12_GLOBAL__N_110LoadBoolOpEPKhlEENS0_17constant_iteratorIjlEEPbPlSO_S6_NS0_8equal_toIbEEEE10hipError_tPvRmT2_T3_mT4_T5_T6_T7_T8_P12ihipStream_tbENKUlT_T0_E_clISt17integral_constantIbLb1EES17_IbLb0EEEEDaS13_S14_EUlS13_E_NS1_11comp_targetILNS1_3genE10ELNS1_11target_archE1201ELNS1_3gpuE5ELNS1_3repE0EEENS1_30default_config_static_selectorELNS0_4arch9wavefront6targetE1EEEvT1_,"axG",@progbits,_ZN7rocprim17ROCPRIM_400000_NS6detail17trampoline_kernelINS0_14default_configENS1_33run_length_encode_config_selectorIbjNS0_4plusIjEEEEZZNS1_33reduce_by_key_impl_wrapped_configILNS1_25lookback_scan_determinismE0ES3_S7_N6hipcub16HIPCUB_304000_NS22TransformInputIteratorIbN2at6native8internal12_GLOBAL__N_110LoadBoolOpEPKhlEENS0_17constant_iteratorIjlEEPbPlSO_S6_NS0_8equal_toIbEEEE10hipError_tPvRmT2_T3_mT4_T5_T6_T7_T8_P12ihipStream_tbENKUlT_T0_E_clISt17integral_constantIbLb1EES17_IbLb0EEEEDaS13_S14_EUlS13_E_NS1_11comp_targetILNS1_3genE10ELNS1_11target_archE1201ELNS1_3gpuE5ELNS1_3repE0EEENS1_30default_config_static_selectorELNS0_4arch9wavefront6targetE1EEEvT1_,comdat
.Lfunc_end83:
	.size	_ZN7rocprim17ROCPRIM_400000_NS6detail17trampoline_kernelINS0_14default_configENS1_33run_length_encode_config_selectorIbjNS0_4plusIjEEEEZZNS1_33reduce_by_key_impl_wrapped_configILNS1_25lookback_scan_determinismE0ES3_S7_N6hipcub16HIPCUB_304000_NS22TransformInputIteratorIbN2at6native8internal12_GLOBAL__N_110LoadBoolOpEPKhlEENS0_17constant_iteratorIjlEEPbPlSO_S6_NS0_8equal_toIbEEEE10hipError_tPvRmT2_T3_mT4_T5_T6_T7_T8_P12ihipStream_tbENKUlT_T0_E_clISt17integral_constantIbLb1EES17_IbLb0EEEEDaS13_S14_EUlS13_E_NS1_11comp_targetILNS1_3genE10ELNS1_11target_archE1201ELNS1_3gpuE5ELNS1_3repE0EEENS1_30default_config_static_selectorELNS0_4arch9wavefront6targetE1EEEvT1_, .Lfunc_end83-_ZN7rocprim17ROCPRIM_400000_NS6detail17trampoline_kernelINS0_14default_configENS1_33run_length_encode_config_selectorIbjNS0_4plusIjEEEEZZNS1_33reduce_by_key_impl_wrapped_configILNS1_25lookback_scan_determinismE0ES3_S7_N6hipcub16HIPCUB_304000_NS22TransformInputIteratorIbN2at6native8internal12_GLOBAL__N_110LoadBoolOpEPKhlEENS0_17constant_iteratorIjlEEPbPlSO_S6_NS0_8equal_toIbEEEE10hipError_tPvRmT2_T3_mT4_T5_T6_T7_T8_P12ihipStream_tbENKUlT_T0_E_clISt17integral_constantIbLb1EES17_IbLb0EEEEDaS13_S14_EUlS13_E_NS1_11comp_targetILNS1_3genE10ELNS1_11target_archE1201ELNS1_3gpuE5ELNS1_3repE0EEENS1_30default_config_static_selectorELNS0_4arch9wavefront6targetE1EEEvT1_
                                        ; -- End function
	.section	.AMDGPU.csdata,"",@progbits
; Kernel info:
; codeLenInByte = 0
; NumSgprs: 4
; NumVgprs: 0
; NumAgprs: 0
; TotalNumVgprs: 0
; ScratchSize: 0
; MemoryBound: 0
; FloatMode: 240
; IeeeMode: 1
; LDSByteSize: 0 bytes/workgroup (compile time only)
; SGPRBlocks: 0
; VGPRBlocks: 0
; NumSGPRsForWavesPerEU: 4
; NumVGPRsForWavesPerEU: 1
; AccumOffset: 4
; Occupancy: 8
; WaveLimiterHint : 0
; COMPUTE_PGM_RSRC2:SCRATCH_EN: 0
; COMPUTE_PGM_RSRC2:USER_SGPR: 6
; COMPUTE_PGM_RSRC2:TRAP_HANDLER: 0
; COMPUTE_PGM_RSRC2:TGID_X_EN: 1
; COMPUTE_PGM_RSRC2:TGID_Y_EN: 0
; COMPUTE_PGM_RSRC2:TGID_Z_EN: 0
; COMPUTE_PGM_RSRC2:TIDIG_COMP_CNT: 0
; COMPUTE_PGM_RSRC3_GFX90A:ACCUM_OFFSET: 0
; COMPUTE_PGM_RSRC3_GFX90A:TG_SPLIT: 0
	.section	.text._ZN7rocprim17ROCPRIM_400000_NS6detail17trampoline_kernelINS0_14default_configENS1_33run_length_encode_config_selectorIbjNS0_4plusIjEEEEZZNS1_33reduce_by_key_impl_wrapped_configILNS1_25lookback_scan_determinismE0ES3_S7_N6hipcub16HIPCUB_304000_NS22TransformInputIteratorIbN2at6native8internal12_GLOBAL__N_110LoadBoolOpEPKhlEENS0_17constant_iteratorIjlEEPbPlSO_S6_NS0_8equal_toIbEEEE10hipError_tPvRmT2_T3_mT4_T5_T6_T7_T8_P12ihipStream_tbENKUlT_T0_E_clISt17integral_constantIbLb1EES17_IbLb0EEEEDaS13_S14_EUlS13_E_NS1_11comp_targetILNS1_3genE10ELNS1_11target_archE1200ELNS1_3gpuE4ELNS1_3repE0EEENS1_30default_config_static_selectorELNS0_4arch9wavefront6targetE1EEEvT1_,"axG",@progbits,_ZN7rocprim17ROCPRIM_400000_NS6detail17trampoline_kernelINS0_14default_configENS1_33run_length_encode_config_selectorIbjNS0_4plusIjEEEEZZNS1_33reduce_by_key_impl_wrapped_configILNS1_25lookback_scan_determinismE0ES3_S7_N6hipcub16HIPCUB_304000_NS22TransformInputIteratorIbN2at6native8internal12_GLOBAL__N_110LoadBoolOpEPKhlEENS0_17constant_iteratorIjlEEPbPlSO_S6_NS0_8equal_toIbEEEE10hipError_tPvRmT2_T3_mT4_T5_T6_T7_T8_P12ihipStream_tbENKUlT_T0_E_clISt17integral_constantIbLb1EES17_IbLb0EEEEDaS13_S14_EUlS13_E_NS1_11comp_targetILNS1_3genE10ELNS1_11target_archE1200ELNS1_3gpuE4ELNS1_3repE0EEENS1_30default_config_static_selectorELNS0_4arch9wavefront6targetE1EEEvT1_,comdat
	.globl	_ZN7rocprim17ROCPRIM_400000_NS6detail17trampoline_kernelINS0_14default_configENS1_33run_length_encode_config_selectorIbjNS0_4plusIjEEEEZZNS1_33reduce_by_key_impl_wrapped_configILNS1_25lookback_scan_determinismE0ES3_S7_N6hipcub16HIPCUB_304000_NS22TransformInputIteratorIbN2at6native8internal12_GLOBAL__N_110LoadBoolOpEPKhlEENS0_17constant_iteratorIjlEEPbPlSO_S6_NS0_8equal_toIbEEEE10hipError_tPvRmT2_T3_mT4_T5_T6_T7_T8_P12ihipStream_tbENKUlT_T0_E_clISt17integral_constantIbLb1EES17_IbLb0EEEEDaS13_S14_EUlS13_E_NS1_11comp_targetILNS1_3genE10ELNS1_11target_archE1200ELNS1_3gpuE4ELNS1_3repE0EEENS1_30default_config_static_selectorELNS0_4arch9wavefront6targetE1EEEvT1_ ; -- Begin function _ZN7rocprim17ROCPRIM_400000_NS6detail17trampoline_kernelINS0_14default_configENS1_33run_length_encode_config_selectorIbjNS0_4plusIjEEEEZZNS1_33reduce_by_key_impl_wrapped_configILNS1_25lookback_scan_determinismE0ES3_S7_N6hipcub16HIPCUB_304000_NS22TransformInputIteratorIbN2at6native8internal12_GLOBAL__N_110LoadBoolOpEPKhlEENS0_17constant_iteratorIjlEEPbPlSO_S6_NS0_8equal_toIbEEEE10hipError_tPvRmT2_T3_mT4_T5_T6_T7_T8_P12ihipStream_tbENKUlT_T0_E_clISt17integral_constantIbLb1EES17_IbLb0EEEEDaS13_S14_EUlS13_E_NS1_11comp_targetILNS1_3genE10ELNS1_11target_archE1200ELNS1_3gpuE4ELNS1_3repE0EEENS1_30default_config_static_selectorELNS0_4arch9wavefront6targetE1EEEvT1_
	.p2align	8
	.type	_ZN7rocprim17ROCPRIM_400000_NS6detail17trampoline_kernelINS0_14default_configENS1_33run_length_encode_config_selectorIbjNS0_4plusIjEEEEZZNS1_33reduce_by_key_impl_wrapped_configILNS1_25lookback_scan_determinismE0ES3_S7_N6hipcub16HIPCUB_304000_NS22TransformInputIteratorIbN2at6native8internal12_GLOBAL__N_110LoadBoolOpEPKhlEENS0_17constant_iteratorIjlEEPbPlSO_S6_NS0_8equal_toIbEEEE10hipError_tPvRmT2_T3_mT4_T5_T6_T7_T8_P12ihipStream_tbENKUlT_T0_E_clISt17integral_constantIbLb1EES17_IbLb0EEEEDaS13_S14_EUlS13_E_NS1_11comp_targetILNS1_3genE10ELNS1_11target_archE1200ELNS1_3gpuE4ELNS1_3repE0EEENS1_30default_config_static_selectorELNS0_4arch9wavefront6targetE1EEEvT1_,@function
_ZN7rocprim17ROCPRIM_400000_NS6detail17trampoline_kernelINS0_14default_configENS1_33run_length_encode_config_selectorIbjNS0_4plusIjEEEEZZNS1_33reduce_by_key_impl_wrapped_configILNS1_25lookback_scan_determinismE0ES3_S7_N6hipcub16HIPCUB_304000_NS22TransformInputIteratorIbN2at6native8internal12_GLOBAL__N_110LoadBoolOpEPKhlEENS0_17constant_iteratorIjlEEPbPlSO_S6_NS0_8equal_toIbEEEE10hipError_tPvRmT2_T3_mT4_T5_T6_T7_T8_P12ihipStream_tbENKUlT_T0_E_clISt17integral_constantIbLb1EES17_IbLb0EEEEDaS13_S14_EUlS13_E_NS1_11comp_targetILNS1_3genE10ELNS1_11target_archE1200ELNS1_3gpuE4ELNS1_3repE0EEENS1_30default_config_static_selectorELNS0_4arch9wavefront6targetE1EEEvT1_: ; @_ZN7rocprim17ROCPRIM_400000_NS6detail17trampoline_kernelINS0_14default_configENS1_33run_length_encode_config_selectorIbjNS0_4plusIjEEEEZZNS1_33reduce_by_key_impl_wrapped_configILNS1_25lookback_scan_determinismE0ES3_S7_N6hipcub16HIPCUB_304000_NS22TransformInputIteratorIbN2at6native8internal12_GLOBAL__N_110LoadBoolOpEPKhlEENS0_17constant_iteratorIjlEEPbPlSO_S6_NS0_8equal_toIbEEEE10hipError_tPvRmT2_T3_mT4_T5_T6_T7_T8_P12ihipStream_tbENKUlT_T0_E_clISt17integral_constantIbLb1EES17_IbLb0EEEEDaS13_S14_EUlS13_E_NS1_11comp_targetILNS1_3genE10ELNS1_11target_archE1200ELNS1_3gpuE4ELNS1_3repE0EEENS1_30default_config_static_selectorELNS0_4arch9wavefront6targetE1EEEvT1_
; %bb.0:
	.section	.rodata,"a",@progbits
	.p2align	6, 0x0
	.amdhsa_kernel _ZN7rocprim17ROCPRIM_400000_NS6detail17trampoline_kernelINS0_14default_configENS1_33run_length_encode_config_selectorIbjNS0_4plusIjEEEEZZNS1_33reduce_by_key_impl_wrapped_configILNS1_25lookback_scan_determinismE0ES3_S7_N6hipcub16HIPCUB_304000_NS22TransformInputIteratorIbN2at6native8internal12_GLOBAL__N_110LoadBoolOpEPKhlEENS0_17constant_iteratorIjlEEPbPlSO_S6_NS0_8equal_toIbEEEE10hipError_tPvRmT2_T3_mT4_T5_T6_T7_T8_P12ihipStream_tbENKUlT_T0_E_clISt17integral_constantIbLb1EES17_IbLb0EEEEDaS13_S14_EUlS13_E_NS1_11comp_targetILNS1_3genE10ELNS1_11target_archE1200ELNS1_3gpuE4ELNS1_3repE0EEENS1_30default_config_static_selectorELNS0_4arch9wavefront6targetE1EEEvT1_
		.amdhsa_group_segment_fixed_size 0
		.amdhsa_private_segment_fixed_size 0
		.amdhsa_kernarg_size 136
		.amdhsa_user_sgpr_count 6
		.amdhsa_user_sgpr_private_segment_buffer 1
		.amdhsa_user_sgpr_dispatch_ptr 0
		.amdhsa_user_sgpr_queue_ptr 0
		.amdhsa_user_sgpr_kernarg_segment_ptr 1
		.amdhsa_user_sgpr_dispatch_id 0
		.amdhsa_user_sgpr_flat_scratch_init 0
		.amdhsa_user_sgpr_kernarg_preload_length 0
		.amdhsa_user_sgpr_kernarg_preload_offset 0
		.amdhsa_user_sgpr_private_segment_size 0
		.amdhsa_uses_dynamic_stack 0
		.amdhsa_system_sgpr_private_segment_wavefront_offset 0
		.amdhsa_system_sgpr_workgroup_id_x 1
		.amdhsa_system_sgpr_workgroup_id_y 0
		.amdhsa_system_sgpr_workgroup_id_z 0
		.amdhsa_system_sgpr_workgroup_info 0
		.amdhsa_system_vgpr_workitem_id 0
		.amdhsa_next_free_vgpr 1
		.amdhsa_next_free_sgpr 0
		.amdhsa_accum_offset 4
		.amdhsa_reserve_vcc 0
		.amdhsa_reserve_flat_scratch 0
		.amdhsa_float_round_mode_32 0
		.amdhsa_float_round_mode_16_64 0
		.amdhsa_float_denorm_mode_32 3
		.amdhsa_float_denorm_mode_16_64 3
		.amdhsa_dx10_clamp 1
		.amdhsa_ieee_mode 1
		.amdhsa_fp16_overflow 0
		.amdhsa_tg_split 0
		.amdhsa_exception_fp_ieee_invalid_op 0
		.amdhsa_exception_fp_denorm_src 0
		.amdhsa_exception_fp_ieee_div_zero 0
		.amdhsa_exception_fp_ieee_overflow 0
		.amdhsa_exception_fp_ieee_underflow 0
		.amdhsa_exception_fp_ieee_inexact 0
		.amdhsa_exception_int_div_zero 0
	.end_amdhsa_kernel
	.section	.text._ZN7rocprim17ROCPRIM_400000_NS6detail17trampoline_kernelINS0_14default_configENS1_33run_length_encode_config_selectorIbjNS0_4plusIjEEEEZZNS1_33reduce_by_key_impl_wrapped_configILNS1_25lookback_scan_determinismE0ES3_S7_N6hipcub16HIPCUB_304000_NS22TransformInputIteratorIbN2at6native8internal12_GLOBAL__N_110LoadBoolOpEPKhlEENS0_17constant_iteratorIjlEEPbPlSO_S6_NS0_8equal_toIbEEEE10hipError_tPvRmT2_T3_mT4_T5_T6_T7_T8_P12ihipStream_tbENKUlT_T0_E_clISt17integral_constantIbLb1EES17_IbLb0EEEEDaS13_S14_EUlS13_E_NS1_11comp_targetILNS1_3genE10ELNS1_11target_archE1200ELNS1_3gpuE4ELNS1_3repE0EEENS1_30default_config_static_selectorELNS0_4arch9wavefront6targetE1EEEvT1_,"axG",@progbits,_ZN7rocprim17ROCPRIM_400000_NS6detail17trampoline_kernelINS0_14default_configENS1_33run_length_encode_config_selectorIbjNS0_4plusIjEEEEZZNS1_33reduce_by_key_impl_wrapped_configILNS1_25lookback_scan_determinismE0ES3_S7_N6hipcub16HIPCUB_304000_NS22TransformInputIteratorIbN2at6native8internal12_GLOBAL__N_110LoadBoolOpEPKhlEENS0_17constant_iteratorIjlEEPbPlSO_S6_NS0_8equal_toIbEEEE10hipError_tPvRmT2_T3_mT4_T5_T6_T7_T8_P12ihipStream_tbENKUlT_T0_E_clISt17integral_constantIbLb1EES17_IbLb0EEEEDaS13_S14_EUlS13_E_NS1_11comp_targetILNS1_3genE10ELNS1_11target_archE1200ELNS1_3gpuE4ELNS1_3repE0EEENS1_30default_config_static_selectorELNS0_4arch9wavefront6targetE1EEEvT1_,comdat
.Lfunc_end84:
	.size	_ZN7rocprim17ROCPRIM_400000_NS6detail17trampoline_kernelINS0_14default_configENS1_33run_length_encode_config_selectorIbjNS0_4plusIjEEEEZZNS1_33reduce_by_key_impl_wrapped_configILNS1_25lookback_scan_determinismE0ES3_S7_N6hipcub16HIPCUB_304000_NS22TransformInputIteratorIbN2at6native8internal12_GLOBAL__N_110LoadBoolOpEPKhlEENS0_17constant_iteratorIjlEEPbPlSO_S6_NS0_8equal_toIbEEEE10hipError_tPvRmT2_T3_mT4_T5_T6_T7_T8_P12ihipStream_tbENKUlT_T0_E_clISt17integral_constantIbLb1EES17_IbLb0EEEEDaS13_S14_EUlS13_E_NS1_11comp_targetILNS1_3genE10ELNS1_11target_archE1200ELNS1_3gpuE4ELNS1_3repE0EEENS1_30default_config_static_selectorELNS0_4arch9wavefront6targetE1EEEvT1_, .Lfunc_end84-_ZN7rocprim17ROCPRIM_400000_NS6detail17trampoline_kernelINS0_14default_configENS1_33run_length_encode_config_selectorIbjNS0_4plusIjEEEEZZNS1_33reduce_by_key_impl_wrapped_configILNS1_25lookback_scan_determinismE0ES3_S7_N6hipcub16HIPCUB_304000_NS22TransformInputIteratorIbN2at6native8internal12_GLOBAL__N_110LoadBoolOpEPKhlEENS0_17constant_iteratorIjlEEPbPlSO_S6_NS0_8equal_toIbEEEE10hipError_tPvRmT2_T3_mT4_T5_T6_T7_T8_P12ihipStream_tbENKUlT_T0_E_clISt17integral_constantIbLb1EES17_IbLb0EEEEDaS13_S14_EUlS13_E_NS1_11comp_targetILNS1_3genE10ELNS1_11target_archE1200ELNS1_3gpuE4ELNS1_3repE0EEENS1_30default_config_static_selectorELNS0_4arch9wavefront6targetE1EEEvT1_
                                        ; -- End function
	.section	.AMDGPU.csdata,"",@progbits
; Kernel info:
; codeLenInByte = 0
; NumSgprs: 4
; NumVgprs: 0
; NumAgprs: 0
; TotalNumVgprs: 0
; ScratchSize: 0
; MemoryBound: 0
; FloatMode: 240
; IeeeMode: 1
; LDSByteSize: 0 bytes/workgroup (compile time only)
; SGPRBlocks: 0
; VGPRBlocks: 0
; NumSGPRsForWavesPerEU: 4
; NumVGPRsForWavesPerEU: 1
; AccumOffset: 4
; Occupancy: 8
; WaveLimiterHint : 0
; COMPUTE_PGM_RSRC2:SCRATCH_EN: 0
; COMPUTE_PGM_RSRC2:USER_SGPR: 6
; COMPUTE_PGM_RSRC2:TRAP_HANDLER: 0
; COMPUTE_PGM_RSRC2:TGID_X_EN: 1
; COMPUTE_PGM_RSRC2:TGID_Y_EN: 0
; COMPUTE_PGM_RSRC2:TGID_Z_EN: 0
; COMPUTE_PGM_RSRC2:TIDIG_COMP_CNT: 0
; COMPUTE_PGM_RSRC3_GFX90A:ACCUM_OFFSET: 0
; COMPUTE_PGM_RSRC3_GFX90A:TG_SPLIT: 0
	.section	.text._ZN7rocprim17ROCPRIM_400000_NS6detail17trampoline_kernelINS0_14default_configENS1_33run_length_encode_config_selectorIbjNS0_4plusIjEEEEZZNS1_33reduce_by_key_impl_wrapped_configILNS1_25lookback_scan_determinismE0ES3_S7_N6hipcub16HIPCUB_304000_NS22TransformInputIteratorIbN2at6native8internal12_GLOBAL__N_110LoadBoolOpEPKhlEENS0_17constant_iteratorIjlEEPbPlSO_S6_NS0_8equal_toIbEEEE10hipError_tPvRmT2_T3_mT4_T5_T6_T7_T8_P12ihipStream_tbENKUlT_T0_E_clISt17integral_constantIbLb1EES17_IbLb0EEEEDaS13_S14_EUlS13_E_NS1_11comp_targetILNS1_3genE9ELNS1_11target_archE1100ELNS1_3gpuE3ELNS1_3repE0EEENS1_30default_config_static_selectorELNS0_4arch9wavefront6targetE1EEEvT1_,"axG",@progbits,_ZN7rocprim17ROCPRIM_400000_NS6detail17trampoline_kernelINS0_14default_configENS1_33run_length_encode_config_selectorIbjNS0_4plusIjEEEEZZNS1_33reduce_by_key_impl_wrapped_configILNS1_25lookback_scan_determinismE0ES3_S7_N6hipcub16HIPCUB_304000_NS22TransformInputIteratorIbN2at6native8internal12_GLOBAL__N_110LoadBoolOpEPKhlEENS0_17constant_iteratorIjlEEPbPlSO_S6_NS0_8equal_toIbEEEE10hipError_tPvRmT2_T3_mT4_T5_T6_T7_T8_P12ihipStream_tbENKUlT_T0_E_clISt17integral_constantIbLb1EES17_IbLb0EEEEDaS13_S14_EUlS13_E_NS1_11comp_targetILNS1_3genE9ELNS1_11target_archE1100ELNS1_3gpuE3ELNS1_3repE0EEENS1_30default_config_static_selectorELNS0_4arch9wavefront6targetE1EEEvT1_,comdat
	.globl	_ZN7rocprim17ROCPRIM_400000_NS6detail17trampoline_kernelINS0_14default_configENS1_33run_length_encode_config_selectorIbjNS0_4plusIjEEEEZZNS1_33reduce_by_key_impl_wrapped_configILNS1_25lookback_scan_determinismE0ES3_S7_N6hipcub16HIPCUB_304000_NS22TransformInputIteratorIbN2at6native8internal12_GLOBAL__N_110LoadBoolOpEPKhlEENS0_17constant_iteratorIjlEEPbPlSO_S6_NS0_8equal_toIbEEEE10hipError_tPvRmT2_T3_mT4_T5_T6_T7_T8_P12ihipStream_tbENKUlT_T0_E_clISt17integral_constantIbLb1EES17_IbLb0EEEEDaS13_S14_EUlS13_E_NS1_11comp_targetILNS1_3genE9ELNS1_11target_archE1100ELNS1_3gpuE3ELNS1_3repE0EEENS1_30default_config_static_selectorELNS0_4arch9wavefront6targetE1EEEvT1_ ; -- Begin function _ZN7rocprim17ROCPRIM_400000_NS6detail17trampoline_kernelINS0_14default_configENS1_33run_length_encode_config_selectorIbjNS0_4plusIjEEEEZZNS1_33reduce_by_key_impl_wrapped_configILNS1_25lookback_scan_determinismE0ES3_S7_N6hipcub16HIPCUB_304000_NS22TransformInputIteratorIbN2at6native8internal12_GLOBAL__N_110LoadBoolOpEPKhlEENS0_17constant_iteratorIjlEEPbPlSO_S6_NS0_8equal_toIbEEEE10hipError_tPvRmT2_T3_mT4_T5_T6_T7_T8_P12ihipStream_tbENKUlT_T0_E_clISt17integral_constantIbLb1EES17_IbLb0EEEEDaS13_S14_EUlS13_E_NS1_11comp_targetILNS1_3genE9ELNS1_11target_archE1100ELNS1_3gpuE3ELNS1_3repE0EEENS1_30default_config_static_selectorELNS0_4arch9wavefront6targetE1EEEvT1_
	.p2align	8
	.type	_ZN7rocprim17ROCPRIM_400000_NS6detail17trampoline_kernelINS0_14default_configENS1_33run_length_encode_config_selectorIbjNS0_4plusIjEEEEZZNS1_33reduce_by_key_impl_wrapped_configILNS1_25lookback_scan_determinismE0ES3_S7_N6hipcub16HIPCUB_304000_NS22TransformInputIteratorIbN2at6native8internal12_GLOBAL__N_110LoadBoolOpEPKhlEENS0_17constant_iteratorIjlEEPbPlSO_S6_NS0_8equal_toIbEEEE10hipError_tPvRmT2_T3_mT4_T5_T6_T7_T8_P12ihipStream_tbENKUlT_T0_E_clISt17integral_constantIbLb1EES17_IbLb0EEEEDaS13_S14_EUlS13_E_NS1_11comp_targetILNS1_3genE9ELNS1_11target_archE1100ELNS1_3gpuE3ELNS1_3repE0EEENS1_30default_config_static_selectorELNS0_4arch9wavefront6targetE1EEEvT1_,@function
_ZN7rocprim17ROCPRIM_400000_NS6detail17trampoline_kernelINS0_14default_configENS1_33run_length_encode_config_selectorIbjNS0_4plusIjEEEEZZNS1_33reduce_by_key_impl_wrapped_configILNS1_25lookback_scan_determinismE0ES3_S7_N6hipcub16HIPCUB_304000_NS22TransformInputIteratorIbN2at6native8internal12_GLOBAL__N_110LoadBoolOpEPKhlEENS0_17constant_iteratorIjlEEPbPlSO_S6_NS0_8equal_toIbEEEE10hipError_tPvRmT2_T3_mT4_T5_T6_T7_T8_P12ihipStream_tbENKUlT_T0_E_clISt17integral_constantIbLb1EES17_IbLb0EEEEDaS13_S14_EUlS13_E_NS1_11comp_targetILNS1_3genE9ELNS1_11target_archE1100ELNS1_3gpuE3ELNS1_3repE0EEENS1_30default_config_static_selectorELNS0_4arch9wavefront6targetE1EEEvT1_: ; @_ZN7rocprim17ROCPRIM_400000_NS6detail17trampoline_kernelINS0_14default_configENS1_33run_length_encode_config_selectorIbjNS0_4plusIjEEEEZZNS1_33reduce_by_key_impl_wrapped_configILNS1_25lookback_scan_determinismE0ES3_S7_N6hipcub16HIPCUB_304000_NS22TransformInputIteratorIbN2at6native8internal12_GLOBAL__N_110LoadBoolOpEPKhlEENS0_17constant_iteratorIjlEEPbPlSO_S6_NS0_8equal_toIbEEEE10hipError_tPvRmT2_T3_mT4_T5_T6_T7_T8_P12ihipStream_tbENKUlT_T0_E_clISt17integral_constantIbLb1EES17_IbLb0EEEEDaS13_S14_EUlS13_E_NS1_11comp_targetILNS1_3genE9ELNS1_11target_archE1100ELNS1_3gpuE3ELNS1_3repE0EEENS1_30default_config_static_selectorELNS0_4arch9wavefront6targetE1EEEvT1_
; %bb.0:
	.section	.rodata,"a",@progbits
	.p2align	6, 0x0
	.amdhsa_kernel _ZN7rocprim17ROCPRIM_400000_NS6detail17trampoline_kernelINS0_14default_configENS1_33run_length_encode_config_selectorIbjNS0_4plusIjEEEEZZNS1_33reduce_by_key_impl_wrapped_configILNS1_25lookback_scan_determinismE0ES3_S7_N6hipcub16HIPCUB_304000_NS22TransformInputIteratorIbN2at6native8internal12_GLOBAL__N_110LoadBoolOpEPKhlEENS0_17constant_iteratorIjlEEPbPlSO_S6_NS0_8equal_toIbEEEE10hipError_tPvRmT2_T3_mT4_T5_T6_T7_T8_P12ihipStream_tbENKUlT_T0_E_clISt17integral_constantIbLb1EES17_IbLb0EEEEDaS13_S14_EUlS13_E_NS1_11comp_targetILNS1_3genE9ELNS1_11target_archE1100ELNS1_3gpuE3ELNS1_3repE0EEENS1_30default_config_static_selectorELNS0_4arch9wavefront6targetE1EEEvT1_
		.amdhsa_group_segment_fixed_size 0
		.amdhsa_private_segment_fixed_size 0
		.amdhsa_kernarg_size 136
		.amdhsa_user_sgpr_count 6
		.amdhsa_user_sgpr_private_segment_buffer 1
		.amdhsa_user_sgpr_dispatch_ptr 0
		.amdhsa_user_sgpr_queue_ptr 0
		.amdhsa_user_sgpr_kernarg_segment_ptr 1
		.amdhsa_user_sgpr_dispatch_id 0
		.amdhsa_user_sgpr_flat_scratch_init 0
		.amdhsa_user_sgpr_kernarg_preload_length 0
		.amdhsa_user_sgpr_kernarg_preload_offset 0
		.amdhsa_user_sgpr_private_segment_size 0
		.amdhsa_uses_dynamic_stack 0
		.amdhsa_system_sgpr_private_segment_wavefront_offset 0
		.amdhsa_system_sgpr_workgroup_id_x 1
		.amdhsa_system_sgpr_workgroup_id_y 0
		.amdhsa_system_sgpr_workgroup_id_z 0
		.amdhsa_system_sgpr_workgroup_info 0
		.amdhsa_system_vgpr_workitem_id 0
		.amdhsa_next_free_vgpr 1
		.amdhsa_next_free_sgpr 0
		.amdhsa_accum_offset 4
		.amdhsa_reserve_vcc 0
		.amdhsa_reserve_flat_scratch 0
		.amdhsa_float_round_mode_32 0
		.amdhsa_float_round_mode_16_64 0
		.amdhsa_float_denorm_mode_32 3
		.amdhsa_float_denorm_mode_16_64 3
		.amdhsa_dx10_clamp 1
		.amdhsa_ieee_mode 1
		.amdhsa_fp16_overflow 0
		.amdhsa_tg_split 0
		.amdhsa_exception_fp_ieee_invalid_op 0
		.amdhsa_exception_fp_denorm_src 0
		.amdhsa_exception_fp_ieee_div_zero 0
		.amdhsa_exception_fp_ieee_overflow 0
		.amdhsa_exception_fp_ieee_underflow 0
		.amdhsa_exception_fp_ieee_inexact 0
		.amdhsa_exception_int_div_zero 0
	.end_amdhsa_kernel
	.section	.text._ZN7rocprim17ROCPRIM_400000_NS6detail17trampoline_kernelINS0_14default_configENS1_33run_length_encode_config_selectorIbjNS0_4plusIjEEEEZZNS1_33reduce_by_key_impl_wrapped_configILNS1_25lookback_scan_determinismE0ES3_S7_N6hipcub16HIPCUB_304000_NS22TransformInputIteratorIbN2at6native8internal12_GLOBAL__N_110LoadBoolOpEPKhlEENS0_17constant_iteratorIjlEEPbPlSO_S6_NS0_8equal_toIbEEEE10hipError_tPvRmT2_T3_mT4_T5_T6_T7_T8_P12ihipStream_tbENKUlT_T0_E_clISt17integral_constantIbLb1EES17_IbLb0EEEEDaS13_S14_EUlS13_E_NS1_11comp_targetILNS1_3genE9ELNS1_11target_archE1100ELNS1_3gpuE3ELNS1_3repE0EEENS1_30default_config_static_selectorELNS0_4arch9wavefront6targetE1EEEvT1_,"axG",@progbits,_ZN7rocprim17ROCPRIM_400000_NS6detail17trampoline_kernelINS0_14default_configENS1_33run_length_encode_config_selectorIbjNS0_4plusIjEEEEZZNS1_33reduce_by_key_impl_wrapped_configILNS1_25lookback_scan_determinismE0ES3_S7_N6hipcub16HIPCUB_304000_NS22TransformInputIteratorIbN2at6native8internal12_GLOBAL__N_110LoadBoolOpEPKhlEENS0_17constant_iteratorIjlEEPbPlSO_S6_NS0_8equal_toIbEEEE10hipError_tPvRmT2_T3_mT4_T5_T6_T7_T8_P12ihipStream_tbENKUlT_T0_E_clISt17integral_constantIbLb1EES17_IbLb0EEEEDaS13_S14_EUlS13_E_NS1_11comp_targetILNS1_3genE9ELNS1_11target_archE1100ELNS1_3gpuE3ELNS1_3repE0EEENS1_30default_config_static_selectorELNS0_4arch9wavefront6targetE1EEEvT1_,comdat
.Lfunc_end85:
	.size	_ZN7rocprim17ROCPRIM_400000_NS6detail17trampoline_kernelINS0_14default_configENS1_33run_length_encode_config_selectorIbjNS0_4plusIjEEEEZZNS1_33reduce_by_key_impl_wrapped_configILNS1_25lookback_scan_determinismE0ES3_S7_N6hipcub16HIPCUB_304000_NS22TransformInputIteratorIbN2at6native8internal12_GLOBAL__N_110LoadBoolOpEPKhlEENS0_17constant_iteratorIjlEEPbPlSO_S6_NS0_8equal_toIbEEEE10hipError_tPvRmT2_T3_mT4_T5_T6_T7_T8_P12ihipStream_tbENKUlT_T0_E_clISt17integral_constantIbLb1EES17_IbLb0EEEEDaS13_S14_EUlS13_E_NS1_11comp_targetILNS1_3genE9ELNS1_11target_archE1100ELNS1_3gpuE3ELNS1_3repE0EEENS1_30default_config_static_selectorELNS0_4arch9wavefront6targetE1EEEvT1_, .Lfunc_end85-_ZN7rocprim17ROCPRIM_400000_NS6detail17trampoline_kernelINS0_14default_configENS1_33run_length_encode_config_selectorIbjNS0_4plusIjEEEEZZNS1_33reduce_by_key_impl_wrapped_configILNS1_25lookback_scan_determinismE0ES3_S7_N6hipcub16HIPCUB_304000_NS22TransformInputIteratorIbN2at6native8internal12_GLOBAL__N_110LoadBoolOpEPKhlEENS0_17constant_iteratorIjlEEPbPlSO_S6_NS0_8equal_toIbEEEE10hipError_tPvRmT2_T3_mT4_T5_T6_T7_T8_P12ihipStream_tbENKUlT_T0_E_clISt17integral_constantIbLb1EES17_IbLb0EEEEDaS13_S14_EUlS13_E_NS1_11comp_targetILNS1_3genE9ELNS1_11target_archE1100ELNS1_3gpuE3ELNS1_3repE0EEENS1_30default_config_static_selectorELNS0_4arch9wavefront6targetE1EEEvT1_
                                        ; -- End function
	.section	.AMDGPU.csdata,"",@progbits
; Kernel info:
; codeLenInByte = 0
; NumSgprs: 4
; NumVgprs: 0
; NumAgprs: 0
; TotalNumVgprs: 0
; ScratchSize: 0
; MemoryBound: 0
; FloatMode: 240
; IeeeMode: 1
; LDSByteSize: 0 bytes/workgroup (compile time only)
; SGPRBlocks: 0
; VGPRBlocks: 0
; NumSGPRsForWavesPerEU: 4
; NumVGPRsForWavesPerEU: 1
; AccumOffset: 4
; Occupancy: 8
; WaveLimiterHint : 0
; COMPUTE_PGM_RSRC2:SCRATCH_EN: 0
; COMPUTE_PGM_RSRC2:USER_SGPR: 6
; COMPUTE_PGM_RSRC2:TRAP_HANDLER: 0
; COMPUTE_PGM_RSRC2:TGID_X_EN: 1
; COMPUTE_PGM_RSRC2:TGID_Y_EN: 0
; COMPUTE_PGM_RSRC2:TGID_Z_EN: 0
; COMPUTE_PGM_RSRC2:TIDIG_COMP_CNT: 0
; COMPUTE_PGM_RSRC3_GFX90A:ACCUM_OFFSET: 0
; COMPUTE_PGM_RSRC3_GFX90A:TG_SPLIT: 0
	.section	.text._ZN7rocprim17ROCPRIM_400000_NS6detail17trampoline_kernelINS0_14default_configENS1_33run_length_encode_config_selectorIbjNS0_4plusIjEEEEZZNS1_33reduce_by_key_impl_wrapped_configILNS1_25lookback_scan_determinismE0ES3_S7_N6hipcub16HIPCUB_304000_NS22TransformInputIteratorIbN2at6native8internal12_GLOBAL__N_110LoadBoolOpEPKhlEENS0_17constant_iteratorIjlEEPbPlSO_S6_NS0_8equal_toIbEEEE10hipError_tPvRmT2_T3_mT4_T5_T6_T7_T8_P12ihipStream_tbENKUlT_T0_E_clISt17integral_constantIbLb1EES17_IbLb0EEEEDaS13_S14_EUlS13_E_NS1_11comp_targetILNS1_3genE8ELNS1_11target_archE1030ELNS1_3gpuE2ELNS1_3repE0EEENS1_30default_config_static_selectorELNS0_4arch9wavefront6targetE1EEEvT1_,"axG",@progbits,_ZN7rocprim17ROCPRIM_400000_NS6detail17trampoline_kernelINS0_14default_configENS1_33run_length_encode_config_selectorIbjNS0_4plusIjEEEEZZNS1_33reduce_by_key_impl_wrapped_configILNS1_25lookback_scan_determinismE0ES3_S7_N6hipcub16HIPCUB_304000_NS22TransformInputIteratorIbN2at6native8internal12_GLOBAL__N_110LoadBoolOpEPKhlEENS0_17constant_iteratorIjlEEPbPlSO_S6_NS0_8equal_toIbEEEE10hipError_tPvRmT2_T3_mT4_T5_T6_T7_T8_P12ihipStream_tbENKUlT_T0_E_clISt17integral_constantIbLb1EES17_IbLb0EEEEDaS13_S14_EUlS13_E_NS1_11comp_targetILNS1_3genE8ELNS1_11target_archE1030ELNS1_3gpuE2ELNS1_3repE0EEENS1_30default_config_static_selectorELNS0_4arch9wavefront6targetE1EEEvT1_,comdat
	.globl	_ZN7rocprim17ROCPRIM_400000_NS6detail17trampoline_kernelINS0_14default_configENS1_33run_length_encode_config_selectorIbjNS0_4plusIjEEEEZZNS1_33reduce_by_key_impl_wrapped_configILNS1_25lookback_scan_determinismE0ES3_S7_N6hipcub16HIPCUB_304000_NS22TransformInputIteratorIbN2at6native8internal12_GLOBAL__N_110LoadBoolOpEPKhlEENS0_17constant_iteratorIjlEEPbPlSO_S6_NS0_8equal_toIbEEEE10hipError_tPvRmT2_T3_mT4_T5_T6_T7_T8_P12ihipStream_tbENKUlT_T0_E_clISt17integral_constantIbLb1EES17_IbLb0EEEEDaS13_S14_EUlS13_E_NS1_11comp_targetILNS1_3genE8ELNS1_11target_archE1030ELNS1_3gpuE2ELNS1_3repE0EEENS1_30default_config_static_selectorELNS0_4arch9wavefront6targetE1EEEvT1_ ; -- Begin function _ZN7rocprim17ROCPRIM_400000_NS6detail17trampoline_kernelINS0_14default_configENS1_33run_length_encode_config_selectorIbjNS0_4plusIjEEEEZZNS1_33reduce_by_key_impl_wrapped_configILNS1_25lookback_scan_determinismE0ES3_S7_N6hipcub16HIPCUB_304000_NS22TransformInputIteratorIbN2at6native8internal12_GLOBAL__N_110LoadBoolOpEPKhlEENS0_17constant_iteratorIjlEEPbPlSO_S6_NS0_8equal_toIbEEEE10hipError_tPvRmT2_T3_mT4_T5_T6_T7_T8_P12ihipStream_tbENKUlT_T0_E_clISt17integral_constantIbLb1EES17_IbLb0EEEEDaS13_S14_EUlS13_E_NS1_11comp_targetILNS1_3genE8ELNS1_11target_archE1030ELNS1_3gpuE2ELNS1_3repE0EEENS1_30default_config_static_selectorELNS0_4arch9wavefront6targetE1EEEvT1_
	.p2align	8
	.type	_ZN7rocprim17ROCPRIM_400000_NS6detail17trampoline_kernelINS0_14default_configENS1_33run_length_encode_config_selectorIbjNS0_4plusIjEEEEZZNS1_33reduce_by_key_impl_wrapped_configILNS1_25lookback_scan_determinismE0ES3_S7_N6hipcub16HIPCUB_304000_NS22TransformInputIteratorIbN2at6native8internal12_GLOBAL__N_110LoadBoolOpEPKhlEENS0_17constant_iteratorIjlEEPbPlSO_S6_NS0_8equal_toIbEEEE10hipError_tPvRmT2_T3_mT4_T5_T6_T7_T8_P12ihipStream_tbENKUlT_T0_E_clISt17integral_constantIbLb1EES17_IbLb0EEEEDaS13_S14_EUlS13_E_NS1_11comp_targetILNS1_3genE8ELNS1_11target_archE1030ELNS1_3gpuE2ELNS1_3repE0EEENS1_30default_config_static_selectorELNS0_4arch9wavefront6targetE1EEEvT1_,@function
_ZN7rocprim17ROCPRIM_400000_NS6detail17trampoline_kernelINS0_14default_configENS1_33run_length_encode_config_selectorIbjNS0_4plusIjEEEEZZNS1_33reduce_by_key_impl_wrapped_configILNS1_25lookback_scan_determinismE0ES3_S7_N6hipcub16HIPCUB_304000_NS22TransformInputIteratorIbN2at6native8internal12_GLOBAL__N_110LoadBoolOpEPKhlEENS0_17constant_iteratorIjlEEPbPlSO_S6_NS0_8equal_toIbEEEE10hipError_tPvRmT2_T3_mT4_T5_T6_T7_T8_P12ihipStream_tbENKUlT_T0_E_clISt17integral_constantIbLb1EES17_IbLb0EEEEDaS13_S14_EUlS13_E_NS1_11comp_targetILNS1_3genE8ELNS1_11target_archE1030ELNS1_3gpuE2ELNS1_3repE0EEENS1_30default_config_static_selectorELNS0_4arch9wavefront6targetE1EEEvT1_: ; @_ZN7rocprim17ROCPRIM_400000_NS6detail17trampoline_kernelINS0_14default_configENS1_33run_length_encode_config_selectorIbjNS0_4plusIjEEEEZZNS1_33reduce_by_key_impl_wrapped_configILNS1_25lookback_scan_determinismE0ES3_S7_N6hipcub16HIPCUB_304000_NS22TransformInputIteratorIbN2at6native8internal12_GLOBAL__N_110LoadBoolOpEPKhlEENS0_17constant_iteratorIjlEEPbPlSO_S6_NS0_8equal_toIbEEEE10hipError_tPvRmT2_T3_mT4_T5_T6_T7_T8_P12ihipStream_tbENKUlT_T0_E_clISt17integral_constantIbLb1EES17_IbLb0EEEEDaS13_S14_EUlS13_E_NS1_11comp_targetILNS1_3genE8ELNS1_11target_archE1030ELNS1_3gpuE2ELNS1_3repE0EEENS1_30default_config_static_selectorELNS0_4arch9wavefront6targetE1EEEvT1_
; %bb.0:
	.section	.rodata,"a",@progbits
	.p2align	6, 0x0
	.amdhsa_kernel _ZN7rocprim17ROCPRIM_400000_NS6detail17trampoline_kernelINS0_14default_configENS1_33run_length_encode_config_selectorIbjNS0_4plusIjEEEEZZNS1_33reduce_by_key_impl_wrapped_configILNS1_25lookback_scan_determinismE0ES3_S7_N6hipcub16HIPCUB_304000_NS22TransformInputIteratorIbN2at6native8internal12_GLOBAL__N_110LoadBoolOpEPKhlEENS0_17constant_iteratorIjlEEPbPlSO_S6_NS0_8equal_toIbEEEE10hipError_tPvRmT2_T3_mT4_T5_T6_T7_T8_P12ihipStream_tbENKUlT_T0_E_clISt17integral_constantIbLb1EES17_IbLb0EEEEDaS13_S14_EUlS13_E_NS1_11comp_targetILNS1_3genE8ELNS1_11target_archE1030ELNS1_3gpuE2ELNS1_3repE0EEENS1_30default_config_static_selectorELNS0_4arch9wavefront6targetE1EEEvT1_
		.amdhsa_group_segment_fixed_size 0
		.amdhsa_private_segment_fixed_size 0
		.amdhsa_kernarg_size 136
		.amdhsa_user_sgpr_count 6
		.amdhsa_user_sgpr_private_segment_buffer 1
		.amdhsa_user_sgpr_dispatch_ptr 0
		.amdhsa_user_sgpr_queue_ptr 0
		.amdhsa_user_sgpr_kernarg_segment_ptr 1
		.amdhsa_user_sgpr_dispatch_id 0
		.amdhsa_user_sgpr_flat_scratch_init 0
		.amdhsa_user_sgpr_kernarg_preload_length 0
		.amdhsa_user_sgpr_kernarg_preload_offset 0
		.amdhsa_user_sgpr_private_segment_size 0
		.amdhsa_uses_dynamic_stack 0
		.amdhsa_system_sgpr_private_segment_wavefront_offset 0
		.amdhsa_system_sgpr_workgroup_id_x 1
		.amdhsa_system_sgpr_workgroup_id_y 0
		.amdhsa_system_sgpr_workgroup_id_z 0
		.amdhsa_system_sgpr_workgroup_info 0
		.amdhsa_system_vgpr_workitem_id 0
		.amdhsa_next_free_vgpr 1
		.amdhsa_next_free_sgpr 0
		.amdhsa_accum_offset 4
		.amdhsa_reserve_vcc 0
		.amdhsa_reserve_flat_scratch 0
		.amdhsa_float_round_mode_32 0
		.amdhsa_float_round_mode_16_64 0
		.amdhsa_float_denorm_mode_32 3
		.amdhsa_float_denorm_mode_16_64 3
		.amdhsa_dx10_clamp 1
		.amdhsa_ieee_mode 1
		.amdhsa_fp16_overflow 0
		.amdhsa_tg_split 0
		.amdhsa_exception_fp_ieee_invalid_op 0
		.amdhsa_exception_fp_denorm_src 0
		.amdhsa_exception_fp_ieee_div_zero 0
		.amdhsa_exception_fp_ieee_overflow 0
		.amdhsa_exception_fp_ieee_underflow 0
		.amdhsa_exception_fp_ieee_inexact 0
		.amdhsa_exception_int_div_zero 0
	.end_amdhsa_kernel
	.section	.text._ZN7rocprim17ROCPRIM_400000_NS6detail17trampoline_kernelINS0_14default_configENS1_33run_length_encode_config_selectorIbjNS0_4plusIjEEEEZZNS1_33reduce_by_key_impl_wrapped_configILNS1_25lookback_scan_determinismE0ES3_S7_N6hipcub16HIPCUB_304000_NS22TransformInputIteratorIbN2at6native8internal12_GLOBAL__N_110LoadBoolOpEPKhlEENS0_17constant_iteratorIjlEEPbPlSO_S6_NS0_8equal_toIbEEEE10hipError_tPvRmT2_T3_mT4_T5_T6_T7_T8_P12ihipStream_tbENKUlT_T0_E_clISt17integral_constantIbLb1EES17_IbLb0EEEEDaS13_S14_EUlS13_E_NS1_11comp_targetILNS1_3genE8ELNS1_11target_archE1030ELNS1_3gpuE2ELNS1_3repE0EEENS1_30default_config_static_selectorELNS0_4arch9wavefront6targetE1EEEvT1_,"axG",@progbits,_ZN7rocprim17ROCPRIM_400000_NS6detail17trampoline_kernelINS0_14default_configENS1_33run_length_encode_config_selectorIbjNS0_4plusIjEEEEZZNS1_33reduce_by_key_impl_wrapped_configILNS1_25lookback_scan_determinismE0ES3_S7_N6hipcub16HIPCUB_304000_NS22TransformInputIteratorIbN2at6native8internal12_GLOBAL__N_110LoadBoolOpEPKhlEENS0_17constant_iteratorIjlEEPbPlSO_S6_NS0_8equal_toIbEEEE10hipError_tPvRmT2_T3_mT4_T5_T6_T7_T8_P12ihipStream_tbENKUlT_T0_E_clISt17integral_constantIbLb1EES17_IbLb0EEEEDaS13_S14_EUlS13_E_NS1_11comp_targetILNS1_3genE8ELNS1_11target_archE1030ELNS1_3gpuE2ELNS1_3repE0EEENS1_30default_config_static_selectorELNS0_4arch9wavefront6targetE1EEEvT1_,comdat
.Lfunc_end86:
	.size	_ZN7rocprim17ROCPRIM_400000_NS6detail17trampoline_kernelINS0_14default_configENS1_33run_length_encode_config_selectorIbjNS0_4plusIjEEEEZZNS1_33reduce_by_key_impl_wrapped_configILNS1_25lookback_scan_determinismE0ES3_S7_N6hipcub16HIPCUB_304000_NS22TransformInputIteratorIbN2at6native8internal12_GLOBAL__N_110LoadBoolOpEPKhlEENS0_17constant_iteratorIjlEEPbPlSO_S6_NS0_8equal_toIbEEEE10hipError_tPvRmT2_T3_mT4_T5_T6_T7_T8_P12ihipStream_tbENKUlT_T0_E_clISt17integral_constantIbLb1EES17_IbLb0EEEEDaS13_S14_EUlS13_E_NS1_11comp_targetILNS1_3genE8ELNS1_11target_archE1030ELNS1_3gpuE2ELNS1_3repE0EEENS1_30default_config_static_selectorELNS0_4arch9wavefront6targetE1EEEvT1_, .Lfunc_end86-_ZN7rocprim17ROCPRIM_400000_NS6detail17trampoline_kernelINS0_14default_configENS1_33run_length_encode_config_selectorIbjNS0_4plusIjEEEEZZNS1_33reduce_by_key_impl_wrapped_configILNS1_25lookback_scan_determinismE0ES3_S7_N6hipcub16HIPCUB_304000_NS22TransformInputIteratorIbN2at6native8internal12_GLOBAL__N_110LoadBoolOpEPKhlEENS0_17constant_iteratorIjlEEPbPlSO_S6_NS0_8equal_toIbEEEE10hipError_tPvRmT2_T3_mT4_T5_T6_T7_T8_P12ihipStream_tbENKUlT_T0_E_clISt17integral_constantIbLb1EES17_IbLb0EEEEDaS13_S14_EUlS13_E_NS1_11comp_targetILNS1_3genE8ELNS1_11target_archE1030ELNS1_3gpuE2ELNS1_3repE0EEENS1_30default_config_static_selectorELNS0_4arch9wavefront6targetE1EEEvT1_
                                        ; -- End function
	.section	.AMDGPU.csdata,"",@progbits
; Kernel info:
; codeLenInByte = 0
; NumSgprs: 4
; NumVgprs: 0
; NumAgprs: 0
; TotalNumVgprs: 0
; ScratchSize: 0
; MemoryBound: 0
; FloatMode: 240
; IeeeMode: 1
; LDSByteSize: 0 bytes/workgroup (compile time only)
; SGPRBlocks: 0
; VGPRBlocks: 0
; NumSGPRsForWavesPerEU: 4
; NumVGPRsForWavesPerEU: 1
; AccumOffset: 4
; Occupancy: 8
; WaveLimiterHint : 0
; COMPUTE_PGM_RSRC2:SCRATCH_EN: 0
; COMPUTE_PGM_RSRC2:USER_SGPR: 6
; COMPUTE_PGM_RSRC2:TRAP_HANDLER: 0
; COMPUTE_PGM_RSRC2:TGID_X_EN: 1
; COMPUTE_PGM_RSRC2:TGID_Y_EN: 0
; COMPUTE_PGM_RSRC2:TGID_Z_EN: 0
; COMPUTE_PGM_RSRC2:TIDIG_COMP_CNT: 0
; COMPUTE_PGM_RSRC3_GFX90A:ACCUM_OFFSET: 0
; COMPUTE_PGM_RSRC3_GFX90A:TG_SPLIT: 0
	.section	.text._ZN7rocprim17ROCPRIM_400000_NS6detail25reduce_by_key_init_kernelINS1_19lookback_scan_stateINS0_5tupleIJjjEEELb0ELb1EEEjNS1_16block_id_wrapperIjLb1EEEEEvT_jbjPmPT0_T1_,"axG",@progbits,_ZN7rocprim17ROCPRIM_400000_NS6detail25reduce_by_key_init_kernelINS1_19lookback_scan_stateINS0_5tupleIJjjEEELb0ELb1EEEjNS1_16block_id_wrapperIjLb1EEEEEvT_jbjPmPT0_T1_,comdat
	.protected	_ZN7rocprim17ROCPRIM_400000_NS6detail25reduce_by_key_init_kernelINS1_19lookback_scan_stateINS0_5tupleIJjjEEELb0ELb1EEEjNS1_16block_id_wrapperIjLb1EEEEEvT_jbjPmPT0_T1_ ; -- Begin function _ZN7rocprim17ROCPRIM_400000_NS6detail25reduce_by_key_init_kernelINS1_19lookback_scan_stateINS0_5tupleIJjjEEELb0ELb1EEEjNS1_16block_id_wrapperIjLb1EEEEEvT_jbjPmPT0_T1_
	.globl	_ZN7rocprim17ROCPRIM_400000_NS6detail25reduce_by_key_init_kernelINS1_19lookback_scan_stateINS0_5tupleIJjjEEELb0ELb1EEEjNS1_16block_id_wrapperIjLb1EEEEEvT_jbjPmPT0_T1_
	.p2align	8
	.type	_ZN7rocprim17ROCPRIM_400000_NS6detail25reduce_by_key_init_kernelINS1_19lookback_scan_stateINS0_5tupleIJjjEEELb0ELb1EEEjNS1_16block_id_wrapperIjLb1EEEEEvT_jbjPmPT0_T1_,@function
_ZN7rocprim17ROCPRIM_400000_NS6detail25reduce_by_key_init_kernelINS1_19lookback_scan_stateINS0_5tupleIJjjEEELb0ELb1EEEjNS1_16block_id_wrapperIjLb1EEEEEvT_jbjPmPT0_T1_: ; @_ZN7rocprim17ROCPRIM_400000_NS6detail25reduce_by_key_init_kernelINS1_19lookback_scan_stateINS0_5tupleIJjjEEELb0ELb1EEEjNS1_16block_id_wrapperIjLb1EEEEEvT_jbjPmPT0_T1_
; %bb.0:
	s_load_dwordx8 s[8:15], s[4:5], 0x8
	s_load_dword s0, s[4:5], 0x3c
	s_load_dwordx2 s[16:17], s[4:5], 0x28
	s_load_dwordx2 s[2:3], s[4:5], 0x0
	s_waitcnt lgkmcnt(0)
	s_and_b32 s1, s9, 1
	s_and_b32 s0, s0, 0xffff
	s_mul_i32 s6, s6, s0
	s_cmp_eq_u32 s1, 0
	v_add_u32_e32 v0, s6, v0
	s_mov_b64 s[0:1], -1
	s_cbranch_scc1 .LBB87_6
; %bb.1:
	s_andn2_b64 vcc, exec, s[0:1]
	v_cmp_eq_u32_e64 s[0:1], 0, v0
	s_cbranch_vccz .LBB87_13
.LBB87_2:
	v_cmp_eq_u32_e32 vcc, 0, v0
	s_and_saveexec_b64 s[0:1], vcc
	s_cbranch_execnz .LBB87_16
.LBB87_3:
	s_or_b64 exec, exec, s[0:1]
	v_cmp_gt_u32_e32 vcc, s8, v0
	s_and_saveexec_b64 s[0:1], vcc
	s_cbranch_execnz .LBB87_17
.LBB87_4:
	s_or_b64 exec, exec, s[0:1]
	v_cmp_gt_u32_e32 vcc, 64, v0
	s_and_saveexec_b64 s[0:1], vcc
	s_cbranch_execnz .LBB87_18
.LBB87_5:
	s_endpgm
.LBB87_6:
	s_cmp_lt_u32 s10, s8
	s_cselect_b32 s0, s10, 0
	v_cmp_eq_u32_e32 vcc, s0, v0
	s_and_saveexec_b64 s[0:1], vcc
	s_cbranch_execz .LBB87_12
; %bb.7:
	s_add_i32 s4, s10, 64
	s_mov_b32 s5, 0
	s_lshl_b64 s[4:5], s[4:5], 4
	s_add_u32 s10, s2, s4
	s_addc_u32 s11, s3, s5
	v_pk_mov_b32 v[2:3], s[10:11], s[10:11] op_sel:[0,1]
	;;#ASMSTART
	global_load_dwordx4 v[2:5], v[2:3] off glc	
s_waitcnt vmcnt(0)
	;;#ASMEND
	v_mov_b32_e32 v7, 0
	v_and_b32_e32 v6, 0xff, v4
	s_mov_b64 s[6:7], 0
	v_cmp_eq_u64_e32 vcc, 0, v[6:7]
	s_and_saveexec_b64 s[4:5], vcc
	s_cbranch_execz .LBB87_11
; %bb.8:
	v_pk_mov_b32 v[8:9], s[10:11], s[10:11] op_sel:[0,1]
.LBB87_9:                               ; =>This Inner Loop Header: Depth=1
	;;#ASMSTART
	global_load_dwordx4 v[2:5], v[8:9] off glc	
s_waitcnt vmcnt(0)
	;;#ASMEND
	v_and_b32_e32 v6, 0xff, v4
	v_cmp_ne_u64_e32 vcc, 0, v[6:7]
	s_or_b64 s[6:7], vcc, s[6:7]
	s_andn2_b64 exec, exec, s[6:7]
	s_cbranch_execnz .LBB87_9
; %bb.10:
	s_or_b64 exec, exec, s[6:7]
.LBB87_11:
	s_or_b64 exec, exec, s[4:5]
	v_mov_b32_e32 v1, 0
	global_load_dwordx2 v[4:5], v1, s[12:13]
	s_waitcnt vmcnt(0)
	v_add_co_u32_e32 v4, vcc, v4, v2
	v_addc_co_u32_e32 v5, vcc, 0, v5, vcc
	global_store_dwordx2 v1, v[4:5], s[12:13]
	global_store_dword v1, v3, s[14:15]
.LBB87_12:
	s_or_b64 exec, exec, s[0:1]
	v_cmp_eq_u32_e64 s[0:1], 0, v0
	s_cbranch_execnz .LBB87_2
.LBB87_13:
	s_cmp_lg_u64 s[12:13], 0
	s_cselect_b64 s[4:5], -1, 0
	s_and_b64 s[4:5], s[4:5], s[0:1]
	s_and_saveexec_b64 s[0:1], s[4:5]
	s_cbranch_execz .LBB87_15
; %bb.14:
	v_mov_b32_e32 v2, 0
	v_mov_b32_e32 v3, v2
	global_store_dwordx2 v2, v[2:3], s[12:13]
.LBB87_15:
	s_or_b64 exec, exec, s[0:1]
	v_cmp_eq_u32_e32 vcc, 0, v0
	s_and_saveexec_b64 s[0:1], vcc
	s_cbranch_execz .LBB87_3
.LBB87_16:
	v_mov_b32_e32 v1, 0
	global_store_dword v1, v1, s[16:17]
	s_or_b64 exec, exec, s[0:1]
	v_cmp_gt_u32_e32 vcc, s8, v0
	s_and_saveexec_b64 s[0:1], vcc
	s_cbranch_execz .LBB87_4
.LBB87_17:
	v_add_u32_e32 v2, 64, v0
	v_mov_b32_e32 v3, 0
	v_lshlrev_b64 v[4:5], 4, v[2:3]
	v_mov_b32_e32 v1, s3
	v_add_co_u32_e32 v6, vcc, s2, v4
	v_addc_co_u32_e32 v7, vcc, v1, v5, vcc
	v_mov_b32_e32 v2, v3
	v_mov_b32_e32 v4, v3
	;; [unrolled: 1-line block ×3, first 2 shown]
	global_store_dwordx4 v[6:7], v[2:5], off
	s_or_b64 exec, exec, s[0:1]
	v_cmp_gt_u32_e32 vcc, 64, v0
	s_and_saveexec_b64 s[0:1], vcc
	s_cbranch_execz .LBB87_5
.LBB87_18:
	v_mov_b32_e32 v1, 0
	v_lshlrev_b64 v[2:3], 4, v[0:1]
	v_mov_b32_e32 v0, s3
	v_add_co_u32_e32 v4, vcc, s2, v2
	v_addc_co_u32_e32 v5, vcc, v0, v3, vcc
	v_mov_b32_e32 v2, 0xff
	v_mov_b32_e32 v0, v1
	;; [unrolled: 1-line block ×3, first 2 shown]
	global_store_dwordx4 v[4:5], v[0:3], off
	s_endpgm
	.section	.rodata,"a",@progbits
	.p2align	6, 0x0
	.amdhsa_kernel _ZN7rocprim17ROCPRIM_400000_NS6detail25reduce_by_key_init_kernelINS1_19lookback_scan_stateINS0_5tupleIJjjEEELb0ELb1EEEjNS1_16block_id_wrapperIjLb1EEEEEvT_jbjPmPT0_T1_
		.amdhsa_group_segment_fixed_size 0
		.amdhsa_private_segment_fixed_size 0
		.amdhsa_kernarg_size 304
		.amdhsa_user_sgpr_count 6
		.amdhsa_user_sgpr_private_segment_buffer 1
		.amdhsa_user_sgpr_dispatch_ptr 0
		.amdhsa_user_sgpr_queue_ptr 0
		.amdhsa_user_sgpr_kernarg_segment_ptr 1
		.amdhsa_user_sgpr_dispatch_id 0
		.amdhsa_user_sgpr_flat_scratch_init 0
		.amdhsa_user_sgpr_kernarg_preload_length 0
		.amdhsa_user_sgpr_kernarg_preload_offset 0
		.amdhsa_user_sgpr_private_segment_size 0
		.amdhsa_uses_dynamic_stack 0
		.amdhsa_system_sgpr_private_segment_wavefront_offset 0
		.amdhsa_system_sgpr_workgroup_id_x 1
		.amdhsa_system_sgpr_workgroup_id_y 0
		.amdhsa_system_sgpr_workgroup_id_z 0
		.amdhsa_system_sgpr_workgroup_info 0
		.amdhsa_system_vgpr_workitem_id 0
		.amdhsa_next_free_vgpr 10
		.amdhsa_next_free_sgpr 18
		.amdhsa_accum_offset 12
		.amdhsa_reserve_vcc 1
		.amdhsa_reserve_flat_scratch 0
		.amdhsa_float_round_mode_32 0
		.amdhsa_float_round_mode_16_64 0
		.amdhsa_float_denorm_mode_32 3
		.amdhsa_float_denorm_mode_16_64 3
		.amdhsa_dx10_clamp 1
		.amdhsa_ieee_mode 1
		.amdhsa_fp16_overflow 0
		.amdhsa_tg_split 0
		.amdhsa_exception_fp_ieee_invalid_op 0
		.amdhsa_exception_fp_denorm_src 0
		.amdhsa_exception_fp_ieee_div_zero 0
		.amdhsa_exception_fp_ieee_overflow 0
		.amdhsa_exception_fp_ieee_underflow 0
		.amdhsa_exception_fp_ieee_inexact 0
		.amdhsa_exception_int_div_zero 0
	.end_amdhsa_kernel
	.section	.text._ZN7rocprim17ROCPRIM_400000_NS6detail25reduce_by_key_init_kernelINS1_19lookback_scan_stateINS0_5tupleIJjjEEELb0ELb1EEEjNS1_16block_id_wrapperIjLb1EEEEEvT_jbjPmPT0_T1_,"axG",@progbits,_ZN7rocprim17ROCPRIM_400000_NS6detail25reduce_by_key_init_kernelINS1_19lookback_scan_stateINS0_5tupleIJjjEEELb0ELb1EEEjNS1_16block_id_wrapperIjLb1EEEEEvT_jbjPmPT0_T1_,comdat
.Lfunc_end87:
	.size	_ZN7rocprim17ROCPRIM_400000_NS6detail25reduce_by_key_init_kernelINS1_19lookback_scan_stateINS0_5tupleIJjjEEELb0ELb1EEEjNS1_16block_id_wrapperIjLb1EEEEEvT_jbjPmPT0_T1_, .Lfunc_end87-_ZN7rocprim17ROCPRIM_400000_NS6detail25reduce_by_key_init_kernelINS1_19lookback_scan_stateINS0_5tupleIJjjEEELb0ELb1EEEjNS1_16block_id_wrapperIjLb1EEEEEvT_jbjPmPT0_T1_
                                        ; -- End function
	.section	.AMDGPU.csdata,"",@progbits
; Kernel info:
; codeLenInByte = 532
; NumSgprs: 22
; NumVgprs: 10
; NumAgprs: 0
; TotalNumVgprs: 10
; ScratchSize: 0
; MemoryBound: 0
; FloatMode: 240
; IeeeMode: 1
; LDSByteSize: 0 bytes/workgroup (compile time only)
; SGPRBlocks: 2
; VGPRBlocks: 1
; NumSGPRsForWavesPerEU: 22
; NumVGPRsForWavesPerEU: 10
; AccumOffset: 12
; Occupancy: 8
; WaveLimiterHint : 0
; COMPUTE_PGM_RSRC2:SCRATCH_EN: 0
; COMPUTE_PGM_RSRC2:USER_SGPR: 6
; COMPUTE_PGM_RSRC2:TRAP_HANDLER: 0
; COMPUTE_PGM_RSRC2:TGID_X_EN: 1
; COMPUTE_PGM_RSRC2:TGID_Y_EN: 0
; COMPUTE_PGM_RSRC2:TGID_Z_EN: 0
; COMPUTE_PGM_RSRC2:TIDIG_COMP_CNT: 0
; COMPUTE_PGM_RSRC3_GFX90A:ACCUM_OFFSET: 2
; COMPUTE_PGM_RSRC3_GFX90A:TG_SPLIT: 0
	.section	.text._ZN7rocprim17ROCPRIM_400000_NS6detail17trampoline_kernelINS0_14default_configENS1_33run_length_encode_config_selectorIbjNS0_4plusIjEEEEZZNS1_33reduce_by_key_impl_wrapped_configILNS1_25lookback_scan_determinismE0ES3_S7_N6hipcub16HIPCUB_304000_NS22TransformInputIteratorIbN2at6native8internal12_GLOBAL__N_110LoadBoolOpEPKhlEENS0_17constant_iteratorIjlEEPbPlSO_S6_NS0_8equal_toIbEEEE10hipError_tPvRmT2_T3_mT4_T5_T6_T7_T8_P12ihipStream_tbENKUlT_T0_E_clISt17integral_constantIbLb0EES17_IbLb1EEEEDaS13_S14_EUlS13_E_NS1_11comp_targetILNS1_3genE0ELNS1_11target_archE4294967295ELNS1_3gpuE0ELNS1_3repE0EEENS1_30default_config_static_selectorELNS0_4arch9wavefront6targetE1EEEvT1_,"axG",@progbits,_ZN7rocprim17ROCPRIM_400000_NS6detail17trampoline_kernelINS0_14default_configENS1_33run_length_encode_config_selectorIbjNS0_4plusIjEEEEZZNS1_33reduce_by_key_impl_wrapped_configILNS1_25lookback_scan_determinismE0ES3_S7_N6hipcub16HIPCUB_304000_NS22TransformInputIteratorIbN2at6native8internal12_GLOBAL__N_110LoadBoolOpEPKhlEENS0_17constant_iteratorIjlEEPbPlSO_S6_NS0_8equal_toIbEEEE10hipError_tPvRmT2_T3_mT4_T5_T6_T7_T8_P12ihipStream_tbENKUlT_T0_E_clISt17integral_constantIbLb0EES17_IbLb1EEEEDaS13_S14_EUlS13_E_NS1_11comp_targetILNS1_3genE0ELNS1_11target_archE4294967295ELNS1_3gpuE0ELNS1_3repE0EEENS1_30default_config_static_selectorELNS0_4arch9wavefront6targetE1EEEvT1_,comdat
	.globl	_ZN7rocprim17ROCPRIM_400000_NS6detail17trampoline_kernelINS0_14default_configENS1_33run_length_encode_config_selectorIbjNS0_4plusIjEEEEZZNS1_33reduce_by_key_impl_wrapped_configILNS1_25lookback_scan_determinismE0ES3_S7_N6hipcub16HIPCUB_304000_NS22TransformInputIteratorIbN2at6native8internal12_GLOBAL__N_110LoadBoolOpEPKhlEENS0_17constant_iteratorIjlEEPbPlSO_S6_NS0_8equal_toIbEEEE10hipError_tPvRmT2_T3_mT4_T5_T6_T7_T8_P12ihipStream_tbENKUlT_T0_E_clISt17integral_constantIbLb0EES17_IbLb1EEEEDaS13_S14_EUlS13_E_NS1_11comp_targetILNS1_3genE0ELNS1_11target_archE4294967295ELNS1_3gpuE0ELNS1_3repE0EEENS1_30default_config_static_selectorELNS0_4arch9wavefront6targetE1EEEvT1_ ; -- Begin function _ZN7rocprim17ROCPRIM_400000_NS6detail17trampoline_kernelINS0_14default_configENS1_33run_length_encode_config_selectorIbjNS0_4plusIjEEEEZZNS1_33reduce_by_key_impl_wrapped_configILNS1_25lookback_scan_determinismE0ES3_S7_N6hipcub16HIPCUB_304000_NS22TransformInputIteratorIbN2at6native8internal12_GLOBAL__N_110LoadBoolOpEPKhlEENS0_17constant_iteratorIjlEEPbPlSO_S6_NS0_8equal_toIbEEEE10hipError_tPvRmT2_T3_mT4_T5_T6_T7_T8_P12ihipStream_tbENKUlT_T0_E_clISt17integral_constantIbLb0EES17_IbLb1EEEEDaS13_S14_EUlS13_E_NS1_11comp_targetILNS1_3genE0ELNS1_11target_archE4294967295ELNS1_3gpuE0ELNS1_3repE0EEENS1_30default_config_static_selectorELNS0_4arch9wavefront6targetE1EEEvT1_
	.p2align	8
	.type	_ZN7rocprim17ROCPRIM_400000_NS6detail17trampoline_kernelINS0_14default_configENS1_33run_length_encode_config_selectorIbjNS0_4plusIjEEEEZZNS1_33reduce_by_key_impl_wrapped_configILNS1_25lookback_scan_determinismE0ES3_S7_N6hipcub16HIPCUB_304000_NS22TransformInputIteratorIbN2at6native8internal12_GLOBAL__N_110LoadBoolOpEPKhlEENS0_17constant_iteratorIjlEEPbPlSO_S6_NS0_8equal_toIbEEEE10hipError_tPvRmT2_T3_mT4_T5_T6_T7_T8_P12ihipStream_tbENKUlT_T0_E_clISt17integral_constantIbLb0EES17_IbLb1EEEEDaS13_S14_EUlS13_E_NS1_11comp_targetILNS1_3genE0ELNS1_11target_archE4294967295ELNS1_3gpuE0ELNS1_3repE0EEENS1_30default_config_static_selectorELNS0_4arch9wavefront6targetE1EEEvT1_,@function
_ZN7rocprim17ROCPRIM_400000_NS6detail17trampoline_kernelINS0_14default_configENS1_33run_length_encode_config_selectorIbjNS0_4plusIjEEEEZZNS1_33reduce_by_key_impl_wrapped_configILNS1_25lookback_scan_determinismE0ES3_S7_N6hipcub16HIPCUB_304000_NS22TransformInputIteratorIbN2at6native8internal12_GLOBAL__N_110LoadBoolOpEPKhlEENS0_17constant_iteratorIjlEEPbPlSO_S6_NS0_8equal_toIbEEEE10hipError_tPvRmT2_T3_mT4_T5_T6_T7_T8_P12ihipStream_tbENKUlT_T0_E_clISt17integral_constantIbLb0EES17_IbLb1EEEEDaS13_S14_EUlS13_E_NS1_11comp_targetILNS1_3genE0ELNS1_11target_archE4294967295ELNS1_3gpuE0ELNS1_3repE0EEENS1_30default_config_static_selectorELNS0_4arch9wavefront6targetE1EEEvT1_: ; @_ZN7rocprim17ROCPRIM_400000_NS6detail17trampoline_kernelINS0_14default_configENS1_33run_length_encode_config_selectorIbjNS0_4plusIjEEEEZZNS1_33reduce_by_key_impl_wrapped_configILNS1_25lookback_scan_determinismE0ES3_S7_N6hipcub16HIPCUB_304000_NS22TransformInputIteratorIbN2at6native8internal12_GLOBAL__N_110LoadBoolOpEPKhlEENS0_17constant_iteratorIjlEEPbPlSO_S6_NS0_8equal_toIbEEEE10hipError_tPvRmT2_T3_mT4_T5_T6_T7_T8_P12ihipStream_tbENKUlT_T0_E_clISt17integral_constantIbLb0EES17_IbLb1EEEEDaS13_S14_EUlS13_E_NS1_11comp_targetILNS1_3genE0ELNS1_11target_archE4294967295ELNS1_3gpuE0ELNS1_3repE0EEENS1_30default_config_static_selectorELNS0_4arch9wavefront6targetE1EEEvT1_
; %bb.0:
	.section	.rodata,"a",@progbits
	.p2align	6, 0x0
	.amdhsa_kernel _ZN7rocprim17ROCPRIM_400000_NS6detail17trampoline_kernelINS0_14default_configENS1_33run_length_encode_config_selectorIbjNS0_4plusIjEEEEZZNS1_33reduce_by_key_impl_wrapped_configILNS1_25lookback_scan_determinismE0ES3_S7_N6hipcub16HIPCUB_304000_NS22TransformInputIteratorIbN2at6native8internal12_GLOBAL__N_110LoadBoolOpEPKhlEENS0_17constant_iteratorIjlEEPbPlSO_S6_NS0_8equal_toIbEEEE10hipError_tPvRmT2_T3_mT4_T5_T6_T7_T8_P12ihipStream_tbENKUlT_T0_E_clISt17integral_constantIbLb0EES17_IbLb1EEEEDaS13_S14_EUlS13_E_NS1_11comp_targetILNS1_3genE0ELNS1_11target_archE4294967295ELNS1_3gpuE0ELNS1_3repE0EEENS1_30default_config_static_selectorELNS0_4arch9wavefront6targetE1EEEvT1_
		.amdhsa_group_segment_fixed_size 0
		.amdhsa_private_segment_fixed_size 0
		.amdhsa_kernarg_size 136
		.amdhsa_user_sgpr_count 6
		.amdhsa_user_sgpr_private_segment_buffer 1
		.amdhsa_user_sgpr_dispatch_ptr 0
		.amdhsa_user_sgpr_queue_ptr 0
		.amdhsa_user_sgpr_kernarg_segment_ptr 1
		.amdhsa_user_sgpr_dispatch_id 0
		.amdhsa_user_sgpr_flat_scratch_init 0
		.amdhsa_user_sgpr_kernarg_preload_length 0
		.amdhsa_user_sgpr_kernarg_preload_offset 0
		.amdhsa_user_sgpr_private_segment_size 0
		.amdhsa_uses_dynamic_stack 0
		.amdhsa_system_sgpr_private_segment_wavefront_offset 0
		.amdhsa_system_sgpr_workgroup_id_x 1
		.amdhsa_system_sgpr_workgroup_id_y 0
		.amdhsa_system_sgpr_workgroup_id_z 0
		.amdhsa_system_sgpr_workgroup_info 0
		.amdhsa_system_vgpr_workitem_id 0
		.amdhsa_next_free_vgpr 1
		.amdhsa_next_free_sgpr 0
		.amdhsa_accum_offset 4
		.amdhsa_reserve_vcc 0
		.amdhsa_reserve_flat_scratch 0
		.amdhsa_float_round_mode_32 0
		.amdhsa_float_round_mode_16_64 0
		.amdhsa_float_denorm_mode_32 3
		.amdhsa_float_denorm_mode_16_64 3
		.amdhsa_dx10_clamp 1
		.amdhsa_ieee_mode 1
		.amdhsa_fp16_overflow 0
		.amdhsa_tg_split 0
		.amdhsa_exception_fp_ieee_invalid_op 0
		.amdhsa_exception_fp_denorm_src 0
		.amdhsa_exception_fp_ieee_div_zero 0
		.amdhsa_exception_fp_ieee_overflow 0
		.amdhsa_exception_fp_ieee_underflow 0
		.amdhsa_exception_fp_ieee_inexact 0
		.amdhsa_exception_int_div_zero 0
	.end_amdhsa_kernel
	.section	.text._ZN7rocprim17ROCPRIM_400000_NS6detail17trampoline_kernelINS0_14default_configENS1_33run_length_encode_config_selectorIbjNS0_4plusIjEEEEZZNS1_33reduce_by_key_impl_wrapped_configILNS1_25lookback_scan_determinismE0ES3_S7_N6hipcub16HIPCUB_304000_NS22TransformInputIteratorIbN2at6native8internal12_GLOBAL__N_110LoadBoolOpEPKhlEENS0_17constant_iteratorIjlEEPbPlSO_S6_NS0_8equal_toIbEEEE10hipError_tPvRmT2_T3_mT4_T5_T6_T7_T8_P12ihipStream_tbENKUlT_T0_E_clISt17integral_constantIbLb0EES17_IbLb1EEEEDaS13_S14_EUlS13_E_NS1_11comp_targetILNS1_3genE0ELNS1_11target_archE4294967295ELNS1_3gpuE0ELNS1_3repE0EEENS1_30default_config_static_selectorELNS0_4arch9wavefront6targetE1EEEvT1_,"axG",@progbits,_ZN7rocprim17ROCPRIM_400000_NS6detail17trampoline_kernelINS0_14default_configENS1_33run_length_encode_config_selectorIbjNS0_4plusIjEEEEZZNS1_33reduce_by_key_impl_wrapped_configILNS1_25lookback_scan_determinismE0ES3_S7_N6hipcub16HIPCUB_304000_NS22TransformInputIteratorIbN2at6native8internal12_GLOBAL__N_110LoadBoolOpEPKhlEENS0_17constant_iteratorIjlEEPbPlSO_S6_NS0_8equal_toIbEEEE10hipError_tPvRmT2_T3_mT4_T5_T6_T7_T8_P12ihipStream_tbENKUlT_T0_E_clISt17integral_constantIbLb0EES17_IbLb1EEEEDaS13_S14_EUlS13_E_NS1_11comp_targetILNS1_3genE0ELNS1_11target_archE4294967295ELNS1_3gpuE0ELNS1_3repE0EEENS1_30default_config_static_selectorELNS0_4arch9wavefront6targetE1EEEvT1_,comdat
.Lfunc_end88:
	.size	_ZN7rocprim17ROCPRIM_400000_NS6detail17trampoline_kernelINS0_14default_configENS1_33run_length_encode_config_selectorIbjNS0_4plusIjEEEEZZNS1_33reduce_by_key_impl_wrapped_configILNS1_25lookback_scan_determinismE0ES3_S7_N6hipcub16HIPCUB_304000_NS22TransformInputIteratorIbN2at6native8internal12_GLOBAL__N_110LoadBoolOpEPKhlEENS0_17constant_iteratorIjlEEPbPlSO_S6_NS0_8equal_toIbEEEE10hipError_tPvRmT2_T3_mT4_T5_T6_T7_T8_P12ihipStream_tbENKUlT_T0_E_clISt17integral_constantIbLb0EES17_IbLb1EEEEDaS13_S14_EUlS13_E_NS1_11comp_targetILNS1_3genE0ELNS1_11target_archE4294967295ELNS1_3gpuE0ELNS1_3repE0EEENS1_30default_config_static_selectorELNS0_4arch9wavefront6targetE1EEEvT1_, .Lfunc_end88-_ZN7rocprim17ROCPRIM_400000_NS6detail17trampoline_kernelINS0_14default_configENS1_33run_length_encode_config_selectorIbjNS0_4plusIjEEEEZZNS1_33reduce_by_key_impl_wrapped_configILNS1_25lookback_scan_determinismE0ES3_S7_N6hipcub16HIPCUB_304000_NS22TransformInputIteratorIbN2at6native8internal12_GLOBAL__N_110LoadBoolOpEPKhlEENS0_17constant_iteratorIjlEEPbPlSO_S6_NS0_8equal_toIbEEEE10hipError_tPvRmT2_T3_mT4_T5_T6_T7_T8_P12ihipStream_tbENKUlT_T0_E_clISt17integral_constantIbLb0EES17_IbLb1EEEEDaS13_S14_EUlS13_E_NS1_11comp_targetILNS1_3genE0ELNS1_11target_archE4294967295ELNS1_3gpuE0ELNS1_3repE0EEENS1_30default_config_static_selectorELNS0_4arch9wavefront6targetE1EEEvT1_
                                        ; -- End function
	.section	.AMDGPU.csdata,"",@progbits
; Kernel info:
; codeLenInByte = 0
; NumSgprs: 4
; NumVgprs: 0
; NumAgprs: 0
; TotalNumVgprs: 0
; ScratchSize: 0
; MemoryBound: 0
; FloatMode: 240
; IeeeMode: 1
; LDSByteSize: 0 bytes/workgroup (compile time only)
; SGPRBlocks: 0
; VGPRBlocks: 0
; NumSGPRsForWavesPerEU: 4
; NumVGPRsForWavesPerEU: 1
; AccumOffset: 4
; Occupancy: 8
; WaveLimiterHint : 0
; COMPUTE_PGM_RSRC2:SCRATCH_EN: 0
; COMPUTE_PGM_RSRC2:USER_SGPR: 6
; COMPUTE_PGM_RSRC2:TRAP_HANDLER: 0
; COMPUTE_PGM_RSRC2:TGID_X_EN: 1
; COMPUTE_PGM_RSRC2:TGID_Y_EN: 0
; COMPUTE_PGM_RSRC2:TGID_Z_EN: 0
; COMPUTE_PGM_RSRC2:TIDIG_COMP_CNT: 0
; COMPUTE_PGM_RSRC3_GFX90A:ACCUM_OFFSET: 0
; COMPUTE_PGM_RSRC3_GFX90A:TG_SPLIT: 0
	.section	.text._ZN7rocprim17ROCPRIM_400000_NS6detail17trampoline_kernelINS0_14default_configENS1_33run_length_encode_config_selectorIbjNS0_4plusIjEEEEZZNS1_33reduce_by_key_impl_wrapped_configILNS1_25lookback_scan_determinismE0ES3_S7_N6hipcub16HIPCUB_304000_NS22TransformInputIteratorIbN2at6native8internal12_GLOBAL__N_110LoadBoolOpEPKhlEENS0_17constant_iteratorIjlEEPbPlSO_S6_NS0_8equal_toIbEEEE10hipError_tPvRmT2_T3_mT4_T5_T6_T7_T8_P12ihipStream_tbENKUlT_T0_E_clISt17integral_constantIbLb0EES17_IbLb1EEEEDaS13_S14_EUlS13_E_NS1_11comp_targetILNS1_3genE5ELNS1_11target_archE942ELNS1_3gpuE9ELNS1_3repE0EEENS1_30default_config_static_selectorELNS0_4arch9wavefront6targetE1EEEvT1_,"axG",@progbits,_ZN7rocprim17ROCPRIM_400000_NS6detail17trampoline_kernelINS0_14default_configENS1_33run_length_encode_config_selectorIbjNS0_4plusIjEEEEZZNS1_33reduce_by_key_impl_wrapped_configILNS1_25lookback_scan_determinismE0ES3_S7_N6hipcub16HIPCUB_304000_NS22TransformInputIteratorIbN2at6native8internal12_GLOBAL__N_110LoadBoolOpEPKhlEENS0_17constant_iteratorIjlEEPbPlSO_S6_NS0_8equal_toIbEEEE10hipError_tPvRmT2_T3_mT4_T5_T6_T7_T8_P12ihipStream_tbENKUlT_T0_E_clISt17integral_constantIbLb0EES17_IbLb1EEEEDaS13_S14_EUlS13_E_NS1_11comp_targetILNS1_3genE5ELNS1_11target_archE942ELNS1_3gpuE9ELNS1_3repE0EEENS1_30default_config_static_selectorELNS0_4arch9wavefront6targetE1EEEvT1_,comdat
	.globl	_ZN7rocprim17ROCPRIM_400000_NS6detail17trampoline_kernelINS0_14default_configENS1_33run_length_encode_config_selectorIbjNS0_4plusIjEEEEZZNS1_33reduce_by_key_impl_wrapped_configILNS1_25lookback_scan_determinismE0ES3_S7_N6hipcub16HIPCUB_304000_NS22TransformInputIteratorIbN2at6native8internal12_GLOBAL__N_110LoadBoolOpEPKhlEENS0_17constant_iteratorIjlEEPbPlSO_S6_NS0_8equal_toIbEEEE10hipError_tPvRmT2_T3_mT4_T5_T6_T7_T8_P12ihipStream_tbENKUlT_T0_E_clISt17integral_constantIbLb0EES17_IbLb1EEEEDaS13_S14_EUlS13_E_NS1_11comp_targetILNS1_3genE5ELNS1_11target_archE942ELNS1_3gpuE9ELNS1_3repE0EEENS1_30default_config_static_selectorELNS0_4arch9wavefront6targetE1EEEvT1_ ; -- Begin function _ZN7rocprim17ROCPRIM_400000_NS6detail17trampoline_kernelINS0_14default_configENS1_33run_length_encode_config_selectorIbjNS0_4plusIjEEEEZZNS1_33reduce_by_key_impl_wrapped_configILNS1_25lookback_scan_determinismE0ES3_S7_N6hipcub16HIPCUB_304000_NS22TransformInputIteratorIbN2at6native8internal12_GLOBAL__N_110LoadBoolOpEPKhlEENS0_17constant_iteratorIjlEEPbPlSO_S6_NS0_8equal_toIbEEEE10hipError_tPvRmT2_T3_mT4_T5_T6_T7_T8_P12ihipStream_tbENKUlT_T0_E_clISt17integral_constantIbLb0EES17_IbLb1EEEEDaS13_S14_EUlS13_E_NS1_11comp_targetILNS1_3genE5ELNS1_11target_archE942ELNS1_3gpuE9ELNS1_3repE0EEENS1_30default_config_static_selectorELNS0_4arch9wavefront6targetE1EEEvT1_
	.p2align	8
	.type	_ZN7rocprim17ROCPRIM_400000_NS6detail17trampoline_kernelINS0_14default_configENS1_33run_length_encode_config_selectorIbjNS0_4plusIjEEEEZZNS1_33reduce_by_key_impl_wrapped_configILNS1_25lookback_scan_determinismE0ES3_S7_N6hipcub16HIPCUB_304000_NS22TransformInputIteratorIbN2at6native8internal12_GLOBAL__N_110LoadBoolOpEPKhlEENS0_17constant_iteratorIjlEEPbPlSO_S6_NS0_8equal_toIbEEEE10hipError_tPvRmT2_T3_mT4_T5_T6_T7_T8_P12ihipStream_tbENKUlT_T0_E_clISt17integral_constantIbLb0EES17_IbLb1EEEEDaS13_S14_EUlS13_E_NS1_11comp_targetILNS1_3genE5ELNS1_11target_archE942ELNS1_3gpuE9ELNS1_3repE0EEENS1_30default_config_static_selectorELNS0_4arch9wavefront6targetE1EEEvT1_,@function
_ZN7rocprim17ROCPRIM_400000_NS6detail17trampoline_kernelINS0_14default_configENS1_33run_length_encode_config_selectorIbjNS0_4plusIjEEEEZZNS1_33reduce_by_key_impl_wrapped_configILNS1_25lookback_scan_determinismE0ES3_S7_N6hipcub16HIPCUB_304000_NS22TransformInputIteratorIbN2at6native8internal12_GLOBAL__N_110LoadBoolOpEPKhlEENS0_17constant_iteratorIjlEEPbPlSO_S6_NS0_8equal_toIbEEEE10hipError_tPvRmT2_T3_mT4_T5_T6_T7_T8_P12ihipStream_tbENKUlT_T0_E_clISt17integral_constantIbLb0EES17_IbLb1EEEEDaS13_S14_EUlS13_E_NS1_11comp_targetILNS1_3genE5ELNS1_11target_archE942ELNS1_3gpuE9ELNS1_3repE0EEENS1_30default_config_static_selectorELNS0_4arch9wavefront6targetE1EEEvT1_: ; @_ZN7rocprim17ROCPRIM_400000_NS6detail17trampoline_kernelINS0_14default_configENS1_33run_length_encode_config_selectorIbjNS0_4plusIjEEEEZZNS1_33reduce_by_key_impl_wrapped_configILNS1_25lookback_scan_determinismE0ES3_S7_N6hipcub16HIPCUB_304000_NS22TransformInputIteratorIbN2at6native8internal12_GLOBAL__N_110LoadBoolOpEPKhlEENS0_17constant_iteratorIjlEEPbPlSO_S6_NS0_8equal_toIbEEEE10hipError_tPvRmT2_T3_mT4_T5_T6_T7_T8_P12ihipStream_tbENKUlT_T0_E_clISt17integral_constantIbLb0EES17_IbLb1EEEEDaS13_S14_EUlS13_E_NS1_11comp_targetILNS1_3genE5ELNS1_11target_archE942ELNS1_3gpuE9ELNS1_3repE0EEENS1_30default_config_static_selectorELNS0_4arch9wavefront6targetE1EEEvT1_
; %bb.0:
	.section	.rodata,"a",@progbits
	.p2align	6, 0x0
	.amdhsa_kernel _ZN7rocprim17ROCPRIM_400000_NS6detail17trampoline_kernelINS0_14default_configENS1_33run_length_encode_config_selectorIbjNS0_4plusIjEEEEZZNS1_33reduce_by_key_impl_wrapped_configILNS1_25lookback_scan_determinismE0ES3_S7_N6hipcub16HIPCUB_304000_NS22TransformInputIteratorIbN2at6native8internal12_GLOBAL__N_110LoadBoolOpEPKhlEENS0_17constant_iteratorIjlEEPbPlSO_S6_NS0_8equal_toIbEEEE10hipError_tPvRmT2_T3_mT4_T5_T6_T7_T8_P12ihipStream_tbENKUlT_T0_E_clISt17integral_constantIbLb0EES17_IbLb1EEEEDaS13_S14_EUlS13_E_NS1_11comp_targetILNS1_3genE5ELNS1_11target_archE942ELNS1_3gpuE9ELNS1_3repE0EEENS1_30default_config_static_selectorELNS0_4arch9wavefront6targetE1EEEvT1_
		.amdhsa_group_segment_fixed_size 0
		.amdhsa_private_segment_fixed_size 0
		.amdhsa_kernarg_size 136
		.amdhsa_user_sgpr_count 6
		.amdhsa_user_sgpr_private_segment_buffer 1
		.amdhsa_user_sgpr_dispatch_ptr 0
		.amdhsa_user_sgpr_queue_ptr 0
		.amdhsa_user_sgpr_kernarg_segment_ptr 1
		.amdhsa_user_sgpr_dispatch_id 0
		.amdhsa_user_sgpr_flat_scratch_init 0
		.amdhsa_user_sgpr_kernarg_preload_length 0
		.amdhsa_user_sgpr_kernarg_preload_offset 0
		.amdhsa_user_sgpr_private_segment_size 0
		.amdhsa_uses_dynamic_stack 0
		.amdhsa_system_sgpr_private_segment_wavefront_offset 0
		.amdhsa_system_sgpr_workgroup_id_x 1
		.amdhsa_system_sgpr_workgroup_id_y 0
		.amdhsa_system_sgpr_workgroup_id_z 0
		.amdhsa_system_sgpr_workgroup_info 0
		.amdhsa_system_vgpr_workitem_id 0
		.amdhsa_next_free_vgpr 1
		.amdhsa_next_free_sgpr 0
		.amdhsa_accum_offset 4
		.amdhsa_reserve_vcc 0
		.amdhsa_reserve_flat_scratch 0
		.amdhsa_float_round_mode_32 0
		.amdhsa_float_round_mode_16_64 0
		.amdhsa_float_denorm_mode_32 3
		.amdhsa_float_denorm_mode_16_64 3
		.amdhsa_dx10_clamp 1
		.amdhsa_ieee_mode 1
		.amdhsa_fp16_overflow 0
		.amdhsa_tg_split 0
		.amdhsa_exception_fp_ieee_invalid_op 0
		.amdhsa_exception_fp_denorm_src 0
		.amdhsa_exception_fp_ieee_div_zero 0
		.amdhsa_exception_fp_ieee_overflow 0
		.amdhsa_exception_fp_ieee_underflow 0
		.amdhsa_exception_fp_ieee_inexact 0
		.amdhsa_exception_int_div_zero 0
	.end_amdhsa_kernel
	.section	.text._ZN7rocprim17ROCPRIM_400000_NS6detail17trampoline_kernelINS0_14default_configENS1_33run_length_encode_config_selectorIbjNS0_4plusIjEEEEZZNS1_33reduce_by_key_impl_wrapped_configILNS1_25lookback_scan_determinismE0ES3_S7_N6hipcub16HIPCUB_304000_NS22TransformInputIteratorIbN2at6native8internal12_GLOBAL__N_110LoadBoolOpEPKhlEENS0_17constant_iteratorIjlEEPbPlSO_S6_NS0_8equal_toIbEEEE10hipError_tPvRmT2_T3_mT4_T5_T6_T7_T8_P12ihipStream_tbENKUlT_T0_E_clISt17integral_constantIbLb0EES17_IbLb1EEEEDaS13_S14_EUlS13_E_NS1_11comp_targetILNS1_3genE5ELNS1_11target_archE942ELNS1_3gpuE9ELNS1_3repE0EEENS1_30default_config_static_selectorELNS0_4arch9wavefront6targetE1EEEvT1_,"axG",@progbits,_ZN7rocprim17ROCPRIM_400000_NS6detail17trampoline_kernelINS0_14default_configENS1_33run_length_encode_config_selectorIbjNS0_4plusIjEEEEZZNS1_33reduce_by_key_impl_wrapped_configILNS1_25lookback_scan_determinismE0ES3_S7_N6hipcub16HIPCUB_304000_NS22TransformInputIteratorIbN2at6native8internal12_GLOBAL__N_110LoadBoolOpEPKhlEENS0_17constant_iteratorIjlEEPbPlSO_S6_NS0_8equal_toIbEEEE10hipError_tPvRmT2_T3_mT4_T5_T6_T7_T8_P12ihipStream_tbENKUlT_T0_E_clISt17integral_constantIbLb0EES17_IbLb1EEEEDaS13_S14_EUlS13_E_NS1_11comp_targetILNS1_3genE5ELNS1_11target_archE942ELNS1_3gpuE9ELNS1_3repE0EEENS1_30default_config_static_selectorELNS0_4arch9wavefront6targetE1EEEvT1_,comdat
.Lfunc_end89:
	.size	_ZN7rocprim17ROCPRIM_400000_NS6detail17trampoline_kernelINS0_14default_configENS1_33run_length_encode_config_selectorIbjNS0_4plusIjEEEEZZNS1_33reduce_by_key_impl_wrapped_configILNS1_25lookback_scan_determinismE0ES3_S7_N6hipcub16HIPCUB_304000_NS22TransformInputIteratorIbN2at6native8internal12_GLOBAL__N_110LoadBoolOpEPKhlEENS0_17constant_iteratorIjlEEPbPlSO_S6_NS0_8equal_toIbEEEE10hipError_tPvRmT2_T3_mT4_T5_T6_T7_T8_P12ihipStream_tbENKUlT_T0_E_clISt17integral_constantIbLb0EES17_IbLb1EEEEDaS13_S14_EUlS13_E_NS1_11comp_targetILNS1_3genE5ELNS1_11target_archE942ELNS1_3gpuE9ELNS1_3repE0EEENS1_30default_config_static_selectorELNS0_4arch9wavefront6targetE1EEEvT1_, .Lfunc_end89-_ZN7rocprim17ROCPRIM_400000_NS6detail17trampoline_kernelINS0_14default_configENS1_33run_length_encode_config_selectorIbjNS0_4plusIjEEEEZZNS1_33reduce_by_key_impl_wrapped_configILNS1_25lookback_scan_determinismE0ES3_S7_N6hipcub16HIPCUB_304000_NS22TransformInputIteratorIbN2at6native8internal12_GLOBAL__N_110LoadBoolOpEPKhlEENS0_17constant_iteratorIjlEEPbPlSO_S6_NS0_8equal_toIbEEEE10hipError_tPvRmT2_T3_mT4_T5_T6_T7_T8_P12ihipStream_tbENKUlT_T0_E_clISt17integral_constantIbLb0EES17_IbLb1EEEEDaS13_S14_EUlS13_E_NS1_11comp_targetILNS1_3genE5ELNS1_11target_archE942ELNS1_3gpuE9ELNS1_3repE0EEENS1_30default_config_static_selectorELNS0_4arch9wavefront6targetE1EEEvT1_
                                        ; -- End function
	.section	.AMDGPU.csdata,"",@progbits
; Kernel info:
; codeLenInByte = 0
; NumSgprs: 4
; NumVgprs: 0
; NumAgprs: 0
; TotalNumVgprs: 0
; ScratchSize: 0
; MemoryBound: 0
; FloatMode: 240
; IeeeMode: 1
; LDSByteSize: 0 bytes/workgroup (compile time only)
; SGPRBlocks: 0
; VGPRBlocks: 0
; NumSGPRsForWavesPerEU: 4
; NumVGPRsForWavesPerEU: 1
; AccumOffset: 4
; Occupancy: 8
; WaveLimiterHint : 0
; COMPUTE_PGM_RSRC2:SCRATCH_EN: 0
; COMPUTE_PGM_RSRC2:USER_SGPR: 6
; COMPUTE_PGM_RSRC2:TRAP_HANDLER: 0
; COMPUTE_PGM_RSRC2:TGID_X_EN: 1
; COMPUTE_PGM_RSRC2:TGID_Y_EN: 0
; COMPUTE_PGM_RSRC2:TGID_Z_EN: 0
; COMPUTE_PGM_RSRC2:TIDIG_COMP_CNT: 0
; COMPUTE_PGM_RSRC3_GFX90A:ACCUM_OFFSET: 0
; COMPUTE_PGM_RSRC3_GFX90A:TG_SPLIT: 0
	.section	.text._ZN7rocprim17ROCPRIM_400000_NS6detail17trampoline_kernelINS0_14default_configENS1_33run_length_encode_config_selectorIbjNS0_4plusIjEEEEZZNS1_33reduce_by_key_impl_wrapped_configILNS1_25lookback_scan_determinismE0ES3_S7_N6hipcub16HIPCUB_304000_NS22TransformInputIteratorIbN2at6native8internal12_GLOBAL__N_110LoadBoolOpEPKhlEENS0_17constant_iteratorIjlEEPbPlSO_S6_NS0_8equal_toIbEEEE10hipError_tPvRmT2_T3_mT4_T5_T6_T7_T8_P12ihipStream_tbENKUlT_T0_E_clISt17integral_constantIbLb0EES17_IbLb1EEEEDaS13_S14_EUlS13_E_NS1_11comp_targetILNS1_3genE4ELNS1_11target_archE910ELNS1_3gpuE8ELNS1_3repE0EEENS1_30default_config_static_selectorELNS0_4arch9wavefront6targetE1EEEvT1_,"axG",@progbits,_ZN7rocprim17ROCPRIM_400000_NS6detail17trampoline_kernelINS0_14default_configENS1_33run_length_encode_config_selectorIbjNS0_4plusIjEEEEZZNS1_33reduce_by_key_impl_wrapped_configILNS1_25lookback_scan_determinismE0ES3_S7_N6hipcub16HIPCUB_304000_NS22TransformInputIteratorIbN2at6native8internal12_GLOBAL__N_110LoadBoolOpEPKhlEENS0_17constant_iteratorIjlEEPbPlSO_S6_NS0_8equal_toIbEEEE10hipError_tPvRmT2_T3_mT4_T5_T6_T7_T8_P12ihipStream_tbENKUlT_T0_E_clISt17integral_constantIbLb0EES17_IbLb1EEEEDaS13_S14_EUlS13_E_NS1_11comp_targetILNS1_3genE4ELNS1_11target_archE910ELNS1_3gpuE8ELNS1_3repE0EEENS1_30default_config_static_selectorELNS0_4arch9wavefront6targetE1EEEvT1_,comdat
	.globl	_ZN7rocprim17ROCPRIM_400000_NS6detail17trampoline_kernelINS0_14default_configENS1_33run_length_encode_config_selectorIbjNS0_4plusIjEEEEZZNS1_33reduce_by_key_impl_wrapped_configILNS1_25lookback_scan_determinismE0ES3_S7_N6hipcub16HIPCUB_304000_NS22TransformInputIteratorIbN2at6native8internal12_GLOBAL__N_110LoadBoolOpEPKhlEENS0_17constant_iteratorIjlEEPbPlSO_S6_NS0_8equal_toIbEEEE10hipError_tPvRmT2_T3_mT4_T5_T6_T7_T8_P12ihipStream_tbENKUlT_T0_E_clISt17integral_constantIbLb0EES17_IbLb1EEEEDaS13_S14_EUlS13_E_NS1_11comp_targetILNS1_3genE4ELNS1_11target_archE910ELNS1_3gpuE8ELNS1_3repE0EEENS1_30default_config_static_selectorELNS0_4arch9wavefront6targetE1EEEvT1_ ; -- Begin function _ZN7rocprim17ROCPRIM_400000_NS6detail17trampoline_kernelINS0_14default_configENS1_33run_length_encode_config_selectorIbjNS0_4plusIjEEEEZZNS1_33reduce_by_key_impl_wrapped_configILNS1_25lookback_scan_determinismE0ES3_S7_N6hipcub16HIPCUB_304000_NS22TransformInputIteratorIbN2at6native8internal12_GLOBAL__N_110LoadBoolOpEPKhlEENS0_17constant_iteratorIjlEEPbPlSO_S6_NS0_8equal_toIbEEEE10hipError_tPvRmT2_T3_mT4_T5_T6_T7_T8_P12ihipStream_tbENKUlT_T0_E_clISt17integral_constantIbLb0EES17_IbLb1EEEEDaS13_S14_EUlS13_E_NS1_11comp_targetILNS1_3genE4ELNS1_11target_archE910ELNS1_3gpuE8ELNS1_3repE0EEENS1_30default_config_static_selectorELNS0_4arch9wavefront6targetE1EEEvT1_
	.p2align	8
	.type	_ZN7rocprim17ROCPRIM_400000_NS6detail17trampoline_kernelINS0_14default_configENS1_33run_length_encode_config_selectorIbjNS0_4plusIjEEEEZZNS1_33reduce_by_key_impl_wrapped_configILNS1_25lookback_scan_determinismE0ES3_S7_N6hipcub16HIPCUB_304000_NS22TransformInputIteratorIbN2at6native8internal12_GLOBAL__N_110LoadBoolOpEPKhlEENS0_17constant_iteratorIjlEEPbPlSO_S6_NS0_8equal_toIbEEEE10hipError_tPvRmT2_T3_mT4_T5_T6_T7_T8_P12ihipStream_tbENKUlT_T0_E_clISt17integral_constantIbLb0EES17_IbLb1EEEEDaS13_S14_EUlS13_E_NS1_11comp_targetILNS1_3genE4ELNS1_11target_archE910ELNS1_3gpuE8ELNS1_3repE0EEENS1_30default_config_static_selectorELNS0_4arch9wavefront6targetE1EEEvT1_,@function
_ZN7rocprim17ROCPRIM_400000_NS6detail17trampoline_kernelINS0_14default_configENS1_33run_length_encode_config_selectorIbjNS0_4plusIjEEEEZZNS1_33reduce_by_key_impl_wrapped_configILNS1_25lookback_scan_determinismE0ES3_S7_N6hipcub16HIPCUB_304000_NS22TransformInputIteratorIbN2at6native8internal12_GLOBAL__N_110LoadBoolOpEPKhlEENS0_17constant_iteratorIjlEEPbPlSO_S6_NS0_8equal_toIbEEEE10hipError_tPvRmT2_T3_mT4_T5_T6_T7_T8_P12ihipStream_tbENKUlT_T0_E_clISt17integral_constantIbLb0EES17_IbLb1EEEEDaS13_S14_EUlS13_E_NS1_11comp_targetILNS1_3genE4ELNS1_11target_archE910ELNS1_3gpuE8ELNS1_3repE0EEENS1_30default_config_static_selectorELNS0_4arch9wavefront6targetE1EEEvT1_: ; @_ZN7rocprim17ROCPRIM_400000_NS6detail17trampoline_kernelINS0_14default_configENS1_33run_length_encode_config_selectorIbjNS0_4plusIjEEEEZZNS1_33reduce_by_key_impl_wrapped_configILNS1_25lookback_scan_determinismE0ES3_S7_N6hipcub16HIPCUB_304000_NS22TransformInputIteratorIbN2at6native8internal12_GLOBAL__N_110LoadBoolOpEPKhlEENS0_17constant_iteratorIjlEEPbPlSO_S6_NS0_8equal_toIbEEEE10hipError_tPvRmT2_T3_mT4_T5_T6_T7_T8_P12ihipStream_tbENKUlT_T0_E_clISt17integral_constantIbLb0EES17_IbLb1EEEEDaS13_S14_EUlS13_E_NS1_11comp_targetILNS1_3genE4ELNS1_11target_archE910ELNS1_3gpuE8ELNS1_3repE0EEENS1_30default_config_static_selectorELNS0_4arch9wavefront6targetE1EEEvT1_
; %bb.0:
	s_load_dwordx2 s[6:7], s[4:5], 0x0
	s_load_dwordx2 s[8:9], s[4:5], 0x10
	s_load_dword s16, s[4:5], 0x18
	s_load_dwordx4 s[44:47], s[4:5], 0x28
	s_load_dwordx2 s[52:53], s[4:5], 0x38
	s_load_dwordx2 s[34:35], s[4:5], 0x78
	s_load_dwordx4 s[48:51], s[4:5], 0x68
	s_load_dwordx8 s[36:43], s[4:5], 0x48
	v_cmp_ne_u32_e64 s[2:3], 0, v0
	v_cmp_eq_u32_e64 s[0:1], 0, v0
	s_and_saveexec_b64 s[10:11], s[0:1]
	s_cbranch_execz .LBB90_4
; %bb.1:
	s_mov_b64 s[14:15], exec
	v_mbcnt_lo_u32_b32 v1, s14, 0
	v_mbcnt_hi_u32_b32 v1, s15, v1
	v_cmp_eq_u32_e32 vcc, 0, v1
                                        ; implicit-def: $vgpr2
	s_and_saveexec_b64 s[12:13], vcc
	s_cbranch_execz .LBB90_3
; %bb.2:
	s_load_dwordx2 s[4:5], s[4:5], 0x80
	s_bcnt1_i32_b64 s14, s[14:15]
	v_mov_b32_e32 v2, 0
	v_mov_b32_e32 v3, s14
	s_waitcnt lgkmcnt(0)
	global_atomic_add v2, v2, v3, s[4:5] glc
.LBB90_3:
	s_or_b64 exec, exec, s[12:13]
	s_waitcnt vmcnt(0)
	v_readfirstlane_b32 s4, v2
	v_add_u32_e32 v1, s4, v1
	v_mov_b32_e32 v2, 0
	ds_write_b32 v2, v1
.LBB90_4:
	s_or_b64 exec, exec, s[10:11]
	v_mov_b32_e32 v1, 0
	s_waitcnt lgkmcnt(0)
	s_barrier
	ds_read_b32 v1, v1
	s_add_u32 s4, s6, s8
	s_addc_u32 s5, s7, s9
	s_mul_i32 s6, s40, s39
	s_mul_hi_u32 s7, s40, s38
	s_add_i32 s6, s7, s6
	s_mul_i32 s7, s41, s38
	s_movk_i32 s8, 0xf00
	s_add_i32 s6, s6, s7
	s_mul_i32 s7, s40, s38
	s_waitcnt lgkmcnt(0)
	v_readfirstlane_b32 s78, v1
	v_mul_lo_u32 v1, v1, s8
	v_add_co_u32_e32 v2, vcc, s4, v1
	s_add_u32 s4, s7, s78
	v_mov_b32_e32 v3, s5
	s_addc_u32 s5, s6, 0
	s_add_u32 s6, s42, -1
	s_addc_u32 s7, s43, -1
	s_cmp_eq_u64 s[4:5], s[6:7]
	v_addc_co_u32_e32 v3, vcc, 0, v3, vcc
	s_cselect_b64 s[40:41], -1, 0
	s_cmp_lg_u64 s[4:5], s[6:7]
	s_mov_b64 s[10:11], -1
	s_cselect_b64 s[8:9], -1, 0
	s_mul_i32 s33, s6, 0xfffff100
	s_and_b64 vcc, exec, s[40:41]
	v_mad_u32_u24 v4, v0, 14, v0
	s_barrier
	s_cbranch_vccnz .LBB90_6
; %bb.5:
	v_readfirstlane_b32 s6, v2
	v_readfirstlane_b32 s7, v3
	s_nop 4
	global_load_ubyte v1, v0, s[6:7]
	global_load_ubyte v5, v0, s[6:7] offset:256
	global_load_ubyte v6, v0, s[6:7] offset:512
	;; [unrolled: 1-line block ×14, first 2 shown]
	s_mov_b64 s[6:7], -1
	s_waitcnt vmcnt(14)
	v_cmp_ne_u16_e32 vcc, 0, v1
	v_cndmask_b32_e64 v1, 0, 1, vcc
	s_waitcnt vmcnt(13)
	v_cmp_ne_u16_e32 vcc, 0, v5
	v_cndmask_b32_e64 v5, 0, 1, vcc
	;; [unrolled: 3-line block ×15, first 2 shown]
	ds_write_b8 v0, v1
	ds_write_b8 v0, v5 offset:256
	ds_write_b8 v0, v6 offset:512
	;; [unrolled: 1-line block ×14, first 2 shown]
	s_waitcnt lgkmcnt(0)
	s_barrier
	ds_read_b96 v[8:10], v4
	ds_read_u8 v55, v4 offset:12
	ds_read_u8 v11, v4 offset:13
	;; [unrolled: 1-line block ×3, first 2 shown]
	s_waitcnt lgkmcnt(3)
	v_lshrrev_b32_e32 v64, 8, v8
	v_lshrrev_b32_e32 v63, 16, v8
	;; [unrolled: 1-line block ×9, first 2 shown]
	s_add_i32 s33, s33, s48
	s_cbranch_execz .LBB90_7
	s_branch .LBB90_38
.LBB90_6:
	s_mov_b64 s[6:7], 0
                                        ; implicit-def: $vgpr8
                                        ; implicit-def: $vgpr64
                                        ; implicit-def: $vgpr63
                                        ; implicit-def: $vgpr62
                                        ; implicit-def: $vgpr61
                                        ; implicit-def: $vgpr60
                                        ; implicit-def: $vgpr59
                                        ; implicit-def: $vgpr58
                                        ; implicit-def: $vgpr57
                                        ; implicit-def: $vgpr56
                                        ; implicit-def: $vgpr55
                                        ; implicit-def: $vgpr11
                                        ; implicit-def: $vgpr1
	s_add_i32 s33, s33, s48
	s_andn2_b64 vcc, exec, s[10:11]
	s_cbranch_vccnz .LBB90_38
.LBB90_7:
	v_cmp_gt_u32_e32 vcc, s33, v0
                                        ; implicit-def: $vgpr1
	s_and_saveexec_b64 s[6:7], vcc
	s_cbranch_execz .LBB90_9
; %bb.8:
	v_readfirstlane_b32 s10, v2
	v_readfirstlane_b32 s11, v3
	s_waitcnt lgkmcnt(0)
	s_nop 3
	global_load_ubyte v1, v0, s[10:11]
	s_waitcnt vmcnt(0)
	v_cmp_ne_u16_e32 vcc, 0, v1
	v_cndmask_b32_e64 v1, 0, 1, vcc
.LBB90_9:
	s_or_b64 exec, exec, s[6:7]
	v_or_b32_e32 v5, 0x100, v0
	v_cmp_gt_u32_e32 vcc, s33, v5
                                        ; implicit-def: $vgpr5
	s_and_saveexec_b64 s[6:7], vcc
	s_cbranch_execz .LBB90_11
; %bb.10:
	v_readfirstlane_b32 s10, v2
	v_readfirstlane_b32 s11, v3
	s_nop 4
	global_load_ubyte v5, v0, s[10:11] offset:256
	s_waitcnt vmcnt(0)
	v_cmp_ne_u16_e32 vcc, 0, v5
	v_cndmask_b32_e64 v5, 0, 1, vcc
.LBB90_11:
	s_or_b64 exec, exec, s[6:7]
	v_or_b32_e32 v6, 0x200, v0
	v_cmp_gt_u32_e32 vcc, s33, v6
                                        ; implicit-def: $vgpr6
	s_and_saveexec_b64 s[6:7], vcc
	s_cbranch_execz .LBB90_13
; %bb.12:
	v_readfirstlane_b32 s10, v2
	v_readfirstlane_b32 s11, v3
	s_nop 4
	global_load_ubyte v6, v0, s[10:11] offset:512
	s_waitcnt vmcnt(0)
	v_cmp_ne_u16_e32 vcc, 0, v6
	v_cndmask_b32_e64 v6, 0, 1, vcc
.LBB90_13:
	s_or_b64 exec, exec, s[6:7]
	v_or_b32_e32 v7, 0x300, v0
	v_cmp_gt_u32_e32 vcc, s33, v7
                                        ; implicit-def: $vgpr7
	s_and_saveexec_b64 s[6:7], vcc
	s_cbranch_execz .LBB90_15
; %bb.14:
	v_readfirstlane_b32 s10, v2
	v_readfirstlane_b32 s11, v3
	s_nop 4
	global_load_ubyte v7, v0, s[10:11] offset:768
	s_waitcnt vmcnt(0)
	v_cmp_ne_u16_e32 vcc, 0, v7
	v_cndmask_b32_e64 v7, 0, 1, vcc
.LBB90_15:
	s_or_b64 exec, exec, s[6:7]
	v_or_b32_e32 v8, 0x400, v0
	v_cmp_gt_u32_e32 vcc, s33, v8
                                        ; implicit-def: $vgpr8
	s_and_saveexec_b64 s[6:7], vcc
	s_cbranch_execz .LBB90_17
; %bb.16:
	v_readfirstlane_b32 s10, v2
	v_readfirstlane_b32 s11, v3
	s_nop 4
	global_load_ubyte v8, v0, s[10:11] offset:1024
	s_waitcnt vmcnt(0)
	v_cmp_ne_u16_e32 vcc, 0, v8
	v_cndmask_b32_e64 v8, 0, 1, vcc
.LBB90_17:
	s_or_b64 exec, exec, s[6:7]
	v_or_b32_e32 v9, 0x500, v0
	v_cmp_gt_u32_e32 vcc, s33, v9
                                        ; implicit-def: $vgpr9
	s_and_saveexec_b64 s[6:7], vcc
	s_cbranch_execz .LBB90_19
; %bb.18:
	v_readfirstlane_b32 s10, v2
	v_readfirstlane_b32 s11, v3
	s_nop 4
	global_load_ubyte v9, v0, s[10:11] offset:1280
	s_waitcnt vmcnt(0)
	v_cmp_ne_u16_e32 vcc, 0, v9
	v_cndmask_b32_e64 v9, 0, 1, vcc
.LBB90_19:
	s_or_b64 exec, exec, s[6:7]
	v_or_b32_e32 v10, 0x600, v0
	v_cmp_gt_u32_e32 vcc, s33, v10
                                        ; implicit-def: $vgpr10
	s_and_saveexec_b64 s[6:7], vcc
	s_cbranch_execz .LBB90_21
; %bb.20:
	v_readfirstlane_b32 s10, v2
	v_readfirstlane_b32 s11, v3
	s_nop 4
	global_load_ubyte v10, v0, s[10:11] offset:1536
	s_waitcnt vmcnt(0)
	v_cmp_ne_u16_e32 vcc, 0, v10
	v_cndmask_b32_e64 v10, 0, 1, vcc
.LBB90_21:
	s_or_b64 exec, exec, s[6:7]
	s_waitcnt lgkmcnt(1)
	v_or_b32_e32 v11, 0x700, v0
	v_cmp_gt_u32_e32 vcc, s33, v11
                                        ; implicit-def: $vgpr11
	s_and_saveexec_b64 s[6:7], vcc
	s_cbranch_execz .LBB90_23
; %bb.22:
	v_readfirstlane_b32 s10, v2
	v_readfirstlane_b32 s11, v3
	s_nop 4
	global_load_ubyte v11, v0, s[10:11] offset:1792
	s_waitcnt vmcnt(0)
	v_cmp_ne_u16_e32 vcc, 0, v11
	v_cndmask_b32_e64 v11, 0, 1, vcc
.LBB90_23:
	s_or_b64 exec, exec, s[6:7]
	v_or_b32_e32 v12, 0x800, v0
	v_cmp_gt_u32_e32 vcc, s33, v12
                                        ; implicit-def: $vgpr12
	s_and_saveexec_b64 s[6:7], vcc
	s_cbranch_execz .LBB90_25
; %bb.24:
	v_readfirstlane_b32 s10, v2
	v_readfirstlane_b32 s11, v3
	s_nop 4
	global_load_ubyte v12, v0, s[10:11] offset:2048
	s_waitcnt vmcnt(0)
	v_cmp_ne_u16_e32 vcc, 0, v12
	v_cndmask_b32_e64 v12, 0, 1, vcc
.LBB90_25:
	s_or_b64 exec, exec, s[6:7]
	v_or_b32_e32 v13, 0x900, v0
	v_cmp_gt_u32_e32 vcc, s33, v13
                                        ; implicit-def: $vgpr13
	s_and_saveexec_b64 s[6:7], vcc
	s_cbranch_execz .LBB90_27
; %bb.26:
	v_readfirstlane_b32 s10, v2
	v_readfirstlane_b32 s11, v3
	s_nop 4
	global_load_ubyte v13, v0, s[10:11] offset:2304
	s_waitcnt vmcnt(0)
	v_cmp_ne_u16_e32 vcc, 0, v13
	v_cndmask_b32_e64 v13, 0, 1, vcc
.LBB90_27:
	s_or_b64 exec, exec, s[6:7]
	v_or_b32_e32 v14, 0xa00, v0
	v_cmp_gt_u32_e32 vcc, s33, v14
                                        ; implicit-def: $vgpr14
	s_and_saveexec_b64 s[6:7], vcc
	s_cbranch_execz .LBB90_29
; %bb.28:
	v_readfirstlane_b32 s10, v2
	v_readfirstlane_b32 s11, v3
	s_nop 4
	global_load_ubyte v14, v0, s[10:11] offset:2560
	s_waitcnt vmcnt(0)
	v_cmp_ne_u16_e32 vcc, 0, v14
	v_cndmask_b32_e64 v14, 0, 1, vcc
.LBB90_29:
	s_or_b64 exec, exec, s[6:7]
	v_or_b32_e32 v15, 0xb00, v0
	v_cmp_gt_u32_e32 vcc, s33, v15
                                        ; implicit-def: $vgpr15
	s_and_saveexec_b64 s[6:7], vcc
	s_cbranch_execz .LBB90_31
; %bb.30:
	v_readfirstlane_b32 s10, v2
	v_readfirstlane_b32 s11, v3
	s_nop 4
	global_load_ubyte v15, v0, s[10:11] offset:2816
	s_waitcnt vmcnt(0)
	v_cmp_ne_u16_e32 vcc, 0, v15
	v_cndmask_b32_e64 v15, 0, 1, vcc
.LBB90_31:
	s_or_b64 exec, exec, s[6:7]
	v_or_b32_e32 v16, 0xc00, v0
	v_cmp_gt_u32_e32 vcc, s33, v16
                                        ; implicit-def: $vgpr16
	s_and_saveexec_b64 s[6:7], vcc
	s_cbranch_execz .LBB90_33
; %bb.32:
	v_readfirstlane_b32 s10, v2
	v_readfirstlane_b32 s11, v3
	s_nop 4
	global_load_ubyte v16, v0, s[10:11] offset:3072
	s_waitcnt vmcnt(0)
	v_cmp_ne_u16_e32 vcc, 0, v16
	v_cndmask_b32_e64 v16, 0, 1, vcc
.LBB90_33:
	s_or_b64 exec, exec, s[6:7]
	v_or_b32_e32 v17, 0xd00, v0
	v_cmp_gt_u32_e32 vcc, s33, v17
                                        ; implicit-def: $vgpr17
	s_and_saveexec_b64 s[6:7], vcc
	s_cbranch_execz .LBB90_35
; %bb.34:
	v_readfirstlane_b32 s10, v2
	v_readfirstlane_b32 s11, v3
	s_nop 4
	global_load_ubyte v17, v0, s[10:11] offset:3328
	s_waitcnt vmcnt(0)
	v_cmp_ne_u16_e32 vcc, 0, v17
	v_cndmask_b32_e64 v17, 0, 1, vcc
.LBB90_35:
	s_or_b64 exec, exec, s[6:7]
	v_or_b32_e32 v18, 0xe00, v0
	v_cmp_gt_u32_e32 vcc, s33, v18
                                        ; implicit-def: $vgpr18
	s_and_saveexec_b64 s[6:7], vcc
	s_cbranch_execz .LBB90_37
; %bb.36:
	v_readfirstlane_b32 s10, v2
	v_readfirstlane_b32 s11, v3
	s_nop 4
	global_load_ubyte v18, v0, s[10:11] offset:3584
	s_waitcnt vmcnt(0)
	v_cmp_ne_u16_e32 vcc, 0, v18
	v_cndmask_b32_e64 v18, 0, 1, vcc
.LBB90_37:
	s_or_b64 exec, exec, s[6:7]
	s_waitcnt lgkmcnt(0)
	ds_write_b8 v0, v1
	ds_write_b8 v0, v5 offset:256
	ds_write_b8 v0, v6 offset:512
	;; [unrolled: 1-line block ×14, first 2 shown]
	s_waitcnt lgkmcnt(0)
	s_barrier
	ds_read_b96 v[8:10], v4
	ds_read_u8 v55, v4 offset:12
	ds_read_u8 v11, v4 offset:13
	;; [unrolled: 1-line block ×3, first 2 shown]
	v_mad_u32_u24 v4, v0, 15, 14
	s_waitcnt lgkmcnt(3)
	v_lshrrev_b32_e32 v64, 8, v8
	v_lshrrev_b32_e32 v63, 16, v8
	;; [unrolled: 1-line block ×9, first 2 shown]
	v_cmp_gt_u32_e64 s[6:7], s33, v4
.LBB90_38:
	v_mov_b32_e32 v52, s16
                                        ; implicit-def: $vgpr53
	s_and_saveexec_b64 s[10:11], s[6:7]
; %bb.39:
	v_mov_b32_e32 v53, s16
; %bb.40:
	s_or_b64 exec, exec, s[10:11]
	s_cmp_eq_u64 s[4:5], 0
	s_cselect_b64 s[42:43], -1, 0
	s_cmp_lg_u64 s[4:5], 0
	s_mov_b64 s[6:7], 0
	s_cselect_b64 s[10:11], -1, 0
	s_and_b64 vcc, exec, s[8:9]
	s_waitcnt lgkmcnt(0)
	s_barrier
	s_cbranch_vccz .LBB90_46
; %bb.41:
	s_and_b64 vcc, exec, s[10:11]
	s_cbranch_vccz .LBB90_47
; %bb.42:
	global_load_ubyte v4, v[2:3], off offset:-1
	v_cmp_ne_u16_sdwa s[6:7], v11, v1 src0_sel:BYTE_0 src1_sel:BYTE_0
	v_cmp_ne_u16_sdwa s[8:9], v55, v11 src0_sel:BYTE_0 src1_sel:BYTE_0
	v_cmp_ne_u16_sdwa s[12:13], v56, v55 src0_sel:BYTE_0 src1_sel:BYTE_0
	v_cmp_ne_u16_sdwa s[14:15], v57, v56 src0_sel:BYTE_0 src1_sel:BYTE_0
	v_cmp_ne_u16_sdwa s[16:17], v58, v57 src0_sel:BYTE_0 src1_sel:BYTE_0
	v_cmp_ne_u16_sdwa s[18:19], v10, v58 src0_sel:BYTE_0 src1_sel:BYTE_0
	v_cmp_ne_u16_sdwa s[20:21], v59, v10 src0_sel:BYTE_0 src1_sel:BYTE_0
	v_cmp_ne_u16_sdwa s[22:23], v60, v59 src0_sel:BYTE_0 src1_sel:BYTE_0
	v_cmp_ne_u16_sdwa s[24:25], v61, v60 src0_sel:BYTE_0 src1_sel:BYTE_0
	v_cmp_ne_u16_sdwa s[26:27], v9, v61 src0_sel:BYTE_0 src1_sel:BYTE_0
	v_cmp_ne_u16_sdwa s[28:29], v62, v9 src0_sel:BYTE_0 src1_sel:BYTE_0
	v_cmp_ne_u16_sdwa s[30:31], v63, v62 src0_sel:BYTE_0 src1_sel:BYTE_0
	v_cmp_ne_u16_sdwa s[54:55], v64, v63 src0_sel:BYTE_0 src1_sel:BYTE_0
	v_cmp_ne_u16_sdwa s[56:57], v8, v64 src0_sel:BYTE_0 src1_sel:BYTE_0
	ds_write_b8 v0, v1
	s_waitcnt lgkmcnt(0)
	s_barrier
	s_waitcnt vmcnt(0)
	v_cmp_ne_u16_e32 vcc, 0, v4
	v_cndmask_b32_e64 v4, 0, 1, vcc
	s_and_saveexec_b64 s[58:59], s[2:3]
	s_cbranch_execz .LBB90_44
; %bb.43:
	v_add_u32_e32 v4, -1, v0
	ds_read_u8 v4, v4
.LBB90_44:
	s_or_b64 exec, exec, s[58:59]
	s_waitcnt lgkmcnt(0)
	v_and_b32_e32 v4, 0xff, v4
	v_cndmask_b32_e64 v65, 0, 1, s[6:7]
	v_cndmask_b32_e64 v66, 0, 1, s[8:9]
	;; [unrolled: 1-line block ×14, first 2 shown]
	v_cmp_ne_u16_sdwa s[8:9], v4, v8 src0_sel:DWORD src1_sel:BYTE_0
	s_mov_b64 s[6:7], -1
.LBB90_45:
                                        ; implicit-def: $sgpr14
	s_branch .LBB90_59
.LBB90_46:
                                        ; implicit-def: $sgpr8_sgpr9
                                        ; implicit-def: $vgpr65
                                        ; implicit-def: $vgpr66
                                        ; implicit-def: $vgpr67
                                        ; implicit-def: $vgpr68
                                        ; implicit-def: $vgpr69
                                        ; implicit-def: $vgpr70
                                        ; implicit-def: $vgpr71
                                        ; implicit-def: $vgpr72
                                        ; implicit-def: $vgpr21
                                        ; implicit-def: $vgpr73
                                        ; implicit-def: $vgpr74
                                        ; implicit-def: $vgpr75
                                        ; implicit-def: $vgpr76
                                        ; implicit-def: $vgpr77
                                        ; implicit-def: $sgpr14
	s_cbranch_execnz .LBB90_51
	s_branch .LBB90_59
.LBB90_47:
                                        ; implicit-def: $sgpr8_sgpr9
                                        ; implicit-def: $vgpr65
                                        ; implicit-def: $vgpr66
                                        ; implicit-def: $vgpr67
                                        ; implicit-def: $vgpr68
                                        ; implicit-def: $vgpr69
                                        ; implicit-def: $vgpr70
                                        ; implicit-def: $vgpr71
                                        ; implicit-def: $vgpr72
                                        ; implicit-def: $vgpr21
                                        ; implicit-def: $vgpr73
                                        ; implicit-def: $vgpr74
                                        ; implicit-def: $vgpr75
                                        ; implicit-def: $vgpr76
                                        ; implicit-def: $vgpr77
	s_cbranch_execz .LBB90_45
; %bb.48:
	v_cmp_ne_u16_sdwa s[8:9], v11, v1 src0_sel:BYTE_0 src1_sel:BYTE_0
	v_cndmask_b32_e64 v65, 0, 1, s[8:9]
	v_cmp_ne_u16_sdwa s[8:9], v55, v11 src0_sel:BYTE_0 src1_sel:BYTE_0
	v_cndmask_b32_e64 v66, 0, 1, s[8:9]
	;; [unrolled: 2-line block ×14, first 2 shown]
	ds_write_b8 v0, v1
	s_waitcnt lgkmcnt(0)
	s_barrier
	s_waitcnt lgkmcnt(0)
                                        ; implicit-def: $sgpr8_sgpr9
	s_and_saveexec_b64 s[12:13], s[2:3]
	s_xor_b64 s[12:13], exec, s[12:13]
	s_cbranch_execz .LBB90_50
; %bb.49:
	v_add_u32_e32 v4, -1, v0
	ds_read_u8 v4, v4
	s_or_b64 s[6:7], s[6:7], exec
	s_waitcnt lgkmcnt(0)
	v_cmp_ne_u16_sdwa s[8:9], v4, v8 src0_sel:DWORD src1_sel:BYTE_0
	s_and_b64 s[8:9], s[8:9], exec
.LBB90_50:
	s_or_b64 exec, exec, s[12:13]
	s_mov_b32 s14, 1
	s_branch .LBB90_59
.LBB90_51:
	s_mul_hi_u32 s8, s4, 0xfffff100
	s_mulk_i32 s5, 0xf100
	s_sub_i32 s8, s8, s4
	s_add_i32 s8, s8, s5
	s_mulk_i32 s4, 0xf100
	s_add_u32 s28, s4, s48
	s_addc_u32 s29, s8, s49
	s_and_b64 vcc, exec, s[10:11]
	v_mad_u32_u24 v4, v0, 15, 14
	v_cmp_ne_u16_sdwa s[4:5], v11, v1 src0_sel:BYTE_0 src1_sel:BYTE_0
	v_mad_u32_u24 v34, v0, 15, 13
	v_cmp_ne_u16_sdwa s[30:31], v55, v11 src0_sel:BYTE_0 src1_sel:BYTE_0
	;; [unrolled: 2-line block ×14, first 2 shown]
	s_cbranch_vccz .LBB90_56
; %bb.52:
	global_load_ubyte v3, v[2:3], off offset:-1
	v_mov_b32_e32 v5, 0
	v_cmp_gt_u64_e32 vcc, s[28:29], v[4:5]
	v_mov_b32_e32 v35, v5
	v_mov_b32_e32 v33, v5
	;; [unrolled: 1-line block ×13, first 2 shown]
	s_and_b64 s[76:77], vcc, s[4:5]
	v_cmp_gt_u64_e32 vcc, s[28:29], v[34:35]
	v_cmp_gt_u64_e64 s[4:5], s[28:29], v[32:33]
	v_cmp_gt_u64_e64 s[6:7], s[28:29], v[30:31]
	;; [unrolled: 1-line block ×12, first 2 shown]
	s_and_b64 s[30:31], vcc, s[30:31]
	v_mul_u32_u24_e32 v2, 15, v0
	s_and_b64 s[4:5], s[4:5], s[48:49]
	s_and_b64 s[6:7], s[6:7], s[54:55]
	;; [unrolled: 1-line block ×12, first 2 shown]
	ds_write_b8 v0, v1
	s_waitcnt lgkmcnt(0)
	s_barrier
	s_waitcnt vmcnt(0)
	v_cmp_ne_u16_e32 vcc, 0, v3
	v_cndmask_b32_e64 v7, 0, 1, vcc
	s_and_saveexec_b64 s[48:49], s[2:3]
	s_cbranch_execz .LBB90_54
; %bb.53:
	v_add_u32_e32 v3, -1, v0
	ds_read_u8 v7, v3
.LBB90_54:
	s_or_b64 exec, exec, s[48:49]
	v_mov_b32_e32 v3, v5
	v_cmp_gt_u64_e32 vcc, s[28:29], v[2:3]
	s_waitcnt lgkmcnt(0)
	v_and_b32_e32 v2, 0xff, v7
	v_cndmask_b32_e64 v67, 0, 1, s[4:5]
	v_cmp_ne_u16_sdwa s[4:5], v2, v8 src0_sel:DWORD src1_sel:BYTE_0
	v_cndmask_b32_e64 v65, 0, 1, s[76:77]
	v_cndmask_b32_e64 v66, 0, 1, s[30:31]
	;; [unrolled: 1-line block ×13, first 2 shown]
	s_and_b64 s[8:9], vcc, s[4:5]
	s_mov_b64 s[6:7], -1
.LBB90_55:
                                        ; implicit-def: $sgpr14
	v_mov_b32_e32 v78, s14
	s_and_saveexec_b64 s[2:3], s[6:7]
	s_cbranch_execnz .LBB90_60
	s_branch .LBB90_61
.LBB90_56:
                                        ; implicit-def: $sgpr8_sgpr9
                                        ; implicit-def: $vgpr65
                                        ; implicit-def: $vgpr66
                                        ; implicit-def: $vgpr67
                                        ; implicit-def: $vgpr68
                                        ; implicit-def: $vgpr69
                                        ; implicit-def: $vgpr70
                                        ; implicit-def: $vgpr71
                                        ; implicit-def: $vgpr72
                                        ; implicit-def: $vgpr21
                                        ; implicit-def: $vgpr73
                                        ; implicit-def: $vgpr74
                                        ; implicit-def: $vgpr75
                                        ; implicit-def: $vgpr76
                                        ; implicit-def: $vgpr77
	s_cbranch_execz .LBB90_55
; %bb.57:
	v_mov_b32_e32 v5, 0
	v_cmp_gt_u64_e32 vcc, s[28:29], v[4:5]
	v_cmp_ne_u16_sdwa s[4:5], v11, v1 src0_sel:BYTE_0 src1_sel:BYTE_0
	s_and_b64 s[4:5], vcc, s[4:5]
	v_mov_b32_e32 v35, v5
	v_cndmask_b32_e64 v65, 0, 1, s[4:5]
	v_cmp_gt_u64_e32 vcc, s[28:29], v[34:35]
	v_cmp_ne_u16_sdwa s[4:5], v55, v11 src0_sel:BYTE_0 src1_sel:BYTE_0
	s_and_b64 s[4:5], vcc, s[4:5]
	v_mov_b32_e32 v33, v5
	v_cndmask_b32_e64 v66, 0, 1, s[4:5]
	;; [unrolled: 5-line block ×13, first 2 shown]
	v_cmp_gt_u64_e32 vcc, s[28:29], v[6:7]
	v_cmp_ne_u16_sdwa s[4:5], v8, v64 src0_sel:BYTE_0 src1_sel:BYTE_0
	s_and_b64 s[4:5], vcc, s[4:5]
	s_mov_b32 s14, 1
	v_cndmask_b32_e64 v77, 0, 1, s[4:5]
	ds_write_b8 v0, v1
	s_waitcnt lgkmcnt(0)
	s_barrier
	s_waitcnt lgkmcnt(0)
                                        ; implicit-def: $sgpr8_sgpr9
	s_and_saveexec_b64 s[4:5], s[2:3]
	s_cbranch_execz .LBB90_151
; %bb.58:
	v_add_u32_e32 v2, -1, v0
	ds_read_u8 v2, v2
	v_mul_u32_u24_e32 v4, 15, v0
	v_cmp_gt_u64_e32 vcc, s[28:29], v[4:5]
	s_or_b64 s[6:7], s[6:7], exec
	s_waitcnt lgkmcnt(0)
	v_and_b32_e32 v2, 0xff, v2
	v_cmp_ne_u16_sdwa s[2:3], v2, v8 src0_sel:DWORD src1_sel:BYTE_0
	s_and_b64 s[2:3], vcc, s[2:3]
	s_and_b64 s[8:9], s[2:3], exec
	s_or_b64 exec, exec, s[4:5]
.LBB90_59:
	v_mov_b32_e32 v78, s14
	s_and_saveexec_b64 s[2:3], s[6:7]
.LBB90_60:
	v_cndmask_b32_e64 v78, 0, 1, s[8:9]
.LBB90_61:
	s_or_b64 exec, exec, s[2:3]
	s_cmp_eq_u64 s[38:39], 0
	v_add3_u32 v2, v77, v78, v76
	s_cselect_b64 s[38:39], -1, 0
	s_cmp_lg_u32 s78, 0
	v_cmp_eq_u32_e64 s[26:27], 0, v77
	v_cmp_eq_u32_e64 s[24:25], 0, v76
	;; [unrolled: 1-line block ×3, first 2 shown]
	v_add3_u32 v81, v2, v75, v74
	v_cmp_eq_u32_e64 s[20:21], 0, v74
	v_cmp_eq_u32_e64 s[18:19], 0, v73
	;; [unrolled: 1-line block ×10, first 2 shown]
	v_cmp_eq_u32_e32 vcc, 0, v65
	v_mbcnt_lo_u32_b32 v80, -1, 0
	v_lshrrev_b32_e32 v54, 6, v0
	v_or_b32_e32 v79, 63, v0
	s_cbranch_scc0 .LBB90_88
; %bb.62:
	v_cndmask_b32_e64 v2, 0, v52, s[26:27]
	v_add_u32_e32 v2, v2, v52
	v_cndmask_b32_e64 v2, 0, v2, s[24:25]
	v_add_u32_e32 v2, v2, v52
	v_cndmask_b32_e64 v2, 0, v2, s[22:23]
	v_add_u32_e32 v2, v2, v52
	v_cndmask_b32_e64 v2, 0, v2, s[20:21]
	v_add_u32_e32 v2, v2, v52
	v_cndmask_b32_e64 v2, 0, v2, s[18:19]
	v_add_u32_e32 v2, v2, v52
	v_cndmask_b32_e64 v2, 0, v2, s[16:17]
	v_add_u32_e32 v2, v2, v52
	v_cndmask_b32_e64 v2, 0, v2, s[14:15]
	v_add_u32_e32 v2, v2, v52
	v_cndmask_b32_e64 v2, 0, v2, s[12:13]
	v_add_u32_e32 v2, v2, v52
	v_cndmask_b32_e64 v2, 0, v2, s[10:11]
	v_add_u32_e32 v2, v2, v52
	v_cndmask_b32_e64 v2, 0, v2, s[8:9]
	v_add_u32_e32 v2, v2, v52
	v_cndmask_b32_e64 v2, 0, v2, s[6:7]
	v_add_u32_e32 v2, v2, v52
	v_cndmask_b32_e64 v2, 0, v2, s[4:5]
	v_add3_u32 v3, v81, v73, v21
	v_add_u32_e32 v2, v2, v52
	v_add3_u32 v3, v3, v72, v71
	v_cndmask_b32_e64 v2, 0, v2, s[2:3]
	v_add3_u32 v3, v3, v70, v69
	v_add_u32_e32 v2, v2, v52
	v_add3_u32 v3, v3, v68, v67
	v_cndmask_b32_e32 v2, 0, v2, vcc
	v_add3_u32 v3, v3, v66, v65
	v_add_u32_e32 v2, v2, v53
	v_mbcnt_hi_u32_b32 v15, -1, v80
	v_and_b32_e32 v4, 15, v15
	v_mov_b32_dpp v6, v2 row_shr:1 row_mask:0xf bank_mask:0xf
	v_cmp_eq_u32_e32 vcc, 0, v3
	v_mov_b32_dpp v5, v3 row_shr:1 row_mask:0xf bank_mask:0xf
	v_cndmask_b32_e32 v6, 0, v6, vcc
	v_cmp_eq_u32_e32 vcc, 0, v4
	v_cndmask_b32_e64 v5, v5, 0, vcc
	v_add_u32_e32 v3, v5, v3
	v_cndmask_b32_e64 v5, v6, 0, vcc
	v_add_u32_e32 v2, v5, v2
	v_cmp_eq_u32_e32 vcc, 0, v3
	v_mov_b32_dpp v5, v3 row_shr:2 row_mask:0xf bank_mask:0xf
	v_cmp_lt_u32_e64 s[28:29], 1, v4
	v_mov_b32_dpp v6, v2 row_shr:2 row_mask:0xf bank_mask:0xf
	v_cndmask_b32_e64 v5, 0, v5, s[28:29]
	s_and_b64 vcc, s[28:29], vcc
	v_cndmask_b32_e32 v6, 0, v6, vcc
	v_add_u32_e32 v3, v3, v5
	v_add_u32_e32 v2, v6, v2
	v_cmp_eq_u32_e32 vcc, 0, v3
	v_mov_b32_dpp v5, v3 row_shr:4 row_mask:0xf bank_mask:0xf
	v_cmp_lt_u32_e64 s[28:29], 3, v4
	v_mov_b32_dpp v6, v2 row_shr:4 row_mask:0xf bank_mask:0xf
	v_cndmask_b32_e64 v5, 0, v5, s[28:29]
	s_and_b64 vcc, s[28:29], vcc
	v_cndmask_b32_e32 v6, 0, v6, vcc
	v_add_u32_e32 v3, v5, v3
	v_add_u32_e32 v2, v2, v6
	v_cmp_eq_u32_e32 vcc, 0, v3
	v_cmp_lt_u32_e64 s[28:29], 7, v4
	v_mov_b32_dpp v5, v3 row_shr:8 row_mask:0xf bank_mask:0xf
	v_mov_b32_dpp v6, v2 row_shr:8 row_mask:0xf bank_mask:0xf
	s_and_b64 vcc, s[28:29], vcc
	v_cndmask_b32_e64 v4, 0, v5, s[28:29]
	v_cndmask_b32_e32 v5, 0, v6, vcc
	v_add_u32_e32 v2, v5, v2
	v_add_u32_e32 v3, v4, v3
	v_bfe_i32 v6, v15, 4, 1
	v_mov_b32_dpp v5, v2 row_bcast:15 row_mask:0xf bank_mask:0xf
	v_mov_b32_dpp v4, v3 row_bcast:15 row_mask:0xf bank_mask:0xf
	v_cmp_eq_u32_e32 vcc, 0, v3
	v_cndmask_b32_e32 v5, 0, v5, vcc
	v_and_b32_e32 v4, v6, v4
	v_add_u32_e32 v3, v4, v3
	v_and_b32_e32 v4, v6, v5
	v_add_u32_e32 v4, v4, v2
	v_mov_b32_dpp v2, v3 row_bcast:31 row_mask:0xf bank_mask:0xf
	v_cmp_eq_u32_e32 vcc, 0, v3
	v_cmp_lt_u32_e64 s[28:29], 31, v15
	v_mov_b32_dpp v5, v4 row_bcast:31 row_mask:0xf bank_mask:0xf
	v_cndmask_b32_e64 v2, 0, v2, s[28:29]
	s_and_b64 vcc, s[28:29], vcc
	v_add_u32_e32 v2, v2, v3
	v_cndmask_b32_e32 v3, 0, v5, vcc
	v_add_u32_e32 v3, v3, v4
	v_cmp_eq_u32_e32 vcc, v79, v0
	v_lshlrev_b32_e32 v4, 3, v54
	s_and_saveexec_b64 s[28:29], vcc
	s_cbranch_execz .LBB90_64
; %bb.63:
	ds_write_b64 v4, v[2:3] offset:528
.LBB90_64:
	s_or_b64 exec, exec, s[28:29]
	v_cmp_gt_u32_e32 vcc, 4, v0
	s_waitcnt lgkmcnt(0)
	s_barrier
	s_and_saveexec_b64 s[30:31], vcc
	s_cbranch_execz .LBB90_66
; %bb.65:
	v_lshlrev_b32_e32 v5, 3, v0
	ds_read_b64 v[6:7], v5 offset:528
	v_and_b32_e32 v12, 3, v15
	v_cmp_lt_u32_e64 s[28:29], 1, v12
	s_waitcnt lgkmcnt(0)
	v_mov_b32_dpp v14, v7 row_shr:1 row_mask:0xf bank_mask:0xf
	v_cmp_eq_u32_e32 vcc, 0, v6
	v_mov_b32_dpp v13, v6 row_shr:1 row_mask:0xf bank_mask:0xf
	v_cndmask_b32_e32 v14, 0, v14, vcc
	v_cmp_eq_u32_e32 vcc, 0, v12
	v_cndmask_b32_e64 v13, v13, 0, vcc
	v_add_u32_e32 v6, v13, v6
	v_cndmask_b32_e64 v13, v14, 0, vcc
	v_add_u32_e32 v7, v13, v7
	v_cmp_eq_u32_e32 vcc, 0, v6
	v_mov_b32_dpp v13, v6 row_shr:2 row_mask:0xf bank_mask:0xf
	v_mov_b32_dpp v14, v7 row_shr:2 row_mask:0xf bank_mask:0xf
	v_cndmask_b32_e64 v12, 0, v13, s[28:29]
	s_and_b64 vcc, s[28:29], vcc
	v_add_u32_e32 v6, v12, v6
	v_cndmask_b32_e32 v12, 0, v14, vcc
	v_add_u32_e32 v7, v12, v7
	ds_write_b64 v5, v[6:7] offset:528
.LBB90_66:
	s_or_b64 exec, exec, s[30:31]
	v_cmp_gt_u32_e32 vcc, 64, v0
	v_cmp_lt_u32_e64 s[28:29], 63, v0
	v_mov_b32_e32 v12, 0
	v_mov_b32_e32 v13, 0
	s_waitcnt lgkmcnt(0)
	s_barrier
	s_and_saveexec_b64 s[30:31], s[28:29]
	s_cbranch_execz .LBB90_68
; %bb.67:
	ds_read_b64 v[12:13], v4 offset:520
	v_cmp_eq_u32_e64 s[28:29], 0, v2
	s_waitcnt lgkmcnt(0)
	v_add_u32_e32 v4, v12, v2
	v_cndmask_b32_e64 v2, 0, v13, s[28:29]
	v_add_u32_e32 v3, v2, v3
	v_mov_b32_e32 v2, v4
.LBB90_68:
	s_or_b64 exec, exec, s[30:31]
	v_add_u32_e32 v4, -1, v15
	v_and_b32_e32 v5, 64, v15
	v_cmp_lt_i32_e64 s[28:29], v4, v5
	v_cndmask_b32_e64 v4, v4, v15, s[28:29]
	v_lshlrev_b32_e32 v4, 2, v4
	ds_bpermute_b32 v20, v4, v2
	ds_bpermute_b32 v22, v4, v3
	v_cmp_eq_u32_e64 s[28:29], 0, v15
	s_and_saveexec_b64 s[48:49], vcc
	s_cbranch_execz .LBB90_87
; %bb.69:
	v_mov_b32_e32 v7, 0
	ds_read_b64 v[2:3], v7 offset:552
	s_waitcnt lgkmcnt(0)
	v_readfirstlane_b32 s56, v2
	v_readfirstlane_b32 s57, v3
	s_and_saveexec_b64 s[30:31], s[28:29]
	s_cbranch_execz .LBB90_71
; %bb.70:
	s_add_i32 s54, s78, 64
	s_mov_b32 s55, 0
	s_lshl_b64 s[58:59], s[54:55], 4
	s_add_u32 s58, s36, s58
	s_addc_u32 s59, s37, s59
	s_and_b32 s61, s57, 0xff000000
	s_mov_b32 s60, s55
	s_and_b32 s63, s57, 0xff0000
	s_mov_b32 s62, s55
	s_or_b64 s[60:61], s[62:63], s[60:61]
	s_and_b32 s63, s57, 0xff00
	s_or_b64 s[60:61], s[60:61], s[62:63]
	s_and_b32 s63, s57, 0xff
	s_or_b64 s[54:55], s[60:61], s[62:63]
	v_mov_b32_e32 v4, s56
	v_mov_b32_e32 v5, s55
	;; [unrolled: 1-line block ×3, first 2 shown]
	v_pk_mov_b32 v[2:3], s[58:59], s[58:59] op_sel:[0,1]
	;;#ASMSTART
	global_store_dwordx4 v[2:3], v[4:7] off	
s_waitcnt vmcnt(0)
	;;#ASMEND
.LBB90_71:
	s_or_b64 exec, exec, s[30:31]
	v_xad_u32 v14, v15, -1, s78
	v_add_u32_e32 v6, 64, v14
	v_lshlrev_b64 v[2:3], 4, v[6:7]
	v_mov_b32_e32 v4, s37
	v_add_co_u32_e32 v16, vcc, s36, v2
	v_addc_co_u32_e32 v17, vcc, v4, v3, vcc
	;;#ASMSTART
	global_load_dwordx4 v[2:5], v[16:17] off glc	
s_waitcnt vmcnt(0)
	;;#ASMEND
	v_and_b32_e32 v5, 0xff, v3
	v_and_b32_e32 v6, 0xff00, v3
	v_or3_b32 v5, 0, v5, v6
	v_or3_b32 v2, v2, 0, 0
	v_and_b32_e32 v6, 0xff000000, v3
	v_and_b32_e32 v3, 0xff0000, v3
	v_or3_b32 v3, v5, v3, v6
	v_or3_b32 v2, v2, 0, 0
	v_cmp_eq_u16_sdwa s[54:55], v4, v7 src0_sel:BYTE_0 src1_sel:DWORD
	s_and_saveexec_b64 s[30:31], s[54:55]
	s_cbranch_execz .LBB90_75
; %bb.72:
	s_mov_b64 s[54:55], 0
	v_mov_b32_e32 v6, 0
.LBB90_73:                              ; =>This Inner Loop Header: Depth=1
	;;#ASMSTART
	global_load_dwordx4 v[2:5], v[16:17] off glc	
s_waitcnt vmcnt(0)
	;;#ASMEND
	v_cmp_ne_u16_sdwa s[58:59], v4, v6 src0_sel:BYTE_0 src1_sel:DWORD
	s_or_b64 s[54:55], s[58:59], s[54:55]
	s_andn2_b64 exec, exec, s[54:55]
	s_cbranch_execnz .LBB90_73
; %bb.74:
	s_or_b64 exec, exec, s[54:55]
.LBB90_75:
	s_or_b64 exec, exec, s[30:31]
	v_mov_b32_e32 v23, 2
	v_cmp_eq_u16_sdwa s[30:31], v4, v23 src0_sel:BYTE_0 src1_sel:DWORD
	v_lshlrev_b64 v[16:17], v15, -1
	v_and_b32_e32 v5, s31, v17
	v_and_b32_e32 v24, 63, v15
	v_or_b32_e32 v5, 0x80000000, v5
	v_cmp_ne_u32_e32 vcc, 63, v24
	v_and_b32_e32 v6, s30, v16
	v_ffbl_b32_e32 v5, v5
	v_addc_co_u32_e32 v7, vcc, 0, v15, vcc
	v_add_u32_e32 v5, 32, v5
	v_ffbl_b32_e32 v6, v6
	v_lshlrev_b32_e32 v25, 2, v7
	v_min_u32_e32 v5, v6, v5
	ds_bpermute_b32 v6, v25, v3
	v_cmp_eq_u32_e32 vcc, 0, v2
	v_cmp_lt_u32_e64 s[30:31], v24, v5
	ds_bpermute_b32 v7, v25, v2
	s_and_b64 vcc, s[30:31], vcc
	s_waitcnt lgkmcnt(1)
	v_cndmask_b32_e32 v6, 0, v6, vcc
	v_cmp_gt_u32_e32 vcc, 62, v24
	v_add_u32_e32 v3, v6, v3
	v_cndmask_b32_e64 v6, 0, 1, vcc
	v_lshlrev_b32_e32 v6, 1, v6
	v_add_lshl_u32 v26, v6, v15, 2
	s_waitcnt lgkmcnt(0)
	v_cndmask_b32_e64 v7, 0, v7, s[30:31]
	ds_bpermute_b32 v6, v26, v3
	v_add_u32_e32 v2, v7, v2
	ds_bpermute_b32 v7, v26, v2
	v_add_u32_e32 v27, 2, v24
	v_cmp_eq_u32_e32 vcc, 0, v2
	s_waitcnt lgkmcnt(1)
	v_cndmask_b32_e32 v6, 0, v6, vcc
	v_cmp_gt_u32_e32 vcc, v27, v5
	v_cndmask_b32_e64 v6, v6, 0, vcc
	v_add_u32_e32 v3, v6, v3
	s_waitcnt lgkmcnt(0)
	v_cndmask_b32_e64 v6, v7, 0, vcc
	v_cmp_gt_u32_e32 vcc, 60, v24
	v_cndmask_b32_e64 v7, 0, 1, vcc
	v_lshlrev_b32_e32 v7, 2, v7
	v_add_lshl_u32 v28, v7, v15, 2
	ds_bpermute_b32 v7, v28, v3
	v_add_u32_e32 v2, v2, v6
	ds_bpermute_b32 v6, v28, v2
	v_add_u32_e32 v29, 4, v24
	v_cmp_eq_u32_e32 vcc, 0, v2
	s_waitcnt lgkmcnt(1)
	v_cndmask_b32_e32 v7, 0, v7, vcc
	v_cmp_gt_u32_e32 vcc, v29, v5
	v_cndmask_b32_e64 v7, v7, 0, vcc
	s_waitcnt lgkmcnt(0)
	v_cndmask_b32_e64 v6, v6, 0, vcc
	v_cmp_gt_u32_e32 vcc, 56, v24
	v_add_u32_e32 v3, v3, v7
	v_cndmask_b32_e64 v7, 0, 1, vcc
	v_lshlrev_b32_e32 v7, 3, v7
	v_add_lshl_u32 v30, v7, v15, 2
	ds_bpermute_b32 v7, v30, v3
	v_add_u32_e32 v2, v2, v6
	ds_bpermute_b32 v6, v30, v2
	v_add_u32_e32 v31, 8, v24
	v_cmp_eq_u32_e32 vcc, 0, v2
	s_waitcnt lgkmcnt(1)
	v_cndmask_b32_e32 v7, 0, v7, vcc
	v_cmp_gt_u32_e32 vcc, v31, v5
	v_cndmask_b32_e64 v7, v7, 0, vcc
	s_waitcnt lgkmcnt(0)
	v_cndmask_b32_e64 v6, v6, 0, vcc
	v_cmp_gt_u32_e32 vcc, 48, v24
	v_add_u32_e32 v3, v3, v7
	;; [unrolled: 16-line block ×3, first 2 shown]
	v_cndmask_b32_e64 v7, 0, 1, vcc
	v_lshlrev_b32_e32 v7, 5, v7
	v_add_lshl_u32 v34, v7, v15, 2
	ds_bpermute_b32 v7, v34, v3
	v_add_u32_e32 v2, v2, v6
	ds_bpermute_b32 v6, v34, v2
	v_add_u32_e32 v35, 32, v24
	v_cmp_eq_u32_e32 vcc, 0, v2
	s_waitcnt lgkmcnt(1)
	v_cndmask_b32_e32 v7, 0, v7, vcc
	v_cmp_gt_u32_e32 vcc, v35, v5
	v_cndmask_b32_e64 v5, v7, 0, vcc
	v_add_u32_e32 v3, v5, v3
	s_waitcnt lgkmcnt(0)
	v_cndmask_b32_e64 v5, v6, 0, vcc
	v_add_u32_e32 v2, v5, v2
	v_mov_b32_e32 v15, 0
	s_branch .LBB90_77
.LBB90_76:                              ;   in Loop: Header=BB90_77 Depth=1
	s_or_b64 exec, exec, s[30:31]
	v_cmp_eq_u16_sdwa s[30:31], v4, v23 src0_sel:BYTE_0 src1_sel:DWORD
	v_and_b32_e32 v5, s31, v17
	v_or_b32_e32 v5, 0x80000000, v5
	v_and_b32_e32 v18, s30, v16
	v_ffbl_b32_e32 v5, v5
	v_add_u32_e32 v5, 32, v5
	v_ffbl_b32_e32 v18, v18
	v_min_u32_e32 v5, v18, v5
	ds_bpermute_b32 v18, v25, v3
	v_cmp_eq_u32_e32 vcc, 0, v2
	v_cmp_lt_u32_e64 s[30:31], v24, v5
	ds_bpermute_b32 v19, v25, v2
	s_and_b64 vcc, s[30:31], vcc
	s_waitcnt lgkmcnt(1)
	v_cndmask_b32_e32 v18, 0, v18, vcc
	v_add_u32_e32 v3, v18, v3
	ds_bpermute_b32 v18, v26, v3
	s_waitcnt lgkmcnt(1)
	v_cndmask_b32_e64 v19, 0, v19, s[30:31]
	v_add_u32_e32 v2, v19, v2
	v_cmp_eq_u32_e32 vcc, 0, v2
	ds_bpermute_b32 v19, v26, v2
	s_waitcnt lgkmcnt(1)
	v_cndmask_b32_e32 v18, 0, v18, vcc
	v_cmp_gt_u32_e32 vcc, v27, v5
	v_cndmask_b32_e64 v18, v18, 0, vcc
	v_add_u32_e32 v3, v18, v3
	ds_bpermute_b32 v18, v28, v3
	s_waitcnt lgkmcnt(1)
	v_cndmask_b32_e64 v19, v19, 0, vcc
	v_add_u32_e32 v2, v2, v19
	v_cmp_eq_u32_e32 vcc, 0, v2
	ds_bpermute_b32 v19, v28, v2
	s_waitcnt lgkmcnt(1)
	v_cndmask_b32_e32 v18, 0, v18, vcc
	v_cmp_gt_u32_e32 vcc, v29, v5
	v_cndmask_b32_e64 v18, v18, 0, vcc
	v_add_u32_e32 v3, v3, v18
	ds_bpermute_b32 v18, v30, v3
	s_waitcnt lgkmcnt(1)
	v_cndmask_b32_e64 v19, v19, 0, vcc
	v_add_u32_e32 v2, v2, v19
	ds_bpermute_b32 v19, v30, v2
	v_cmp_eq_u32_e32 vcc, 0, v2
	s_waitcnt lgkmcnt(1)
	v_cndmask_b32_e32 v18, 0, v18, vcc
	v_cmp_gt_u32_e32 vcc, v31, v5
	v_cndmask_b32_e64 v18, v18, 0, vcc
	v_add_u32_e32 v3, v3, v18
	ds_bpermute_b32 v18, v32, v3
	s_waitcnt lgkmcnt(1)
	v_cndmask_b32_e64 v19, v19, 0, vcc
	v_add_u32_e32 v2, v2, v19
	ds_bpermute_b32 v19, v32, v2
	v_cmp_eq_u32_e32 vcc, 0, v2
	;; [unrolled: 11-line block ×3, first 2 shown]
	s_waitcnt lgkmcnt(1)
	v_cndmask_b32_e32 v18, 0, v18, vcc
	v_cmp_gt_u32_e32 vcc, v35, v5
	v_cndmask_b32_e64 v5, v18, 0, vcc
	v_add_u32_e32 v3, v5, v3
	s_waitcnt lgkmcnt(0)
	v_cndmask_b32_e64 v5, v19, 0, vcc
	v_cmp_eq_u32_e32 vcc, 0, v6
	v_cndmask_b32_e32 v3, 0, v3, vcc
	v_subrev_u32_e32 v14, 64, v14
	v_add3_u32 v2, v2, v6, v5
	v_add_u32_e32 v3, v3, v7
.LBB90_77:                              ; =>This Loop Header: Depth=1
                                        ;     Child Loop BB90_80 Depth 2
	v_cmp_ne_u16_sdwa s[30:31], v4, v23 src0_sel:BYTE_0 src1_sel:DWORD
	v_mov_b32_e32 v7, v3
	v_cndmask_b32_e64 v3, 0, 1, s[30:31]
	;;#ASMSTART
	;;#ASMEND
	v_cmp_ne_u32_e32 vcc, 0, v3
	s_cmp_lg_u64 vcc, exec
	v_mov_b32_e32 v6, v2
	s_cbranch_scc1 .LBB90_82
; %bb.78:                               ;   in Loop: Header=BB90_77 Depth=1
	v_lshlrev_b64 v[2:3], 4, v[14:15]
	v_mov_b32_e32 v4, s37
	v_add_co_u32_e32 v18, vcc, s36, v2
	v_addc_co_u32_e32 v19, vcc, v4, v3, vcc
	;;#ASMSTART
	global_load_dwordx4 v[2:5], v[18:19] off glc	
s_waitcnt vmcnt(0)
	;;#ASMEND
	v_and_b32_e32 v5, 0xff, v3
	v_and_b32_e32 v36, 0xff00, v3
	v_or3_b32 v5, 0, v5, v36
	v_or3_b32 v2, v2, 0, 0
	v_and_b32_e32 v36, 0xff000000, v3
	v_and_b32_e32 v3, 0xff0000, v3
	v_or3_b32 v3, v5, v3, v36
	v_or3_b32 v2, v2, 0, 0
	v_cmp_eq_u16_sdwa s[54:55], v4, v15 src0_sel:BYTE_0 src1_sel:DWORD
	s_and_saveexec_b64 s[30:31], s[54:55]
	s_cbranch_execz .LBB90_76
; %bb.79:                               ;   in Loop: Header=BB90_77 Depth=1
	s_mov_b64 s[54:55], 0
.LBB90_80:                              ;   Parent Loop BB90_77 Depth=1
                                        ; =>  This Inner Loop Header: Depth=2
	;;#ASMSTART
	global_load_dwordx4 v[2:5], v[18:19] off glc	
s_waitcnt vmcnt(0)
	;;#ASMEND
	v_cmp_ne_u16_sdwa s[58:59], v4, v15 src0_sel:BYTE_0 src1_sel:DWORD
	s_or_b64 s[54:55], s[58:59], s[54:55]
	s_andn2_b64 exec, exec, s[54:55]
	s_cbranch_execnz .LBB90_80
; %bb.81:                               ;   in Loop: Header=BB90_77 Depth=1
	s_or_b64 exec, exec, s[54:55]
	s_branch .LBB90_76
.LBB90_82:                              ;   in Loop: Header=BB90_77 Depth=1
                                        ; implicit-def: $vgpr3
                                        ; implicit-def: $vgpr2
                                        ; implicit-def: $vgpr4
	s_cbranch_execz .LBB90_77
; %bb.83:
	s_and_saveexec_b64 s[30:31], s[28:29]
	s_cbranch_execz .LBB90_85
; %bb.84:
	s_cmp_eq_u32 s56, 0
	s_cselect_b64 vcc, -1, 0
	s_mov_b32 s55, 0
	v_cndmask_b32_e32 v2, 0, v7, vcc
	s_add_i32 s54, s78, 64
	v_add_u32_e32 v2, s57, v2
	s_lshl_b64 s[54:55], s[54:55], 4
	s_add_u32 s54, s36, s54
	v_and_b32_e32 v3, 0xff000000, v2
	v_and_b32_e32 v4, 0xff0000, v2
	s_addc_u32 s55, s37, s55
	v_or_b32_e32 v3, v4, v3
	v_and_b32_e32 v4, 0xff00, v2
	v_and_b32_e32 v2, 0xff, v2
	v_add_u32_e32 v14, s56, v6
	v_mov_b32_e32 v17, 0
	v_or3_b32 v15, v3, v4, v2
	v_mov_b32_e32 v16, 2
	v_pk_mov_b32 v[2:3], s[54:55], s[54:55] op_sel:[0,1]
	;;#ASMSTART
	global_store_dwordx4 v[2:3], v[14:17] off	
s_waitcnt vmcnt(0)
	;;#ASMEND
	v_mov_b32_e32 v4, s56
	v_mov_b32_e32 v5, s57
	ds_write_b128 v17, v[4:7] offset:512
.LBB90_85:
	s_or_b64 exec, exec, s[30:31]
	s_and_b64 exec, exec, s[0:1]
	s_cbranch_execz .LBB90_87
; %bb.86:
	v_mov_b32_e32 v2, 0
	ds_write_b64 v2, v[6:7] offset:552
.LBB90_87:
	s_or_b64 exec, exec, s[48:49]
	v_mov_b32_e32 v4, 0
	s_waitcnt lgkmcnt(0)
	s_barrier
	ds_read_b64 v[2:3], v4 offset:552
	v_cndmask_b32_e64 v6, v20, v12, s[28:29]
	v_cmp_eq_u32_e32 vcc, 0, v6
	v_cndmask_b32_e64 v5, v22, v13, s[28:29]
	s_waitcnt lgkmcnt(0)
	v_cndmask_b32_e32 v7, 0, v3, vcc
	v_add_u32_e32 v5, v7, v5
	v_cndmask_b32_e64 v51, v5, v3, s[0:1]
	v_cndmask_b32_e64 v3, v6, 0, s[0:1]
	v_cmp_eq_u32_e32 vcc, 0, v78
	v_add_u32_e32 v50, v2, v3
	v_cndmask_b32_e32 v2, 0, v51, vcc
	v_add_u32_e32 v49, v2, v52
	v_cndmask_b32_e64 v2, 0, v49, s[26:27]
	v_add_u32_e32 v47, v2, v52
	v_cndmask_b32_e64 v2, 0, v47, s[24:25]
	;; [unrolled: 2-line block ×7, first 2 shown]
	v_add_u32_e32 v48, v50, v78
	v_add_u32_e32 v35, v2, v52
	v_add_u32_e32 v46, v48, v77
	v_cndmask_b32_e64 v2, 0, v35, s[12:13]
	v_add_u32_e32 v44, v46, v76
	v_add_u32_e32 v33, v2, v52
	v_add_u32_e32 v42, v44, v75
	v_cndmask_b32_e64 v2, 0, v33, s[10:11]
	;; [unrolled: 4-line block ×3, first 2 shown]
	v_add_u32_e32 v36, v38, v21
	v_add_u32_e32 v29, v2, v52
	s_barrier
	ds_read_b128 v[16:19], v4 offset:512
	v_add_u32_e32 v34, v36, v72
	v_cndmask_b32_e64 v2, 0, v29, s[6:7]
	v_add_u32_e32 v32, v34, v71
	v_add_u32_e32 v27, v2, v52
	;; [unrolled: 1-line block ×3, first 2 shown]
	v_cndmask_b32_e64 v2, 0, v27, s[4:5]
	v_add_u32_e32 v28, v30, v69
	v_add_u32_e32 v23, v2, v52
	;; [unrolled: 1-line block ×3, first 2 shown]
	v_cndmask_b32_e64 v2, 0, v23, s[2:3]
	s_waitcnt lgkmcnt(0)
	v_cmp_eq_u32_e32 vcc, 0, v16
	v_add_u32_e32 v22, v26, v67
	v_add_u32_e32 v25, v2, v52
	v_cndmask_b32_e32 v2, 0, v19, vcc
	v_add_u32_e32 v24, v22, v66
	v_add_u32_e32 v20, v2, v17
	s_branch .LBB90_100
.LBB90_88:
                                        ; implicit-def: $vgpr16
                                        ; implicit-def: $vgpr20
                                        ; implicit-def: $vgpr24_vgpr25
                                        ; implicit-def: $vgpr22_vgpr23
                                        ; implicit-def: $vgpr26_vgpr27
                                        ; implicit-def: $vgpr28_vgpr29
                                        ; implicit-def: $vgpr50_vgpr51
                                        ; implicit-def: $vgpr48_vgpr49
                                        ; implicit-def: $vgpr46_vgpr47
                                        ; implicit-def: $vgpr44_vgpr45
                                        ; implicit-def: $vgpr42_vgpr43
                                        ; implicit-def: $vgpr40_vgpr41
                                        ; implicit-def: $vgpr38_vgpr39
                                        ; implicit-def: $vgpr36_vgpr37
                                        ; implicit-def: $vgpr34_vgpr35
                                        ; implicit-def: $vgpr32_vgpr33
                                        ; implicit-def: $vgpr30_vgpr31
	s_cbranch_execz .LBB90_100
; %bb.89:
	s_and_b64 s[2:3], s[38:39], exec
	s_cselect_b32 s3, 0, s35
	s_cselect_b32 s2, 0, s34
	s_cmp_eq_u64 s[2:3], 0
	v_mov_b32_e32 v6, v52
	s_cbranch_scc1 .LBB90_91
; %bb.90:
	v_mov_b32_e32 v2, 0
	global_load_dword v6, v2, s[2:3]
.LBB90_91:
	v_cmp_eq_u32_e64 s[2:3], 0, v77
	v_cndmask_b32_e64 v2, 0, v52, s[2:3]
	v_add_u32_e32 v2, v2, v52
	v_cmp_eq_u32_e64 s[4:5], 0, v76
	v_cndmask_b32_e64 v2, 0, v2, s[4:5]
	v_add_u32_e32 v2, v2, v52
	;; [unrolled: 3-line block ×11, first 2 shown]
	v_cmp_eq_u32_e64 s[24:25], 0, v67
	v_cndmask_b32_e64 v2, 0, v2, s[24:25]
	v_add3_u32 v3, v81, v73, v21
	v_add_u32_e32 v2, v2, v52
	v_cmp_eq_u32_e32 vcc, 0, v66
	v_add3_u32 v3, v3, v72, v71
	v_cndmask_b32_e32 v2, 0, v2, vcc
	v_add3_u32 v3, v3, v70, v69
	v_add_u32_e32 v2, v2, v52
	v_cmp_eq_u32_e64 s[26:27], 0, v65
	v_add3_u32 v3, v3, v68, v67
	v_cndmask_b32_e64 v2, 0, v2, s[26:27]
	v_add3_u32 v3, v3, v66, v65
	v_add_u32_e32 v2, v2, v53
	v_mbcnt_hi_u32_b32 v7, -1, v80
	v_and_b32_e32 v4, 15, v7
	v_mov_b32_dpp v12, v2 row_shr:1 row_mask:0xf bank_mask:0xf
	v_cmp_eq_u32_e64 s[26:27], 0, v3
	v_mov_b32_dpp v5, v3 row_shr:1 row_mask:0xf bank_mask:0xf
	v_cndmask_b32_e64 v12, 0, v12, s[26:27]
	v_cmp_eq_u32_e64 s[26:27], 0, v4
	v_cndmask_b32_e64 v5, v5, 0, s[26:27]
	v_add_u32_e32 v3, v5, v3
	v_cndmask_b32_e64 v5, v12, 0, s[26:27]
	v_add_u32_e32 v2, v5, v2
	v_cmp_eq_u32_e64 s[26:27], 0, v3
	v_mov_b32_dpp v5, v3 row_shr:2 row_mask:0xf bank_mask:0xf
	v_cmp_lt_u32_e64 s[28:29], 1, v4
	v_mov_b32_dpp v12, v2 row_shr:2 row_mask:0xf bank_mask:0xf
	v_cndmask_b32_e64 v5, 0, v5, s[28:29]
	s_and_b64 s[26:27], s[28:29], s[26:27]
	v_cndmask_b32_e64 v12, 0, v12, s[26:27]
	v_add_u32_e32 v3, v3, v5
	v_add_u32_e32 v2, v12, v2
	v_cmp_eq_u32_e64 s[26:27], 0, v3
	v_mov_b32_dpp v5, v3 row_shr:4 row_mask:0xf bank_mask:0xf
	v_cmp_lt_u32_e64 s[28:29], 3, v4
	v_mov_b32_dpp v12, v2 row_shr:4 row_mask:0xf bank_mask:0xf
	v_cndmask_b32_e64 v5, 0, v5, s[28:29]
	s_and_b64 s[26:27], s[28:29], s[26:27]
	v_cndmask_b32_e64 v12, 0, v12, s[26:27]
	v_add_u32_e32 v3, v5, v3
	v_add_u32_e32 v2, v2, v12
	v_cmp_eq_u32_e64 s[26:27], 0, v3
	v_cmp_lt_u32_e64 s[28:29], 7, v4
	v_mov_b32_dpp v5, v3 row_shr:8 row_mask:0xf bank_mask:0xf
	v_mov_b32_dpp v12, v2 row_shr:8 row_mask:0xf bank_mask:0xf
	s_and_b64 s[26:27], s[28:29], s[26:27]
	v_cndmask_b32_e64 v4, 0, v5, s[28:29]
	v_cndmask_b32_e64 v5, 0, v12, s[26:27]
	v_add_u32_e32 v2, v5, v2
	v_add_u32_e32 v3, v4, v3
	v_bfe_i32 v12, v7, 4, 1
	v_mov_b32_dpp v5, v2 row_bcast:15 row_mask:0xf bank_mask:0xf
	v_mov_b32_dpp v4, v3 row_bcast:15 row_mask:0xf bank_mask:0xf
	v_cmp_eq_u32_e64 s[26:27], 0, v3
	v_cndmask_b32_e64 v5, 0, v5, s[26:27]
	v_and_b32_e32 v4, v12, v4
	v_add_u32_e32 v3, v4, v3
	v_and_b32_e32 v4, v12, v5
	v_add_u32_e32 v4, v4, v2
	v_mov_b32_dpp v2, v3 row_bcast:31 row_mask:0xf bank_mask:0xf
	v_cmp_eq_u32_e64 s[26:27], 0, v3
	v_cmp_lt_u32_e64 s[28:29], 31, v7
	v_mov_b32_dpp v5, v4 row_bcast:31 row_mask:0xf bank_mask:0xf
	v_cndmask_b32_e64 v2, 0, v2, s[28:29]
	s_and_b64 s[26:27], s[28:29], s[26:27]
	v_add_u32_e32 v2, v2, v3
	v_cndmask_b32_e64 v3, 0, v5, s[26:27]
	v_add_u32_e32 v3, v3, v4
	v_cmp_eq_u32_e64 s[26:27], v79, v0
	v_lshlrev_b32_e32 v5, 3, v54
	s_and_saveexec_b64 s[28:29], s[26:27]
	s_cbranch_execz .LBB90_93
; %bb.92:
	ds_write_b64 v5, v[2:3] offset:528
.LBB90_93:
	s_or_b64 exec, exec, s[28:29]
	v_cmp_gt_u32_e64 s[26:27], 4, v0
	s_waitcnt lgkmcnt(0)
	s_barrier
	s_and_saveexec_b64 s[30:31], s[26:27]
	s_cbranch_execz .LBB90_95
; %bb.94:
	v_lshlrev_b32_e32 v4, 3, v0
	ds_read_b64 v[12:13], v4 offset:528
	v_and_b32_e32 v14, 3, v7
	v_cmp_lt_u32_e64 s[28:29], 1, v14
	s_waitcnt lgkmcnt(0)
	v_mov_b32_dpp v16, v13 row_shr:1 row_mask:0xf bank_mask:0xf
	v_cmp_eq_u32_e64 s[26:27], 0, v12
	v_mov_b32_dpp v15, v12 row_shr:1 row_mask:0xf bank_mask:0xf
	v_cndmask_b32_e64 v16, 0, v16, s[26:27]
	v_cmp_eq_u32_e64 s[26:27], 0, v14
	v_cndmask_b32_e64 v15, v15, 0, s[26:27]
	v_add_u32_e32 v12, v15, v12
	v_cndmask_b32_e64 v15, v16, 0, s[26:27]
	v_add_u32_e32 v13, v15, v13
	v_cmp_eq_u32_e64 s[26:27], 0, v12
	v_mov_b32_dpp v15, v12 row_shr:2 row_mask:0xf bank_mask:0xf
	v_mov_b32_dpp v16, v13 row_shr:2 row_mask:0xf bank_mask:0xf
	v_cndmask_b32_e64 v14, 0, v15, s[28:29]
	s_and_b64 s[26:27], s[28:29], s[26:27]
	v_add_u32_e32 v12, v14, v12
	v_cndmask_b32_e64 v14, 0, v16, s[26:27]
	v_add_u32_e32 v13, v14, v13
	ds_write_b64 v4, v[12:13] offset:528
.LBB90_95:
	s_or_b64 exec, exec, s[30:31]
	v_cmp_lt_u32_e64 s[26:27], 63, v0
	v_mov_b32_e32 v12, 0
	v_mov_b32_e32 v4, 0
	s_waitcnt vmcnt(0)
	v_mov_b32_e32 v13, v6
	s_waitcnt lgkmcnt(0)
	s_barrier
	s_and_saveexec_b64 s[28:29], s[26:27]
	s_cbranch_execz .LBB90_97
; %bb.96:
	ds_read_b64 v[4:5], v5 offset:520
	s_waitcnt lgkmcnt(0)
	v_cmp_eq_u32_e64 s[26:27], 0, v4
	v_cndmask_b32_e64 v13, 0, v6, s[26:27]
	v_add_u32_e32 v13, v13, v5
.LBB90_97:
	s_or_b64 exec, exec, s[28:29]
	v_cmp_eq_u32_e64 s[26:27], 0, v2
	v_add_u32_e32 v5, v4, v2
	v_cndmask_b32_e64 v2, 0, v13, s[26:27]
	v_add_u32_e32 v2, v2, v3
	v_add_u32_e32 v3, -1, v7
	v_and_b32_e32 v14, 64, v7
	v_cmp_lt_i32_e64 s[26:27], v3, v14
	v_cndmask_b32_e64 v3, v3, v7, s[26:27]
	v_lshlrev_b32_e32 v3, 2, v3
	ds_bpermute_b32 v2, v3, v2
	ds_bpermute_b32 v5, v3, v5
	v_cmp_eq_u32_e64 s[26:27], 0, v7
	ds_read_b64 v[16:17], v12 offset:552
	s_waitcnt lgkmcnt(2)
	v_cndmask_b32_e64 v2, v2, v13, s[26:27]
	s_waitcnt lgkmcnt(1)
	v_cndmask_b32_e64 v3, v5, v4, s[26:27]
	v_cndmask_b32_e64 v51, v2, v6, s[0:1]
	v_cmp_eq_u32_e64 s[26:27], 0, v78
	v_cndmask_b32_e64 v2, 0, v51, s[26:27]
	v_add_u32_e32 v49, v2, v52
	v_cndmask_b32_e64 v2, 0, v49, s[2:3]
	v_add_u32_e32 v47, v2, v52
	;; [unrolled: 2-line block ×7, first 2 shown]
	v_cndmask_b32_e64 v50, v3, 0, s[0:1]
	v_cndmask_b32_e64 v2, 0, v37, s[14:15]
	v_add_u32_e32 v48, v50, v78
	v_add_u32_e32 v35, v2, v52
	v_add_u32_e32 v46, v48, v77
	v_cndmask_b32_e64 v2, 0, v35, s[16:17]
	v_add_u32_e32 v44, v46, v76
	v_add_u32_e32 v33, v2, v52
	v_add_u32_e32 v42, v44, v75
	;; [unrolled: 4-line block ×6, first 2 shown]
	v_cndmask_b32_e32 v2, 0, v23, vcc
	s_waitcnt lgkmcnt(0)
	v_cmp_eq_u32_e32 vcc, 0, v16
	v_add_u32_e32 v22, v26, v67
	v_add_u32_e32 v25, v2, v52
	v_cndmask_b32_e32 v2, 0, v6, vcc
	v_add_u32_e32 v24, v22, v66
	v_add_u32_e32 v20, v2, v17
	s_and_saveexec_b64 s[2:3], s[0:1]
	s_cbranch_execz .LBB90_99
; %bb.98:
	s_add_u32 s4, s36, 0x400
	v_and_b32_e32 v2, 0xff000000, v20
	v_and_b32_e32 v3, 0xff0000, v20
	s_addc_u32 s5, s37, 0
	v_or_b32_e32 v2, v3, v2
	v_and_b32_e32 v3, 0xff00, v20
	v_and_b32_e32 v4, 0xff, v20
	v_mov_b32_e32 v19, 0
	v_or3_b32 v17, v2, v3, v4
	v_mov_b32_e32 v18, 2
	v_pk_mov_b32 v[2:3], s[4:5], s[4:5] op_sel:[0,1]
	;;#ASMSTART
	global_store_dwordx4 v[2:3], v[16:19] off	
s_waitcnt vmcnt(0)
	;;#ASMEND
.LBB90_99:
	s_or_b64 exec, exec, s[2:3]
	v_mov_b32_e32 v18, 0
.LBB90_100:
	s_and_b64 s[2:3], s[38:39], exec
	s_cselect_b32 s3, 0, s51
	s_cselect_b32 s2, 0, s50
	s_cmp_eq_u64 s[2:3], 0
	v_pk_mov_b32 v[52:53], 0, 0
	s_barrier
	s_cbranch_scc1 .LBB90_102
; %bb.101:
	v_mov_b32_e32 v2, 0
	global_load_dwordx2 v[52:53], v2, s[2:3]
.LBB90_102:
	v_mov_b32_e32 v2, s45
	s_waitcnt vmcnt(0)
	v_add_co_u32_e32 v3, vcc, s44, v52
	v_addc_co_u32_e32 v2, vcc, v2, v53, vcc
	v_add_co_u32_e32 v54, vcc, v3, v18
	v_addc_co_u32_e32 v17, vcc, 0, v2, vcc
	v_cmp_eq_u32_e32 vcc, 0, v78
	v_cndmask_b32_e64 v2, 1, 2, vcc
	v_cmp_eq_u32_e32 vcc, 0, v77
	v_cndmask_b32_e64 v3, 1, 2, vcc
	v_cmp_eq_u32_e32 vcc, 0, v76
	v_and_b32_e32 v2, v3, v2
	v_cndmask_b32_e64 v3, 1, 2, vcc
	v_cmp_eq_u32_e32 vcc, 0, v75
	v_and_b32_e32 v2, v2, v3
	;; [unrolled: 3-line block ×13, first 2 shown]
	v_cndmask_b32_e64 v3, 1, 2, vcc
	s_movk_i32 s34, 0x100
	v_and_b32_e32 v2, v2, v3
	v_cmp_gt_u32_e32 vcc, s34, v16
	v_mov_b32_e32 v19, 0
	v_cmp_ne_u32_e64 s[30:31], 0, v78
	v_cmp_ne_u32_e64 s[28:29], 0, v77
	v_cmp_ne_u32_e64 s[26:27], 0, v76
	v_cmp_ne_u32_e64 s[24:25], 0, v75
	v_cmp_ne_u32_e64 s[22:23], 0, v74
	v_cmp_ne_u32_e64 s[20:21], 0, v73
	v_cmp_ne_u32_e64 s[18:19], 0, v21
	v_cmp_ne_u32_e64 s[16:17], 0, v72
	v_cmp_ne_u32_e64 s[14:15], 0, v71
	v_cmp_ne_u32_e64 s[12:13], 0, v70
	v_cmp_ne_u32_e64 s[10:11], 0, v69
	v_cmp_ne_u32_e64 s[8:9], 0, v68
	v_cmp_ne_u32_e64 s[6:7], 0, v67
	v_cmp_ne_u32_e64 s[4:5], 0, v66
	v_cmp_ne_u32_e64 s[2:3], 0, v65
	s_mov_b64 s[36:37], -1
	v_cmp_gt_i16_e64 s[34:35], 2, v2
	s_cbranch_vccz .LBB90_109
; %bb.103:
	s_and_saveexec_b64 s[36:37], s[34:35]
	s_cbranch_execz .LBB90_108
; %bb.104:
	v_cmp_ne_u16_e32 vcc, 1, v2
	s_mov_b64 s[38:39], 0
	s_and_saveexec_b64 s[34:35], vcc
	s_xor_b64 s[34:35], exec, s[34:35]
	s_cbranch_execnz .LBB90_152
; %bb.105:
	s_andn2_saveexec_b64 s[34:35], s[34:35]
	s_cbranch_execnz .LBB90_168
.LBB90_106:
	s_or_b64 exec, exec, s[34:35]
	s_and_b64 exec, exec, s[38:39]
	s_cbranch_execz .LBB90_108
.LBB90_107:
	v_sub_u32_e32 v3, v24, v18
	v_readfirstlane_b32 s34, v54
	v_readfirstlane_b32 s35, v17
	s_nop 4
	global_store_byte v3, v1, s[34:35]
.LBB90_108:
	s_or_b64 exec, exec, s[36:37]
	s_mov_b64 s[36:37], 0
.LBB90_109:
	s_and_b64 vcc, exec, s[36:37]
	s_cbranch_vccz .LBB90_130
; %bb.110:
	v_cmp_gt_i16_e32 vcc, 2, v2
	s_and_saveexec_b64 s[34:35], vcc
	s_cbranch_execz .LBB90_115
; %bb.111:
	v_cmp_ne_u16_e32 vcc, 1, v2
	s_mov_b64 s[38:39], 0
	s_and_saveexec_b64 s[36:37], vcc
	s_xor_b64 s[36:37], exec, s[36:37]
	s_cbranch_execnz .LBB90_169
; %bb.112:
	s_andn2_saveexec_b64 s[2:3], s[36:37]
	s_cbranch_execnz .LBB90_185
.LBB90_113:
	s_or_b64 exec, exec, s[2:3]
	s_and_b64 exec, exec, s[38:39]
	s_cbranch_execz .LBB90_115
.LBB90_114:
	v_sub_u32_e32 v2, v24, v18
	ds_write_b8 v2, v1
.LBB90_115:
	s_or_b64 exec, exec, s[34:35]
	v_cmp_lt_u32_e32 vcc, v0, v16
	s_waitcnt lgkmcnt(0)
	s_barrier
	s_and_saveexec_b64 s[2:3], vcc
	s_cbranch_execz .LBB90_129
; %bb.116:
	v_xad_u32 v2, v0, -1, v16
	s_movk_i32 s4, 0x1700
	s_movk_i32 s6, 0x16ff
	v_cmp_gt_u32_e64 s[4:5], s4, v2
	v_cmp_lt_u32_e32 vcc, s6, v2
	v_mov_b32_e32 v1, v0
	s_and_saveexec_b64 s[6:7], vcc
	s_cbranch_execz .LBB90_126
; %bb.117:
	v_sub_u32_e32 v1, v0, v16
	v_or_b32_e32 v1, 0xff, v1
	v_cmp_ge_u32_e32 vcc, v1, v0
	s_mov_b64 s[10:11], -1
	v_mov_b32_e32 v1, v0
	s_and_saveexec_b64 s[8:9], vcc
	s_cbranch_execz .LBB90_125
; %bb.118:
	v_lshrrev_b32_e32 v55, 8, v2
	v_or_b32_e32 v7, 0x700, v0
	v_or_b32_e32 v6, 0x600, v0
	v_or_b32_e32 v5, 0x500, v0
	v_or_b32_e32 v4, 0x400, v0
	v_or_b32_e32 v3, 0x300, v0
	v_or_b32_e32 v2, 0x200, v0
	v_or_b32_e32 v1, 0x100, v0
	v_add_u32_e32 v56, -7, v55
	v_pk_mov_b32 v[14:15], v[6:7], v[6:7] op_sel:[0,1]
	v_cmp_lt_u32_e32 vcc, 7, v56
	v_mov_b32_e32 v59, 0
	v_pk_mov_b32 v[12:13], v[4:5], v[4:5] op_sel:[0,1]
	v_pk_mov_b32 v[10:11], v[2:3], v[2:3] op_sel:[0,1]
	;; [unrolled: 1-line block ×3, first 2 shown]
	s_and_saveexec_b64 s[10:11], vcc
	s_cbranch_execz .LBB90_122
; %bb.119:
	v_lshrrev_b32_e32 v8, 3, v56
	v_add_u32_e32 v8, 1, v8
	v_and_b32_e32 v57, 0x3ffffffe, v8
	v_pk_mov_b32 v[14:15], v[6:7], v[6:7] op_sel:[0,1]
	s_mov_b32 s14, 0
	s_mov_b64 s[12:13], 0
	v_mov_b32_e32 v58, v0
	v_pk_mov_b32 v[12:13], v[4:5], v[4:5] op_sel:[0,1]
	v_pk_mov_b32 v[10:11], v[2:3], v[2:3] op_sel:[0,1]
	;; [unrolled: 1-line block ×3, first 2 shown]
.LBB90_120:                             ; =>This Inner Loop Header: Depth=1
	v_add_co_u32_e32 v2, vcc, v54, v8
	v_addc_co_u32_e32 v3, vcc, 0, v17, vcc
	v_add_co_u32_e32 v4, vcc, v54, v9
	v_addc_co_u32_e32 v5, vcc, 0, v17, vcc
	;; [unrolled: 2-line block ×8, first 2 shown]
	v_add_u32_e32 v86, 0x800, v8
	v_add_co_u32_e32 v86, vcc, v54, v86
	v_add_u32_e32 v88, 0x800, v9
	v_addc_co_u32_e32 v87, vcc, 0, v17, vcc
	v_add_co_u32_e32 v88, vcc, v54, v88
	v_add_u32_e32 v90, 0x800, v10
	v_addc_co_u32_e32 v89, vcc, 0, v17, vcc
	;; [unrolled: 3-line block ×6, first 2 shown]
	v_add_co_u32_e32 v98, vcc, v54, v98
	ds_read_u8 v1, v58
	ds_read_u8 v64, v58 offset:256
	ds_read_u8 v79, v58 offset:512
	;; [unrolled: 1-line block ×7, first 2 shown]
	v_add_u32_e32 v59, 0x800, v15
	ds_read_u8 v107, v58 offset:2048
	ds_read_u8 v108, v58 offset:2304
	;; [unrolled: 1-line block ×8, first 2 shown]
	v_addc_co_u32_e32 v99, vcc, 0, v17, vcc
	v_add_co_u32_e32 v100, vcc, v54, v59
	v_add_u32_e32 v57, -2, v57
	v_addc_co_u32_e32 v101, vcc, 0, v17, vcc
	s_add_i32 s14, s14, 16
	v_cmp_eq_u32_e32 vcc, 0, v57
	v_add_u32_e32 v15, 0x1000, v15
	v_add_u32_e32 v14, 0x1000, v14
	v_add_u32_e32 v13, 0x1000, v13
	v_add_u32_e32 v12, 0x1000, v12
	v_add_u32_e32 v11, 0x1000, v11
	v_add_u32_e32 v10, 0x1000, v10
	v_add_u32_e32 v9, 0x1000, v9
	v_add_u32_e32 v8, 0x1000, v8
	v_add_u32_e32 v58, 0x1000, v58
	v_mov_b32_e32 v59, s14
	s_or_b64 s[12:13], vcc, s[12:13]
	s_waitcnt lgkmcnt(14)
	global_store_byte v[2:3], v1, off
	global_store_byte v[4:5], v64, off
	s_waitcnt lgkmcnt(13)
	global_store_byte v[6:7], v79, off
	s_waitcnt lgkmcnt(12)
	;; [unrolled: 2-line block ×14, first 2 shown]
	global_store_byte v[100:101], v114, off
	s_andn2_b64 exec, exec, s[12:13]
	s_cbranch_execnz .LBB90_120
; %bb.121:
	s_or_b64 exec, exec, s[12:13]
.LBB90_122:
	s_or_b64 exec, exec, s[10:11]
	v_and_b32_e32 v1, 8, v56
	v_cmp_eq_u32_e32 vcc, 0, v1
	s_and_saveexec_b64 s[10:11], vcc
	s_cbranch_execz .LBB90_124
; %bb.123:
	v_add_co_u32_e32 v2, vcc, v54, v8
	v_addc_co_u32_e32 v3, vcc, 0, v17, vcc
	v_add_co_u32_e32 v4, vcc, v54, v9
	v_addc_co_u32_e32 v5, vcc, 0, v17, vcc
	;; [unrolled: 2-line block ×4, first 2 shown]
	v_add_co_u32_e32 v10, vcc, v54, v12
	v_lshl_or_b32 v1, v59, 8, v0
	v_addc_co_u32_e32 v11, vcc, 0, v17, vcc
	ds_read_u8 v58, v1
	ds_read_u8 v59, v1 offset:256
	ds_read_u8 v60, v1 offset:512
	;; [unrolled: 1-line block ×7, first 2 shown]
	v_add_co_u32_e32 v12, vcc, v54, v13
	v_addc_co_u32_e32 v13, vcc, 0, v17, vcc
	v_add_co_u32_e32 v56, vcc, v54, v14
	v_addc_co_u32_e32 v57, vcc, 0, v17, vcc
	;; [unrolled: 2-line block ×3, first 2 shown]
	s_waitcnt lgkmcnt(7)
	global_store_byte v[2:3], v58, off
	s_waitcnt lgkmcnt(6)
	global_store_byte v[4:5], v59, off
	;; [unrolled: 2-line block ×8, first 2 shown]
.LBB90_124:
	s_or_b64 exec, exec, s[10:11]
	v_add_u32_e32 v2, 1, v55
	v_and_b32_e32 v3, 0x1fffff8, v2
	v_cmp_ne_u32_e32 vcc, v2, v3
	v_lshl_or_b32 v1, v3, 8, v0
	s_orn2_b64 s[10:11], vcc, exec
.LBB90_125:
	s_or_b64 exec, exec, s[8:9]
	s_andn2_b64 s[4:5], s[4:5], exec
	s_and_b64 s[8:9], s[10:11], exec
	s_or_b64 s[4:5], s[4:5], s[8:9]
.LBB90_126:
	s_or_b64 exec, exec, s[6:7]
	s_and_b64 exec, exec, s[4:5]
	s_cbranch_execz .LBB90_129
; %bb.127:
	s_mov_b64 s[4:5], 0
.LBB90_128:                             ; =>This Inner Loop Header: Depth=1
	ds_read_u8 v2, v1
	v_readfirstlane_b32 s6, v54
	v_readfirstlane_b32 s7, v17
	s_waitcnt lgkmcnt(0)
	s_nop 3
	global_store_byte v1, v2, s[6:7]
	v_add_u32_e32 v1, 0x100, v1
	v_cmp_ge_u32_e32 vcc, v1, v16
	s_or_b64 s[4:5], vcc, s[4:5]
	s_andn2_b64 exec, exec, s[4:5]
	s_cbranch_execnz .LBB90_128
.LBB90_129:
	s_or_b64 exec, exec, s[2:3]
.LBB90_130:
	s_cmpk_lg_i32 s33, 0xf00
	s_cselect_b64 s[2:3], -1, 0
	v_cndmask_b32_e64 v8, 0, 1, s[42:43]
	s_and_b64 s[2:3], s[2:3], s[40:41]
	v_sub_u32_e32 v1, v16, v8
	v_cndmask_b32_e64 v2, 0, 1, s[2:3]
	s_and_b64 s[0:1], s[0:1], s[42:43]
	v_add_u32_e32 v1, v1, v2
	v_cndmask_b32_e64 v2, v78, 0, s[0:1]
	s_mul_hi_u32 s0, s33, 0x88888889
	s_lshr_b32 s0, s0, 3
	v_mad_i32_i24 v3, v0, -15, s33
	v_cmp_eq_u32_e32 vcc, s0, v0
	v_cmp_ne_u32_e64 s[0:1], 0, v3
	v_cndmask_b32_e64 v4, 1, v2, s[0:1]
	v_cmp_ne_u32_e64 s[0:1], 1, v3
	v_cndmask_b32_e64 v5, 1, v77, s[0:1]
	;; [unrolled: 2-line block ×15, first 2 shown]
	s_and_b64 vcc, vcc, s[40:41]
	v_cndmask_b32_e32 v56, v65, v3, vcc
	v_cndmask_b32_e32 v59, v2, v4, vcc
	v_lshlrev_b64 v[2:3], 3, v[52:53]
	v_cndmask_b32_e32 v55, v66, v55, vcc
	v_cndmask_b32_e32 v54, v67, v54, vcc
	;; [unrolled: 1-line block ×13, first 2 shown]
	v_mov_b32_e32 v4, s47
	v_add_co_u32_e32 v5, vcc, s46, v2
	v_addc_co_u32_e32 v6, vcc, v4, v3, vcc
	v_lshlrev_b64 v[2:3], 3, v[18:19]
	v_add_co_u32_e32 v4, vcc, v5, v2
	v_addc_co_u32_e32 v5, vcc, v6, v3, vcc
	v_lshlrev_b32_e32 v2, 3, v8
	v_add_co_u32_e32 v2, vcc, v2, v4
	v_addc_co_u32_e32 v3, vcc, 0, v5, vcc
	v_add_co_u32_e32 v6, vcc, -8, v2
	v_addc_co_u32_e32 v7, vcc, -1, v3, vcc
	v_cmp_eq_u32_e32 vcc, 0, v59
	v_cndmask_b32_e64 v3, 1, 2, vcc
	v_cmp_eq_u32_e32 vcc, 0, v58
	v_add_u32_e32 v2, v18, v8
	v_cndmask_b32_e64 v8, 1, 2, vcc
	v_cmp_eq_u32_e32 vcc, 0, v57
	v_and_b32_e32 v3, v8, v3
	v_cndmask_b32_e64 v8, 1, 2, vcc
	v_cmp_eq_u32_e32 vcc, 0, v21
	v_and_b32_e32 v3, v3, v8
	;; [unrolled: 3-line block ×13, first 2 shown]
	v_cndmask_b32_e64 v8, 1, 2, vcc
	s_movk_i32 s30, 0x100
	v_and_b32_e32 v3, v3, v8
	v_cmp_gt_u32_e32 vcc, s30, v1
	v_cmp_ne_u32_e64 s[28:29], 0, v59
	v_cmp_ne_u32_e64 s[26:27], 0, v58
	v_cmp_ne_u32_e64 s[24:25], 0, v57
	v_cmp_ne_u32_e64 s[22:23], 0, v21
	v_cmp_ne_u32_e64 s[20:21], 0, v9
	v_cmp_ne_u32_e64 s[18:19], 0, v10
	v_cmp_ne_u32_e64 s[16:17], 0, v11
	v_cmp_ne_u32_e64 s[14:15], 0, v12
	v_cmp_ne_u32_e64 s[12:13], 0, v13
	v_cmp_ne_u32_e64 s[10:11], 0, v14
	v_cmp_ne_u32_e64 s[8:9], 0, v15
	v_cmp_ne_u32_e64 s[6:7], 0, v17
	v_cmp_ne_u32_e64 s[4:5], 0, v54
	v_cmp_ne_u32_e64 s[2:3], 0, v55
	v_cmp_ne_u32_e64 s[0:1], 0, v56
	s_mov_b64 s[34:35], -1
	v_cmp_gt_i16_e64 s[30:31], 2, v3
	s_barrier
	s_cbranch_vccz .LBB90_137
; %bb.131:
	s_and_saveexec_b64 s[34:35], s[30:31]
	s_cbranch_execz .LBB90_136
; %bb.132:
	v_cmp_ne_u16_e32 vcc, 1, v3
	s_mov_b64 s[36:37], 0
	s_and_saveexec_b64 s[30:31], vcc
	s_xor_b64 s[30:31], exec, s[30:31]
	s_cbranch_execnz .LBB90_186
; %bb.133:
	s_andn2_saveexec_b64 s[30:31], s[30:31]
	s_cbranch_execnz .LBB90_202
.LBB90_134:
	s_or_b64 exec, exec, s[30:31]
	s_and_b64 exec, exec, s[36:37]
	s_cbranch_execz .LBB90_136
.LBB90_135:
	v_mov_b32_e32 v9, 0
	v_sub_u32_e32 v10, v24, v2
	v_mov_b32_e32 v11, v9
	v_lshlrev_b64 v[10:11], 3, v[10:11]
	v_add_co_u32_e32 v10, vcc, v6, v10
	v_mov_b32_e32 v8, v25
	v_addc_co_u32_e32 v11, vcc, v7, v11, vcc
	global_store_dwordx2 v[10:11], v[8:9], off
.LBB90_136:
	s_or_b64 exec, exec, s[34:35]
	s_mov_b64 s[34:35], 0
.LBB90_137:
	s_and_b64 vcc, exec, s[34:35]
	s_cbranch_vccz .LBB90_147
; %bb.138:
	v_cmp_gt_i16_e32 vcc, 2, v3
	s_and_saveexec_b64 s[30:31], vcc
	s_cbranch_execz .LBB90_143
; %bb.139:
	v_cmp_ne_u16_e32 vcc, 1, v3
	s_mov_b64 s[36:37], 0
	s_and_saveexec_b64 s[34:35], vcc
	s_xor_b64 s[34:35], exec, s[34:35]
	s_cbranch_execnz .LBB90_203
; %bb.140:
	s_andn2_saveexec_b64 s[0:1], s[34:35]
	s_cbranch_execnz .LBB90_219
.LBB90_141:
	s_or_b64 exec, exec, s[0:1]
	s_and_b64 exec, exec, s[36:37]
	s_cbranch_execz .LBB90_143
.LBB90_142:
	v_sub_u32_e32 v2, v24, v2
	v_lshlrev_b32_e32 v2, 2, v2
	ds_write_b32 v2, v25
.LBB90_143:
	s_or_b64 exec, exec, s[30:31]
	v_cmp_lt_u32_e32 vcc, v0, v1
	s_waitcnt lgkmcnt(0)
	s_barrier
	s_and_saveexec_b64 s[0:1], vcc
	s_cbranch_execz .LBB90_146
; %bb.144:
	v_lshlrev_b32_e32 v8, 2, v0
	s_mov_b64 s[2:3], 0
	v_mov_b32_e32 v3, 0
	v_mov_b32_e32 v2, v0
.LBB90_145:                             ; =>This Inner Loop Header: Depth=1
	ds_read_b32 v10, v8
	v_lshlrev_b64 v[12:13], 3, v[2:3]
	v_add_co_u32_e32 v12, vcc, v6, v12
	v_add_u32_e32 v2, 0x100, v2
	v_addc_co_u32_e32 v13, vcc, v7, v13, vcc
	v_cmp_ge_u32_e32 vcc, v2, v1
	v_mov_b32_e32 v11, v3
	v_add_u32_e32 v8, 0x400, v8
	s_or_b64 s[2:3], vcc, s[2:3]
	s_waitcnt lgkmcnt(0)
	global_store_dwordx2 v[12:13], v[10:11], off
	s_andn2_b64 exec, exec, s[2:3]
	s_cbranch_execnz .LBB90_145
.LBB90_146:
	s_or_b64 exec, exec, s[0:1]
.LBB90_147:
	s_movk_i32 s0, 0xff
	v_cmp_eq_u32_e32 vcc, s0, v0
	s_and_b64 s[0:1], vcc, s[40:41]
	s_and_saveexec_b64 s[2:3], s[0:1]
	s_cbranch_execz .LBB90_150
; %bb.148:
	v_add_co_u32_e32 v0, vcc, v16, v18
	v_addc_co_u32_e64 v1, s[0:1], 0, 0, vcc
	v_add_co_u32_e32 v0, vcc, v0, v52
	v_mov_b32_e32 v17, 0
	v_addc_co_u32_e32 v1, vcc, v1, v53, vcc
	s_cmpk_lg_i32 s33, 0xf00
	global_store_dwordx2 v17, v[0:1], s[52:53]
	s_cbranch_scc1 .LBB90_150
; %bb.149:
	v_lshlrev_b64 v[0:1], 3, v[16:17]
	v_add_co_u32_e32 v0, vcc, v4, v0
	v_mov_b32_e32 v21, v17
	v_addc_co_u32_e32 v1, vcc, v5, v1, vcc
	global_store_dwordx2 v[0:1], v[20:21], off offset:-8
.LBB90_150:
	s_endpgm
.LBB90_151:
	s_or_b64 exec, exec, s[4:5]
	v_mov_b32_e32 v78, s14
	s_and_saveexec_b64 s[2:3], s[6:7]
	s_cbranch_execnz .LBB90_60
	s_branch .LBB90_61
.LBB90_152:
	s_and_saveexec_b64 s[38:39], s[30:31]
	s_cbranch_execnz .LBB90_220
; %bb.153:
	s_or_b64 exec, exec, s[38:39]
	s_and_saveexec_b64 s[38:39], s[28:29]
	s_cbranch_execnz .LBB90_221
.LBB90_154:
	s_or_b64 exec, exec, s[38:39]
	s_and_saveexec_b64 s[38:39], s[26:27]
	s_cbranch_execnz .LBB90_222
.LBB90_155:
	s_or_b64 exec, exec, s[38:39]
	s_and_saveexec_b64 s[38:39], s[24:25]
	s_cbranch_execnz .LBB90_223
.LBB90_156:
	s_or_b64 exec, exec, s[38:39]
	s_and_saveexec_b64 s[38:39], s[22:23]
	s_cbranch_execnz .LBB90_224
.LBB90_157:
	s_or_b64 exec, exec, s[38:39]
	s_and_saveexec_b64 s[38:39], s[20:21]
	s_cbranch_execnz .LBB90_225
.LBB90_158:
	s_or_b64 exec, exec, s[38:39]
	s_and_saveexec_b64 s[38:39], s[18:19]
	s_cbranch_execnz .LBB90_226
.LBB90_159:
	s_or_b64 exec, exec, s[38:39]
	s_and_saveexec_b64 s[38:39], s[16:17]
	s_cbranch_execnz .LBB90_227
.LBB90_160:
	s_or_b64 exec, exec, s[38:39]
	s_and_saveexec_b64 s[38:39], s[14:15]
	s_cbranch_execnz .LBB90_228
.LBB90_161:
	s_or_b64 exec, exec, s[38:39]
	s_and_saveexec_b64 s[38:39], s[12:13]
	s_cbranch_execnz .LBB90_229
.LBB90_162:
	s_or_b64 exec, exec, s[38:39]
	s_and_saveexec_b64 s[38:39], s[10:11]
	s_cbranch_execnz .LBB90_230
.LBB90_163:
	s_or_b64 exec, exec, s[38:39]
	s_and_saveexec_b64 s[38:39], s[8:9]
	s_cbranch_execnz .LBB90_231
.LBB90_164:
	s_or_b64 exec, exec, s[38:39]
	s_and_saveexec_b64 s[38:39], s[6:7]
	s_cbranch_execnz .LBB90_232
.LBB90_165:
	s_or_b64 exec, exec, s[38:39]
	s_and_saveexec_b64 s[38:39], s[4:5]
	s_cbranch_execz .LBB90_167
.LBB90_166:
	v_sub_u32_e32 v3, v22, v18
	v_readfirstlane_b32 s44, v54
	v_readfirstlane_b32 s45, v17
	s_nop 4
	global_store_byte v3, v11, s[44:45]
.LBB90_167:
	s_or_b64 exec, exec, s[38:39]
	s_and_b64 s[38:39], s[2:3], exec
	s_andn2_saveexec_b64 s[34:35], s[34:35]
	s_cbranch_execz .LBB90_106
.LBB90_168:
	v_sub_u32_e32 v3, v50, v18
	v_readfirstlane_b32 s44, v54
	v_readfirstlane_b32 s45, v17
	s_or_b64 s[38:39], s[38:39], exec
	s_nop 3
	global_store_byte v3, v8, s[44:45]
	v_sub_u32_e32 v3, v48, v18
	global_store_byte v3, v64, s[44:45]
	v_sub_u32_e32 v3, v46, v18
	;; [unrolled: 2-line block ×13, first 2 shown]
	global_store_byte v3, v11, s[44:45]
	s_or_b64 exec, exec, s[34:35]
	s_and_b64 exec, exec, s[38:39]
	s_cbranch_execnz .LBB90_107
	s_branch .LBB90_108
.LBB90_169:
	s_and_saveexec_b64 s[38:39], s[30:31]
	s_cbranch_execnz .LBB90_233
; %bb.170:
	s_or_b64 exec, exec, s[38:39]
	s_and_saveexec_b64 s[30:31], s[28:29]
	s_cbranch_execnz .LBB90_234
.LBB90_171:
	s_or_b64 exec, exec, s[30:31]
	s_and_saveexec_b64 s[28:29], s[26:27]
	s_cbranch_execnz .LBB90_235
.LBB90_172:
	s_or_b64 exec, exec, s[28:29]
	s_and_saveexec_b64 s[26:27], s[24:25]
	s_cbranch_execnz .LBB90_236
.LBB90_173:
	s_or_b64 exec, exec, s[26:27]
	s_and_saveexec_b64 s[24:25], s[22:23]
	s_cbranch_execnz .LBB90_237
.LBB90_174:
	s_or_b64 exec, exec, s[24:25]
	s_and_saveexec_b64 s[22:23], s[20:21]
	s_cbranch_execnz .LBB90_238
.LBB90_175:
	s_or_b64 exec, exec, s[22:23]
	s_and_saveexec_b64 s[20:21], s[18:19]
	s_cbranch_execnz .LBB90_239
.LBB90_176:
	s_or_b64 exec, exec, s[20:21]
	s_and_saveexec_b64 s[18:19], s[16:17]
	s_cbranch_execnz .LBB90_240
.LBB90_177:
	s_or_b64 exec, exec, s[18:19]
	s_and_saveexec_b64 s[16:17], s[14:15]
	s_cbranch_execnz .LBB90_241
.LBB90_178:
	s_or_b64 exec, exec, s[16:17]
	s_and_saveexec_b64 s[14:15], s[12:13]
	s_cbranch_execnz .LBB90_242
.LBB90_179:
	s_or_b64 exec, exec, s[14:15]
	s_and_saveexec_b64 s[12:13], s[10:11]
	s_cbranch_execnz .LBB90_243
.LBB90_180:
	s_or_b64 exec, exec, s[12:13]
	s_and_saveexec_b64 s[10:11], s[8:9]
	s_cbranch_execnz .LBB90_244
.LBB90_181:
	s_or_b64 exec, exec, s[10:11]
	s_and_saveexec_b64 s[8:9], s[6:7]
	s_cbranch_execnz .LBB90_245
.LBB90_182:
	s_or_b64 exec, exec, s[8:9]
	s_and_saveexec_b64 s[6:7], s[4:5]
	s_cbranch_execz .LBB90_184
.LBB90_183:
	v_sub_u32_e32 v2, v22, v18
	ds_write_b8 v2, v11
.LBB90_184:
	s_or_b64 exec, exec, s[6:7]
	s_and_b64 s[38:39], s[2:3], exec
                                        ; implicit-def: $vgpr11
                                        ; implicit-def: $vgpr55
                                        ; implicit-def: $vgpr56
                                        ; implicit-def: $vgpr57
                                        ; implicit-def: $vgpr58
                                        ; implicit-def: $vgpr10
                                        ; implicit-def: $vgpr59
                                        ; implicit-def: $vgpr60
                                        ; implicit-def: $vgpr61
                                        ; implicit-def: $vgpr62
                                        ; implicit-def: $vgpr63
                                        ; implicit-def: $vgpr64
	s_andn2_saveexec_b64 s[2:3], s[36:37]
	s_cbranch_execz .LBB90_113
.LBB90_185:
	v_sub_u32_e32 v2, v50, v18
	ds_write_b8 v2, v8
	v_sub_u32_e32 v2, v48, v18
	ds_write_b8 v2, v64
	;; [unrolled: 2-line block ×13, first 2 shown]
	v_sub_u32_e32 v2, v22, v18
	s_or_b64 s[38:39], s[38:39], exec
	ds_write_b8 v2, v11
	s_or_b64 exec, exec, s[2:3]
	s_and_b64 exec, exec, s[38:39]
	s_cbranch_execnz .LBB90_114
	s_branch .LBB90_115
.LBB90_186:
	s_and_saveexec_b64 s[36:37], s[28:29]
	s_cbranch_execnz .LBB90_246
; %bb.187:
	s_or_b64 exec, exec, s[36:37]
	s_and_saveexec_b64 s[36:37], s[26:27]
	s_cbranch_execnz .LBB90_247
.LBB90_188:
	s_or_b64 exec, exec, s[36:37]
	s_and_saveexec_b64 s[36:37], s[24:25]
	s_cbranch_execnz .LBB90_248
.LBB90_189:
	s_or_b64 exec, exec, s[36:37]
	s_and_saveexec_b64 s[36:37], s[22:23]
	s_cbranch_execnz .LBB90_249
.LBB90_190:
	s_or_b64 exec, exec, s[36:37]
	s_and_saveexec_b64 s[36:37], s[20:21]
	s_cbranch_execnz .LBB90_250
.LBB90_191:
	s_or_b64 exec, exec, s[36:37]
	s_and_saveexec_b64 s[36:37], s[18:19]
	s_cbranch_execnz .LBB90_251
.LBB90_192:
	s_or_b64 exec, exec, s[36:37]
	s_and_saveexec_b64 s[36:37], s[16:17]
	s_cbranch_execnz .LBB90_252
.LBB90_193:
	s_or_b64 exec, exec, s[36:37]
	s_and_saveexec_b64 s[36:37], s[14:15]
	s_cbranch_execnz .LBB90_253
.LBB90_194:
	s_or_b64 exec, exec, s[36:37]
	s_and_saveexec_b64 s[36:37], s[12:13]
	s_cbranch_execnz .LBB90_254
.LBB90_195:
	s_or_b64 exec, exec, s[36:37]
	s_and_saveexec_b64 s[36:37], s[10:11]
	s_cbranch_execnz .LBB90_255
.LBB90_196:
	s_or_b64 exec, exec, s[36:37]
	s_and_saveexec_b64 s[36:37], s[8:9]
	s_cbranch_execnz .LBB90_256
.LBB90_197:
	s_or_b64 exec, exec, s[36:37]
	s_and_saveexec_b64 s[36:37], s[6:7]
	s_cbranch_execnz .LBB90_257
.LBB90_198:
	s_or_b64 exec, exec, s[36:37]
	s_and_saveexec_b64 s[36:37], s[4:5]
	s_cbranch_execnz .LBB90_258
.LBB90_199:
	s_or_b64 exec, exec, s[36:37]
	s_and_saveexec_b64 s[36:37], s[2:3]
	s_cbranch_execz .LBB90_201
.LBB90_200:
	v_sub_u32_e32 v8, v22, v2
	v_mov_b32_e32 v9, 0
	v_lshlrev_b64 v[10:11], 3, v[8:9]
	v_add_co_u32_e32 v10, vcc, v6, v10
	v_addc_co_u32_e32 v11, vcc, v7, v11, vcc
	v_mov_b32_e32 v8, v23
	global_store_dwordx2 v[10:11], v[8:9], off
.LBB90_201:
	s_or_b64 exec, exec, s[36:37]
	s_and_b64 s[36:37], s[0:1], exec
	s_andn2_saveexec_b64 s[30:31], s[30:31]
	s_cbranch_execz .LBB90_134
.LBB90_202:
	v_mov_b32_e32 v9, 0
	v_sub_u32_e32 v10, v50, v2
	v_mov_b32_e32 v11, v9
	v_lshlrev_b64 v[10:11], 3, v[10:11]
	v_add_co_u32_e32 v10, vcc, v6, v10
	v_mov_b32_e32 v8, v51
	v_addc_co_u32_e32 v11, vcc, v7, v11, vcc
	global_store_dwordx2 v[10:11], v[8:9], off
	v_sub_u32_e32 v10, v48, v2
	v_mov_b32_e32 v11, v9
	v_lshlrev_b64 v[10:11], 3, v[10:11]
	v_add_co_u32_e32 v10, vcc, v6, v10
	v_mov_b32_e32 v8, v49
	v_addc_co_u32_e32 v11, vcc, v7, v11, vcc
	global_store_dwordx2 v[10:11], v[8:9], off
	;; [unrolled: 7-line block ×13, first 2 shown]
	v_sub_u32_e32 v10, v22, v2
	v_mov_b32_e32 v11, v9
	v_lshlrev_b64 v[10:11], 3, v[10:11]
	v_add_co_u32_e32 v10, vcc, v6, v10
	v_mov_b32_e32 v8, v23
	v_addc_co_u32_e32 v11, vcc, v7, v11, vcc
	s_or_b64 s[36:37], s[36:37], exec
	global_store_dwordx2 v[10:11], v[8:9], off
	s_or_b64 exec, exec, s[30:31]
	s_and_b64 exec, exec, s[36:37]
	s_cbranch_execnz .LBB90_135
	s_branch .LBB90_136
.LBB90_203:
	s_and_saveexec_b64 s[36:37], s[28:29]
	s_cbranch_execnz .LBB90_259
; %bb.204:
	s_or_b64 exec, exec, s[36:37]
	s_and_saveexec_b64 s[28:29], s[26:27]
	s_cbranch_execnz .LBB90_260
.LBB90_205:
	s_or_b64 exec, exec, s[28:29]
	s_and_saveexec_b64 s[26:27], s[24:25]
	s_cbranch_execnz .LBB90_261
.LBB90_206:
	s_or_b64 exec, exec, s[26:27]
	s_and_saveexec_b64 s[24:25], s[22:23]
	s_cbranch_execnz .LBB90_262
.LBB90_207:
	s_or_b64 exec, exec, s[24:25]
	s_and_saveexec_b64 s[22:23], s[20:21]
	s_cbranch_execnz .LBB90_263
.LBB90_208:
	s_or_b64 exec, exec, s[22:23]
	s_and_saveexec_b64 s[20:21], s[18:19]
	s_cbranch_execnz .LBB90_264
.LBB90_209:
	s_or_b64 exec, exec, s[20:21]
	s_and_saveexec_b64 s[18:19], s[16:17]
	s_cbranch_execnz .LBB90_265
.LBB90_210:
	s_or_b64 exec, exec, s[18:19]
	s_and_saveexec_b64 s[16:17], s[14:15]
	s_cbranch_execnz .LBB90_266
.LBB90_211:
	s_or_b64 exec, exec, s[16:17]
	s_and_saveexec_b64 s[14:15], s[12:13]
	s_cbranch_execnz .LBB90_267
.LBB90_212:
	s_or_b64 exec, exec, s[14:15]
	s_and_saveexec_b64 s[12:13], s[10:11]
	s_cbranch_execnz .LBB90_268
.LBB90_213:
	s_or_b64 exec, exec, s[12:13]
	s_and_saveexec_b64 s[10:11], s[8:9]
	s_cbranch_execnz .LBB90_269
.LBB90_214:
	s_or_b64 exec, exec, s[10:11]
	s_and_saveexec_b64 s[8:9], s[6:7]
	s_cbranch_execnz .LBB90_270
.LBB90_215:
	s_or_b64 exec, exec, s[8:9]
	s_and_saveexec_b64 s[6:7], s[4:5]
	s_cbranch_execnz .LBB90_271
.LBB90_216:
	s_or_b64 exec, exec, s[6:7]
	s_and_saveexec_b64 s[4:5], s[2:3]
	s_cbranch_execz .LBB90_218
.LBB90_217:
	v_sub_u32_e32 v3, v22, v2
	v_lshlrev_b32_e32 v3, 2, v3
	ds_write_b32 v3, v23
.LBB90_218:
	s_or_b64 exec, exec, s[4:5]
	s_and_b64 s[36:37], s[0:1], exec
                                        ; implicit-def: $vgpr22_vgpr23
                                        ; implicit-def: $vgpr26_vgpr27
                                        ; implicit-def: $vgpr28_vgpr29
                                        ; implicit-def: $vgpr50_vgpr51
                                        ; implicit-def: $vgpr48_vgpr49
                                        ; implicit-def: $vgpr46_vgpr47
                                        ; implicit-def: $vgpr44_vgpr45
                                        ; implicit-def: $vgpr42_vgpr43
                                        ; implicit-def: $vgpr40_vgpr41
                                        ; implicit-def: $vgpr38_vgpr39
                                        ; implicit-def: $vgpr36_vgpr37
                                        ; implicit-def: $vgpr34_vgpr35
                                        ; implicit-def: $vgpr32_vgpr33
                                        ; implicit-def: $vgpr30_vgpr31
	s_andn2_saveexec_b64 s[0:1], s[34:35]
	s_cbranch_execz .LBB90_141
.LBB90_219:
	v_sub_u32_e32 v3, v50, v2
	v_lshlrev_b32_e32 v3, 2, v3
	ds_write_b32 v3, v51
	v_sub_u32_e32 v3, v48, v2
	v_lshlrev_b32_e32 v3, 2, v3
	ds_write_b32 v3, v49
	;; [unrolled: 3-line block ×13, first 2 shown]
	v_sub_u32_e32 v3, v22, v2
	v_lshlrev_b32_e32 v3, 2, v3
	s_or_b64 s[36:37], s[36:37], exec
	ds_write_b32 v3, v23
	s_or_b64 exec, exec, s[0:1]
	s_and_b64 exec, exec, s[36:37]
	s_cbranch_execnz .LBB90_142
	s_branch .LBB90_143
.LBB90_220:
	v_sub_u32_e32 v3, v50, v18
	v_readfirstlane_b32 s44, v54
	v_readfirstlane_b32 s45, v17
	s_nop 4
	global_store_byte v3, v8, s[44:45]
	s_or_b64 exec, exec, s[38:39]
	s_and_saveexec_b64 s[38:39], s[28:29]
	s_cbranch_execz .LBB90_154
.LBB90_221:
	v_sub_u32_e32 v3, v48, v18
	v_readfirstlane_b32 s44, v54
	v_readfirstlane_b32 s45, v17
	s_nop 4
	global_store_byte v3, v64, s[44:45]
	s_or_b64 exec, exec, s[38:39]
	s_and_saveexec_b64 s[38:39], s[26:27]
	s_cbranch_execz .LBB90_155
.LBB90_222:
	v_sub_u32_e32 v3, v46, v18
	v_readfirstlane_b32 s44, v54
	v_readfirstlane_b32 s45, v17
	s_nop 4
	global_store_byte v3, v63, s[44:45]
	s_or_b64 exec, exec, s[38:39]
	s_and_saveexec_b64 s[38:39], s[24:25]
	s_cbranch_execz .LBB90_156
.LBB90_223:
	v_sub_u32_e32 v3, v44, v18
	v_readfirstlane_b32 s44, v54
	v_readfirstlane_b32 s45, v17
	s_nop 4
	global_store_byte v3, v62, s[44:45]
	s_or_b64 exec, exec, s[38:39]
	s_and_saveexec_b64 s[38:39], s[22:23]
	s_cbranch_execz .LBB90_157
.LBB90_224:
	v_sub_u32_e32 v3, v42, v18
	v_readfirstlane_b32 s44, v54
	v_readfirstlane_b32 s45, v17
	s_nop 4
	global_store_byte v3, v9, s[44:45]
	s_or_b64 exec, exec, s[38:39]
	s_and_saveexec_b64 s[38:39], s[20:21]
	s_cbranch_execz .LBB90_158
.LBB90_225:
	v_sub_u32_e32 v3, v40, v18
	v_readfirstlane_b32 s44, v54
	v_readfirstlane_b32 s45, v17
	s_nop 4
	global_store_byte v3, v61, s[44:45]
	s_or_b64 exec, exec, s[38:39]
	s_and_saveexec_b64 s[38:39], s[18:19]
	s_cbranch_execz .LBB90_159
.LBB90_226:
	v_sub_u32_e32 v3, v38, v18
	v_readfirstlane_b32 s44, v54
	v_readfirstlane_b32 s45, v17
	s_nop 4
	global_store_byte v3, v60, s[44:45]
	s_or_b64 exec, exec, s[38:39]
	s_and_saveexec_b64 s[38:39], s[16:17]
	s_cbranch_execz .LBB90_160
.LBB90_227:
	v_sub_u32_e32 v3, v36, v18
	v_readfirstlane_b32 s44, v54
	v_readfirstlane_b32 s45, v17
	s_nop 4
	global_store_byte v3, v59, s[44:45]
	s_or_b64 exec, exec, s[38:39]
	s_and_saveexec_b64 s[38:39], s[14:15]
	s_cbranch_execz .LBB90_161
.LBB90_228:
	v_sub_u32_e32 v3, v34, v18
	v_readfirstlane_b32 s44, v54
	v_readfirstlane_b32 s45, v17
	s_nop 4
	global_store_byte v3, v10, s[44:45]
	s_or_b64 exec, exec, s[38:39]
	s_and_saveexec_b64 s[38:39], s[12:13]
	s_cbranch_execz .LBB90_162
.LBB90_229:
	v_sub_u32_e32 v3, v32, v18
	v_readfirstlane_b32 s44, v54
	v_readfirstlane_b32 s45, v17
	s_nop 4
	global_store_byte v3, v58, s[44:45]
	s_or_b64 exec, exec, s[38:39]
	s_and_saveexec_b64 s[38:39], s[10:11]
	s_cbranch_execz .LBB90_163
.LBB90_230:
	v_sub_u32_e32 v3, v30, v18
	v_readfirstlane_b32 s44, v54
	v_readfirstlane_b32 s45, v17
	s_nop 4
	global_store_byte v3, v57, s[44:45]
	s_or_b64 exec, exec, s[38:39]
	s_and_saveexec_b64 s[38:39], s[8:9]
	s_cbranch_execz .LBB90_164
.LBB90_231:
	v_sub_u32_e32 v3, v28, v18
	v_readfirstlane_b32 s44, v54
	v_readfirstlane_b32 s45, v17
	s_nop 4
	global_store_byte v3, v56, s[44:45]
	s_or_b64 exec, exec, s[38:39]
	s_and_saveexec_b64 s[38:39], s[6:7]
	s_cbranch_execz .LBB90_165
.LBB90_232:
	v_sub_u32_e32 v3, v26, v18
	v_readfirstlane_b32 s44, v54
	v_readfirstlane_b32 s45, v17
	s_nop 4
	global_store_byte v3, v55, s[44:45]
	s_or_b64 exec, exec, s[38:39]
	s_and_saveexec_b64 s[38:39], s[4:5]
	s_cbranch_execnz .LBB90_166
	s_branch .LBB90_167
.LBB90_233:
	v_sub_u32_e32 v2, v50, v18
	ds_write_b8 v2, v8
	s_or_b64 exec, exec, s[38:39]
	s_and_saveexec_b64 s[30:31], s[28:29]
	s_cbranch_execz .LBB90_171
.LBB90_234:
	v_sub_u32_e32 v2, v48, v18
	ds_write_b8 v2, v64
	s_or_b64 exec, exec, s[30:31]
	s_and_saveexec_b64 s[28:29], s[26:27]
	s_cbranch_execz .LBB90_172
.LBB90_235:
	v_sub_u32_e32 v2, v46, v18
	ds_write_b8 v2, v63
	s_or_b64 exec, exec, s[28:29]
	s_and_saveexec_b64 s[26:27], s[24:25]
	s_cbranch_execz .LBB90_173
.LBB90_236:
	v_sub_u32_e32 v2, v44, v18
	ds_write_b8 v2, v62
	s_or_b64 exec, exec, s[26:27]
	s_and_saveexec_b64 s[24:25], s[22:23]
	s_cbranch_execz .LBB90_174
.LBB90_237:
	v_sub_u32_e32 v2, v42, v18
	ds_write_b8 v2, v9
	s_or_b64 exec, exec, s[24:25]
	s_and_saveexec_b64 s[22:23], s[20:21]
	s_cbranch_execz .LBB90_175
.LBB90_238:
	v_sub_u32_e32 v2, v40, v18
	ds_write_b8 v2, v61
	s_or_b64 exec, exec, s[22:23]
	s_and_saveexec_b64 s[20:21], s[18:19]
	s_cbranch_execz .LBB90_176
.LBB90_239:
	v_sub_u32_e32 v2, v38, v18
	ds_write_b8 v2, v60
	s_or_b64 exec, exec, s[20:21]
	s_and_saveexec_b64 s[18:19], s[16:17]
	s_cbranch_execz .LBB90_177
.LBB90_240:
	v_sub_u32_e32 v2, v36, v18
	ds_write_b8 v2, v59
	s_or_b64 exec, exec, s[18:19]
	s_and_saveexec_b64 s[16:17], s[14:15]
	s_cbranch_execz .LBB90_178
.LBB90_241:
	v_sub_u32_e32 v2, v34, v18
	ds_write_b8 v2, v10
	s_or_b64 exec, exec, s[16:17]
	s_and_saveexec_b64 s[14:15], s[12:13]
	s_cbranch_execz .LBB90_179
.LBB90_242:
	v_sub_u32_e32 v2, v32, v18
	ds_write_b8 v2, v58
	s_or_b64 exec, exec, s[14:15]
	s_and_saveexec_b64 s[12:13], s[10:11]
	s_cbranch_execz .LBB90_180
.LBB90_243:
	v_sub_u32_e32 v2, v30, v18
	ds_write_b8 v2, v57
	s_or_b64 exec, exec, s[12:13]
	s_and_saveexec_b64 s[10:11], s[8:9]
	s_cbranch_execz .LBB90_181
.LBB90_244:
	v_sub_u32_e32 v2, v28, v18
	ds_write_b8 v2, v56
	s_or_b64 exec, exec, s[10:11]
	s_and_saveexec_b64 s[8:9], s[6:7]
	s_cbranch_execz .LBB90_182
.LBB90_245:
	v_sub_u32_e32 v2, v26, v18
	ds_write_b8 v2, v55
	s_or_b64 exec, exec, s[8:9]
	s_and_saveexec_b64 s[6:7], s[4:5]
	s_cbranch_execnz .LBB90_183
	s_branch .LBB90_184
.LBB90_246:
	v_sub_u32_e32 v8, v50, v2
	v_mov_b32_e32 v9, 0
	v_lshlrev_b64 v[10:11], 3, v[8:9]
	v_add_co_u32_e32 v10, vcc, v6, v10
	v_addc_co_u32_e32 v11, vcc, v7, v11, vcc
	v_mov_b32_e32 v8, v51
	global_store_dwordx2 v[10:11], v[8:9], off
	s_or_b64 exec, exec, s[36:37]
	s_and_saveexec_b64 s[36:37], s[26:27]
	s_cbranch_execz .LBB90_188
.LBB90_247:
	v_sub_u32_e32 v8, v48, v2
	v_mov_b32_e32 v9, 0
	v_lshlrev_b64 v[10:11], 3, v[8:9]
	v_add_co_u32_e32 v10, vcc, v6, v10
	v_addc_co_u32_e32 v11, vcc, v7, v11, vcc
	v_mov_b32_e32 v8, v49
	global_store_dwordx2 v[10:11], v[8:9], off
	s_or_b64 exec, exec, s[36:37]
	s_and_saveexec_b64 s[36:37], s[24:25]
	s_cbranch_execz .LBB90_189
.LBB90_248:
	v_sub_u32_e32 v8, v46, v2
	v_mov_b32_e32 v9, 0
	v_lshlrev_b64 v[10:11], 3, v[8:9]
	v_add_co_u32_e32 v10, vcc, v6, v10
	v_addc_co_u32_e32 v11, vcc, v7, v11, vcc
	v_mov_b32_e32 v8, v47
	global_store_dwordx2 v[10:11], v[8:9], off
	s_or_b64 exec, exec, s[36:37]
	s_and_saveexec_b64 s[36:37], s[22:23]
	s_cbranch_execz .LBB90_190
.LBB90_249:
	v_sub_u32_e32 v8, v44, v2
	v_mov_b32_e32 v9, 0
	v_lshlrev_b64 v[10:11], 3, v[8:9]
	v_add_co_u32_e32 v10, vcc, v6, v10
	v_addc_co_u32_e32 v11, vcc, v7, v11, vcc
	v_mov_b32_e32 v8, v45
	global_store_dwordx2 v[10:11], v[8:9], off
	s_or_b64 exec, exec, s[36:37]
	s_and_saveexec_b64 s[36:37], s[20:21]
	s_cbranch_execz .LBB90_191
.LBB90_250:
	v_sub_u32_e32 v8, v42, v2
	v_mov_b32_e32 v9, 0
	v_lshlrev_b64 v[10:11], 3, v[8:9]
	v_add_co_u32_e32 v10, vcc, v6, v10
	v_addc_co_u32_e32 v11, vcc, v7, v11, vcc
	v_mov_b32_e32 v8, v43
	global_store_dwordx2 v[10:11], v[8:9], off
	s_or_b64 exec, exec, s[36:37]
	s_and_saveexec_b64 s[36:37], s[18:19]
	s_cbranch_execz .LBB90_192
.LBB90_251:
	v_sub_u32_e32 v8, v40, v2
	v_mov_b32_e32 v9, 0
	v_lshlrev_b64 v[10:11], 3, v[8:9]
	v_add_co_u32_e32 v10, vcc, v6, v10
	v_addc_co_u32_e32 v11, vcc, v7, v11, vcc
	v_mov_b32_e32 v8, v41
	global_store_dwordx2 v[10:11], v[8:9], off
	s_or_b64 exec, exec, s[36:37]
	s_and_saveexec_b64 s[36:37], s[16:17]
	s_cbranch_execz .LBB90_193
.LBB90_252:
	v_sub_u32_e32 v8, v38, v2
	v_mov_b32_e32 v9, 0
	v_lshlrev_b64 v[10:11], 3, v[8:9]
	v_add_co_u32_e32 v10, vcc, v6, v10
	v_addc_co_u32_e32 v11, vcc, v7, v11, vcc
	v_mov_b32_e32 v8, v39
	global_store_dwordx2 v[10:11], v[8:9], off
	s_or_b64 exec, exec, s[36:37]
	s_and_saveexec_b64 s[36:37], s[14:15]
	s_cbranch_execz .LBB90_194
.LBB90_253:
	v_sub_u32_e32 v8, v36, v2
	v_mov_b32_e32 v9, 0
	v_lshlrev_b64 v[10:11], 3, v[8:9]
	v_add_co_u32_e32 v10, vcc, v6, v10
	v_addc_co_u32_e32 v11, vcc, v7, v11, vcc
	v_mov_b32_e32 v8, v37
	global_store_dwordx2 v[10:11], v[8:9], off
	s_or_b64 exec, exec, s[36:37]
	s_and_saveexec_b64 s[36:37], s[12:13]
	s_cbranch_execz .LBB90_195
.LBB90_254:
	v_sub_u32_e32 v8, v34, v2
	v_mov_b32_e32 v9, 0
	v_lshlrev_b64 v[10:11], 3, v[8:9]
	v_add_co_u32_e32 v10, vcc, v6, v10
	v_addc_co_u32_e32 v11, vcc, v7, v11, vcc
	v_mov_b32_e32 v8, v35
	global_store_dwordx2 v[10:11], v[8:9], off
	s_or_b64 exec, exec, s[36:37]
	s_and_saveexec_b64 s[36:37], s[10:11]
	s_cbranch_execz .LBB90_196
.LBB90_255:
	v_sub_u32_e32 v8, v32, v2
	v_mov_b32_e32 v9, 0
	v_lshlrev_b64 v[10:11], 3, v[8:9]
	v_add_co_u32_e32 v10, vcc, v6, v10
	v_addc_co_u32_e32 v11, vcc, v7, v11, vcc
	v_mov_b32_e32 v8, v33
	global_store_dwordx2 v[10:11], v[8:9], off
	s_or_b64 exec, exec, s[36:37]
	s_and_saveexec_b64 s[36:37], s[8:9]
	s_cbranch_execz .LBB90_197
.LBB90_256:
	v_sub_u32_e32 v8, v30, v2
	v_mov_b32_e32 v9, 0
	v_lshlrev_b64 v[10:11], 3, v[8:9]
	v_add_co_u32_e32 v10, vcc, v6, v10
	v_addc_co_u32_e32 v11, vcc, v7, v11, vcc
	v_mov_b32_e32 v8, v31
	global_store_dwordx2 v[10:11], v[8:9], off
	s_or_b64 exec, exec, s[36:37]
	s_and_saveexec_b64 s[36:37], s[6:7]
	s_cbranch_execz .LBB90_198
.LBB90_257:
	v_sub_u32_e32 v8, v28, v2
	v_mov_b32_e32 v9, 0
	v_lshlrev_b64 v[10:11], 3, v[8:9]
	v_add_co_u32_e32 v10, vcc, v6, v10
	v_addc_co_u32_e32 v11, vcc, v7, v11, vcc
	v_mov_b32_e32 v8, v29
	global_store_dwordx2 v[10:11], v[8:9], off
	s_or_b64 exec, exec, s[36:37]
	s_and_saveexec_b64 s[36:37], s[4:5]
	s_cbranch_execz .LBB90_199
.LBB90_258:
	v_sub_u32_e32 v8, v26, v2
	v_mov_b32_e32 v9, 0
	v_lshlrev_b64 v[10:11], 3, v[8:9]
	v_add_co_u32_e32 v10, vcc, v6, v10
	v_addc_co_u32_e32 v11, vcc, v7, v11, vcc
	v_mov_b32_e32 v8, v27
	global_store_dwordx2 v[10:11], v[8:9], off
	s_or_b64 exec, exec, s[36:37]
	s_and_saveexec_b64 s[36:37], s[2:3]
	s_cbranch_execnz .LBB90_200
	s_branch .LBB90_201
.LBB90_259:
	v_sub_u32_e32 v3, v50, v2
	v_lshlrev_b32_e32 v3, 2, v3
	ds_write_b32 v3, v51
	s_or_b64 exec, exec, s[36:37]
	s_and_saveexec_b64 s[28:29], s[26:27]
	s_cbranch_execz .LBB90_205
.LBB90_260:
	v_sub_u32_e32 v3, v48, v2
	v_lshlrev_b32_e32 v3, 2, v3
	ds_write_b32 v3, v49
	s_or_b64 exec, exec, s[28:29]
	s_and_saveexec_b64 s[26:27], s[24:25]
	s_cbranch_execz .LBB90_206
.LBB90_261:
	v_sub_u32_e32 v3, v46, v2
	v_lshlrev_b32_e32 v3, 2, v3
	ds_write_b32 v3, v47
	s_or_b64 exec, exec, s[26:27]
	s_and_saveexec_b64 s[24:25], s[22:23]
	s_cbranch_execz .LBB90_207
.LBB90_262:
	v_sub_u32_e32 v3, v44, v2
	v_lshlrev_b32_e32 v3, 2, v3
	ds_write_b32 v3, v45
	s_or_b64 exec, exec, s[24:25]
	s_and_saveexec_b64 s[22:23], s[20:21]
	s_cbranch_execz .LBB90_208
.LBB90_263:
	v_sub_u32_e32 v3, v42, v2
	v_lshlrev_b32_e32 v3, 2, v3
	ds_write_b32 v3, v43
	s_or_b64 exec, exec, s[22:23]
	s_and_saveexec_b64 s[20:21], s[18:19]
	s_cbranch_execz .LBB90_209
.LBB90_264:
	v_sub_u32_e32 v3, v40, v2
	v_lshlrev_b32_e32 v3, 2, v3
	ds_write_b32 v3, v41
	s_or_b64 exec, exec, s[20:21]
	s_and_saveexec_b64 s[18:19], s[16:17]
	s_cbranch_execz .LBB90_210
.LBB90_265:
	v_sub_u32_e32 v3, v38, v2
	v_lshlrev_b32_e32 v3, 2, v3
	ds_write_b32 v3, v39
	s_or_b64 exec, exec, s[18:19]
	s_and_saveexec_b64 s[16:17], s[14:15]
	s_cbranch_execz .LBB90_211
.LBB90_266:
	v_sub_u32_e32 v3, v36, v2
	v_lshlrev_b32_e32 v3, 2, v3
	ds_write_b32 v3, v37
	s_or_b64 exec, exec, s[16:17]
	s_and_saveexec_b64 s[14:15], s[12:13]
	s_cbranch_execz .LBB90_212
.LBB90_267:
	v_sub_u32_e32 v3, v34, v2
	v_lshlrev_b32_e32 v3, 2, v3
	ds_write_b32 v3, v35
	s_or_b64 exec, exec, s[14:15]
	s_and_saveexec_b64 s[12:13], s[10:11]
	s_cbranch_execz .LBB90_213
.LBB90_268:
	v_sub_u32_e32 v3, v32, v2
	v_lshlrev_b32_e32 v3, 2, v3
	ds_write_b32 v3, v33
	s_or_b64 exec, exec, s[12:13]
	s_and_saveexec_b64 s[10:11], s[8:9]
	s_cbranch_execz .LBB90_214
.LBB90_269:
	v_sub_u32_e32 v3, v30, v2
	v_lshlrev_b32_e32 v3, 2, v3
	ds_write_b32 v3, v31
	s_or_b64 exec, exec, s[10:11]
	s_and_saveexec_b64 s[8:9], s[6:7]
	s_cbranch_execz .LBB90_215
.LBB90_270:
	v_sub_u32_e32 v3, v28, v2
	v_lshlrev_b32_e32 v3, 2, v3
	ds_write_b32 v3, v29
	s_or_b64 exec, exec, s[8:9]
	s_and_saveexec_b64 s[6:7], s[4:5]
	s_cbranch_execz .LBB90_216
.LBB90_271:
	v_sub_u32_e32 v3, v26, v2
	v_lshlrev_b32_e32 v3, 2, v3
	ds_write_b32 v3, v27
	s_or_b64 exec, exec, s[6:7]
	s_and_saveexec_b64 s[4:5], s[2:3]
	s_cbranch_execnz .LBB90_217
	s_branch .LBB90_218
	.section	.rodata,"a",@progbits
	.p2align	6, 0x0
	.amdhsa_kernel _ZN7rocprim17ROCPRIM_400000_NS6detail17trampoline_kernelINS0_14default_configENS1_33run_length_encode_config_selectorIbjNS0_4plusIjEEEEZZNS1_33reduce_by_key_impl_wrapped_configILNS1_25lookback_scan_determinismE0ES3_S7_N6hipcub16HIPCUB_304000_NS22TransformInputIteratorIbN2at6native8internal12_GLOBAL__N_110LoadBoolOpEPKhlEENS0_17constant_iteratorIjlEEPbPlSO_S6_NS0_8equal_toIbEEEE10hipError_tPvRmT2_T3_mT4_T5_T6_T7_T8_P12ihipStream_tbENKUlT_T0_E_clISt17integral_constantIbLb0EES17_IbLb1EEEEDaS13_S14_EUlS13_E_NS1_11comp_targetILNS1_3genE4ELNS1_11target_archE910ELNS1_3gpuE8ELNS1_3repE0EEENS1_30default_config_static_selectorELNS0_4arch9wavefront6targetE1EEEvT1_
		.amdhsa_group_segment_fixed_size 15360
		.amdhsa_private_segment_fixed_size 0
		.amdhsa_kernarg_size 136
		.amdhsa_user_sgpr_count 6
		.amdhsa_user_sgpr_private_segment_buffer 1
		.amdhsa_user_sgpr_dispatch_ptr 0
		.amdhsa_user_sgpr_queue_ptr 0
		.amdhsa_user_sgpr_kernarg_segment_ptr 1
		.amdhsa_user_sgpr_dispatch_id 0
		.amdhsa_user_sgpr_flat_scratch_init 0
		.amdhsa_user_sgpr_kernarg_preload_length 0
		.amdhsa_user_sgpr_kernarg_preload_offset 0
		.amdhsa_user_sgpr_private_segment_size 0
		.amdhsa_uses_dynamic_stack 0
		.amdhsa_system_sgpr_private_segment_wavefront_offset 0
		.amdhsa_system_sgpr_workgroup_id_x 1
		.amdhsa_system_sgpr_workgroup_id_y 0
		.amdhsa_system_sgpr_workgroup_id_z 0
		.amdhsa_system_sgpr_workgroup_info 0
		.amdhsa_system_vgpr_workitem_id 0
		.amdhsa_next_free_vgpr 115
		.amdhsa_next_free_sgpr 79
		.amdhsa_accum_offset 116
		.amdhsa_reserve_vcc 1
		.amdhsa_reserve_flat_scratch 0
		.amdhsa_float_round_mode_32 0
		.amdhsa_float_round_mode_16_64 0
		.amdhsa_float_denorm_mode_32 3
		.amdhsa_float_denorm_mode_16_64 3
		.amdhsa_dx10_clamp 1
		.amdhsa_ieee_mode 1
		.amdhsa_fp16_overflow 0
		.amdhsa_tg_split 0
		.amdhsa_exception_fp_ieee_invalid_op 0
		.amdhsa_exception_fp_denorm_src 0
		.amdhsa_exception_fp_ieee_div_zero 0
		.amdhsa_exception_fp_ieee_overflow 0
		.amdhsa_exception_fp_ieee_underflow 0
		.amdhsa_exception_fp_ieee_inexact 0
		.amdhsa_exception_int_div_zero 0
	.end_amdhsa_kernel
	.section	.text._ZN7rocprim17ROCPRIM_400000_NS6detail17trampoline_kernelINS0_14default_configENS1_33run_length_encode_config_selectorIbjNS0_4plusIjEEEEZZNS1_33reduce_by_key_impl_wrapped_configILNS1_25lookback_scan_determinismE0ES3_S7_N6hipcub16HIPCUB_304000_NS22TransformInputIteratorIbN2at6native8internal12_GLOBAL__N_110LoadBoolOpEPKhlEENS0_17constant_iteratorIjlEEPbPlSO_S6_NS0_8equal_toIbEEEE10hipError_tPvRmT2_T3_mT4_T5_T6_T7_T8_P12ihipStream_tbENKUlT_T0_E_clISt17integral_constantIbLb0EES17_IbLb1EEEEDaS13_S14_EUlS13_E_NS1_11comp_targetILNS1_3genE4ELNS1_11target_archE910ELNS1_3gpuE8ELNS1_3repE0EEENS1_30default_config_static_selectorELNS0_4arch9wavefront6targetE1EEEvT1_,"axG",@progbits,_ZN7rocprim17ROCPRIM_400000_NS6detail17trampoline_kernelINS0_14default_configENS1_33run_length_encode_config_selectorIbjNS0_4plusIjEEEEZZNS1_33reduce_by_key_impl_wrapped_configILNS1_25lookback_scan_determinismE0ES3_S7_N6hipcub16HIPCUB_304000_NS22TransformInputIteratorIbN2at6native8internal12_GLOBAL__N_110LoadBoolOpEPKhlEENS0_17constant_iteratorIjlEEPbPlSO_S6_NS0_8equal_toIbEEEE10hipError_tPvRmT2_T3_mT4_T5_T6_T7_T8_P12ihipStream_tbENKUlT_T0_E_clISt17integral_constantIbLb0EES17_IbLb1EEEEDaS13_S14_EUlS13_E_NS1_11comp_targetILNS1_3genE4ELNS1_11target_archE910ELNS1_3gpuE8ELNS1_3repE0EEENS1_30default_config_static_selectorELNS0_4arch9wavefront6targetE1EEEvT1_,comdat
.Lfunc_end90:
	.size	_ZN7rocprim17ROCPRIM_400000_NS6detail17trampoline_kernelINS0_14default_configENS1_33run_length_encode_config_selectorIbjNS0_4plusIjEEEEZZNS1_33reduce_by_key_impl_wrapped_configILNS1_25lookback_scan_determinismE0ES3_S7_N6hipcub16HIPCUB_304000_NS22TransformInputIteratorIbN2at6native8internal12_GLOBAL__N_110LoadBoolOpEPKhlEENS0_17constant_iteratorIjlEEPbPlSO_S6_NS0_8equal_toIbEEEE10hipError_tPvRmT2_T3_mT4_T5_T6_T7_T8_P12ihipStream_tbENKUlT_T0_E_clISt17integral_constantIbLb0EES17_IbLb1EEEEDaS13_S14_EUlS13_E_NS1_11comp_targetILNS1_3genE4ELNS1_11target_archE910ELNS1_3gpuE8ELNS1_3repE0EEENS1_30default_config_static_selectorELNS0_4arch9wavefront6targetE1EEEvT1_, .Lfunc_end90-_ZN7rocprim17ROCPRIM_400000_NS6detail17trampoline_kernelINS0_14default_configENS1_33run_length_encode_config_selectorIbjNS0_4plusIjEEEEZZNS1_33reduce_by_key_impl_wrapped_configILNS1_25lookback_scan_determinismE0ES3_S7_N6hipcub16HIPCUB_304000_NS22TransformInputIteratorIbN2at6native8internal12_GLOBAL__N_110LoadBoolOpEPKhlEENS0_17constant_iteratorIjlEEPbPlSO_S6_NS0_8equal_toIbEEEE10hipError_tPvRmT2_T3_mT4_T5_T6_T7_T8_P12ihipStream_tbENKUlT_T0_E_clISt17integral_constantIbLb0EES17_IbLb1EEEEDaS13_S14_EUlS13_E_NS1_11comp_targetILNS1_3genE4ELNS1_11target_archE910ELNS1_3gpuE8ELNS1_3repE0EEENS1_30default_config_static_selectorELNS0_4arch9wavefront6targetE1EEEvT1_
                                        ; -- End function
	.section	.AMDGPU.csdata,"",@progbits
; Kernel info:
; codeLenInByte = 15304
; NumSgprs: 83
; NumVgprs: 115
; NumAgprs: 0
; TotalNumVgprs: 115
; ScratchSize: 0
; MemoryBound: 0
; FloatMode: 240
; IeeeMode: 1
; LDSByteSize: 15360 bytes/workgroup (compile time only)
; SGPRBlocks: 10
; VGPRBlocks: 14
; NumSGPRsForWavesPerEU: 83
; NumVGPRsForWavesPerEU: 115
; AccumOffset: 116
; Occupancy: 4
; WaveLimiterHint : 1
; COMPUTE_PGM_RSRC2:SCRATCH_EN: 0
; COMPUTE_PGM_RSRC2:USER_SGPR: 6
; COMPUTE_PGM_RSRC2:TRAP_HANDLER: 0
; COMPUTE_PGM_RSRC2:TGID_X_EN: 1
; COMPUTE_PGM_RSRC2:TGID_Y_EN: 0
; COMPUTE_PGM_RSRC2:TGID_Z_EN: 0
; COMPUTE_PGM_RSRC2:TIDIG_COMP_CNT: 0
; COMPUTE_PGM_RSRC3_GFX90A:ACCUM_OFFSET: 28
; COMPUTE_PGM_RSRC3_GFX90A:TG_SPLIT: 0
	.section	.text._ZN7rocprim17ROCPRIM_400000_NS6detail17trampoline_kernelINS0_14default_configENS1_33run_length_encode_config_selectorIbjNS0_4plusIjEEEEZZNS1_33reduce_by_key_impl_wrapped_configILNS1_25lookback_scan_determinismE0ES3_S7_N6hipcub16HIPCUB_304000_NS22TransformInputIteratorIbN2at6native8internal12_GLOBAL__N_110LoadBoolOpEPKhlEENS0_17constant_iteratorIjlEEPbPlSO_S6_NS0_8equal_toIbEEEE10hipError_tPvRmT2_T3_mT4_T5_T6_T7_T8_P12ihipStream_tbENKUlT_T0_E_clISt17integral_constantIbLb0EES17_IbLb1EEEEDaS13_S14_EUlS13_E_NS1_11comp_targetILNS1_3genE3ELNS1_11target_archE908ELNS1_3gpuE7ELNS1_3repE0EEENS1_30default_config_static_selectorELNS0_4arch9wavefront6targetE1EEEvT1_,"axG",@progbits,_ZN7rocprim17ROCPRIM_400000_NS6detail17trampoline_kernelINS0_14default_configENS1_33run_length_encode_config_selectorIbjNS0_4plusIjEEEEZZNS1_33reduce_by_key_impl_wrapped_configILNS1_25lookback_scan_determinismE0ES3_S7_N6hipcub16HIPCUB_304000_NS22TransformInputIteratorIbN2at6native8internal12_GLOBAL__N_110LoadBoolOpEPKhlEENS0_17constant_iteratorIjlEEPbPlSO_S6_NS0_8equal_toIbEEEE10hipError_tPvRmT2_T3_mT4_T5_T6_T7_T8_P12ihipStream_tbENKUlT_T0_E_clISt17integral_constantIbLb0EES17_IbLb1EEEEDaS13_S14_EUlS13_E_NS1_11comp_targetILNS1_3genE3ELNS1_11target_archE908ELNS1_3gpuE7ELNS1_3repE0EEENS1_30default_config_static_selectorELNS0_4arch9wavefront6targetE1EEEvT1_,comdat
	.globl	_ZN7rocprim17ROCPRIM_400000_NS6detail17trampoline_kernelINS0_14default_configENS1_33run_length_encode_config_selectorIbjNS0_4plusIjEEEEZZNS1_33reduce_by_key_impl_wrapped_configILNS1_25lookback_scan_determinismE0ES3_S7_N6hipcub16HIPCUB_304000_NS22TransformInputIteratorIbN2at6native8internal12_GLOBAL__N_110LoadBoolOpEPKhlEENS0_17constant_iteratorIjlEEPbPlSO_S6_NS0_8equal_toIbEEEE10hipError_tPvRmT2_T3_mT4_T5_T6_T7_T8_P12ihipStream_tbENKUlT_T0_E_clISt17integral_constantIbLb0EES17_IbLb1EEEEDaS13_S14_EUlS13_E_NS1_11comp_targetILNS1_3genE3ELNS1_11target_archE908ELNS1_3gpuE7ELNS1_3repE0EEENS1_30default_config_static_selectorELNS0_4arch9wavefront6targetE1EEEvT1_ ; -- Begin function _ZN7rocprim17ROCPRIM_400000_NS6detail17trampoline_kernelINS0_14default_configENS1_33run_length_encode_config_selectorIbjNS0_4plusIjEEEEZZNS1_33reduce_by_key_impl_wrapped_configILNS1_25lookback_scan_determinismE0ES3_S7_N6hipcub16HIPCUB_304000_NS22TransformInputIteratorIbN2at6native8internal12_GLOBAL__N_110LoadBoolOpEPKhlEENS0_17constant_iteratorIjlEEPbPlSO_S6_NS0_8equal_toIbEEEE10hipError_tPvRmT2_T3_mT4_T5_T6_T7_T8_P12ihipStream_tbENKUlT_T0_E_clISt17integral_constantIbLb0EES17_IbLb1EEEEDaS13_S14_EUlS13_E_NS1_11comp_targetILNS1_3genE3ELNS1_11target_archE908ELNS1_3gpuE7ELNS1_3repE0EEENS1_30default_config_static_selectorELNS0_4arch9wavefront6targetE1EEEvT1_
	.p2align	8
	.type	_ZN7rocprim17ROCPRIM_400000_NS6detail17trampoline_kernelINS0_14default_configENS1_33run_length_encode_config_selectorIbjNS0_4plusIjEEEEZZNS1_33reduce_by_key_impl_wrapped_configILNS1_25lookback_scan_determinismE0ES3_S7_N6hipcub16HIPCUB_304000_NS22TransformInputIteratorIbN2at6native8internal12_GLOBAL__N_110LoadBoolOpEPKhlEENS0_17constant_iteratorIjlEEPbPlSO_S6_NS0_8equal_toIbEEEE10hipError_tPvRmT2_T3_mT4_T5_T6_T7_T8_P12ihipStream_tbENKUlT_T0_E_clISt17integral_constantIbLb0EES17_IbLb1EEEEDaS13_S14_EUlS13_E_NS1_11comp_targetILNS1_3genE3ELNS1_11target_archE908ELNS1_3gpuE7ELNS1_3repE0EEENS1_30default_config_static_selectorELNS0_4arch9wavefront6targetE1EEEvT1_,@function
_ZN7rocprim17ROCPRIM_400000_NS6detail17trampoline_kernelINS0_14default_configENS1_33run_length_encode_config_selectorIbjNS0_4plusIjEEEEZZNS1_33reduce_by_key_impl_wrapped_configILNS1_25lookback_scan_determinismE0ES3_S7_N6hipcub16HIPCUB_304000_NS22TransformInputIteratorIbN2at6native8internal12_GLOBAL__N_110LoadBoolOpEPKhlEENS0_17constant_iteratorIjlEEPbPlSO_S6_NS0_8equal_toIbEEEE10hipError_tPvRmT2_T3_mT4_T5_T6_T7_T8_P12ihipStream_tbENKUlT_T0_E_clISt17integral_constantIbLb0EES17_IbLb1EEEEDaS13_S14_EUlS13_E_NS1_11comp_targetILNS1_3genE3ELNS1_11target_archE908ELNS1_3gpuE7ELNS1_3repE0EEENS1_30default_config_static_selectorELNS0_4arch9wavefront6targetE1EEEvT1_: ; @_ZN7rocprim17ROCPRIM_400000_NS6detail17trampoline_kernelINS0_14default_configENS1_33run_length_encode_config_selectorIbjNS0_4plusIjEEEEZZNS1_33reduce_by_key_impl_wrapped_configILNS1_25lookback_scan_determinismE0ES3_S7_N6hipcub16HIPCUB_304000_NS22TransformInputIteratorIbN2at6native8internal12_GLOBAL__N_110LoadBoolOpEPKhlEENS0_17constant_iteratorIjlEEPbPlSO_S6_NS0_8equal_toIbEEEE10hipError_tPvRmT2_T3_mT4_T5_T6_T7_T8_P12ihipStream_tbENKUlT_T0_E_clISt17integral_constantIbLb0EES17_IbLb1EEEEDaS13_S14_EUlS13_E_NS1_11comp_targetILNS1_3genE3ELNS1_11target_archE908ELNS1_3gpuE7ELNS1_3repE0EEENS1_30default_config_static_selectorELNS0_4arch9wavefront6targetE1EEEvT1_
; %bb.0:
	.section	.rodata,"a",@progbits
	.p2align	6, 0x0
	.amdhsa_kernel _ZN7rocprim17ROCPRIM_400000_NS6detail17trampoline_kernelINS0_14default_configENS1_33run_length_encode_config_selectorIbjNS0_4plusIjEEEEZZNS1_33reduce_by_key_impl_wrapped_configILNS1_25lookback_scan_determinismE0ES3_S7_N6hipcub16HIPCUB_304000_NS22TransformInputIteratorIbN2at6native8internal12_GLOBAL__N_110LoadBoolOpEPKhlEENS0_17constant_iteratorIjlEEPbPlSO_S6_NS0_8equal_toIbEEEE10hipError_tPvRmT2_T3_mT4_T5_T6_T7_T8_P12ihipStream_tbENKUlT_T0_E_clISt17integral_constantIbLb0EES17_IbLb1EEEEDaS13_S14_EUlS13_E_NS1_11comp_targetILNS1_3genE3ELNS1_11target_archE908ELNS1_3gpuE7ELNS1_3repE0EEENS1_30default_config_static_selectorELNS0_4arch9wavefront6targetE1EEEvT1_
		.amdhsa_group_segment_fixed_size 0
		.amdhsa_private_segment_fixed_size 0
		.amdhsa_kernarg_size 136
		.amdhsa_user_sgpr_count 6
		.amdhsa_user_sgpr_private_segment_buffer 1
		.amdhsa_user_sgpr_dispatch_ptr 0
		.amdhsa_user_sgpr_queue_ptr 0
		.amdhsa_user_sgpr_kernarg_segment_ptr 1
		.amdhsa_user_sgpr_dispatch_id 0
		.amdhsa_user_sgpr_flat_scratch_init 0
		.amdhsa_user_sgpr_kernarg_preload_length 0
		.amdhsa_user_sgpr_kernarg_preload_offset 0
		.amdhsa_user_sgpr_private_segment_size 0
		.amdhsa_uses_dynamic_stack 0
		.amdhsa_system_sgpr_private_segment_wavefront_offset 0
		.amdhsa_system_sgpr_workgroup_id_x 1
		.amdhsa_system_sgpr_workgroup_id_y 0
		.amdhsa_system_sgpr_workgroup_id_z 0
		.amdhsa_system_sgpr_workgroup_info 0
		.amdhsa_system_vgpr_workitem_id 0
		.amdhsa_next_free_vgpr 1
		.amdhsa_next_free_sgpr 0
		.amdhsa_accum_offset 4
		.amdhsa_reserve_vcc 0
		.amdhsa_reserve_flat_scratch 0
		.amdhsa_float_round_mode_32 0
		.amdhsa_float_round_mode_16_64 0
		.amdhsa_float_denorm_mode_32 3
		.amdhsa_float_denorm_mode_16_64 3
		.amdhsa_dx10_clamp 1
		.amdhsa_ieee_mode 1
		.amdhsa_fp16_overflow 0
		.amdhsa_tg_split 0
		.amdhsa_exception_fp_ieee_invalid_op 0
		.amdhsa_exception_fp_denorm_src 0
		.amdhsa_exception_fp_ieee_div_zero 0
		.amdhsa_exception_fp_ieee_overflow 0
		.amdhsa_exception_fp_ieee_underflow 0
		.amdhsa_exception_fp_ieee_inexact 0
		.amdhsa_exception_int_div_zero 0
	.end_amdhsa_kernel
	.section	.text._ZN7rocprim17ROCPRIM_400000_NS6detail17trampoline_kernelINS0_14default_configENS1_33run_length_encode_config_selectorIbjNS0_4plusIjEEEEZZNS1_33reduce_by_key_impl_wrapped_configILNS1_25lookback_scan_determinismE0ES3_S7_N6hipcub16HIPCUB_304000_NS22TransformInputIteratorIbN2at6native8internal12_GLOBAL__N_110LoadBoolOpEPKhlEENS0_17constant_iteratorIjlEEPbPlSO_S6_NS0_8equal_toIbEEEE10hipError_tPvRmT2_T3_mT4_T5_T6_T7_T8_P12ihipStream_tbENKUlT_T0_E_clISt17integral_constantIbLb0EES17_IbLb1EEEEDaS13_S14_EUlS13_E_NS1_11comp_targetILNS1_3genE3ELNS1_11target_archE908ELNS1_3gpuE7ELNS1_3repE0EEENS1_30default_config_static_selectorELNS0_4arch9wavefront6targetE1EEEvT1_,"axG",@progbits,_ZN7rocprim17ROCPRIM_400000_NS6detail17trampoline_kernelINS0_14default_configENS1_33run_length_encode_config_selectorIbjNS0_4plusIjEEEEZZNS1_33reduce_by_key_impl_wrapped_configILNS1_25lookback_scan_determinismE0ES3_S7_N6hipcub16HIPCUB_304000_NS22TransformInputIteratorIbN2at6native8internal12_GLOBAL__N_110LoadBoolOpEPKhlEENS0_17constant_iteratorIjlEEPbPlSO_S6_NS0_8equal_toIbEEEE10hipError_tPvRmT2_T3_mT4_T5_T6_T7_T8_P12ihipStream_tbENKUlT_T0_E_clISt17integral_constantIbLb0EES17_IbLb1EEEEDaS13_S14_EUlS13_E_NS1_11comp_targetILNS1_3genE3ELNS1_11target_archE908ELNS1_3gpuE7ELNS1_3repE0EEENS1_30default_config_static_selectorELNS0_4arch9wavefront6targetE1EEEvT1_,comdat
.Lfunc_end91:
	.size	_ZN7rocprim17ROCPRIM_400000_NS6detail17trampoline_kernelINS0_14default_configENS1_33run_length_encode_config_selectorIbjNS0_4plusIjEEEEZZNS1_33reduce_by_key_impl_wrapped_configILNS1_25lookback_scan_determinismE0ES3_S7_N6hipcub16HIPCUB_304000_NS22TransformInputIteratorIbN2at6native8internal12_GLOBAL__N_110LoadBoolOpEPKhlEENS0_17constant_iteratorIjlEEPbPlSO_S6_NS0_8equal_toIbEEEE10hipError_tPvRmT2_T3_mT4_T5_T6_T7_T8_P12ihipStream_tbENKUlT_T0_E_clISt17integral_constantIbLb0EES17_IbLb1EEEEDaS13_S14_EUlS13_E_NS1_11comp_targetILNS1_3genE3ELNS1_11target_archE908ELNS1_3gpuE7ELNS1_3repE0EEENS1_30default_config_static_selectorELNS0_4arch9wavefront6targetE1EEEvT1_, .Lfunc_end91-_ZN7rocprim17ROCPRIM_400000_NS6detail17trampoline_kernelINS0_14default_configENS1_33run_length_encode_config_selectorIbjNS0_4plusIjEEEEZZNS1_33reduce_by_key_impl_wrapped_configILNS1_25lookback_scan_determinismE0ES3_S7_N6hipcub16HIPCUB_304000_NS22TransformInputIteratorIbN2at6native8internal12_GLOBAL__N_110LoadBoolOpEPKhlEENS0_17constant_iteratorIjlEEPbPlSO_S6_NS0_8equal_toIbEEEE10hipError_tPvRmT2_T3_mT4_T5_T6_T7_T8_P12ihipStream_tbENKUlT_T0_E_clISt17integral_constantIbLb0EES17_IbLb1EEEEDaS13_S14_EUlS13_E_NS1_11comp_targetILNS1_3genE3ELNS1_11target_archE908ELNS1_3gpuE7ELNS1_3repE0EEENS1_30default_config_static_selectorELNS0_4arch9wavefront6targetE1EEEvT1_
                                        ; -- End function
	.section	.AMDGPU.csdata,"",@progbits
; Kernel info:
; codeLenInByte = 0
; NumSgprs: 4
; NumVgprs: 0
; NumAgprs: 0
; TotalNumVgprs: 0
; ScratchSize: 0
; MemoryBound: 0
; FloatMode: 240
; IeeeMode: 1
; LDSByteSize: 0 bytes/workgroup (compile time only)
; SGPRBlocks: 0
; VGPRBlocks: 0
; NumSGPRsForWavesPerEU: 4
; NumVGPRsForWavesPerEU: 1
; AccumOffset: 4
; Occupancy: 8
; WaveLimiterHint : 0
; COMPUTE_PGM_RSRC2:SCRATCH_EN: 0
; COMPUTE_PGM_RSRC2:USER_SGPR: 6
; COMPUTE_PGM_RSRC2:TRAP_HANDLER: 0
; COMPUTE_PGM_RSRC2:TGID_X_EN: 1
; COMPUTE_PGM_RSRC2:TGID_Y_EN: 0
; COMPUTE_PGM_RSRC2:TGID_Z_EN: 0
; COMPUTE_PGM_RSRC2:TIDIG_COMP_CNT: 0
; COMPUTE_PGM_RSRC3_GFX90A:ACCUM_OFFSET: 0
; COMPUTE_PGM_RSRC3_GFX90A:TG_SPLIT: 0
	.section	.text._ZN7rocprim17ROCPRIM_400000_NS6detail17trampoline_kernelINS0_14default_configENS1_33run_length_encode_config_selectorIbjNS0_4plusIjEEEEZZNS1_33reduce_by_key_impl_wrapped_configILNS1_25lookback_scan_determinismE0ES3_S7_N6hipcub16HIPCUB_304000_NS22TransformInputIteratorIbN2at6native8internal12_GLOBAL__N_110LoadBoolOpEPKhlEENS0_17constant_iteratorIjlEEPbPlSO_S6_NS0_8equal_toIbEEEE10hipError_tPvRmT2_T3_mT4_T5_T6_T7_T8_P12ihipStream_tbENKUlT_T0_E_clISt17integral_constantIbLb0EES17_IbLb1EEEEDaS13_S14_EUlS13_E_NS1_11comp_targetILNS1_3genE2ELNS1_11target_archE906ELNS1_3gpuE6ELNS1_3repE0EEENS1_30default_config_static_selectorELNS0_4arch9wavefront6targetE1EEEvT1_,"axG",@progbits,_ZN7rocprim17ROCPRIM_400000_NS6detail17trampoline_kernelINS0_14default_configENS1_33run_length_encode_config_selectorIbjNS0_4plusIjEEEEZZNS1_33reduce_by_key_impl_wrapped_configILNS1_25lookback_scan_determinismE0ES3_S7_N6hipcub16HIPCUB_304000_NS22TransformInputIteratorIbN2at6native8internal12_GLOBAL__N_110LoadBoolOpEPKhlEENS0_17constant_iteratorIjlEEPbPlSO_S6_NS0_8equal_toIbEEEE10hipError_tPvRmT2_T3_mT4_T5_T6_T7_T8_P12ihipStream_tbENKUlT_T0_E_clISt17integral_constantIbLb0EES17_IbLb1EEEEDaS13_S14_EUlS13_E_NS1_11comp_targetILNS1_3genE2ELNS1_11target_archE906ELNS1_3gpuE6ELNS1_3repE0EEENS1_30default_config_static_selectorELNS0_4arch9wavefront6targetE1EEEvT1_,comdat
	.globl	_ZN7rocprim17ROCPRIM_400000_NS6detail17trampoline_kernelINS0_14default_configENS1_33run_length_encode_config_selectorIbjNS0_4plusIjEEEEZZNS1_33reduce_by_key_impl_wrapped_configILNS1_25lookback_scan_determinismE0ES3_S7_N6hipcub16HIPCUB_304000_NS22TransformInputIteratorIbN2at6native8internal12_GLOBAL__N_110LoadBoolOpEPKhlEENS0_17constant_iteratorIjlEEPbPlSO_S6_NS0_8equal_toIbEEEE10hipError_tPvRmT2_T3_mT4_T5_T6_T7_T8_P12ihipStream_tbENKUlT_T0_E_clISt17integral_constantIbLb0EES17_IbLb1EEEEDaS13_S14_EUlS13_E_NS1_11comp_targetILNS1_3genE2ELNS1_11target_archE906ELNS1_3gpuE6ELNS1_3repE0EEENS1_30default_config_static_selectorELNS0_4arch9wavefront6targetE1EEEvT1_ ; -- Begin function _ZN7rocprim17ROCPRIM_400000_NS6detail17trampoline_kernelINS0_14default_configENS1_33run_length_encode_config_selectorIbjNS0_4plusIjEEEEZZNS1_33reduce_by_key_impl_wrapped_configILNS1_25lookback_scan_determinismE0ES3_S7_N6hipcub16HIPCUB_304000_NS22TransformInputIteratorIbN2at6native8internal12_GLOBAL__N_110LoadBoolOpEPKhlEENS0_17constant_iteratorIjlEEPbPlSO_S6_NS0_8equal_toIbEEEE10hipError_tPvRmT2_T3_mT4_T5_T6_T7_T8_P12ihipStream_tbENKUlT_T0_E_clISt17integral_constantIbLb0EES17_IbLb1EEEEDaS13_S14_EUlS13_E_NS1_11comp_targetILNS1_3genE2ELNS1_11target_archE906ELNS1_3gpuE6ELNS1_3repE0EEENS1_30default_config_static_selectorELNS0_4arch9wavefront6targetE1EEEvT1_
	.p2align	8
	.type	_ZN7rocprim17ROCPRIM_400000_NS6detail17trampoline_kernelINS0_14default_configENS1_33run_length_encode_config_selectorIbjNS0_4plusIjEEEEZZNS1_33reduce_by_key_impl_wrapped_configILNS1_25lookback_scan_determinismE0ES3_S7_N6hipcub16HIPCUB_304000_NS22TransformInputIteratorIbN2at6native8internal12_GLOBAL__N_110LoadBoolOpEPKhlEENS0_17constant_iteratorIjlEEPbPlSO_S6_NS0_8equal_toIbEEEE10hipError_tPvRmT2_T3_mT4_T5_T6_T7_T8_P12ihipStream_tbENKUlT_T0_E_clISt17integral_constantIbLb0EES17_IbLb1EEEEDaS13_S14_EUlS13_E_NS1_11comp_targetILNS1_3genE2ELNS1_11target_archE906ELNS1_3gpuE6ELNS1_3repE0EEENS1_30default_config_static_selectorELNS0_4arch9wavefront6targetE1EEEvT1_,@function
_ZN7rocprim17ROCPRIM_400000_NS6detail17trampoline_kernelINS0_14default_configENS1_33run_length_encode_config_selectorIbjNS0_4plusIjEEEEZZNS1_33reduce_by_key_impl_wrapped_configILNS1_25lookback_scan_determinismE0ES3_S7_N6hipcub16HIPCUB_304000_NS22TransformInputIteratorIbN2at6native8internal12_GLOBAL__N_110LoadBoolOpEPKhlEENS0_17constant_iteratorIjlEEPbPlSO_S6_NS0_8equal_toIbEEEE10hipError_tPvRmT2_T3_mT4_T5_T6_T7_T8_P12ihipStream_tbENKUlT_T0_E_clISt17integral_constantIbLb0EES17_IbLb1EEEEDaS13_S14_EUlS13_E_NS1_11comp_targetILNS1_3genE2ELNS1_11target_archE906ELNS1_3gpuE6ELNS1_3repE0EEENS1_30default_config_static_selectorELNS0_4arch9wavefront6targetE1EEEvT1_: ; @_ZN7rocprim17ROCPRIM_400000_NS6detail17trampoline_kernelINS0_14default_configENS1_33run_length_encode_config_selectorIbjNS0_4plusIjEEEEZZNS1_33reduce_by_key_impl_wrapped_configILNS1_25lookback_scan_determinismE0ES3_S7_N6hipcub16HIPCUB_304000_NS22TransformInputIteratorIbN2at6native8internal12_GLOBAL__N_110LoadBoolOpEPKhlEENS0_17constant_iteratorIjlEEPbPlSO_S6_NS0_8equal_toIbEEEE10hipError_tPvRmT2_T3_mT4_T5_T6_T7_T8_P12ihipStream_tbENKUlT_T0_E_clISt17integral_constantIbLb0EES17_IbLb1EEEEDaS13_S14_EUlS13_E_NS1_11comp_targetILNS1_3genE2ELNS1_11target_archE906ELNS1_3gpuE6ELNS1_3repE0EEENS1_30default_config_static_selectorELNS0_4arch9wavefront6targetE1EEEvT1_
; %bb.0:
	.section	.rodata,"a",@progbits
	.p2align	6, 0x0
	.amdhsa_kernel _ZN7rocprim17ROCPRIM_400000_NS6detail17trampoline_kernelINS0_14default_configENS1_33run_length_encode_config_selectorIbjNS0_4plusIjEEEEZZNS1_33reduce_by_key_impl_wrapped_configILNS1_25lookback_scan_determinismE0ES3_S7_N6hipcub16HIPCUB_304000_NS22TransformInputIteratorIbN2at6native8internal12_GLOBAL__N_110LoadBoolOpEPKhlEENS0_17constant_iteratorIjlEEPbPlSO_S6_NS0_8equal_toIbEEEE10hipError_tPvRmT2_T3_mT4_T5_T6_T7_T8_P12ihipStream_tbENKUlT_T0_E_clISt17integral_constantIbLb0EES17_IbLb1EEEEDaS13_S14_EUlS13_E_NS1_11comp_targetILNS1_3genE2ELNS1_11target_archE906ELNS1_3gpuE6ELNS1_3repE0EEENS1_30default_config_static_selectorELNS0_4arch9wavefront6targetE1EEEvT1_
		.amdhsa_group_segment_fixed_size 0
		.amdhsa_private_segment_fixed_size 0
		.amdhsa_kernarg_size 136
		.amdhsa_user_sgpr_count 6
		.amdhsa_user_sgpr_private_segment_buffer 1
		.amdhsa_user_sgpr_dispatch_ptr 0
		.amdhsa_user_sgpr_queue_ptr 0
		.amdhsa_user_sgpr_kernarg_segment_ptr 1
		.amdhsa_user_sgpr_dispatch_id 0
		.amdhsa_user_sgpr_flat_scratch_init 0
		.amdhsa_user_sgpr_kernarg_preload_length 0
		.amdhsa_user_sgpr_kernarg_preload_offset 0
		.amdhsa_user_sgpr_private_segment_size 0
		.amdhsa_uses_dynamic_stack 0
		.amdhsa_system_sgpr_private_segment_wavefront_offset 0
		.amdhsa_system_sgpr_workgroup_id_x 1
		.amdhsa_system_sgpr_workgroup_id_y 0
		.amdhsa_system_sgpr_workgroup_id_z 0
		.amdhsa_system_sgpr_workgroup_info 0
		.amdhsa_system_vgpr_workitem_id 0
		.amdhsa_next_free_vgpr 1
		.amdhsa_next_free_sgpr 0
		.amdhsa_accum_offset 4
		.amdhsa_reserve_vcc 0
		.amdhsa_reserve_flat_scratch 0
		.amdhsa_float_round_mode_32 0
		.amdhsa_float_round_mode_16_64 0
		.amdhsa_float_denorm_mode_32 3
		.amdhsa_float_denorm_mode_16_64 3
		.amdhsa_dx10_clamp 1
		.amdhsa_ieee_mode 1
		.amdhsa_fp16_overflow 0
		.amdhsa_tg_split 0
		.amdhsa_exception_fp_ieee_invalid_op 0
		.amdhsa_exception_fp_denorm_src 0
		.amdhsa_exception_fp_ieee_div_zero 0
		.amdhsa_exception_fp_ieee_overflow 0
		.amdhsa_exception_fp_ieee_underflow 0
		.amdhsa_exception_fp_ieee_inexact 0
		.amdhsa_exception_int_div_zero 0
	.end_amdhsa_kernel
	.section	.text._ZN7rocprim17ROCPRIM_400000_NS6detail17trampoline_kernelINS0_14default_configENS1_33run_length_encode_config_selectorIbjNS0_4plusIjEEEEZZNS1_33reduce_by_key_impl_wrapped_configILNS1_25lookback_scan_determinismE0ES3_S7_N6hipcub16HIPCUB_304000_NS22TransformInputIteratorIbN2at6native8internal12_GLOBAL__N_110LoadBoolOpEPKhlEENS0_17constant_iteratorIjlEEPbPlSO_S6_NS0_8equal_toIbEEEE10hipError_tPvRmT2_T3_mT4_T5_T6_T7_T8_P12ihipStream_tbENKUlT_T0_E_clISt17integral_constantIbLb0EES17_IbLb1EEEEDaS13_S14_EUlS13_E_NS1_11comp_targetILNS1_3genE2ELNS1_11target_archE906ELNS1_3gpuE6ELNS1_3repE0EEENS1_30default_config_static_selectorELNS0_4arch9wavefront6targetE1EEEvT1_,"axG",@progbits,_ZN7rocprim17ROCPRIM_400000_NS6detail17trampoline_kernelINS0_14default_configENS1_33run_length_encode_config_selectorIbjNS0_4plusIjEEEEZZNS1_33reduce_by_key_impl_wrapped_configILNS1_25lookback_scan_determinismE0ES3_S7_N6hipcub16HIPCUB_304000_NS22TransformInputIteratorIbN2at6native8internal12_GLOBAL__N_110LoadBoolOpEPKhlEENS0_17constant_iteratorIjlEEPbPlSO_S6_NS0_8equal_toIbEEEE10hipError_tPvRmT2_T3_mT4_T5_T6_T7_T8_P12ihipStream_tbENKUlT_T0_E_clISt17integral_constantIbLb0EES17_IbLb1EEEEDaS13_S14_EUlS13_E_NS1_11comp_targetILNS1_3genE2ELNS1_11target_archE906ELNS1_3gpuE6ELNS1_3repE0EEENS1_30default_config_static_selectorELNS0_4arch9wavefront6targetE1EEEvT1_,comdat
.Lfunc_end92:
	.size	_ZN7rocprim17ROCPRIM_400000_NS6detail17trampoline_kernelINS0_14default_configENS1_33run_length_encode_config_selectorIbjNS0_4plusIjEEEEZZNS1_33reduce_by_key_impl_wrapped_configILNS1_25lookback_scan_determinismE0ES3_S7_N6hipcub16HIPCUB_304000_NS22TransformInputIteratorIbN2at6native8internal12_GLOBAL__N_110LoadBoolOpEPKhlEENS0_17constant_iteratorIjlEEPbPlSO_S6_NS0_8equal_toIbEEEE10hipError_tPvRmT2_T3_mT4_T5_T6_T7_T8_P12ihipStream_tbENKUlT_T0_E_clISt17integral_constantIbLb0EES17_IbLb1EEEEDaS13_S14_EUlS13_E_NS1_11comp_targetILNS1_3genE2ELNS1_11target_archE906ELNS1_3gpuE6ELNS1_3repE0EEENS1_30default_config_static_selectorELNS0_4arch9wavefront6targetE1EEEvT1_, .Lfunc_end92-_ZN7rocprim17ROCPRIM_400000_NS6detail17trampoline_kernelINS0_14default_configENS1_33run_length_encode_config_selectorIbjNS0_4plusIjEEEEZZNS1_33reduce_by_key_impl_wrapped_configILNS1_25lookback_scan_determinismE0ES3_S7_N6hipcub16HIPCUB_304000_NS22TransformInputIteratorIbN2at6native8internal12_GLOBAL__N_110LoadBoolOpEPKhlEENS0_17constant_iteratorIjlEEPbPlSO_S6_NS0_8equal_toIbEEEE10hipError_tPvRmT2_T3_mT4_T5_T6_T7_T8_P12ihipStream_tbENKUlT_T0_E_clISt17integral_constantIbLb0EES17_IbLb1EEEEDaS13_S14_EUlS13_E_NS1_11comp_targetILNS1_3genE2ELNS1_11target_archE906ELNS1_3gpuE6ELNS1_3repE0EEENS1_30default_config_static_selectorELNS0_4arch9wavefront6targetE1EEEvT1_
                                        ; -- End function
	.section	.AMDGPU.csdata,"",@progbits
; Kernel info:
; codeLenInByte = 0
; NumSgprs: 4
; NumVgprs: 0
; NumAgprs: 0
; TotalNumVgprs: 0
; ScratchSize: 0
; MemoryBound: 0
; FloatMode: 240
; IeeeMode: 1
; LDSByteSize: 0 bytes/workgroup (compile time only)
; SGPRBlocks: 0
; VGPRBlocks: 0
; NumSGPRsForWavesPerEU: 4
; NumVGPRsForWavesPerEU: 1
; AccumOffset: 4
; Occupancy: 8
; WaveLimiterHint : 0
; COMPUTE_PGM_RSRC2:SCRATCH_EN: 0
; COMPUTE_PGM_RSRC2:USER_SGPR: 6
; COMPUTE_PGM_RSRC2:TRAP_HANDLER: 0
; COMPUTE_PGM_RSRC2:TGID_X_EN: 1
; COMPUTE_PGM_RSRC2:TGID_Y_EN: 0
; COMPUTE_PGM_RSRC2:TGID_Z_EN: 0
; COMPUTE_PGM_RSRC2:TIDIG_COMP_CNT: 0
; COMPUTE_PGM_RSRC3_GFX90A:ACCUM_OFFSET: 0
; COMPUTE_PGM_RSRC3_GFX90A:TG_SPLIT: 0
	.section	.text._ZN7rocprim17ROCPRIM_400000_NS6detail17trampoline_kernelINS0_14default_configENS1_33run_length_encode_config_selectorIbjNS0_4plusIjEEEEZZNS1_33reduce_by_key_impl_wrapped_configILNS1_25lookback_scan_determinismE0ES3_S7_N6hipcub16HIPCUB_304000_NS22TransformInputIteratorIbN2at6native8internal12_GLOBAL__N_110LoadBoolOpEPKhlEENS0_17constant_iteratorIjlEEPbPlSO_S6_NS0_8equal_toIbEEEE10hipError_tPvRmT2_T3_mT4_T5_T6_T7_T8_P12ihipStream_tbENKUlT_T0_E_clISt17integral_constantIbLb0EES17_IbLb1EEEEDaS13_S14_EUlS13_E_NS1_11comp_targetILNS1_3genE10ELNS1_11target_archE1201ELNS1_3gpuE5ELNS1_3repE0EEENS1_30default_config_static_selectorELNS0_4arch9wavefront6targetE1EEEvT1_,"axG",@progbits,_ZN7rocprim17ROCPRIM_400000_NS6detail17trampoline_kernelINS0_14default_configENS1_33run_length_encode_config_selectorIbjNS0_4plusIjEEEEZZNS1_33reduce_by_key_impl_wrapped_configILNS1_25lookback_scan_determinismE0ES3_S7_N6hipcub16HIPCUB_304000_NS22TransformInputIteratorIbN2at6native8internal12_GLOBAL__N_110LoadBoolOpEPKhlEENS0_17constant_iteratorIjlEEPbPlSO_S6_NS0_8equal_toIbEEEE10hipError_tPvRmT2_T3_mT4_T5_T6_T7_T8_P12ihipStream_tbENKUlT_T0_E_clISt17integral_constantIbLb0EES17_IbLb1EEEEDaS13_S14_EUlS13_E_NS1_11comp_targetILNS1_3genE10ELNS1_11target_archE1201ELNS1_3gpuE5ELNS1_3repE0EEENS1_30default_config_static_selectorELNS0_4arch9wavefront6targetE1EEEvT1_,comdat
	.globl	_ZN7rocprim17ROCPRIM_400000_NS6detail17trampoline_kernelINS0_14default_configENS1_33run_length_encode_config_selectorIbjNS0_4plusIjEEEEZZNS1_33reduce_by_key_impl_wrapped_configILNS1_25lookback_scan_determinismE0ES3_S7_N6hipcub16HIPCUB_304000_NS22TransformInputIteratorIbN2at6native8internal12_GLOBAL__N_110LoadBoolOpEPKhlEENS0_17constant_iteratorIjlEEPbPlSO_S6_NS0_8equal_toIbEEEE10hipError_tPvRmT2_T3_mT4_T5_T6_T7_T8_P12ihipStream_tbENKUlT_T0_E_clISt17integral_constantIbLb0EES17_IbLb1EEEEDaS13_S14_EUlS13_E_NS1_11comp_targetILNS1_3genE10ELNS1_11target_archE1201ELNS1_3gpuE5ELNS1_3repE0EEENS1_30default_config_static_selectorELNS0_4arch9wavefront6targetE1EEEvT1_ ; -- Begin function _ZN7rocprim17ROCPRIM_400000_NS6detail17trampoline_kernelINS0_14default_configENS1_33run_length_encode_config_selectorIbjNS0_4plusIjEEEEZZNS1_33reduce_by_key_impl_wrapped_configILNS1_25lookback_scan_determinismE0ES3_S7_N6hipcub16HIPCUB_304000_NS22TransformInputIteratorIbN2at6native8internal12_GLOBAL__N_110LoadBoolOpEPKhlEENS0_17constant_iteratorIjlEEPbPlSO_S6_NS0_8equal_toIbEEEE10hipError_tPvRmT2_T3_mT4_T5_T6_T7_T8_P12ihipStream_tbENKUlT_T0_E_clISt17integral_constantIbLb0EES17_IbLb1EEEEDaS13_S14_EUlS13_E_NS1_11comp_targetILNS1_3genE10ELNS1_11target_archE1201ELNS1_3gpuE5ELNS1_3repE0EEENS1_30default_config_static_selectorELNS0_4arch9wavefront6targetE1EEEvT1_
	.p2align	8
	.type	_ZN7rocprim17ROCPRIM_400000_NS6detail17trampoline_kernelINS0_14default_configENS1_33run_length_encode_config_selectorIbjNS0_4plusIjEEEEZZNS1_33reduce_by_key_impl_wrapped_configILNS1_25lookback_scan_determinismE0ES3_S7_N6hipcub16HIPCUB_304000_NS22TransformInputIteratorIbN2at6native8internal12_GLOBAL__N_110LoadBoolOpEPKhlEENS0_17constant_iteratorIjlEEPbPlSO_S6_NS0_8equal_toIbEEEE10hipError_tPvRmT2_T3_mT4_T5_T6_T7_T8_P12ihipStream_tbENKUlT_T0_E_clISt17integral_constantIbLb0EES17_IbLb1EEEEDaS13_S14_EUlS13_E_NS1_11comp_targetILNS1_3genE10ELNS1_11target_archE1201ELNS1_3gpuE5ELNS1_3repE0EEENS1_30default_config_static_selectorELNS0_4arch9wavefront6targetE1EEEvT1_,@function
_ZN7rocprim17ROCPRIM_400000_NS6detail17trampoline_kernelINS0_14default_configENS1_33run_length_encode_config_selectorIbjNS0_4plusIjEEEEZZNS1_33reduce_by_key_impl_wrapped_configILNS1_25lookback_scan_determinismE0ES3_S7_N6hipcub16HIPCUB_304000_NS22TransformInputIteratorIbN2at6native8internal12_GLOBAL__N_110LoadBoolOpEPKhlEENS0_17constant_iteratorIjlEEPbPlSO_S6_NS0_8equal_toIbEEEE10hipError_tPvRmT2_T3_mT4_T5_T6_T7_T8_P12ihipStream_tbENKUlT_T0_E_clISt17integral_constantIbLb0EES17_IbLb1EEEEDaS13_S14_EUlS13_E_NS1_11comp_targetILNS1_3genE10ELNS1_11target_archE1201ELNS1_3gpuE5ELNS1_3repE0EEENS1_30default_config_static_selectorELNS0_4arch9wavefront6targetE1EEEvT1_: ; @_ZN7rocprim17ROCPRIM_400000_NS6detail17trampoline_kernelINS0_14default_configENS1_33run_length_encode_config_selectorIbjNS0_4plusIjEEEEZZNS1_33reduce_by_key_impl_wrapped_configILNS1_25lookback_scan_determinismE0ES3_S7_N6hipcub16HIPCUB_304000_NS22TransformInputIteratorIbN2at6native8internal12_GLOBAL__N_110LoadBoolOpEPKhlEENS0_17constant_iteratorIjlEEPbPlSO_S6_NS0_8equal_toIbEEEE10hipError_tPvRmT2_T3_mT4_T5_T6_T7_T8_P12ihipStream_tbENKUlT_T0_E_clISt17integral_constantIbLb0EES17_IbLb1EEEEDaS13_S14_EUlS13_E_NS1_11comp_targetILNS1_3genE10ELNS1_11target_archE1201ELNS1_3gpuE5ELNS1_3repE0EEENS1_30default_config_static_selectorELNS0_4arch9wavefront6targetE1EEEvT1_
; %bb.0:
	.section	.rodata,"a",@progbits
	.p2align	6, 0x0
	.amdhsa_kernel _ZN7rocprim17ROCPRIM_400000_NS6detail17trampoline_kernelINS0_14default_configENS1_33run_length_encode_config_selectorIbjNS0_4plusIjEEEEZZNS1_33reduce_by_key_impl_wrapped_configILNS1_25lookback_scan_determinismE0ES3_S7_N6hipcub16HIPCUB_304000_NS22TransformInputIteratorIbN2at6native8internal12_GLOBAL__N_110LoadBoolOpEPKhlEENS0_17constant_iteratorIjlEEPbPlSO_S6_NS0_8equal_toIbEEEE10hipError_tPvRmT2_T3_mT4_T5_T6_T7_T8_P12ihipStream_tbENKUlT_T0_E_clISt17integral_constantIbLb0EES17_IbLb1EEEEDaS13_S14_EUlS13_E_NS1_11comp_targetILNS1_3genE10ELNS1_11target_archE1201ELNS1_3gpuE5ELNS1_3repE0EEENS1_30default_config_static_selectorELNS0_4arch9wavefront6targetE1EEEvT1_
		.amdhsa_group_segment_fixed_size 0
		.amdhsa_private_segment_fixed_size 0
		.amdhsa_kernarg_size 136
		.amdhsa_user_sgpr_count 6
		.amdhsa_user_sgpr_private_segment_buffer 1
		.amdhsa_user_sgpr_dispatch_ptr 0
		.amdhsa_user_sgpr_queue_ptr 0
		.amdhsa_user_sgpr_kernarg_segment_ptr 1
		.amdhsa_user_sgpr_dispatch_id 0
		.amdhsa_user_sgpr_flat_scratch_init 0
		.amdhsa_user_sgpr_kernarg_preload_length 0
		.amdhsa_user_sgpr_kernarg_preload_offset 0
		.amdhsa_user_sgpr_private_segment_size 0
		.amdhsa_uses_dynamic_stack 0
		.amdhsa_system_sgpr_private_segment_wavefront_offset 0
		.amdhsa_system_sgpr_workgroup_id_x 1
		.amdhsa_system_sgpr_workgroup_id_y 0
		.amdhsa_system_sgpr_workgroup_id_z 0
		.amdhsa_system_sgpr_workgroup_info 0
		.amdhsa_system_vgpr_workitem_id 0
		.amdhsa_next_free_vgpr 1
		.amdhsa_next_free_sgpr 0
		.amdhsa_accum_offset 4
		.amdhsa_reserve_vcc 0
		.amdhsa_reserve_flat_scratch 0
		.amdhsa_float_round_mode_32 0
		.amdhsa_float_round_mode_16_64 0
		.amdhsa_float_denorm_mode_32 3
		.amdhsa_float_denorm_mode_16_64 3
		.amdhsa_dx10_clamp 1
		.amdhsa_ieee_mode 1
		.amdhsa_fp16_overflow 0
		.amdhsa_tg_split 0
		.amdhsa_exception_fp_ieee_invalid_op 0
		.amdhsa_exception_fp_denorm_src 0
		.amdhsa_exception_fp_ieee_div_zero 0
		.amdhsa_exception_fp_ieee_overflow 0
		.amdhsa_exception_fp_ieee_underflow 0
		.amdhsa_exception_fp_ieee_inexact 0
		.amdhsa_exception_int_div_zero 0
	.end_amdhsa_kernel
	.section	.text._ZN7rocprim17ROCPRIM_400000_NS6detail17trampoline_kernelINS0_14default_configENS1_33run_length_encode_config_selectorIbjNS0_4plusIjEEEEZZNS1_33reduce_by_key_impl_wrapped_configILNS1_25lookback_scan_determinismE0ES3_S7_N6hipcub16HIPCUB_304000_NS22TransformInputIteratorIbN2at6native8internal12_GLOBAL__N_110LoadBoolOpEPKhlEENS0_17constant_iteratorIjlEEPbPlSO_S6_NS0_8equal_toIbEEEE10hipError_tPvRmT2_T3_mT4_T5_T6_T7_T8_P12ihipStream_tbENKUlT_T0_E_clISt17integral_constantIbLb0EES17_IbLb1EEEEDaS13_S14_EUlS13_E_NS1_11comp_targetILNS1_3genE10ELNS1_11target_archE1201ELNS1_3gpuE5ELNS1_3repE0EEENS1_30default_config_static_selectorELNS0_4arch9wavefront6targetE1EEEvT1_,"axG",@progbits,_ZN7rocprim17ROCPRIM_400000_NS6detail17trampoline_kernelINS0_14default_configENS1_33run_length_encode_config_selectorIbjNS0_4plusIjEEEEZZNS1_33reduce_by_key_impl_wrapped_configILNS1_25lookback_scan_determinismE0ES3_S7_N6hipcub16HIPCUB_304000_NS22TransformInputIteratorIbN2at6native8internal12_GLOBAL__N_110LoadBoolOpEPKhlEENS0_17constant_iteratorIjlEEPbPlSO_S6_NS0_8equal_toIbEEEE10hipError_tPvRmT2_T3_mT4_T5_T6_T7_T8_P12ihipStream_tbENKUlT_T0_E_clISt17integral_constantIbLb0EES17_IbLb1EEEEDaS13_S14_EUlS13_E_NS1_11comp_targetILNS1_3genE10ELNS1_11target_archE1201ELNS1_3gpuE5ELNS1_3repE0EEENS1_30default_config_static_selectorELNS0_4arch9wavefront6targetE1EEEvT1_,comdat
.Lfunc_end93:
	.size	_ZN7rocprim17ROCPRIM_400000_NS6detail17trampoline_kernelINS0_14default_configENS1_33run_length_encode_config_selectorIbjNS0_4plusIjEEEEZZNS1_33reduce_by_key_impl_wrapped_configILNS1_25lookback_scan_determinismE0ES3_S7_N6hipcub16HIPCUB_304000_NS22TransformInputIteratorIbN2at6native8internal12_GLOBAL__N_110LoadBoolOpEPKhlEENS0_17constant_iteratorIjlEEPbPlSO_S6_NS0_8equal_toIbEEEE10hipError_tPvRmT2_T3_mT4_T5_T6_T7_T8_P12ihipStream_tbENKUlT_T0_E_clISt17integral_constantIbLb0EES17_IbLb1EEEEDaS13_S14_EUlS13_E_NS1_11comp_targetILNS1_3genE10ELNS1_11target_archE1201ELNS1_3gpuE5ELNS1_3repE0EEENS1_30default_config_static_selectorELNS0_4arch9wavefront6targetE1EEEvT1_, .Lfunc_end93-_ZN7rocprim17ROCPRIM_400000_NS6detail17trampoline_kernelINS0_14default_configENS1_33run_length_encode_config_selectorIbjNS0_4plusIjEEEEZZNS1_33reduce_by_key_impl_wrapped_configILNS1_25lookback_scan_determinismE0ES3_S7_N6hipcub16HIPCUB_304000_NS22TransformInputIteratorIbN2at6native8internal12_GLOBAL__N_110LoadBoolOpEPKhlEENS0_17constant_iteratorIjlEEPbPlSO_S6_NS0_8equal_toIbEEEE10hipError_tPvRmT2_T3_mT4_T5_T6_T7_T8_P12ihipStream_tbENKUlT_T0_E_clISt17integral_constantIbLb0EES17_IbLb1EEEEDaS13_S14_EUlS13_E_NS1_11comp_targetILNS1_3genE10ELNS1_11target_archE1201ELNS1_3gpuE5ELNS1_3repE0EEENS1_30default_config_static_selectorELNS0_4arch9wavefront6targetE1EEEvT1_
                                        ; -- End function
	.section	.AMDGPU.csdata,"",@progbits
; Kernel info:
; codeLenInByte = 0
; NumSgprs: 4
; NumVgprs: 0
; NumAgprs: 0
; TotalNumVgprs: 0
; ScratchSize: 0
; MemoryBound: 0
; FloatMode: 240
; IeeeMode: 1
; LDSByteSize: 0 bytes/workgroup (compile time only)
; SGPRBlocks: 0
; VGPRBlocks: 0
; NumSGPRsForWavesPerEU: 4
; NumVGPRsForWavesPerEU: 1
; AccumOffset: 4
; Occupancy: 8
; WaveLimiterHint : 0
; COMPUTE_PGM_RSRC2:SCRATCH_EN: 0
; COMPUTE_PGM_RSRC2:USER_SGPR: 6
; COMPUTE_PGM_RSRC2:TRAP_HANDLER: 0
; COMPUTE_PGM_RSRC2:TGID_X_EN: 1
; COMPUTE_PGM_RSRC2:TGID_Y_EN: 0
; COMPUTE_PGM_RSRC2:TGID_Z_EN: 0
; COMPUTE_PGM_RSRC2:TIDIG_COMP_CNT: 0
; COMPUTE_PGM_RSRC3_GFX90A:ACCUM_OFFSET: 0
; COMPUTE_PGM_RSRC3_GFX90A:TG_SPLIT: 0
	.section	.text._ZN7rocprim17ROCPRIM_400000_NS6detail17trampoline_kernelINS0_14default_configENS1_33run_length_encode_config_selectorIbjNS0_4plusIjEEEEZZNS1_33reduce_by_key_impl_wrapped_configILNS1_25lookback_scan_determinismE0ES3_S7_N6hipcub16HIPCUB_304000_NS22TransformInputIteratorIbN2at6native8internal12_GLOBAL__N_110LoadBoolOpEPKhlEENS0_17constant_iteratorIjlEEPbPlSO_S6_NS0_8equal_toIbEEEE10hipError_tPvRmT2_T3_mT4_T5_T6_T7_T8_P12ihipStream_tbENKUlT_T0_E_clISt17integral_constantIbLb0EES17_IbLb1EEEEDaS13_S14_EUlS13_E_NS1_11comp_targetILNS1_3genE10ELNS1_11target_archE1200ELNS1_3gpuE4ELNS1_3repE0EEENS1_30default_config_static_selectorELNS0_4arch9wavefront6targetE1EEEvT1_,"axG",@progbits,_ZN7rocprim17ROCPRIM_400000_NS6detail17trampoline_kernelINS0_14default_configENS1_33run_length_encode_config_selectorIbjNS0_4plusIjEEEEZZNS1_33reduce_by_key_impl_wrapped_configILNS1_25lookback_scan_determinismE0ES3_S7_N6hipcub16HIPCUB_304000_NS22TransformInputIteratorIbN2at6native8internal12_GLOBAL__N_110LoadBoolOpEPKhlEENS0_17constant_iteratorIjlEEPbPlSO_S6_NS0_8equal_toIbEEEE10hipError_tPvRmT2_T3_mT4_T5_T6_T7_T8_P12ihipStream_tbENKUlT_T0_E_clISt17integral_constantIbLb0EES17_IbLb1EEEEDaS13_S14_EUlS13_E_NS1_11comp_targetILNS1_3genE10ELNS1_11target_archE1200ELNS1_3gpuE4ELNS1_3repE0EEENS1_30default_config_static_selectorELNS0_4arch9wavefront6targetE1EEEvT1_,comdat
	.globl	_ZN7rocprim17ROCPRIM_400000_NS6detail17trampoline_kernelINS0_14default_configENS1_33run_length_encode_config_selectorIbjNS0_4plusIjEEEEZZNS1_33reduce_by_key_impl_wrapped_configILNS1_25lookback_scan_determinismE0ES3_S7_N6hipcub16HIPCUB_304000_NS22TransformInputIteratorIbN2at6native8internal12_GLOBAL__N_110LoadBoolOpEPKhlEENS0_17constant_iteratorIjlEEPbPlSO_S6_NS0_8equal_toIbEEEE10hipError_tPvRmT2_T3_mT4_T5_T6_T7_T8_P12ihipStream_tbENKUlT_T0_E_clISt17integral_constantIbLb0EES17_IbLb1EEEEDaS13_S14_EUlS13_E_NS1_11comp_targetILNS1_3genE10ELNS1_11target_archE1200ELNS1_3gpuE4ELNS1_3repE0EEENS1_30default_config_static_selectorELNS0_4arch9wavefront6targetE1EEEvT1_ ; -- Begin function _ZN7rocprim17ROCPRIM_400000_NS6detail17trampoline_kernelINS0_14default_configENS1_33run_length_encode_config_selectorIbjNS0_4plusIjEEEEZZNS1_33reduce_by_key_impl_wrapped_configILNS1_25lookback_scan_determinismE0ES3_S7_N6hipcub16HIPCUB_304000_NS22TransformInputIteratorIbN2at6native8internal12_GLOBAL__N_110LoadBoolOpEPKhlEENS0_17constant_iteratorIjlEEPbPlSO_S6_NS0_8equal_toIbEEEE10hipError_tPvRmT2_T3_mT4_T5_T6_T7_T8_P12ihipStream_tbENKUlT_T0_E_clISt17integral_constantIbLb0EES17_IbLb1EEEEDaS13_S14_EUlS13_E_NS1_11comp_targetILNS1_3genE10ELNS1_11target_archE1200ELNS1_3gpuE4ELNS1_3repE0EEENS1_30default_config_static_selectorELNS0_4arch9wavefront6targetE1EEEvT1_
	.p2align	8
	.type	_ZN7rocprim17ROCPRIM_400000_NS6detail17trampoline_kernelINS0_14default_configENS1_33run_length_encode_config_selectorIbjNS0_4plusIjEEEEZZNS1_33reduce_by_key_impl_wrapped_configILNS1_25lookback_scan_determinismE0ES3_S7_N6hipcub16HIPCUB_304000_NS22TransformInputIteratorIbN2at6native8internal12_GLOBAL__N_110LoadBoolOpEPKhlEENS0_17constant_iteratorIjlEEPbPlSO_S6_NS0_8equal_toIbEEEE10hipError_tPvRmT2_T3_mT4_T5_T6_T7_T8_P12ihipStream_tbENKUlT_T0_E_clISt17integral_constantIbLb0EES17_IbLb1EEEEDaS13_S14_EUlS13_E_NS1_11comp_targetILNS1_3genE10ELNS1_11target_archE1200ELNS1_3gpuE4ELNS1_3repE0EEENS1_30default_config_static_selectorELNS0_4arch9wavefront6targetE1EEEvT1_,@function
_ZN7rocprim17ROCPRIM_400000_NS6detail17trampoline_kernelINS0_14default_configENS1_33run_length_encode_config_selectorIbjNS0_4plusIjEEEEZZNS1_33reduce_by_key_impl_wrapped_configILNS1_25lookback_scan_determinismE0ES3_S7_N6hipcub16HIPCUB_304000_NS22TransformInputIteratorIbN2at6native8internal12_GLOBAL__N_110LoadBoolOpEPKhlEENS0_17constant_iteratorIjlEEPbPlSO_S6_NS0_8equal_toIbEEEE10hipError_tPvRmT2_T3_mT4_T5_T6_T7_T8_P12ihipStream_tbENKUlT_T0_E_clISt17integral_constantIbLb0EES17_IbLb1EEEEDaS13_S14_EUlS13_E_NS1_11comp_targetILNS1_3genE10ELNS1_11target_archE1200ELNS1_3gpuE4ELNS1_3repE0EEENS1_30default_config_static_selectorELNS0_4arch9wavefront6targetE1EEEvT1_: ; @_ZN7rocprim17ROCPRIM_400000_NS6detail17trampoline_kernelINS0_14default_configENS1_33run_length_encode_config_selectorIbjNS0_4plusIjEEEEZZNS1_33reduce_by_key_impl_wrapped_configILNS1_25lookback_scan_determinismE0ES3_S7_N6hipcub16HIPCUB_304000_NS22TransformInputIteratorIbN2at6native8internal12_GLOBAL__N_110LoadBoolOpEPKhlEENS0_17constant_iteratorIjlEEPbPlSO_S6_NS0_8equal_toIbEEEE10hipError_tPvRmT2_T3_mT4_T5_T6_T7_T8_P12ihipStream_tbENKUlT_T0_E_clISt17integral_constantIbLb0EES17_IbLb1EEEEDaS13_S14_EUlS13_E_NS1_11comp_targetILNS1_3genE10ELNS1_11target_archE1200ELNS1_3gpuE4ELNS1_3repE0EEENS1_30default_config_static_selectorELNS0_4arch9wavefront6targetE1EEEvT1_
; %bb.0:
	.section	.rodata,"a",@progbits
	.p2align	6, 0x0
	.amdhsa_kernel _ZN7rocprim17ROCPRIM_400000_NS6detail17trampoline_kernelINS0_14default_configENS1_33run_length_encode_config_selectorIbjNS0_4plusIjEEEEZZNS1_33reduce_by_key_impl_wrapped_configILNS1_25lookback_scan_determinismE0ES3_S7_N6hipcub16HIPCUB_304000_NS22TransformInputIteratorIbN2at6native8internal12_GLOBAL__N_110LoadBoolOpEPKhlEENS0_17constant_iteratorIjlEEPbPlSO_S6_NS0_8equal_toIbEEEE10hipError_tPvRmT2_T3_mT4_T5_T6_T7_T8_P12ihipStream_tbENKUlT_T0_E_clISt17integral_constantIbLb0EES17_IbLb1EEEEDaS13_S14_EUlS13_E_NS1_11comp_targetILNS1_3genE10ELNS1_11target_archE1200ELNS1_3gpuE4ELNS1_3repE0EEENS1_30default_config_static_selectorELNS0_4arch9wavefront6targetE1EEEvT1_
		.amdhsa_group_segment_fixed_size 0
		.amdhsa_private_segment_fixed_size 0
		.amdhsa_kernarg_size 136
		.amdhsa_user_sgpr_count 6
		.amdhsa_user_sgpr_private_segment_buffer 1
		.amdhsa_user_sgpr_dispatch_ptr 0
		.amdhsa_user_sgpr_queue_ptr 0
		.amdhsa_user_sgpr_kernarg_segment_ptr 1
		.amdhsa_user_sgpr_dispatch_id 0
		.amdhsa_user_sgpr_flat_scratch_init 0
		.amdhsa_user_sgpr_kernarg_preload_length 0
		.amdhsa_user_sgpr_kernarg_preload_offset 0
		.amdhsa_user_sgpr_private_segment_size 0
		.amdhsa_uses_dynamic_stack 0
		.amdhsa_system_sgpr_private_segment_wavefront_offset 0
		.amdhsa_system_sgpr_workgroup_id_x 1
		.amdhsa_system_sgpr_workgroup_id_y 0
		.amdhsa_system_sgpr_workgroup_id_z 0
		.amdhsa_system_sgpr_workgroup_info 0
		.amdhsa_system_vgpr_workitem_id 0
		.amdhsa_next_free_vgpr 1
		.amdhsa_next_free_sgpr 0
		.amdhsa_accum_offset 4
		.amdhsa_reserve_vcc 0
		.amdhsa_reserve_flat_scratch 0
		.amdhsa_float_round_mode_32 0
		.amdhsa_float_round_mode_16_64 0
		.amdhsa_float_denorm_mode_32 3
		.amdhsa_float_denorm_mode_16_64 3
		.amdhsa_dx10_clamp 1
		.amdhsa_ieee_mode 1
		.amdhsa_fp16_overflow 0
		.amdhsa_tg_split 0
		.amdhsa_exception_fp_ieee_invalid_op 0
		.amdhsa_exception_fp_denorm_src 0
		.amdhsa_exception_fp_ieee_div_zero 0
		.amdhsa_exception_fp_ieee_overflow 0
		.amdhsa_exception_fp_ieee_underflow 0
		.amdhsa_exception_fp_ieee_inexact 0
		.amdhsa_exception_int_div_zero 0
	.end_amdhsa_kernel
	.section	.text._ZN7rocprim17ROCPRIM_400000_NS6detail17trampoline_kernelINS0_14default_configENS1_33run_length_encode_config_selectorIbjNS0_4plusIjEEEEZZNS1_33reduce_by_key_impl_wrapped_configILNS1_25lookback_scan_determinismE0ES3_S7_N6hipcub16HIPCUB_304000_NS22TransformInputIteratorIbN2at6native8internal12_GLOBAL__N_110LoadBoolOpEPKhlEENS0_17constant_iteratorIjlEEPbPlSO_S6_NS0_8equal_toIbEEEE10hipError_tPvRmT2_T3_mT4_T5_T6_T7_T8_P12ihipStream_tbENKUlT_T0_E_clISt17integral_constantIbLb0EES17_IbLb1EEEEDaS13_S14_EUlS13_E_NS1_11comp_targetILNS1_3genE10ELNS1_11target_archE1200ELNS1_3gpuE4ELNS1_3repE0EEENS1_30default_config_static_selectorELNS0_4arch9wavefront6targetE1EEEvT1_,"axG",@progbits,_ZN7rocprim17ROCPRIM_400000_NS6detail17trampoline_kernelINS0_14default_configENS1_33run_length_encode_config_selectorIbjNS0_4plusIjEEEEZZNS1_33reduce_by_key_impl_wrapped_configILNS1_25lookback_scan_determinismE0ES3_S7_N6hipcub16HIPCUB_304000_NS22TransformInputIteratorIbN2at6native8internal12_GLOBAL__N_110LoadBoolOpEPKhlEENS0_17constant_iteratorIjlEEPbPlSO_S6_NS0_8equal_toIbEEEE10hipError_tPvRmT2_T3_mT4_T5_T6_T7_T8_P12ihipStream_tbENKUlT_T0_E_clISt17integral_constantIbLb0EES17_IbLb1EEEEDaS13_S14_EUlS13_E_NS1_11comp_targetILNS1_3genE10ELNS1_11target_archE1200ELNS1_3gpuE4ELNS1_3repE0EEENS1_30default_config_static_selectorELNS0_4arch9wavefront6targetE1EEEvT1_,comdat
.Lfunc_end94:
	.size	_ZN7rocprim17ROCPRIM_400000_NS6detail17trampoline_kernelINS0_14default_configENS1_33run_length_encode_config_selectorIbjNS0_4plusIjEEEEZZNS1_33reduce_by_key_impl_wrapped_configILNS1_25lookback_scan_determinismE0ES3_S7_N6hipcub16HIPCUB_304000_NS22TransformInputIteratorIbN2at6native8internal12_GLOBAL__N_110LoadBoolOpEPKhlEENS0_17constant_iteratorIjlEEPbPlSO_S6_NS0_8equal_toIbEEEE10hipError_tPvRmT2_T3_mT4_T5_T6_T7_T8_P12ihipStream_tbENKUlT_T0_E_clISt17integral_constantIbLb0EES17_IbLb1EEEEDaS13_S14_EUlS13_E_NS1_11comp_targetILNS1_3genE10ELNS1_11target_archE1200ELNS1_3gpuE4ELNS1_3repE0EEENS1_30default_config_static_selectorELNS0_4arch9wavefront6targetE1EEEvT1_, .Lfunc_end94-_ZN7rocprim17ROCPRIM_400000_NS6detail17trampoline_kernelINS0_14default_configENS1_33run_length_encode_config_selectorIbjNS0_4plusIjEEEEZZNS1_33reduce_by_key_impl_wrapped_configILNS1_25lookback_scan_determinismE0ES3_S7_N6hipcub16HIPCUB_304000_NS22TransformInputIteratorIbN2at6native8internal12_GLOBAL__N_110LoadBoolOpEPKhlEENS0_17constant_iteratorIjlEEPbPlSO_S6_NS0_8equal_toIbEEEE10hipError_tPvRmT2_T3_mT4_T5_T6_T7_T8_P12ihipStream_tbENKUlT_T0_E_clISt17integral_constantIbLb0EES17_IbLb1EEEEDaS13_S14_EUlS13_E_NS1_11comp_targetILNS1_3genE10ELNS1_11target_archE1200ELNS1_3gpuE4ELNS1_3repE0EEENS1_30default_config_static_selectorELNS0_4arch9wavefront6targetE1EEEvT1_
                                        ; -- End function
	.section	.AMDGPU.csdata,"",@progbits
; Kernel info:
; codeLenInByte = 0
; NumSgprs: 4
; NumVgprs: 0
; NumAgprs: 0
; TotalNumVgprs: 0
; ScratchSize: 0
; MemoryBound: 0
; FloatMode: 240
; IeeeMode: 1
; LDSByteSize: 0 bytes/workgroup (compile time only)
; SGPRBlocks: 0
; VGPRBlocks: 0
; NumSGPRsForWavesPerEU: 4
; NumVGPRsForWavesPerEU: 1
; AccumOffset: 4
; Occupancy: 8
; WaveLimiterHint : 0
; COMPUTE_PGM_RSRC2:SCRATCH_EN: 0
; COMPUTE_PGM_RSRC2:USER_SGPR: 6
; COMPUTE_PGM_RSRC2:TRAP_HANDLER: 0
; COMPUTE_PGM_RSRC2:TGID_X_EN: 1
; COMPUTE_PGM_RSRC2:TGID_Y_EN: 0
; COMPUTE_PGM_RSRC2:TGID_Z_EN: 0
; COMPUTE_PGM_RSRC2:TIDIG_COMP_CNT: 0
; COMPUTE_PGM_RSRC3_GFX90A:ACCUM_OFFSET: 0
; COMPUTE_PGM_RSRC3_GFX90A:TG_SPLIT: 0
	.section	.text._ZN7rocprim17ROCPRIM_400000_NS6detail17trampoline_kernelINS0_14default_configENS1_33run_length_encode_config_selectorIbjNS0_4plusIjEEEEZZNS1_33reduce_by_key_impl_wrapped_configILNS1_25lookback_scan_determinismE0ES3_S7_N6hipcub16HIPCUB_304000_NS22TransformInputIteratorIbN2at6native8internal12_GLOBAL__N_110LoadBoolOpEPKhlEENS0_17constant_iteratorIjlEEPbPlSO_S6_NS0_8equal_toIbEEEE10hipError_tPvRmT2_T3_mT4_T5_T6_T7_T8_P12ihipStream_tbENKUlT_T0_E_clISt17integral_constantIbLb0EES17_IbLb1EEEEDaS13_S14_EUlS13_E_NS1_11comp_targetILNS1_3genE9ELNS1_11target_archE1100ELNS1_3gpuE3ELNS1_3repE0EEENS1_30default_config_static_selectorELNS0_4arch9wavefront6targetE1EEEvT1_,"axG",@progbits,_ZN7rocprim17ROCPRIM_400000_NS6detail17trampoline_kernelINS0_14default_configENS1_33run_length_encode_config_selectorIbjNS0_4plusIjEEEEZZNS1_33reduce_by_key_impl_wrapped_configILNS1_25lookback_scan_determinismE0ES3_S7_N6hipcub16HIPCUB_304000_NS22TransformInputIteratorIbN2at6native8internal12_GLOBAL__N_110LoadBoolOpEPKhlEENS0_17constant_iteratorIjlEEPbPlSO_S6_NS0_8equal_toIbEEEE10hipError_tPvRmT2_T3_mT4_T5_T6_T7_T8_P12ihipStream_tbENKUlT_T0_E_clISt17integral_constantIbLb0EES17_IbLb1EEEEDaS13_S14_EUlS13_E_NS1_11comp_targetILNS1_3genE9ELNS1_11target_archE1100ELNS1_3gpuE3ELNS1_3repE0EEENS1_30default_config_static_selectorELNS0_4arch9wavefront6targetE1EEEvT1_,comdat
	.globl	_ZN7rocprim17ROCPRIM_400000_NS6detail17trampoline_kernelINS0_14default_configENS1_33run_length_encode_config_selectorIbjNS0_4plusIjEEEEZZNS1_33reduce_by_key_impl_wrapped_configILNS1_25lookback_scan_determinismE0ES3_S7_N6hipcub16HIPCUB_304000_NS22TransformInputIteratorIbN2at6native8internal12_GLOBAL__N_110LoadBoolOpEPKhlEENS0_17constant_iteratorIjlEEPbPlSO_S6_NS0_8equal_toIbEEEE10hipError_tPvRmT2_T3_mT4_T5_T6_T7_T8_P12ihipStream_tbENKUlT_T0_E_clISt17integral_constantIbLb0EES17_IbLb1EEEEDaS13_S14_EUlS13_E_NS1_11comp_targetILNS1_3genE9ELNS1_11target_archE1100ELNS1_3gpuE3ELNS1_3repE0EEENS1_30default_config_static_selectorELNS0_4arch9wavefront6targetE1EEEvT1_ ; -- Begin function _ZN7rocprim17ROCPRIM_400000_NS6detail17trampoline_kernelINS0_14default_configENS1_33run_length_encode_config_selectorIbjNS0_4plusIjEEEEZZNS1_33reduce_by_key_impl_wrapped_configILNS1_25lookback_scan_determinismE0ES3_S7_N6hipcub16HIPCUB_304000_NS22TransformInputIteratorIbN2at6native8internal12_GLOBAL__N_110LoadBoolOpEPKhlEENS0_17constant_iteratorIjlEEPbPlSO_S6_NS0_8equal_toIbEEEE10hipError_tPvRmT2_T3_mT4_T5_T6_T7_T8_P12ihipStream_tbENKUlT_T0_E_clISt17integral_constantIbLb0EES17_IbLb1EEEEDaS13_S14_EUlS13_E_NS1_11comp_targetILNS1_3genE9ELNS1_11target_archE1100ELNS1_3gpuE3ELNS1_3repE0EEENS1_30default_config_static_selectorELNS0_4arch9wavefront6targetE1EEEvT1_
	.p2align	8
	.type	_ZN7rocprim17ROCPRIM_400000_NS6detail17trampoline_kernelINS0_14default_configENS1_33run_length_encode_config_selectorIbjNS0_4plusIjEEEEZZNS1_33reduce_by_key_impl_wrapped_configILNS1_25lookback_scan_determinismE0ES3_S7_N6hipcub16HIPCUB_304000_NS22TransformInputIteratorIbN2at6native8internal12_GLOBAL__N_110LoadBoolOpEPKhlEENS0_17constant_iteratorIjlEEPbPlSO_S6_NS0_8equal_toIbEEEE10hipError_tPvRmT2_T3_mT4_T5_T6_T7_T8_P12ihipStream_tbENKUlT_T0_E_clISt17integral_constantIbLb0EES17_IbLb1EEEEDaS13_S14_EUlS13_E_NS1_11comp_targetILNS1_3genE9ELNS1_11target_archE1100ELNS1_3gpuE3ELNS1_3repE0EEENS1_30default_config_static_selectorELNS0_4arch9wavefront6targetE1EEEvT1_,@function
_ZN7rocprim17ROCPRIM_400000_NS6detail17trampoline_kernelINS0_14default_configENS1_33run_length_encode_config_selectorIbjNS0_4plusIjEEEEZZNS1_33reduce_by_key_impl_wrapped_configILNS1_25lookback_scan_determinismE0ES3_S7_N6hipcub16HIPCUB_304000_NS22TransformInputIteratorIbN2at6native8internal12_GLOBAL__N_110LoadBoolOpEPKhlEENS0_17constant_iteratorIjlEEPbPlSO_S6_NS0_8equal_toIbEEEE10hipError_tPvRmT2_T3_mT4_T5_T6_T7_T8_P12ihipStream_tbENKUlT_T0_E_clISt17integral_constantIbLb0EES17_IbLb1EEEEDaS13_S14_EUlS13_E_NS1_11comp_targetILNS1_3genE9ELNS1_11target_archE1100ELNS1_3gpuE3ELNS1_3repE0EEENS1_30default_config_static_selectorELNS0_4arch9wavefront6targetE1EEEvT1_: ; @_ZN7rocprim17ROCPRIM_400000_NS6detail17trampoline_kernelINS0_14default_configENS1_33run_length_encode_config_selectorIbjNS0_4plusIjEEEEZZNS1_33reduce_by_key_impl_wrapped_configILNS1_25lookback_scan_determinismE0ES3_S7_N6hipcub16HIPCUB_304000_NS22TransformInputIteratorIbN2at6native8internal12_GLOBAL__N_110LoadBoolOpEPKhlEENS0_17constant_iteratorIjlEEPbPlSO_S6_NS0_8equal_toIbEEEE10hipError_tPvRmT2_T3_mT4_T5_T6_T7_T8_P12ihipStream_tbENKUlT_T0_E_clISt17integral_constantIbLb0EES17_IbLb1EEEEDaS13_S14_EUlS13_E_NS1_11comp_targetILNS1_3genE9ELNS1_11target_archE1100ELNS1_3gpuE3ELNS1_3repE0EEENS1_30default_config_static_selectorELNS0_4arch9wavefront6targetE1EEEvT1_
; %bb.0:
	.section	.rodata,"a",@progbits
	.p2align	6, 0x0
	.amdhsa_kernel _ZN7rocprim17ROCPRIM_400000_NS6detail17trampoline_kernelINS0_14default_configENS1_33run_length_encode_config_selectorIbjNS0_4plusIjEEEEZZNS1_33reduce_by_key_impl_wrapped_configILNS1_25lookback_scan_determinismE0ES3_S7_N6hipcub16HIPCUB_304000_NS22TransformInputIteratorIbN2at6native8internal12_GLOBAL__N_110LoadBoolOpEPKhlEENS0_17constant_iteratorIjlEEPbPlSO_S6_NS0_8equal_toIbEEEE10hipError_tPvRmT2_T3_mT4_T5_T6_T7_T8_P12ihipStream_tbENKUlT_T0_E_clISt17integral_constantIbLb0EES17_IbLb1EEEEDaS13_S14_EUlS13_E_NS1_11comp_targetILNS1_3genE9ELNS1_11target_archE1100ELNS1_3gpuE3ELNS1_3repE0EEENS1_30default_config_static_selectorELNS0_4arch9wavefront6targetE1EEEvT1_
		.amdhsa_group_segment_fixed_size 0
		.amdhsa_private_segment_fixed_size 0
		.amdhsa_kernarg_size 136
		.amdhsa_user_sgpr_count 6
		.amdhsa_user_sgpr_private_segment_buffer 1
		.amdhsa_user_sgpr_dispatch_ptr 0
		.amdhsa_user_sgpr_queue_ptr 0
		.amdhsa_user_sgpr_kernarg_segment_ptr 1
		.amdhsa_user_sgpr_dispatch_id 0
		.amdhsa_user_sgpr_flat_scratch_init 0
		.amdhsa_user_sgpr_kernarg_preload_length 0
		.amdhsa_user_sgpr_kernarg_preload_offset 0
		.amdhsa_user_sgpr_private_segment_size 0
		.amdhsa_uses_dynamic_stack 0
		.amdhsa_system_sgpr_private_segment_wavefront_offset 0
		.amdhsa_system_sgpr_workgroup_id_x 1
		.amdhsa_system_sgpr_workgroup_id_y 0
		.amdhsa_system_sgpr_workgroup_id_z 0
		.amdhsa_system_sgpr_workgroup_info 0
		.amdhsa_system_vgpr_workitem_id 0
		.amdhsa_next_free_vgpr 1
		.amdhsa_next_free_sgpr 0
		.amdhsa_accum_offset 4
		.amdhsa_reserve_vcc 0
		.amdhsa_reserve_flat_scratch 0
		.amdhsa_float_round_mode_32 0
		.amdhsa_float_round_mode_16_64 0
		.amdhsa_float_denorm_mode_32 3
		.amdhsa_float_denorm_mode_16_64 3
		.amdhsa_dx10_clamp 1
		.amdhsa_ieee_mode 1
		.amdhsa_fp16_overflow 0
		.amdhsa_tg_split 0
		.amdhsa_exception_fp_ieee_invalid_op 0
		.amdhsa_exception_fp_denorm_src 0
		.amdhsa_exception_fp_ieee_div_zero 0
		.amdhsa_exception_fp_ieee_overflow 0
		.amdhsa_exception_fp_ieee_underflow 0
		.amdhsa_exception_fp_ieee_inexact 0
		.amdhsa_exception_int_div_zero 0
	.end_amdhsa_kernel
	.section	.text._ZN7rocprim17ROCPRIM_400000_NS6detail17trampoline_kernelINS0_14default_configENS1_33run_length_encode_config_selectorIbjNS0_4plusIjEEEEZZNS1_33reduce_by_key_impl_wrapped_configILNS1_25lookback_scan_determinismE0ES3_S7_N6hipcub16HIPCUB_304000_NS22TransformInputIteratorIbN2at6native8internal12_GLOBAL__N_110LoadBoolOpEPKhlEENS0_17constant_iteratorIjlEEPbPlSO_S6_NS0_8equal_toIbEEEE10hipError_tPvRmT2_T3_mT4_T5_T6_T7_T8_P12ihipStream_tbENKUlT_T0_E_clISt17integral_constantIbLb0EES17_IbLb1EEEEDaS13_S14_EUlS13_E_NS1_11comp_targetILNS1_3genE9ELNS1_11target_archE1100ELNS1_3gpuE3ELNS1_3repE0EEENS1_30default_config_static_selectorELNS0_4arch9wavefront6targetE1EEEvT1_,"axG",@progbits,_ZN7rocprim17ROCPRIM_400000_NS6detail17trampoline_kernelINS0_14default_configENS1_33run_length_encode_config_selectorIbjNS0_4plusIjEEEEZZNS1_33reduce_by_key_impl_wrapped_configILNS1_25lookback_scan_determinismE0ES3_S7_N6hipcub16HIPCUB_304000_NS22TransformInputIteratorIbN2at6native8internal12_GLOBAL__N_110LoadBoolOpEPKhlEENS0_17constant_iteratorIjlEEPbPlSO_S6_NS0_8equal_toIbEEEE10hipError_tPvRmT2_T3_mT4_T5_T6_T7_T8_P12ihipStream_tbENKUlT_T0_E_clISt17integral_constantIbLb0EES17_IbLb1EEEEDaS13_S14_EUlS13_E_NS1_11comp_targetILNS1_3genE9ELNS1_11target_archE1100ELNS1_3gpuE3ELNS1_3repE0EEENS1_30default_config_static_selectorELNS0_4arch9wavefront6targetE1EEEvT1_,comdat
.Lfunc_end95:
	.size	_ZN7rocprim17ROCPRIM_400000_NS6detail17trampoline_kernelINS0_14default_configENS1_33run_length_encode_config_selectorIbjNS0_4plusIjEEEEZZNS1_33reduce_by_key_impl_wrapped_configILNS1_25lookback_scan_determinismE0ES3_S7_N6hipcub16HIPCUB_304000_NS22TransformInputIteratorIbN2at6native8internal12_GLOBAL__N_110LoadBoolOpEPKhlEENS0_17constant_iteratorIjlEEPbPlSO_S6_NS0_8equal_toIbEEEE10hipError_tPvRmT2_T3_mT4_T5_T6_T7_T8_P12ihipStream_tbENKUlT_T0_E_clISt17integral_constantIbLb0EES17_IbLb1EEEEDaS13_S14_EUlS13_E_NS1_11comp_targetILNS1_3genE9ELNS1_11target_archE1100ELNS1_3gpuE3ELNS1_3repE0EEENS1_30default_config_static_selectorELNS0_4arch9wavefront6targetE1EEEvT1_, .Lfunc_end95-_ZN7rocprim17ROCPRIM_400000_NS6detail17trampoline_kernelINS0_14default_configENS1_33run_length_encode_config_selectorIbjNS0_4plusIjEEEEZZNS1_33reduce_by_key_impl_wrapped_configILNS1_25lookback_scan_determinismE0ES3_S7_N6hipcub16HIPCUB_304000_NS22TransformInputIteratorIbN2at6native8internal12_GLOBAL__N_110LoadBoolOpEPKhlEENS0_17constant_iteratorIjlEEPbPlSO_S6_NS0_8equal_toIbEEEE10hipError_tPvRmT2_T3_mT4_T5_T6_T7_T8_P12ihipStream_tbENKUlT_T0_E_clISt17integral_constantIbLb0EES17_IbLb1EEEEDaS13_S14_EUlS13_E_NS1_11comp_targetILNS1_3genE9ELNS1_11target_archE1100ELNS1_3gpuE3ELNS1_3repE0EEENS1_30default_config_static_selectorELNS0_4arch9wavefront6targetE1EEEvT1_
                                        ; -- End function
	.section	.AMDGPU.csdata,"",@progbits
; Kernel info:
; codeLenInByte = 0
; NumSgprs: 4
; NumVgprs: 0
; NumAgprs: 0
; TotalNumVgprs: 0
; ScratchSize: 0
; MemoryBound: 0
; FloatMode: 240
; IeeeMode: 1
; LDSByteSize: 0 bytes/workgroup (compile time only)
; SGPRBlocks: 0
; VGPRBlocks: 0
; NumSGPRsForWavesPerEU: 4
; NumVGPRsForWavesPerEU: 1
; AccumOffset: 4
; Occupancy: 8
; WaveLimiterHint : 0
; COMPUTE_PGM_RSRC2:SCRATCH_EN: 0
; COMPUTE_PGM_RSRC2:USER_SGPR: 6
; COMPUTE_PGM_RSRC2:TRAP_HANDLER: 0
; COMPUTE_PGM_RSRC2:TGID_X_EN: 1
; COMPUTE_PGM_RSRC2:TGID_Y_EN: 0
; COMPUTE_PGM_RSRC2:TGID_Z_EN: 0
; COMPUTE_PGM_RSRC2:TIDIG_COMP_CNT: 0
; COMPUTE_PGM_RSRC3_GFX90A:ACCUM_OFFSET: 0
; COMPUTE_PGM_RSRC3_GFX90A:TG_SPLIT: 0
	.section	.text._ZN7rocprim17ROCPRIM_400000_NS6detail17trampoline_kernelINS0_14default_configENS1_33run_length_encode_config_selectorIbjNS0_4plusIjEEEEZZNS1_33reduce_by_key_impl_wrapped_configILNS1_25lookback_scan_determinismE0ES3_S7_N6hipcub16HIPCUB_304000_NS22TransformInputIteratorIbN2at6native8internal12_GLOBAL__N_110LoadBoolOpEPKhlEENS0_17constant_iteratorIjlEEPbPlSO_S6_NS0_8equal_toIbEEEE10hipError_tPvRmT2_T3_mT4_T5_T6_T7_T8_P12ihipStream_tbENKUlT_T0_E_clISt17integral_constantIbLb0EES17_IbLb1EEEEDaS13_S14_EUlS13_E_NS1_11comp_targetILNS1_3genE8ELNS1_11target_archE1030ELNS1_3gpuE2ELNS1_3repE0EEENS1_30default_config_static_selectorELNS0_4arch9wavefront6targetE1EEEvT1_,"axG",@progbits,_ZN7rocprim17ROCPRIM_400000_NS6detail17trampoline_kernelINS0_14default_configENS1_33run_length_encode_config_selectorIbjNS0_4plusIjEEEEZZNS1_33reduce_by_key_impl_wrapped_configILNS1_25lookback_scan_determinismE0ES3_S7_N6hipcub16HIPCUB_304000_NS22TransformInputIteratorIbN2at6native8internal12_GLOBAL__N_110LoadBoolOpEPKhlEENS0_17constant_iteratorIjlEEPbPlSO_S6_NS0_8equal_toIbEEEE10hipError_tPvRmT2_T3_mT4_T5_T6_T7_T8_P12ihipStream_tbENKUlT_T0_E_clISt17integral_constantIbLb0EES17_IbLb1EEEEDaS13_S14_EUlS13_E_NS1_11comp_targetILNS1_3genE8ELNS1_11target_archE1030ELNS1_3gpuE2ELNS1_3repE0EEENS1_30default_config_static_selectorELNS0_4arch9wavefront6targetE1EEEvT1_,comdat
	.globl	_ZN7rocprim17ROCPRIM_400000_NS6detail17trampoline_kernelINS0_14default_configENS1_33run_length_encode_config_selectorIbjNS0_4plusIjEEEEZZNS1_33reduce_by_key_impl_wrapped_configILNS1_25lookback_scan_determinismE0ES3_S7_N6hipcub16HIPCUB_304000_NS22TransformInputIteratorIbN2at6native8internal12_GLOBAL__N_110LoadBoolOpEPKhlEENS0_17constant_iteratorIjlEEPbPlSO_S6_NS0_8equal_toIbEEEE10hipError_tPvRmT2_T3_mT4_T5_T6_T7_T8_P12ihipStream_tbENKUlT_T0_E_clISt17integral_constantIbLb0EES17_IbLb1EEEEDaS13_S14_EUlS13_E_NS1_11comp_targetILNS1_3genE8ELNS1_11target_archE1030ELNS1_3gpuE2ELNS1_3repE0EEENS1_30default_config_static_selectorELNS0_4arch9wavefront6targetE1EEEvT1_ ; -- Begin function _ZN7rocprim17ROCPRIM_400000_NS6detail17trampoline_kernelINS0_14default_configENS1_33run_length_encode_config_selectorIbjNS0_4plusIjEEEEZZNS1_33reduce_by_key_impl_wrapped_configILNS1_25lookback_scan_determinismE0ES3_S7_N6hipcub16HIPCUB_304000_NS22TransformInputIteratorIbN2at6native8internal12_GLOBAL__N_110LoadBoolOpEPKhlEENS0_17constant_iteratorIjlEEPbPlSO_S6_NS0_8equal_toIbEEEE10hipError_tPvRmT2_T3_mT4_T5_T6_T7_T8_P12ihipStream_tbENKUlT_T0_E_clISt17integral_constantIbLb0EES17_IbLb1EEEEDaS13_S14_EUlS13_E_NS1_11comp_targetILNS1_3genE8ELNS1_11target_archE1030ELNS1_3gpuE2ELNS1_3repE0EEENS1_30default_config_static_selectorELNS0_4arch9wavefront6targetE1EEEvT1_
	.p2align	8
	.type	_ZN7rocprim17ROCPRIM_400000_NS6detail17trampoline_kernelINS0_14default_configENS1_33run_length_encode_config_selectorIbjNS0_4plusIjEEEEZZNS1_33reduce_by_key_impl_wrapped_configILNS1_25lookback_scan_determinismE0ES3_S7_N6hipcub16HIPCUB_304000_NS22TransformInputIteratorIbN2at6native8internal12_GLOBAL__N_110LoadBoolOpEPKhlEENS0_17constant_iteratorIjlEEPbPlSO_S6_NS0_8equal_toIbEEEE10hipError_tPvRmT2_T3_mT4_T5_T6_T7_T8_P12ihipStream_tbENKUlT_T0_E_clISt17integral_constantIbLb0EES17_IbLb1EEEEDaS13_S14_EUlS13_E_NS1_11comp_targetILNS1_3genE8ELNS1_11target_archE1030ELNS1_3gpuE2ELNS1_3repE0EEENS1_30default_config_static_selectorELNS0_4arch9wavefront6targetE1EEEvT1_,@function
_ZN7rocprim17ROCPRIM_400000_NS6detail17trampoline_kernelINS0_14default_configENS1_33run_length_encode_config_selectorIbjNS0_4plusIjEEEEZZNS1_33reduce_by_key_impl_wrapped_configILNS1_25lookback_scan_determinismE0ES3_S7_N6hipcub16HIPCUB_304000_NS22TransformInputIteratorIbN2at6native8internal12_GLOBAL__N_110LoadBoolOpEPKhlEENS0_17constant_iteratorIjlEEPbPlSO_S6_NS0_8equal_toIbEEEE10hipError_tPvRmT2_T3_mT4_T5_T6_T7_T8_P12ihipStream_tbENKUlT_T0_E_clISt17integral_constantIbLb0EES17_IbLb1EEEEDaS13_S14_EUlS13_E_NS1_11comp_targetILNS1_3genE8ELNS1_11target_archE1030ELNS1_3gpuE2ELNS1_3repE0EEENS1_30default_config_static_selectorELNS0_4arch9wavefront6targetE1EEEvT1_: ; @_ZN7rocprim17ROCPRIM_400000_NS6detail17trampoline_kernelINS0_14default_configENS1_33run_length_encode_config_selectorIbjNS0_4plusIjEEEEZZNS1_33reduce_by_key_impl_wrapped_configILNS1_25lookback_scan_determinismE0ES3_S7_N6hipcub16HIPCUB_304000_NS22TransformInputIteratorIbN2at6native8internal12_GLOBAL__N_110LoadBoolOpEPKhlEENS0_17constant_iteratorIjlEEPbPlSO_S6_NS0_8equal_toIbEEEE10hipError_tPvRmT2_T3_mT4_T5_T6_T7_T8_P12ihipStream_tbENKUlT_T0_E_clISt17integral_constantIbLb0EES17_IbLb1EEEEDaS13_S14_EUlS13_E_NS1_11comp_targetILNS1_3genE8ELNS1_11target_archE1030ELNS1_3gpuE2ELNS1_3repE0EEENS1_30default_config_static_selectorELNS0_4arch9wavefront6targetE1EEEvT1_
; %bb.0:
	.section	.rodata,"a",@progbits
	.p2align	6, 0x0
	.amdhsa_kernel _ZN7rocprim17ROCPRIM_400000_NS6detail17trampoline_kernelINS0_14default_configENS1_33run_length_encode_config_selectorIbjNS0_4plusIjEEEEZZNS1_33reduce_by_key_impl_wrapped_configILNS1_25lookback_scan_determinismE0ES3_S7_N6hipcub16HIPCUB_304000_NS22TransformInputIteratorIbN2at6native8internal12_GLOBAL__N_110LoadBoolOpEPKhlEENS0_17constant_iteratorIjlEEPbPlSO_S6_NS0_8equal_toIbEEEE10hipError_tPvRmT2_T3_mT4_T5_T6_T7_T8_P12ihipStream_tbENKUlT_T0_E_clISt17integral_constantIbLb0EES17_IbLb1EEEEDaS13_S14_EUlS13_E_NS1_11comp_targetILNS1_3genE8ELNS1_11target_archE1030ELNS1_3gpuE2ELNS1_3repE0EEENS1_30default_config_static_selectorELNS0_4arch9wavefront6targetE1EEEvT1_
		.amdhsa_group_segment_fixed_size 0
		.amdhsa_private_segment_fixed_size 0
		.amdhsa_kernarg_size 136
		.amdhsa_user_sgpr_count 6
		.amdhsa_user_sgpr_private_segment_buffer 1
		.amdhsa_user_sgpr_dispatch_ptr 0
		.amdhsa_user_sgpr_queue_ptr 0
		.amdhsa_user_sgpr_kernarg_segment_ptr 1
		.amdhsa_user_sgpr_dispatch_id 0
		.amdhsa_user_sgpr_flat_scratch_init 0
		.amdhsa_user_sgpr_kernarg_preload_length 0
		.amdhsa_user_sgpr_kernarg_preload_offset 0
		.amdhsa_user_sgpr_private_segment_size 0
		.amdhsa_uses_dynamic_stack 0
		.amdhsa_system_sgpr_private_segment_wavefront_offset 0
		.amdhsa_system_sgpr_workgroup_id_x 1
		.amdhsa_system_sgpr_workgroup_id_y 0
		.amdhsa_system_sgpr_workgroup_id_z 0
		.amdhsa_system_sgpr_workgroup_info 0
		.amdhsa_system_vgpr_workitem_id 0
		.amdhsa_next_free_vgpr 1
		.amdhsa_next_free_sgpr 0
		.amdhsa_accum_offset 4
		.amdhsa_reserve_vcc 0
		.amdhsa_reserve_flat_scratch 0
		.amdhsa_float_round_mode_32 0
		.amdhsa_float_round_mode_16_64 0
		.amdhsa_float_denorm_mode_32 3
		.amdhsa_float_denorm_mode_16_64 3
		.amdhsa_dx10_clamp 1
		.amdhsa_ieee_mode 1
		.amdhsa_fp16_overflow 0
		.amdhsa_tg_split 0
		.amdhsa_exception_fp_ieee_invalid_op 0
		.amdhsa_exception_fp_denorm_src 0
		.amdhsa_exception_fp_ieee_div_zero 0
		.amdhsa_exception_fp_ieee_overflow 0
		.amdhsa_exception_fp_ieee_underflow 0
		.amdhsa_exception_fp_ieee_inexact 0
		.amdhsa_exception_int_div_zero 0
	.end_amdhsa_kernel
	.section	.text._ZN7rocprim17ROCPRIM_400000_NS6detail17trampoline_kernelINS0_14default_configENS1_33run_length_encode_config_selectorIbjNS0_4plusIjEEEEZZNS1_33reduce_by_key_impl_wrapped_configILNS1_25lookback_scan_determinismE0ES3_S7_N6hipcub16HIPCUB_304000_NS22TransformInputIteratorIbN2at6native8internal12_GLOBAL__N_110LoadBoolOpEPKhlEENS0_17constant_iteratorIjlEEPbPlSO_S6_NS0_8equal_toIbEEEE10hipError_tPvRmT2_T3_mT4_T5_T6_T7_T8_P12ihipStream_tbENKUlT_T0_E_clISt17integral_constantIbLb0EES17_IbLb1EEEEDaS13_S14_EUlS13_E_NS1_11comp_targetILNS1_3genE8ELNS1_11target_archE1030ELNS1_3gpuE2ELNS1_3repE0EEENS1_30default_config_static_selectorELNS0_4arch9wavefront6targetE1EEEvT1_,"axG",@progbits,_ZN7rocprim17ROCPRIM_400000_NS6detail17trampoline_kernelINS0_14default_configENS1_33run_length_encode_config_selectorIbjNS0_4plusIjEEEEZZNS1_33reduce_by_key_impl_wrapped_configILNS1_25lookback_scan_determinismE0ES3_S7_N6hipcub16HIPCUB_304000_NS22TransformInputIteratorIbN2at6native8internal12_GLOBAL__N_110LoadBoolOpEPKhlEENS0_17constant_iteratorIjlEEPbPlSO_S6_NS0_8equal_toIbEEEE10hipError_tPvRmT2_T3_mT4_T5_T6_T7_T8_P12ihipStream_tbENKUlT_T0_E_clISt17integral_constantIbLb0EES17_IbLb1EEEEDaS13_S14_EUlS13_E_NS1_11comp_targetILNS1_3genE8ELNS1_11target_archE1030ELNS1_3gpuE2ELNS1_3repE0EEENS1_30default_config_static_selectorELNS0_4arch9wavefront6targetE1EEEvT1_,comdat
.Lfunc_end96:
	.size	_ZN7rocprim17ROCPRIM_400000_NS6detail17trampoline_kernelINS0_14default_configENS1_33run_length_encode_config_selectorIbjNS0_4plusIjEEEEZZNS1_33reduce_by_key_impl_wrapped_configILNS1_25lookback_scan_determinismE0ES3_S7_N6hipcub16HIPCUB_304000_NS22TransformInputIteratorIbN2at6native8internal12_GLOBAL__N_110LoadBoolOpEPKhlEENS0_17constant_iteratorIjlEEPbPlSO_S6_NS0_8equal_toIbEEEE10hipError_tPvRmT2_T3_mT4_T5_T6_T7_T8_P12ihipStream_tbENKUlT_T0_E_clISt17integral_constantIbLb0EES17_IbLb1EEEEDaS13_S14_EUlS13_E_NS1_11comp_targetILNS1_3genE8ELNS1_11target_archE1030ELNS1_3gpuE2ELNS1_3repE0EEENS1_30default_config_static_selectorELNS0_4arch9wavefront6targetE1EEEvT1_, .Lfunc_end96-_ZN7rocprim17ROCPRIM_400000_NS6detail17trampoline_kernelINS0_14default_configENS1_33run_length_encode_config_selectorIbjNS0_4plusIjEEEEZZNS1_33reduce_by_key_impl_wrapped_configILNS1_25lookback_scan_determinismE0ES3_S7_N6hipcub16HIPCUB_304000_NS22TransformInputIteratorIbN2at6native8internal12_GLOBAL__N_110LoadBoolOpEPKhlEENS0_17constant_iteratorIjlEEPbPlSO_S6_NS0_8equal_toIbEEEE10hipError_tPvRmT2_T3_mT4_T5_T6_T7_T8_P12ihipStream_tbENKUlT_T0_E_clISt17integral_constantIbLb0EES17_IbLb1EEEEDaS13_S14_EUlS13_E_NS1_11comp_targetILNS1_3genE8ELNS1_11target_archE1030ELNS1_3gpuE2ELNS1_3repE0EEENS1_30default_config_static_selectorELNS0_4arch9wavefront6targetE1EEEvT1_
                                        ; -- End function
	.section	.AMDGPU.csdata,"",@progbits
; Kernel info:
; codeLenInByte = 0
; NumSgprs: 4
; NumVgprs: 0
; NumAgprs: 0
; TotalNumVgprs: 0
; ScratchSize: 0
; MemoryBound: 0
; FloatMode: 240
; IeeeMode: 1
; LDSByteSize: 0 bytes/workgroup (compile time only)
; SGPRBlocks: 0
; VGPRBlocks: 0
; NumSGPRsForWavesPerEU: 4
; NumVGPRsForWavesPerEU: 1
; AccumOffset: 4
; Occupancy: 8
; WaveLimiterHint : 0
; COMPUTE_PGM_RSRC2:SCRATCH_EN: 0
; COMPUTE_PGM_RSRC2:USER_SGPR: 6
; COMPUTE_PGM_RSRC2:TRAP_HANDLER: 0
; COMPUTE_PGM_RSRC2:TGID_X_EN: 1
; COMPUTE_PGM_RSRC2:TGID_Y_EN: 0
; COMPUTE_PGM_RSRC2:TGID_Z_EN: 0
; COMPUTE_PGM_RSRC2:TIDIG_COMP_CNT: 0
; COMPUTE_PGM_RSRC3_GFX90A:ACCUM_OFFSET: 0
; COMPUTE_PGM_RSRC3_GFX90A:TG_SPLIT: 0
	.section	.text._ZN7rocprim17ROCPRIM_400000_NS6detail17trampoline_kernelINS0_14default_configENS1_22reduce_config_selectorIiEEZNS1_11reduce_implILb1ES3_PiS7_iN6hipcub16HIPCUB_304000_NS6detail34convert_binary_result_type_wrapperISt4plusIvENS9_22TransformInputIteratorIiN2at6native8internal21MapNumberOfTrueValuesEPKhlEEiEEEE10hipError_tPvRmT1_T2_T3_mT4_P12ihipStream_tbEUlT_E0_NS1_11comp_targetILNS1_3genE0ELNS1_11target_archE4294967295ELNS1_3gpuE0ELNS1_3repE0EEENS1_30default_config_static_selectorELNS0_4arch9wavefront6targetE1EEEvSQ_,"axG",@progbits,_ZN7rocprim17ROCPRIM_400000_NS6detail17trampoline_kernelINS0_14default_configENS1_22reduce_config_selectorIiEEZNS1_11reduce_implILb1ES3_PiS7_iN6hipcub16HIPCUB_304000_NS6detail34convert_binary_result_type_wrapperISt4plusIvENS9_22TransformInputIteratorIiN2at6native8internal21MapNumberOfTrueValuesEPKhlEEiEEEE10hipError_tPvRmT1_T2_T3_mT4_P12ihipStream_tbEUlT_E0_NS1_11comp_targetILNS1_3genE0ELNS1_11target_archE4294967295ELNS1_3gpuE0ELNS1_3repE0EEENS1_30default_config_static_selectorELNS0_4arch9wavefront6targetE1EEEvSQ_,comdat
	.protected	_ZN7rocprim17ROCPRIM_400000_NS6detail17trampoline_kernelINS0_14default_configENS1_22reduce_config_selectorIiEEZNS1_11reduce_implILb1ES3_PiS7_iN6hipcub16HIPCUB_304000_NS6detail34convert_binary_result_type_wrapperISt4plusIvENS9_22TransformInputIteratorIiN2at6native8internal21MapNumberOfTrueValuesEPKhlEEiEEEE10hipError_tPvRmT1_T2_T3_mT4_P12ihipStream_tbEUlT_E0_NS1_11comp_targetILNS1_3genE0ELNS1_11target_archE4294967295ELNS1_3gpuE0ELNS1_3repE0EEENS1_30default_config_static_selectorELNS0_4arch9wavefront6targetE1EEEvSQ_ ; -- Begin function _ZN7rocprim17ROCPRIM_400000_NS6detail17trampoline_kernelINS0_14default_configENS1_22reduce_config_selectorIiEEZNS1_11reduce_implILb1ES3_PiS7_iN6hipcub16HIPCUB_304000_NS6detail34convert_binary_result_type_wrapperISt4plusIvENS9_22TransformInputIteratorIiN2at6native8internal21MapNumberOfTrueValuesEPKhlEEiEEEE10hipError_tPvRmT1_T2_T3_mT4_P12ihipStream_tbEUlT_E0_NS1_11comp_targetILNS1_3genE0ELNS1_11target_archE4294967295ELNS1_3gpuE0ELNS1_3repE0EEENS1_30default_config_static_selectorELNS0_4arch9wavefront6targetE1EEEvSQ_
	.globl	_ZN7rocprim17ROCPRIM_400000_NS6detail17trampoline_kernelINS0_14default_configENS1_22reduce_config_selectorIiEEZNS1_11reduce_implILb1ES3_PiS7_iN6hipcub16HIPCUB_304000_NS6detail34convert_binary_result_type_wrapperISt4plusIvENS9_22TransformInputIteratorIiN2at6native8internal21MapNumberOfTrueValuesEPKhlEEiEEEE10hipError_tPvRmT1_T2_T3_mT4_P12ihipStream_tbEUlT_E0_NS1_11comp_targetILNS1_3genE0ELNS1_11target_archE4294967295ELNS1_3gpuE0ELNS1_3repE0EEENS1_30default_config_static_selectorELNS0_4arch9wavefront6targetE1EEEvSQ_
	.p2align	8
	.type	_ZN7rocprim17ROCPRIM_400000_NS6detail17trampoline_kernelINS0_14default_configENS1_22reduce_config_selectorIiEEZNS1_11reduce_implILb1ES3_PiS7_iN6hipcub16HIPCUB_304000_NS6detail34convert_binary_result_type_wrapperISt4plusIvENS9_22TransformInputIteratorIiN2at6native8internal21MapNumberOfTrueValuesEPKhlEEiEEEE10hipError_tPvRmT1_T2_T3_mT4_P12ihipStream_tbEUlT_E0_NS1_11comp_targetILNS1_3genE0ELNS1_11target_archE4294967295ELNS1_3gpuE0ELNS1_3repE0EEENS1_30default_config_static_selectorELNS0_4arch9wavefront6targetE1EEEvSQ_,@function
_ZN7rocprim17ROCPRIM_400000_NS6detail17trampoline_kernelINS0_14default_configENS1_22reduce_config_selectorIiEEZNS1_11reduce_implILb1ES3_PiS7_iN6hipcub16HIPCUB_304000_NS6detail34convert_binary_result_type_wrapperISt4plusIvENS9_22TransformInputIteratorIiN2at6native8internal21MapNumberOfTrueValuesEPKhlEEiEEEE10hipError_tPvRmT1_T2_T3_mT4_P12ihipStream_tbEUlT_E0_NS1_11comp_targetILNS1_3genE0ELNS1_11target_archE4294967295ELNS1_3gpuE0ELNS1_3repE0EEENS1_30default_config_static_selectorELNS0_4arch9wavefront6targetE1EEEvSQ_: ; @_ZN7rocprim17ROCPRIM_400000_NS6detail17trampoline_kernelINS0_14default_configENS1_22reduce_config_selectorIiEEZNS1_11reduce_implILb1ES3_PiS7_iN6hipcub16HIPCUB_304000_NS6detail34convert_binary_result_type_wrapperISt4plusIvENS9_22TransformInputIteratorIiN2at6native8internal21MapNumberOfTrueValuesEPKhlEEiEEEE10hipError_tPvRmT1_T2_T3_mT4_P12ihipStream_tbEUlT_E0_NS1_11comp_targetILNS1_3genE0ELNS1_11target_archE4294967295ELNS1_3gpuE0ELNS1_3repE0EEENS1_30default_config_static_selectorELNS0_4arch9wavefront6targetE1EEEvSQ_
; %bb.0:
	.section	.rodata,"a",@progbits
	.p2align	6, 0x0
	.amdhsa_kernel _ZN7rocprim17ROCPRIM_400000_NS6detail17trampoline_kernelINS0_14default_configENS1_22reduce_config_selectorIiEEZNS1_11reduce_implILb1ES3_PiS7_iN6hipcub16HIPCUB_304000_NS6detail34convert_binary_result_type_wrapperISt4plusIvENS9_22TransformInputIteratorIiN2at6native8internal21MapNumberOfTrueValuesEPKhlEEiEEEE10hipError_tPvRmT1_T2_T3_mT4_P12ihipStream_tbEUlT_E0_NS1_11comp_targetILNS1_3genE0ELNS1_11target_archE4294967295ELNS1_3gpuE0ELNS1_3repE0EEENS1_30default_config_static_selectorELNS0_4arch9wavefront6targetE1EEEvSQ_
		.amdhsa_group_segment_fixed_size 0
		.amdhsa_private_segment_fixed_size 0
		.amdhsa_kernarg_size 56
		.amdhsa_user_sgpr_count 6
		.amdhsa_user_sgpr_private_segment_buffer 1
		.amdhsa_user_sgpr_dispatch_ptr 0
		.amdhsa_user_sgpr_queue_ptr 0
		.amdhsa_user_sgpr_kernarg_segment_ptr 1
		.amdhsa_user_sgpr_dispatch_id 0
		.amdhsa_user_sgpr_flat_scratch_init 0
		.amdhsa_user_sgpr_kernarg_preload_length 0
		.amdhsa_user_sgpr_kernarg_preload_offset 0
		.amdhsa_user_sgpr_private_segment_size 0
		.amdhsa_uses_dynamic_stack 0
		.amdhsa_system_sgpr_private_segment_wavefront_offset 0
		.amdhsa_system_sgpr_workgroup_id_x 1
		.amdhsa_system_sgpr_workgroup_id_y 0
		.amdhsa_system_sgpr_workgroup_id_z 0
		.amdhsa_system_sgpr_workgroup_info 0
		.amdhsa_system_vgpr_workitem_id 0
		.amdhsa_next_free_vgpr 1
		.amdhsa_next_free_sgpr 0
		.amdhsa_accum_offset 4
		.amdhsa_reserve_vcc 0
		.amdhsa_reserve_flat_scratch 0
		.amdhsa_float_round_mode_32 0
		.amdhsa_float_round_mode_16_64 0
		.amdhsa_float_denorm_mode_32 3
		.amdhsa_float_denorm_mode_16_64 3
		.amdhsa_dx10_clamp 1
		.amdhsa_ieee_mode 1
		.amdhsa_fp16_overflow 0
		.amdhsa_tg_split 0
		.amdhsa_exception_fp_ieee_invalid_op 0
		.amdhsa_exception_fp_denorm_src 0
		.amdhsa_exception_fp_ieee_div_zero 0
		.amdhsa_exception_fp_ieee_overflow 0
		.amdhsa_exception_fp_ieee_underflow 0
		.amdhsa_exception_fp_ieee_inexact 0
		.amdhsa_exception_int_div_zero 0
	.end_amdhsa_kernel
	.section	.text._ZN7rocprim17ROCPRIM_400000_NS6detail17trampoline_kernelINS0_14default_configENS1_22reduce_config_selectorIiEEZNS1_11reduce_implILb1ES3_PiS7_iN6hipcub16HIPCUB_304000_NS6detail34convert_binary_result_type_wrapperISt4plusIvENS9_22TransformInputIteratorIiN2at6native8internal21MapNumberOfTrueValuesEPKhlEEiEEEE10hipError_tPvRmT1_T2_T3_mT4_P12ihipStream_tbEUlT_E0_NS1_11comp_targetILNS1_3genE0ELNS1_11target_archE4294967295ELNS1_3gpuE0ELNS1_3repE0EEENS1_30default_config_static_selectorELNS0_4arch9wavefront6targetE1EEEvSQ_,"axG",@progbits,_ZN7rocprim17ROCPRIM_400000_NS6detail17trampoline_kernelINS0_14default_configENS1_22reduce_config_selectorIiEEZNS1_11reduce_implILb1ES3_PiS7_iN6hipcub16HIPCUB_304000_NS6detail34convert_binary_result_type_wrapperISt4plusIvENS9_22TransformInputIteratorIiN2at6native8internal21MapNumberOfTrueValuesEPKhlEEiEEEE10hipError_tPvRmT1_T2_T3_mT4_P12ihipStream_tbEUlT_E0_NS1_11comp_targetILNS1_3genE0ELNS1_11target_archE4294967295ELNS1_3gpuE0ELNS1_3repE0EEENS1_30default_config_static_selectorELNS0_4arch9wavefront6targetE1EEEvSQ_,comdat
.Lfunc_end97:
	.size	_ZN7rocprim17ROCPRIM_400000_NS6detail17trampoline_kernelINS0_14default_configENS1_22reduce_config_selectorIiEEZNS1_11reduce_implILb1ES3_PiS7_iN6hipcub16HIPCUB_304000_NS6detail34convert_binary_result_type_wrapperISt4plusIvENS9_22TransformInputIteratorIiN2at6native8internal21MapNumberOfTrueValuesEPKhlEEiEEEE10hipError_tPvRmT1_T2_T3_mT4_P12ihipStream_tbEUlT_E0_NS1_11comp_targetILNS1_3genE0ELNS1_11target_archE4294967295ELNS1_3gpuE0ELNS1_3repE0EEENS1_30default_config_static_selectorELNS0_4arch9wavefront6targetE1EEEvSQ_, .Lfunc_end97-_ZN7rocprim17ROCPRIM_400000_NS6detail17trampoline_kernelINS0_14default_configENS1_22reduce_config_selectorIiEEZNS1_11reduce_implILb1ES3_PiS7_iN6hipcub16HIPCUB_304000_NS6detail34convert_binary_result_type_wrapperISt4plusIvENS9_22TransformInputIteratorIiN2at6native8internal21MapNumberOfTrueValuesEPKhlEEiEEEE10hipError_tPvRmT1_T2_T3_mT4_P12ihipStream_tbEUlT_E0_NS1_11comp_targetILNS1_3genE0ELNS1_11target_archE4294967295ELNS1_3gpuE0ELNS1_3repE0EEENS1_30default_config_static_selectorELNS0_4arch9wavefront6targetE1EEEvSQ_
                                        ; -- End function
	.section	.AMDGPU.csdata,"",@progbits
; Kernel info:
; codeLenInByte = 0
; NumSgprs: 4
; NumVgprs: 0
; NumAgprs: 0
; TotalNumVgprs: 0
; ScratchSize: 0
; MemoryBound: 0
; FloatMode: 240
; IeeeMode: 1
; LDSByteSize: 0 bytes/workgroup (compile time only)
; SGPRBlocks: 0
; VGPRBlocks: 0
; NumSGPRsForWavesPerEU: 4
; NumVGPRsForWavesPerEU: 1
; AccumOffset: 4
; Occupancy: 8
; WaveLimiterHint : 0
; COMPUTE_PGM_RSRC2:SCRATCH_EN: 0
; COMPUTE_PGM_RSRC2:USER_SGPR: 6
; COMPUTE_PGM_RSRC2:TRAP_HANDLER: 0
; COMPUTE_PGM_RSRC2:TGID_X_EN: 1
; COMPUTE_PGM_RSRC2:TGID_Y_EN: 0
; COMPUTE_PGM_RSRC2:TGID_Z_EN: 0
; COMPUTE_PGM_RSRC2:TIDIG_COMP_CNT: 0
; COMPUTE_PGM_RSRC3_GFX90A:ACCUM_OFFSET: 0
; COMPUTE_PGM_RSRC3_GFX90A:TG_SPLIT: 0
	.section	.text._ZN7rocprim17ROCPRIM_400000_NS6detail17trampoline_kernelINS0_14default_configENS1_22reduce_config_selectorIiEEZNS1_11reduce_implILb1ES3_PiS7_iN6hipcub16HIPCUB_304000_NS6detail34convert_binary_result_type_wrapperISt4plusIvENS9_22TransformInputIteratorIiN2at6native8internal21MapNumberOfTrueValuesEPKhlEEiEEEE10hipError_tPvRmT1_T2_T3_mT4_P12ihipStream_tbEUlT_E0_NS1_11comp_targetILNS1_3genE5ELNS1_11target_archE942ELNS1_3gpuE9ELNS1_3repE0EEENS1_30default_config_static_selectorELNS0_4arch9wavefront6targetE1EEEvSQ_,"axG",@progbits,_ZN7rocprim17ROCPRIM_400000_NS6detail17trampoline_kernelINS0_14default_configENS1_22reduce_config_selectorIiEEZNS1_11reduce_implILb1ES3_PiS7_iN6hipcub16HIPCUB_304000_NS6detail34convert_binary_result_type_wrapperISt4plusIvENS9_22TransformInputIteratorIiN2at6native8internal21MapNumberOfTrueValuesEPKhlEEiEEEE10hipError_tPvRmT1_T2_T3_mT4_P12ihipStream_tbEUlT_E0_NS1_11comp_targetILNS1_3genE5ELNS1_11target_archE942ELNS1_3gpuE9ELNS1_3repE0EEENS1_30default_config_static_selectorELNS0_4arch9wavefront6targetE1EEEvSQ_,comdat
	.protected	_ZN7rocprim17ROCPRIM_400000_NS6detail17trampoline_kernelINS0_14default_configENS1_22reduce_config_selectorIiEEZNS1_11reduce_implILb1ES3_PiS7_iN6hipcub16HIPCUB_304000_NS6detail34convert_binary_result_type_wrapperISt4plusIvENS9_22TransformInputIteratorIiN2at6native8internal21MapNumberOfTrueValuesEPKhlEEiEEEE10hipError_tPvRmT1_T2_T3_mT4_P12ihipStream_tbEUlT_E0_NS1_11comp_targetILNS1_3genE5ELNS1_11target_archE942ELNS1_3gpuE9ELNS1_3repE0EEENS1_30default_config_static_selectorELNS0_4arch9wavefront6targetE1EEEvSQ_ ; -- Begin function _ZN7rocprim17ROCPRIM_400000_NS6detail17trampoline_kernelINS0_14default_configENS1_22reduce_config_selectorIiEEZNS1_11reduce_implILb1ES3_PiS7_iN6hipcub16HIPCUB_304000_NS6detail34convert_binary_result_type_wrapperISt4plusIvENS9_22TransformInputIteratorIiN2at6native8internal21MapNumberOfTrueValuesEPKhlEEiEEEE10hipError_tPvRmT1_T2_T3_mT4_P12ihipStream_tbEUlT_E0_NS1_11comp_targetILNS1_3genE5ELNS1_11target_archE942ELNS1_3gpuE9ELNS1_3repE0EEENS1_30default_config_static_selectorELNS0_4arch9wavefront6targetE1EEEvSQ_
	.globl	_ZN7rocprim17ROCPRIM_400000_NS6detail17trampoline_kernelINS0_14default_configENS1_22reduce_config_selectorIiEEZNS1_11reduce_implILb1ES3_PiS7_iN6hipcub16HIPCUB_304000_NS6detail34convert_binary_result_type_wrapperISt4plusIvENS9_22TransformInputIteratorIiN2at6native8internal21MapNumberOfTrueValuesEPKhlEEiEEEE10hipError_tPvRmT1_T2_T3_mT4_P12ihipStream_tbEUlT_E0_NS1_11comp_targetILNS1_3genE5ELNS1_11target_archE942ELNS1_3gpuE9ELNS1_3repE0EEENS1_30default_config_static_selectorELNS0_4arch9wavefront6targetE1EEEvSQ_
	.p2align	8
	.type	_ZN7rocprim17ROCPRIM_400000_NS6detail17trampoline_kernelINS0_14default_configENS1_22reduce_config_selectorIiEEZNS1_11reduce_implILb1ES3_PiS7_iN6hipcub16HIPCUB_304000_NS6detail34convert_binary_result_type_wrapperISt4plusIvENS9_22TransformInputIteratorIiN2at6native8internal21MapNumberOfTrueValuesEPKhlEEiEEEE10hipError_tPvRmT1_T2_T3_mT4_P12ihipStream_tbEUlT_E0_NS1_11comp_targetILNS1_3genE5ELNS1_11target_archE942ELNS1_3gpuE9ELNS1_3repE0EEENS1_30default_config_static_selectorELNS0_4arch9wavefront6targetE1EEEvSQ_,@function
_ZN7rocprim17ROCPRIM_400000_NS6detail17trampoline_kernelINS0_14default_configENS1_22reduce_config_selectorIiEEZNS1_11reduce_implILb1ES3_PiS7_iN6hipcub16HIPCUB_304000_NS6detail34convert_binary_result_type_wrapperISt4plusIvENS9_22TransformInputIteratorIiN2at6native8internal21MapNumberOfTrueValuesEPKhlEEiEEEE10hipError_tPvRmT1_T2_T3_mT4_P12ihipStream_tbEUlT_E0_NS1_11comp_targetILNS1_3genE5ELNS1_11target_archE942ELNS1_3gpuE9ELNS1_3repE0EEENS1_30default_config_static_selectorELNS0_4arch9wavefront6targetE1EEEvSQ_: ; @_ZN7rocprim17ROCPRIM_400000_NS6detail17trampoline_kernelINS0_14default_configENS1_22reduce_config_selectorIiEEZNS1_11reduce_implILb1ES3_PiS7_iN6hipcub16HIPCUB_304000_NS6detail34convert_binary_result_type_wrapperISt4plusIvENS9_22TransformInputIteratorIiN2at6native8internal21MapNumberOfTrueValuesEPKhlEEiEEEE10hipError_tPvRmT1_T2_T3_mT4_P12ihipStream_tbEUlT_E0_NS1_11comp_targetILNS1_3genE5ELNS1_11target_archE942ELNS1_3gpuE9ELNS1_3repE0EEENS1_30default_config_static_selectorELNS0_4arch9wavefront6targetE1EEEvSQ_
; %bb.0:
	.section	.rodata,"a",@progbits
	.p2align	6, 0x0
	.amdhsa_kernel _ZN7rocprim17ROCPRIM_400000_NS6detail17trampoline_kernelINS0_14default_configENS1_22reduce_config_selectorIiEEZNS1_11reduce_implILb1ES3_PiS7_iN6hipcub16HIPCUB_304000_NS6detail34convert_binary_result_type_wrapperISt4plusIvENS9_22TransformInputIteratorIiN2at6native8internal21MapNumberOfTrueValuesEPKhlEEiEEEE10hipError_tPvRmT1_T2_T3_mT4_P12ihipStream_tbEUlT_E0_NS1_11comp_targetILNS1_3genE5ELNS1_11target_archE942ELNS1_3gpuE9ELNS1_3repE0EEENS1_30default_config_static_selectorELNS0_4arch9wavefront6targetE1EEEvSQ_
		.amdhsa_group_segment_fixed_size 0
		.amdhsa_private_segment_fixed_size 0
		.amdhsa_kernarg_size 56
		.amdhsa_user_sgpr_count 6
		.amdhsa_user_sgpr_private_segment_buffer 1
		.amdhsa_user_sgpr_dispatch_ptr 0
		.amdhsa_user_sgpr_queue_ptr 0
		.amdhsa_user_sgpr_kernarg_segment_ptr 1
		.amdhsa_user_sgpr_dispatch_id 0
		.amdhsa_user_sgpr_flat_scratch_init 0
		.amdhsa_user_sgpr_kernarg_preload_length 0
		.amdhsa_user_sgpr_kernarg_preload_offset 0
		.amdhsa_user_sgpr_private_segment_size 0
		.amdhsa_uses_dynamic_stack 0
		.amdhsa_system_sgpr_private_segment_wavefront_offset 0
		.amdhsa_system_sgpr_workgroup_id_x 1
		.amdhsa_system_sgpr_workgroup_id_y 0
		.amdhsa_system_sgpr_workgroup_id_z 0
		.amdhsa_system_sgpr_workgroup_info 0
		.amdhsa_system_vgpr_workitem_id 0
		.amdhsa_next_free_vgpr 1
		.amdhsa_next_free_sgpr 0
		.amdhsa_accum_offset 4
		.amdhsa_reserve_vcc 0
		.amdhsa_reserve_flat_scratch 0
		.amdhsa_float_round_mode_32 0
		.amdhsa_float_round_mode_16_64 0
		.amdhsa_float_denorm_mode_32 3
		.amdhsa_float_denorm_mode_16_64 3
		.amdhsa_dx10_clamp 1
		.amdhsa_ieee_mode 1
		.amdhsa_fp16_overflow 0
		.amdhsa_tg_split 0
		.amdhsa_exception_fp_ieee_invalid_op 0
		.amdhsa_exception_fp_denorm_src 0
		.amdhsa_exception_fp_ieee_div_zero 0
		.amdhsa_exception_fp_ieee_overflow 0
		.amdhsa_exception_fp_ieee_underflow 0
		.amdhsa_exception_fp_ieee_inexact 0
		.amdhsa_exception_int_div_zero 0
	.end_amdhsa_kernel
	.section	.text._ZN7rocprim17ROCPRIM_400000_NS6detail17trampoline_kernelINS0_14default_configENS1_22reduce_config_selectorIiEEZNS1_11reduce_implILb1ES3_PiS7_iN6hipcub16HIPCUB_304000_NS6detail34convert_binary_result_type_wrapperISt4plusIvENS9_22TransformInputIteratorIiN2at6native8internal21MapNumberOfTrueValuesEPKhlEEiEEEE10hipError_tPvRmT1_T2_T3_mT4_P12ihipStream_tbEUlT_E0_NS1_11comp_targetILNS1_3genE5ELNS1_11target_archE942ELNS1_3gpuE9ELNS1_3repE0EEENS1_30default_config_static_selectorELNS0_4arch9wavefront6targetE1EEEvSQ_,"axG",@progbits,_ZN7rocprim17ROCPRIM_400000_NS6detail17trampoline_kernelINS0_14default_configENS1_22reduce_config_selectorIiEEZNS1_11reduce_implILb1ES3_PiS7_iN6hipcub16HIPCUB_304000_NS6detail34convert_binary_result_type_wrapperISt4plusIvENS9_22TransformInputIteratorIiN2at6native8internal21MapNumberOfTrueValuesEPKhlEEiEEEE10hipError_tPvRmT1_T2_T3_mT4_P12ihipStream_tbEUlT_E0_NS1_11comp_targetILNS1_3genE5ELNS1_11target_archE942ELNS1_3gpuE9ELNS1_3repE0EEENS1_30default_config_static_selectorELNS0_4arch9wavefront6targetE1EEEvSQ_,comdat
.Lfunc_end98:
	.size	_ZN7rocprim17ROCPRIM_400000_NS6detail17trampoline_kernelINS0_14default_configENS1_22reduce_config_selectorIiEEZNS1_11reduce_implILb1ES3_PiS7_iN6hipcub16HIPCUB_304000_NS6detail34convert_binary_result_type_wrapperISt4plusIvENS9_22TransformInputIteratorIiN2at6native8internal21MapNumberOfTrueValuesEPKhlEEiEEEE10hipError_tPvRmT1_T2_T3_mT4_P12ihipStream_tbEUlT_E0_NS1_11comp_targetILNS1_3genE5ELNS1_11target_archE942ELNS1_3gpuE9ELNS1_3repE0EEENS1_30default_config_static_selectorELNS0_4arch9wavefront6targetE1EEEvSQ_, .Lfunc_end98-_ZN7rocprim17ROCPRIM_400000_NS6detail17trampoline_kernelINS0_14default_configENS1_22reduce_config_selectorIiEEZNS1_11reduce_implILb1ES3_PiS7_iN6hipcub16HIPCUB_304000_NS6detail34convert_binary_result_type_wrapperISt4plusIvENS9_22TransformInputIteratorIiN2at6native8internal21MapNumberOfTrueValuesEPKhlEEiEEEE10hipError_tPvRmT1_T2_T3_mT4_P12ihipStream_tbEUlT_E0_NS1_11comp_targetILNS1_3genE5ELNS1_11target_archE942ELNS1_3gpuE9ELNS1_3repE0EEENS1_30default_config_static_selectorELNS0_4arch9wavefront6targetE1EEEvSQ_
                                        ; -- End function
	.section	.AMDGPU.csdata,"",@progbits
; Kernel info:
; codeLenInByte = 0
; NumSgprs: 4
; NumVgprs: 0
; NumAgprs: 0
; TotalNumVgprs: 0
; ScratchSize: 0
; MemoryBound: 0
; FloatMode: 240
; IeeeMode: 1
; LDSByteSize: 0 bytes/workgroup (compile time only)
; SGPRBlocks: 0
; VGPRBlocks: 0
; NumSGPRsForWavesPerEU: 4
; NumVGPRsForWavesPerEU: 1
; AccumOffset: 4
; Occupancy: 8
; WaveLimiterHint : 0
; COMPUTE_PGM_RSRC2:SCRATCH_EN: 0
; COMPUTE_PGM_RSRC2:USER_SGPR: 6
; COMPUTE_PGM_RSRC2:TRAP_HANDLER: 0
; COMPUTE_PGM_RSRC2:TGID_X_EN: 1
; COMPUTE_PGM_RSRC2:TGID_Y_EN: 0
; COMPUTE_PGM_RSRC2:TGID_Z_EN: 0
; COMPUTE_PGM_RSRC2:TIDIG_COMP_CNT: 0
; COMPUTE_PGM_RSRC3_GFX90A:ACCUM_OFFSET: 0
; COMPUTE_PGM_RSRC3_GFX90A:TG_SPLIT: 0
	.section	.text._ZN7rocprim17ROCPRIM_400000_NS6detail17trampoline_kernelINS0_14default_configENS1_22reduce_config_selectorIiEEZNS1_11reduce_implILb1ES3_PiS7_iN6hipcub16HIPCUB_304000_NS6detail34convert_binary_result_type_wrapperISt4plusIvENS9_22TransformInputIteratorIiN2at6native8internal21MapNumberOfTrueValuesEPKhlEEiEEEE10hipError_tPvRmT1_T2_T3_mT4_P12ihipStream_tbEUlT_E0_NS1_11comp_targetILNS1_3genE4ELNS1_11target_archE910ELNS1_3gpuE8ELNS1_3repE0EEENS1_30default_config_static_selectorELNS0_4arch9wavefront6targetE1EEEvSQ_,"axG",@progbits,_ZN7rocprim17ROCPRIM_400000_NS6detail17trampoline_kernelINS0_14default_configENS1_22reduce_config_selectorIiEEZNS1_11reduce_implILb1ES3_PiS7_iN6hipcub16HIPCUB_304000_NS6detail34convert_binary_result_type_wrapperISt4plusIvENS9_22TransformInputIteratorIiN2at6native8internal21MapNumberOfTrueValuesEPKhlEEiEEEE10hipError_tPvRmT1_T2_T3_mT4_P12ihipStream_tbEUlT_E0_NS1_11comp_targetILNS1_3genE4ELNS1_11target_archE910ELNS1_3gpuE8ELNS1_3repE0EEENS1_30default_config_static_selectorELNS0_4arch9wavefront6targetE1EEEvSQ_,comdat
	.protected	_ZN7rocprim17ROCPRIM_400000_NS6detail17trampoline_kernelINS0_14default_configENS1_22reduce_config_selectorIiEEZNS1_11reduce_implILb1ES3_PiS7_iN6hipcub16HIPCUB_304000_NS6detail34convert_binary_result_type_wrapperISt4plusIvENS9_22TransformInputIteratorIiN2at6native8internal21MapNumberOfTrueValuesEPKhlEEiEEEE10hipError_tPvRmT1_T2_T3_mT4_P12ihipStream_tbEUlT_E0_NS1_11comp_targetILNS1_3genE4ELNS1_11target_archE910ELNS1_3gpuE8ELNS1_3repE0EEENS1_30default_config_static_selectorELNS0_4arch9wavefront6targetE1EEEvSQ_ ; -- Begin function _ZN7rocprim17ROCPRIM_400000_NS6detail17trampoline_kernelINS0_14default_configENS1_22reduce_config_selectorIiEEZNS1_11reduce_implILb1ES3_PiS7_iN6hipcub16HIPCUB_304000_NS6detail34convert_binary_result_type_wrapperISt4plusIvENS9_22TransformInputIteratorIiN2at6native8internal21MapNumberOfTrueValuesEPKhlEEiEEEE10hipError_tPvRmT1_T2_T3_mT4_P12ihipStream_tbEUlT_E0_NS1_11comp_targetILNS1_3genE4ELNS1_11target_archE910ELNS1_3gpuE8ELNS1_3repE0EEENS1_30default_config_static_selectorELNS0_4arch9wavefront6targetE1EEEvSQ_
	.globl	_ZN7rocprim17ROCPRIM_400000_NS6detail17trampoline_kernelINS0_14default_configENS1_22reduce_config_selectorIiEEZNS1_11reduce_implILb1ES3_PiS7_iN6hipcub16HIPCUB_304000_NS6detail34convert_binary_result_type_wrapperISt4plusIvENS9_22TransformInputIteratorIiN2at6native8internal21MapNumberOfTrueValuesEPKhlEEiEEEE10hipError_tPvRmT1_T2_T3_mT4_P12ihipStream_tbEUlT_E0_NS1_11comp_targetILNS1_3genE4ELNS1_11target_archE910ELNS1_3gpuE8ELNS1_3repE0EEENS1_30default_config_static_selectorELNS0_4arch9wavefront6targetE1EEEvSQ_
	.p2align	8
	.type	_ZN7rocprim17ROCPRIM_400000_NS6detail17trampoline_kernelINS0_14default_configENS1_22reduce_config_selectorIiEEZNS1_11reduce_implILb1ES3_PiS7_iN6hipcub16HIPCUB_304000_NS6detail34convert_binary_result_type_wrapperISt4plusIvENS9_22TransformInputIteratorIiN2at6native8internal21MapNumberOfTrueValuesEPKhlEEiEEEE10hipError_tPvRmT1_T2_T3_mT4_P12ihipStream_tbEUlT_E0_NS1_11comp_targetILNS1_3genE4ELNS1_11target_archE910ELNS1_3gpuE8ELNS1_3repE0EEENS1_30default_config_static_selectorELNS0_4arch9wavefront6targetE1EEEvSQ_,@function
_ZN7rocprim17ROCPRIM_400000_NS6detail17trampoline_kernelINS0_14default_configENS1_22reduce_config_selectorIiEEZNS1_11reduce_implILb1ES3_PiS7_iN6hipcub16HIPCUB_304000_NS6detail34convert_binary_result_type_wrapperISt4plusIvENS9_22TransformInputIteratorIiN2at6native8internal21MapNumberOfTrueValuesEPKhlEEiEEEE10hipError_tPvRmT1_T2_T3_mT4_P12ihipStream_tbEUlT_E0_NS1_11comp_targetILNS1_3genE4ELNS1_11target_archE910ELNS1_3gpuE8ELNS1_3repE0EEENS1_30default_config_static_selectorELNS0_4arch9wavefront6targetE1EEEvSQ_: ; @_ZN7rocprim17ROCPRIM_400000_NS6detail17trampoline_kernelINS0_14default_configENS1_22reduce_config_selectorIiEEZNS1_11reduce_implILb1ES3_PiS7_iN6hipcub16HIPCUB_304000_NS6detail34convert_binary_result_type_wrapperISt4plusIvENS9_22TransformInputIteratorIiN2at6native8internal21MapNumberOfTrueValuesEPKhlEEiEEEE10hipError_tPvRmT1_T2_T3_mT4_P12ihipStream_tbEUlT_E0_NS1_11comp_targetILNS1_3genE4ELNS1_11target_archE910ELNS1_3gpuE8ELNS1_3repE0EEENS1_30default_config_static_selectorELNS0_4arch9wavefront6targetE1EEEvSQ_
; %bb.0:
	s_load_dwordx8 s[12:19], s[4:5], 0x0
	s_load_dwordx4 s[20:23], s[4:5], 0x20
	v_lshlrev_b32_e32 v10, 2, v0
	v_mbcnt_lo_u32_b32 v1, -1, 0
	s_waitcnt lgkmcnt(0)
	s_lshl_b64 s[0:1], s[14:15], 2
	s_add_u32 s10, s12, s0
	s_addc_u32 s11, s13, s1
	s_lshl_b32 s0, s6, 10
	s_mov_b32 s1, 0
	s_lshr_b64 s[2:3], s[16:17], 10
	s_lshl_b64 s[8:9], s[0:1], 2
	s_add_u32 s14, s10, s8
	s_mov_b32 s7, s1
	s_addc_u32 s15, s11, s9
	s_cmp_lg_u64 s[2:3], s[6:7]
	s_cbranch_scc0 .LBB99_6
; %bb.1:
	global_load_dword v2, v10, s[14:15]
	global_load_dword v5, v10, s[14:15] offset:512
	global_load_dword v6, v10, s[14:15] offset:1024
	;; [unrolled: 1-line block ×7, first 2 shown]
	v_mbcnt_hi_u32_b32 v3, -1, v1
	v_lshlrev_b32_e32 v4, 2, v3
	v_cmp_eq_u32_e32 vcc, 0, v3
	s_waitcnt vmcnt(6)
	v_add_u32_e32 v2, v5, v2
	v_or_b32_e32 v5, 0xfc, v4
	s_waitcnt vmcnt(4)
	v_add3_u32 v2, v2, v6, v7
	s_waitcnt vmcnt(2)
	v_add3_u32 v2, v2, v8, v9
	s_waitcnt vmcnt(0)
	v_add3_u32 v2, v2, v11, v12
	s_nop 1
	v_add_u32_dpp v2, v2, v2 quad_perm:[1,0,3,2] row_mask:0xf bank_mask:0xf bound_ctrl:1
	s_nop 1
	v_add_u32_dpp v2, v2, v2 quad_perm:[2,3,0,1] row_mask:0xf bank_mask:0xf bound_ctrl:1
	s_nop 1
	v_add_u32_dpp v2, v2, v2 row_ror:4 row_mask:0xf bank_mask:0xf bound_ctrl:1
	s_nop 1
	v_add_u32_dpp v2, v2, v2 row_ror:8 row_mask:0xf bank_mask:0xf bound_ctrl:1
	s_nop 1
	v_add_u32_dpp v2, v2, v2 row_bcast:15 row_mask:0xf bank_mask:0xf bound_ctrl:1
	s_nop 1
	v_add_u32_dpp v2, v2, v2 row_bcast:31 row_mask:0xf bank_mask:0xf bound_ctrl:1
	ds_bpermute_b32 v2, v5, v2
	s_and_saveexec_b64 s[2:3], vcc
	s_cbranch_execz .LBB99_3
; %bb.2:
	v_lshrrev_b32_e32 v5, 4, v0
	v_and_b32_e32 v5, 4, v5
	s_waitcnt lgkmcnt(0)
	ds_write_b32 v5, v2
.LBB99_3:
	s_or_b64 exec, exec, s[2:3]
	v_cmp_gt_u32_e32 vcc, 64, v0
	s_waitcnt lgkmcnt(0)
	s_barrier
	s_and_saveexec_b64 s[2:3], vcc
	s_cbranch_execz .LBB99_5
; %bb.4:
	v_and_b32_e32 v2, 1, v3
	v_lshlrev_b32_e32 v2, 2, v2
	ds_read_b32 v2, v2
	v_or_b32_e32 v3, 4, v4
	s_waitcnt lgkmcnt(0)
	ds_bpermute_b32 v3, v3, v2
	s_waitcnt lgkmcnt(0)
	v_add_u32_e32 v2, v3, v2
.LBB99_5:
	s_or_b64 exec, exec, s[2:3]
	s_load_dword s26, s[4:5], 0x30
	s_branch .LBB99_28
.LBB99_6:
                                        ; implicit-def: $vgpr2
	s_load_dword s26, s[4:5], 0x30
	s_cbranch_execz .LBB99_28
; %bb.7:
	s_sub_i32 s27, s16, s0
	v_cmp_gt_u32_e32 vcc, s27, v0
                                        ; implicit-def: $vgpr2_vgpr3_vgpr4_vgpr5_vgpr6_vgpr7_vgpr8_vgpr9
	s_and_saveexec_b64 s[0:1], vcc
	s_cbranch_execz .LBB99_9
; %bb.8:
	global_load_dword v2, v10, s[14:15]
.LBB99_9:
	s_or_b64 exec, exec, s[0:1]
	v_or_b32_e32 v11, 0x80, v0
	v_cmp_gt_u32_e32 vcc, s27, v11
	s_and_saveexec_b64 s[0:1], vcc
	s_cbranch_execz .LBB99_11
; %bb.10:
	global_load_dword v3, v10, s[14:15] offset:512
.LBB99_11:
	s_or_b64 exec, exec, s[0:1]
	v_or_b32_e32 v11, 0x100, v0
	v_cmp_gt_u32_e64 s[0:1], s27, v11
	s_and_saveexec_b64 s[2:3], s[0:1]
	s_cbranch_execz .LBB99_13
; %bb.12:
	global_load_dword v4, v10, s[14:15] offset:1024
.LBB99_13:
	s_or_b64 exec, exec, s[2:3]
	v_or_b32_e32 v11, 0x180, v0
	v_cmp_gt_u32_e64 s[2:3], s27, v11
	s_and_saveexec_b64 s[4:5], s[2:3]
	;; [unrolled: 8-line block ×6, first 2 shown]
	s_cbranch_execz .LBB99_23
; %bb.22:
	global_load_dword v9, v10, s[14:15] offset:3584
.LBB99_23:
	s_or_b64 exec, exec, s[24:25]
	s_waitcnt vmcnt(0)
	v_cndmask_b32_e32 v3, 0, v3, vcc
	v_add_u32_e32 v2, v3, v2
	v_cndmask_b32_e64 v3, 0, v4, s[0:1]
	v_cndmask_b32_e64 v4, 0, v5, s[2:3]
	v_add3_u32 v2, v2, v3, v4
	v_cndmask_b32_e64 v3, 0, v6, s[4:5]
	v_cndmask_b32_e64 v4, 0, v7, s[8:9]
	v_add3_u32 v2, v2, v3, v4
	v_cndmask_b32_e64 v3, 0, v8, s[10:11]
	v_cndmask_b32_e64 v4, 0, v9, s[12:13]
	v_mbcnt_hi_u32_b32 v1, -1, v1
	v_add3_u32 v2, v2, v3, v4
	v_and_b32_e32 v3, 63, v1
	v_cmp_ne_u32_e32 vcc, 63, v3
	v_addc_co_u32_e32 v4, vcc, 0, v1, vcc
	v_lshlrev_b32_e32 v4, 2, v4
	ds_bpermute_b32 v4, v4, v2
	s_min_u32 s2, s27, 0x80
	v_and_b32_e32 v5, 64, v0
	v_sub_u32_e64 v5, s2, v5 clamp
	v_add_u32_e32 v6, 1, v3
	v_cmp_lt_u32_e32 vcc, v6, v5
	s_waitcnt lgkmcnt(0)
	v_cndmask_b32_e32 v4, 0, v4, vcc
	v_cmp_gt_u32_e32 vcc, 62, v3
	v_add_u32_e32 v2, v2, v4
	v_cndmask_b32_e64 v4, 0, 1, vcc
	v_lshlrev_b32_e32 v4, 1, v4
	v_add_lshl_u32 v4, v4, v1, 2
	ds_bpermute_b32 v4, v4, v2
	v_add_u32_e32 v6, 2, v3
	v_cmp_lt_u32_e32 vcc, v6, v5
	v_add_u32_e32 v6, 4, v3
	s_waitcnt lgkmcnt(0)
	v_cndmask_b32_e32 v4, 0, v4, vcc
	v_cmp_gt_u32_e32 vcc, 60, v3
	v_add_u32_e32 v2, v2, v4
	v_cndmask_b32_e64 v4, 0, 1, vcc
	v_lshlrev_b32_e32 v4, 2, v4
	v_add_lshl_u32 v4, v4, v1, 2
	ds_bpermute_b32 v4, v4, v2
	v_cmp_lt_u32_e32 vcc, v6, v5
	v_add_u32_e32 v6, 8, v3
	s_waitcnt lgkmcnt(0)
	v_cndmask_b32_e32 v4, 0, v4, vcc
	v_cmp_gt_u32_e32 vcc, 56, v3
	v_add_u32_e32 v2, v2, v4
	v_cndmask_b32_e64 v4, 0, 1, vcc
	v_lshlrev_b32_e32 v4, 3, v4
	v_add_lshl_u32 v4, v4, v1, 2
	ds_bpermute_b32 v4, v4, v2
	;; [unrolled: 10-line block ×3, first 2 shown]
	v_cmp_lt_u32_e32 vcc, v6, v5
	s_waitcnt lgkmcnt(0)
	v_cndmask_b32_e32 v4, 0, v4, vcc
	v_cmp_gt_u32_e32 vcc, 32, v3
	v_add_u32_e32 v2, v2, v4
	v_cndmask_b32_e64 v4, 0, 1, vcc
	v_lshlrev_b32_e32 v4, 5, v4
	v_add_lshl_u32 v4, v4, v1, 2
	ds_bpermute_b32 v4, v4, v2
	v_add_u32_e32 v3, 32, v3
	v_cmp_lt_u32_e32 vcc, v3, v5
	s_waitcnt lgkmcnt(0)
	v_cndmask_b32_e32 v3, 0, v4, vcc
	v_add_u32_e32 v2, v2, v3
	v_cmp_eq_u32_e32 vcc, 0, v1
	s_and_saveexec_b64 s[0:1], vcc
	s_cbranch_execz .LBB99_25
; %bb.24:
	v_lshrrev_b32_e32 v3, 4, v0
	v_and_b32_e32 v3, 4, v3
	ds_write_b32 v3, v2 offset:8
.LBB99_25:
	s_or_b64 exec, exec, s[0:1]
	v_cmp_gt_u32_e32 vcc, 2, v0
	s_waitcnt lgkmcnt(0)
	s_barrier
	s_and_saveexec_b64 s[0:1], vcc
	s_cbranch_execz .LBB99_27
; %bb.26:
	v_lshlrev_b32_e32 v2, 2, v1
	ds_read_b32 v3, v2 offset:8
	v_or_b32_e32 v2, 4, v2
	s_add_i32 s2, s2, 63
	v_and_b32_e32 v1, 1, v1
	s_lshr_b32 s2, s2, 6
	s_waitcnt lgkmcnt(0)
	ds_bpermute_b32 v2, v2, v3
	v_add_u32_e32 v1, 1, v1
	v_cmp_gt_u32_e32 vcc, s2, v1
	s_waitcnt lgkmcnt(0)
	v_cndmask_b32_e32 v1, 0, v2, vcc
	v_add_u32_e32 v2, v1, v3
.LBB99_27:
	s_or_b64 exec, exec, s[0:1]
.LBB99_28:
	v_cmp_eq_u32_e32 vcc, 0, v0
	s_and_saveexec_b64 s[0:1], vcc
	s_cbranch_execnz .LBB99_30
; %bb.29:
	s_endpgm
.LBB99_30:
	s_mul_i32 s0, s22, s21
	s_mul_hi_u32 s1, s22, s20
	s_add_i32 s0, s1, s0
	s_mul_i32 s1, s23, s20
	s_add_i32 s1, s0, s1
	s_mul_i32 s0, s22, s20
	s_lshl_b64 s[0:1], s[0:1], 2
	s_add_u32 s2, s18, s0
	s_addc_u32 s3, s19, s1
	s_cmp_eq_u64 s[16:17], 0
	s_cselect_b64 vcc, -1, 0
	s_lshl_b64 s[0:1], s[6:7], 2
	s_waitcnt lgkmcnt(0)
	v_mov_b32_e32 v0, s26
	s_add_u32 s0, s2, s0
	v_cndmask_b32_e32 v0, v2, v0, vcc
	s_addc_u32 s1, s3, s1
	v_mov_b32_e32 v1, 0
	global_store_dword v1, v0, s[0:1]
	s_endpgm
	.section	.rodata,"a",@progbits
	.p2align	6, 0x0
	.amdhsa_kernel _ZN7rocprim17ROCPRIM_400000_NS6detail17trampoline_kernelINS0_14default_configENS1_22reduce_config_selectorIiEEZNS1_11reduce_implILb1ES3_PiS7_iN6hipcub16HIPCUB_304000_NS6detail34convert_binary_result_type_wrapperISt4plusIvENS9_22TransformInputIteratorIiN2at6native8internal21MapNumberOfTrueValuesEPKhlEEiEEEE10hipError_tPvRmT1_T2_T3_mT4_P12ihipStream_tbEUlT_E0_NS1_11comp_targetILNS1_3genE4ELNS1_11target_archE910ELNS1_3gpuE8ELNS1_3repE0EEENS1_30default_config_static_selectorELNS0_4arch9wavefront6targetE1EEEvSQ_
		.amdhsa_group_segment_fixed_size 16
		.amdhsa_private_segment_fixed_size 0
		.amdhsa_kernarg_size 56
		.amdhsa_user_sgpr_count 6
		.amdhsa_user_sgpr_private_segment_buffer 1
		.amdhsa_user_sgpr_dispatch_ptr 0
		.amdhsa_user_sgpr_queue_ptr 0
		.amdhsa_user_sgpr_kernarg_segment_ptr 1
		.amdhsa_user_sgpr_dispatch_id 0
		.amdhsa_user_sgpr_flat_scratch_init 0
		.amdhsa_user_sgpr_kernarg_preload_length 0
		.amdhsa_user_sgpr_kernarg_preload_offset 0
		.amdhsa_user_sgpr_private_segment_size 0
		.amdhsa_uses_dynamic_stack 0
		.amdhsa_system_sgpr_private_segment_wavefront_offset 0
		.amdhsa_system_sgpr_workgroup_id_x 1
		.amdhsa_system_sgpr_workgroup_id_y 0
		.amdhsa_system_sgpr_workgroup_id_z 0
		.amdhsa_system_sgpr_workgroup_info 0
		.amdhsa_system_vgpr_workitem_id 0
		.amdhsa_next_free_vgpr 13
		.amdhsa_next_free_sgpr 28
		.amdhsa_accum_offset 16
		.amdhsa_reserve_vcc 1
		.amdhsa_reserve_flat_scratch 0
		.amdhsa_float_round_mode_32 0
		.amdhsa_float_round_mode_16_64 0
		.amdhsa_float_denorm_mode_32 3
		.amdhsa_float_denorm_mode_16_64 3
		.amdhsa_dx10_clamp 1
		.amdhsa_ieee_mode 1
		.amdhsa_fp16_overflow 0
		.amdhsa_tg_split 0
		.amdhsa_exception_fp_ieee_invalid_op 0
		.amdhsa_exception_fp_denorm_src 0
		.amdhsa_exception_fp_ieee_div_zero 0
		.amdhsa_exception_fp_ieee_overflow 0
		.amdhsa_exception_fp_ieee_underflow 0
		.amdhsa_exception_fp_ieee_inexact 0
		.amdhsa_exception_int_div_zero 0
	.end_amdhsa_kernel
	.section	.text._ZN7rocprim17ROCPRIM_400000_NS6detail17trampoline_kernelINS0_14default_configENS1_22reduce_config_selectorIiEEZNS1_11reduce_implILb1ES3_PiS7_iN6hipcub16HIPCUB_304000_NS6detail34convert_binary_result_type_wrapperISt4plusIvENS9_22TransformInputIteratorIiN2at6native8internal21MapNumberOfTrueValuesEPKhlEEiEEEE10hipError_tPvRmT1_T2_T3_mT4_P12ihipStream_tbEUlT_E0_NS1_11comp_targetILNS1_3genE4ELNS1_11target_archE910ELNS1_3gpuE8ELNS1_3repE0EEENS1_30default_config_static_selectorELNS0_4arch9wavefront6targetE1EEEvSQ_,"axG",@progbits,_ZN7rocprim17ROCPRIM_400000_NS6detail17trampoline_kernelINS0_14default_configENS1_22reduce_config_selectorIiEEZNS1_11reduce_implILb1ES3_PiS7_iN6hipcub16HIPCUB_304000_NS6detail34convert_binary_result_type_wrapperISt4plusIvENS9_22TransformInputIteratorIiN2at6native8internal21MapNumberOfTrueValuesEPKhlEEiEEEE10hipError_tPvRmT1_T2_T3_mT4_P12ihipStream_tbEUlT_E0_NS1_11comp_targetILNS1_3genE4ELNS1_11target_archE910ELNS1_3gpuE8ELNS1_3repE0EEENS1_30default_config_static_selectorELNS0_4arch9wavefront6targetE1EEEvSQ_,comdat
.Lfunc_end99:
	.size	_ZN7rocprim17ROCPRIM_400000_NS6detail17trampoline_kernelINS0_14default_configENS1_22reduce_config_selectorIiEEZNS1_11reduce_implILb1ES3_PiS7_iN6hipcub16HIPCUB_304000_NS6detail34convert_binary_result_type_wrapperISt4plusIvENS9_22TransformInputIteratorIiN2at6native8internal21MapNumberOfTrueValuesEPKhlEEiEEEE10hipError_tPvRmT1_T2_T3_mT4_P12ihipStream_tbEUlT_E0_NS1_11comp_targetILNS1_3genE4ELNS1_11target_archE910ELNS1_3gpuE8ELNS1_3repE0EEENS1_30default_config_static_selectorELNS0_4arch9wavefront6targetE1EEEvSQ_, .Lfunc_end99-_ZN7rocprim17ROCPRIM_400000_NS6detail17trampoline_kernelINS0_14default_configENS1_22reduce_config_selectorIiEEZNS1_11reduce_implILb1ES3_PiS7_iN6hipcub16HIPCUB_304000_NS6detail34convert_binary_result_type_wrapperISt4plusIvENS9_22TransformInputIteratorIiN2at6native8internal21MapNumberOfTrueValuesEPKhlEEiEEEE10hipError_tPvRmT1_T2_T3_mT4_P12ihipStream_tbEUlT_E0_NS1_11comp_targetILNS1_3genE4ELNS1_11target_archE910ELNS1_3gpuE8ELNS1_3repE0EEENS1_30default_config_static_selectorELNS0_4arch9wavefront6targetE1EEEvSQ_
                                        ; -- End function
	.section	.AMDGPU.csdata,"",@progbits
; Kernel info:
; codeLenInByte = 1320
; NumSgprs: 32
; NumVgprs: 13
; NumAgprs: 0
; TotalNumVgprs: 13
; ScratchSize: 0
; MemoryBound: 0
; FloatMode: 240
; IeeeMode: 1
; LDSByteSize: 16 bytes/workgroup (compile time only)
; SGPRBlocks: 3
; VGPRBlocks: 1
; NumSGPRsForWavesPerEU: 32
; NumVGPRsForWavesPerEU: 13
; AccumOffset: 16
; Occupancy: 8
; WaveLimiterHint : 1
; COMPUTE_PGM_RSRC2:SCRATCH_EN: 0
; COMPUTE_PGM_RSRC2:USER_SGPR: 6
; COMPUTE_PGM_RSRC2:TRAP_HANDLER: 0
; COMPUTE_PGM_RSRC2:TGID_X_EN: 1
; COMPUTE_PGM_RSRC2:TGID_Y_EN: 0
; COMPUTE_PGM_RSRC2:TGID_Z_EN: 0
; COMPUTE_PGM_RSRC2:TIDIG_COMP_CNT: 0
; COMPUTE_PGM_RSRC3_GFX90A:ACCUM_OFFSET: 3
; COMPUTE_PGM_RSRC3_GFX90A:TG_SPLIT: 0
	.section	.text._ZN7rocprim17ROCPRIM_400000_NS6detail17trampoline_kernelINS0_14default_configENS1_22reduce_config_selectorIiEEZNS1_11reduce_implILb1ES3_PiS7_iN6hipcub16HIPCUB_304000_NS6detail34convert_binary_result_type_wrapperISt4plusIvENS9_22TransformInputIteratorIiN2at6native8internal21MapNumberOfTrueValuesEPKhlEEiEEEE10hipError_tPvRmT1_T2_T3_mT4_P12ihipStream_tbEUlT_E0_NS1_11comp_targetILNS1_3genE3ELNS1_11target_archE908ELNS1_3gpuE7ELNS1_3repE0EEENS1_30default_config_static_selectorELNS0_4arch9wavefront6targetE1EEEvSQ_,"axG",@progbits,_ZN7rocprim17ROCPRIM_400000_NS6detail17trampoline_kernelINS0_14default_configENS1_22reduce_config_selectorIiEEZNS1_11reduce_implILb1ES3_PiS7_iN6hipcub16HIPCUB_304000_NS6detail34convert_binary_result_type_wrapperISt4plusIvENS9_22TransformInputIteratorIiN2at6native8internal21MapNumberOfTrueValuesEPKhlEEiEEEE10hipError_tPvRmT1_T2_T3_mT4_P12ihipStream_tbEUlT_E0_NS1_11comp_targetILNS1_3genE3ELNS1_11target_archE908ELNS1_3gpuE7ELNS1_3repE0EEENS1_30default_config_static_selectorELNS0_4arch9wavefront6targetE1EEEvSQ_,comdat
	.protected	_ZN7rocprim17ROCPRIM_400000_NS6detail17trampoline_kernelINS0_14default_configENS1_22reduce_config_selectorIiEEZNS1_11reduce_implILb1ES3_PiS7_iN6hipcub16HIPCUB_304000_NS6detail34convert_binary_result_type_wrapperISt4plusIvENS9_22TransformInputIteratorIiN2at6native8internal21MapNumberOfTrueValuesEPKhlEEiEEEE10hipError_tPvRmT1_T2_T3_mT4_P12ihipStream_tbEUlT_E0_NS1_11comp_targetILNS1_3genE3ELNS1_11target_archE908ELNS1_3gpuE7ELNS1_3repE0EEENS1_30default_config_static_selectorELNS0_4arch9wavefront6targetE1EEEvSQ_ ; -- Begin function _ZN7rocprim17ROCPRIM_400000_NS6detail17trampoline_kernelINS0_14default_configENS1_22reduce_config_selectorIiEEZNS1_11reduce_implILb1ES3_PiS7_iN6hipcub16HIPCUB_304000_NS6detail34convert_binary_result_type_wrapperISt4plusIvENS9_22TransformInputIteratorIiN2at6native8internal21MapNumberOfTrueValuesEPKhlEEiEEEE10hipError_tPvRmT1_T2_T3_mT4_P12ihipStream_tbEUlT_E0_NS1_11comp_targetILNS1_3genE3ELNS1_11target_archE908ELNS1_3gpuE7ELNS1_3repE0EEENS1_30default_config_static_selectorELNS0_4arch9wavefront6targetE1EEEvSQ_
	.globl	_ZN7rocprim17ROCPRIM_400000_NS6detail17trampoline_kernelINS0_14default_configENS1_22reduce_config_selectorIiEEZNS1_11reduce_implILb1ES3_PiS7_iN6hipcub16HIPCUB_304000_NS6detail34convert_binary_result_type_wrapperISt4plusIvENS9_22TransformInputIteratorIiN2at6native8internal21MapNumberOfTrueValuesEPKhlEEiEEEE10hipError_tPvRmT1_T2_T3_mT4_P12ihipStream_tbEUlT_E0_NS1_11comp_targetILNS1_3genE3ELNS1_11target_archE908ELNS1_3gpuE7ELNS1_3repE0EEENS1_30default_config_static_selectorELNS0_4arch9wavefront6targetE1EEEvSQ_
	.p2align	8
	.type	_ZN7rocprim17ROCPRIM_400000_NS6detail17trampoline_kernelINS0_14default_configENS1_22reduce_config_selectorIiEEZNS1_11reduce_implILb1ES3_PiS7_iN6hipcub16HIPCUB_304000_NS6detail34convert_binary_result_type_wrapperISt4plusIvENS9_22TransformInputIteratorIiN2at6native8internal21MapNumberOfTrueValuesEPKhlEEiEEEE10hipError_tPvRmT1_T2_T3_mT4_P12ihipStream_tbEUlT_E0_NS1_11comp_targetILNS1_3genE3ELNS1_11target_archE908ELNS1_3gpuE7ELNS1_3repE0EEENS1_30default_config_static_selectorELNS0_4arch9wavefront6targetE1EEEvSQ_,@function
_ZN7rocprim17ROCPRIM_400000_NS6detail17trampoline_kernelINS0_14default_configENS1_22reduce_config_selectorIiEEZNS1_11reduce_implILb1ES3_PiS7_iN6hipcub16HIPCUB_304000_NS6detail34convert_binary_result_type_wrapperISt4plusIvENS9_22TransformInputIteratorIiN2at6native8internal21MapNumberOfTrueValuesEPKhlEEiEEEE10hipError_tPvRmT1_T2_T3_mT4_P12ihipStream_tbEUlT_E0_NS1_11comp_targetILNS1_3genE3ELNS1_11target_archE908ELNS1_3gpuE7ELNS1_3repE0EEENS1_30default_config_static_selectorELNS0_4arch9wavefront6targetE1EEEvSQ_: ; @_ZN7rocprim17ROCPRIM_400000_NS6detail17trampoline_kernelINS0_14default_configENS1_22reduce_config_selectorIiEEZNS1_11reduce_implILb1ES3_PiS7_iN6hipcub16HIPCUB_304000_NS6detail34convert_binary_result_type_wrapperISt4plusIvENS9_22TransformInputIteratorIiN2at6native8internal21MapNumberOfTrueValuesEPKhlEEiEEEE10hipError_tPvRmT1_T2_T3_mT4_P12ihipStream_tbEUlT_E0_NS1_11comp_targetILNS1_3genE3ELNS1_11target_archE908ELNS1_3gpuE7ELNS1_3repE0EEENS1_30default_config_static_selectorELNS0_4arch9wavefront6targetE1EEEvSQ_
; %bb.0:
	.section	.rodata,"a",@progbits
	.p2align	6, 0x0
	.amdhsa_kernel _ZN7rocprim17ROCPRIM_400000_NS6detail17trampoline_kernelINS0_14default_configENS1_22reduce_config_selectorIiEEZNS1_11reduce_implILb1ES3_PiS7_iN6hipcub16HIPCUB_304000_NS6detail34convert_binary_result_type_wrapperISt4plusIvENS9_22TransformInputIteratorIiN2at6native8internal21MapNumberOfTrueValuesEPKhlEEiEEEE10hipError_tPvRmT1_T2_T3_mT4_P12ihipStream_tbEUlT_E0_NS1_11comp_targetILNS1_3genE3ELNS1_11target_archE908ELNS1_3gpuE7ELNS1_3repE0EEENS1_30default_config_static_selectorELNS0_4arch9wavefront6targetE1EEEvSQ_
		.amdhsa_group_segment_fixed_size 0
		.amdhsa_private_segment_fixed_size 0
		.amdhsa_kernarg_size 56
		.amdhsa_user_sgpr_count 6
		.amdhsa_user_sgpr_private_segment_buffer 1
		.amdhsa_user_sgpr_dispatch_ptr 0
		.amdhsa_user_sgpr_queue_ptr 0
		.amdhsa_user_sgpr_kernarg_segment_ptr 1
		.amdhsa_user_sgpr_dispatch_id 0
		.amdhsa_user_sgpr_flat_scratch_init 0
		.amdhsa_user_sgpr_kernarg_preload_length 0
		.amdhsa_user_sgpr_kernarg_preload_offset 0
		.amdhsa_user_sgpr_private_segment_size 0
		.amdhsa_uses_dynamic_stack 0
		.amdhsa_system_sgpr_private_segment_wavefront_offset 0
		.amdhsa_system_sgpr_workgroup_id_x 1
		.amdhsa_system_sgpr_workgroup_id_y 0
		.amdhsa_system_sgpr_workgroup_id_z 0
		.amdhsa_system_sgpr_workgroup_info 0
		.amdhsa_system_vgpr_workitem_id 0
		.amdhsa_next_free_vgpr 1
		.amdhsa_next_free_sgpr 0
		.amdhsa_accum_offset 4
		.amdhsa_reserve_vcc 0
		.amdhsa_reserve_flat_scratch 0
		.amdhsa_float_round_mode_32 0
		.amdhsa_float_round_mode_16_64 0
		.amdhsa_float_denorm_mode_32 3
		.amdhsa_float_denorm_mode_16_64 3
		.amdhsa_dx10_clamp 1
		.amdhsa_ieee_mode 1
		.amdhsa_fp16_overflow 0
		.amdhsa_tg_split 0
		.amdhsa_exception_fp_ieee_invalid_op 0
		.amdhsa_exception_fp_denorm_src 0
		.amdhsa_exception_fp_ieee_div_zero 0
		.amdhsa_exception_fp_ieee_overflow 0
		.amdhsa_exception_fp_ieee_underflow 0
		.amdhsa_exception_fp_ieee_inexact 0
		.amdhsa_exception_int_div_zero 0
	.end_amdhsa_kernel
	.section	.text._ZN7rocprim17ROCPRIM_400000_NS6detail17trampoline_kernelINS0_14default_configENS1_22reduce_config_selectorIiEEZNS1_11reduce_implILb1ES3_PiS7_iN6hipcub16HIPCUB_304000_NS6detail34convert_binary_result_type_wrapperISt4plusIvENS9_22TransformInputIteratorIiN2at6native8internal21MapNumberOfTrueValuesEPKhlEEiEEEE10hipError_tPvRmT1_T2_T3_mT4_P12ihipStream_tbEUlT_E0_NS1_11comp_targetILNS1_3genE3ELNS1_11target_archE908ELNS1_3gpuE7ELNS1_3repE0EEENS1_30default_config_static_selectorELNS0_4arch9wavefront6targetE1EEEvSQ_,"axG",@progbits,_ZN7rocprim17ROCPRIM_400000_NS6detail17trampoline_kernelINS0_14default_configENS1_22reduce_config_selectorIiEEZNS1_11reduce_implILb1ES3_PiS7_iN6hipcub16HIPCUB_304000_NS6detail34convert_binary_result_type_wrapperISt4plusIvENS9_22TransformInputIteratorIiN2at6native8internal21MapNumberOfTrueValuesEPKhlEEiEEEE10hipError_tPvRmT1_T2_T3_mT4_P12ihipStream_tbEUlT_E0_NS1_11comp_targetILNS1_3genE3ELNS1_11target_archE908ELNS1_3gpuE7ELNS1_3repE0EEENS1_30default_config_static_selectorELNS0_4arch9wavefront6targetE1EEEvSQ_,comdat
.Lfunc_end100:
	.size	_ZN7rocprim17ROCPRIM_400000_NS6detail17trampoline_kernelINS0_14default_configENS1_22reduce_config_selectorIiEEZNS1_11reduce_implILb1ES3_PiS7_iN6hipcub16HIPCUB_304000_NS6detail34convert_binary_result_type_wrapperISt4plusIvENS9_22TransformInputIteratorIiN2at6native8internal21MapNumberOfTrueValuesEPKhlEEiEEEE10hipError_tPvRmT1_T2_T3_mT4_P12ihipStream_tbEUlT_E0_NS1_11comp_targetILNS1_3genE3ELNS1_11target_archE908ELNS1_3gpuE7ELNS1_3repE0EEENS1_30default_config_static_selectorELNS0_4arch9wavefront6targetE1EEEvSQ_, .Lfunc_end100-_ZN7rocprim17ROCPRIM_400000_NS6detail17trampoline_kernelINS0_14default_configENS1_22reduce_config_selectorIiEEZNS1_11reduce_implILb1ES3_PiS7_iN6hipcub16HIPCUB_304000_NS6detail34convert_binary_result_type_wrapperISt4plusIvENS9_22TransformInputIteratorIiN2at6native8internal21MapNumberOfTrueValuesEPKhlEEiEEEE10hipError_tPvRmT1_T2_T3_mT4_P12ihipStream_tbEUlT_E0_NS1_11comp_targetILNS1_3genE3ELNS1_11target_archE908ELNS1_3gpuE7ELNS1_3repE0EEENS1_30default_config_static_selectorELNS0_4arch9wavefront6targetE1EEEvSQ_
                                        ; -- End function
	.section	.AMDGPU.csdata,"",@progbits
; Kernel info:
; codeLenInByte = 0
; NumSgprs: 4
; NumVgprs: 0
; NumAgprs: 0
; TotalNumVgprs: 0
; ScratchSize: 0
; MemoryBound: 0
; FloatMode: 240
; IeeeMode: 1
; LDSByteSize: 0 bytes/workgroup (compile time only)
; SGPRBlocks: 0
; VGPRBlocks: 0
; NumSGPRsForWavesPerEU: 4
; NumVGPRsForWavesPerEU: 1
; AccumOffset: 4
; Occupancy: 8
; WaveLimiterHint : 0
; COMPUTE_PGM_RSRC2:SCRATCH_EN: 0
; COMPUTE_PGM_RSRC2:USER_SGPR: 6
; COMPUTE_PGM_RSRC2:TRAP_HANDLER: 0
; COMPUTE_PGM_RSRC2:TGID_X_EN: 1
; COMPUTE_PGM_RSRC2:TGID_Y_EN: 0
; COMPUTE_PGM_RSRC2:TGID_Z_EN: 0
; COMPUTE_PGM_RSRC2:TIDIG_COMP_CNT: 0
; COMPUTE_PGM_RSRC3_GFX90A:ACCUM_OFFSET: 0
; COMPUTE_PGM_RSRC3_GFX90A:TG_SPLIT: 0
	.section	.text._ZN7rocprim17ROCPRIM_400000_NS6detail17trampoline_kernelINS0_14default_configENS1_22reduce_config_selectorIiEEZNS1_11reduce_implILb1ES3_PiS7_iN6hipcub16HIPCUB_304000_NS6detail34convert_binary_result_type_wrapperISt4plusIvENS9_22TransformInputIteratorIiN2at6native8internal21MapNumberOfTrueValuesEPKhlEEiEEEE10hipError_tPvRmT1_T2_T3_mT4_P12ihipStream_tbEUlT_E0_NS1_11comp_targetILNS1_3genE2ELNS1_11target_archE906ELNS1_3gpuE6ELNS1_3repE0EEENS1_30default_config_static_selectorELNS0_4arch9wavefront6targetE1EEEvSQ_,"axG",@progbits,_ZN7rocprim17ROCPRIM_400000_NS6detail17trampoline_kernelINS0_14default_configENS1_22reduce_config_selectorIiEEZNS1_11reduce_implILb1ES3_PiS7_iN6hipcub16HIPCUB_304000_NS6detail34convert_binary_result_type_wrapperISt4plusIvENS9_22TransformInputIteratorIiN2at6native8internal21MapNumberOfTrueValuesEPKhlEEiEEEE10hipError_tPvRmT1_T2_T3_mT4_P12ihipStream_tbEUlT_E0_NS1_11comp_targetILNS1_3genE2ELNS1_11target_archE906ELNS1_3gpuE6ELNS1_3repE0EEENS1_30default_config_static_selectorELNS0_4arch9wavefront6targetE1EEEvSQ_,comdat
	.protected	_ZN7rocprim17ROCPRIM_400000_NS6detail17trampoline_kernelINS0_14default_configENS1_22reduce_config_selectorIiEEZNS1_11reduce_implILb1ES3_PiS7_iN6hipcub16HIPCUB_304000_NS6detail34convert_binary_result_type_wrapperISt4plusIvENS9_22TransformInputIteratorIiN2at6native8internal21MapNumberOfTrueValuesEPKhlEEiEEEE10hipError_tPvRmT1_T2_T3_mT4_P12ihipStream_tbEUlT_E0_NS1_11comp_targetILNS1_3genE2ELNS1_11target_archE906ELNS1_3gpuE6ELNS1_3repE0EEENS1_30default_config_static_selectorELNS0_4arch9wavefront6targetE1EEEvSQ_ ; -- Begin function _ZN7rocprim17ROCPRIM_400000_NS6detail17trampoline_kernelINS0_14default_configENS1_22reduce_config_selectorIiEEZNS1_11reduce_implILb1ES3_PiS7_iN6hipcub16HIPCUB_304000_NS6detail34convert_binary_result_type_wrapperISt4plusIvENS9_22TransformInputIteratorIiN2at6native8internal21MapNumberOfTrueValuesEPKhlEEiEEEE10hipError_tPvRmT1_T2_T3_mT4_P12ihipStream_tbEUlT_E0_NS1_11comp_targetILNS1_3genE2ELNS1_11target_archE906ELNS1_3gpuE6ELNS1_3repE0EEENS1_30default_config_static_selectorELNS0_4arch9wavefront6targetE1EEEvSQ_
	.globl	_ZN7rocprim17ROCPRIM_400000_NS6detail17trampoline_kernelINS0_14default_configENS1_22reduce_config_selectorIiEEZNS1_11reduce_implILb1ES3_PiS7_iN6hipcub16HIPCUB_304000_NS6detail34convert_binary_result_type_wrapperISt4plusIvENS9_22TransformInputIteratorIiN2at6native8internal21MapNumberOfTrueValuesEPKhlEEiEEEE10hipError_tPvRmT1_T2_T3_mT4_P12ihipStream_tbEUlT_E0_NS1_11comp_targetILNS1_3genE2ELNS1_11target_archE906ELNS1_3gpuE6ELNS1_3repE0EEENS1_30default_config_static_selectorELNS0_4arch9wavefront6targetE1EEEvSQ_
	.p2align	8
	.type	_ZN7rocprim17ROCPRIM_400000_NS6detail17trampoline_kernelINS0_14default_configENS1_22reduce_config_selectorIiEEZNS1_11reduce_implILb1ES3_PiS7_iN6hipcub16HIPCUB_304000_NS6detail34convert_binary_result_type_wrapperISt4plusIvENS9_22TransformInputIteratorIiN2at6native8internal21MapNumberOfTrueValuesEPKhlEEiEEEE10hipError_tPvRmT1_T2_T3_mT4_P12ihipStream_tbEUlT_E0_NS1_11comp_targetILNS1_3genE2ELNS1_11target_archE906ELNS1_3gpuE6ELNS1_3repE0EEENS1_30default_config_static_selectorELNS0_4arch9wavefront6targetE1EEEvSQ_,@function
_ZN7rocprim17ROCPRIM_400000_NS6detail17trampoline_kernelINS0_14default_configENS1_22reduce_config_selectorIiEEZNS1_11reduce_implILb1ES3_PiS7_iN6hipcub16HIPCUB_304000_NS6detail34convert_binary_result_type_wrapperISt4plusIvENS9_22TransformInputIteratorIiN2at6native8internal21MapNumberOfTrueValuesEPKhlEEiEEEE10hipError_tPvRmT1_T2_T3_mT4_P12ihipStream_tbEUlT_E0_NS1_11comp_targetILNS1_3genE2ELNS1_11target_archE906ELNS1_3gpuE6ELNS1_3repE0EEENS1_30default_config_static_selectorELNS0_4arch9wavefront6targetE1EEEvSQ_: ; @_ZN7rocprim17ROCPRIM_400000_NS6detail17trampoline_kernelINS0_14default_configENS1_22reduce_config_selectorIiEEZNS1_11reduce_implILb1ES3_PiS7_iN6hipcub16HIPCUB_304000_NS6detail34convert_binary_result_type_wrapperISt4plusIvENS9_22TransformInputIteratorIiN2at6native8internal21MapNumberOfTrueValuesEPKhlEEiEEEE10hipError_tPvRmT1_T2_T3_mT4_P12ihipStream_tbEUlT_E0_NS1_11comp_targetILNS1_3genE2ELNS1_11target_archE906ELNS1_3gpuE6ELNS1_3repE0EEENS1_30default_config_static_selectorELNS0_4arch9wavefront6targetE1EEEvSQ_
; %bb.0:
	.section	.rodata,"a",@progbits
	.p2align	6, 0x0
	.amdhsa_kernel _ZN7rocprim17ROCPRIM_400000_NS6detail17trampoline_kernelINS0_14default_configENS1_22reduce_config_selectorIiEEZNS1_11reduce_implILb1ES3_PiS7_iN6hipcub16HIPCUB_304000_NS6detail34convert_binary_result_type_wrapperISt4plusIvENS9_22TransformInputIteratorIiN2at6native8internal21MapNumberOfTrueValuesEPKhlEEiEEEE10hipError_tPvRmT1_T2_T3_mT4_P12ihipStream_tbEUlT_E0_NS1_11comp_targetILNS1_3genE2ELNS1_11target_archE906ELNS1_3gpuE6ELNS1_3repE0EEENS1_30default_config_static_selectorELNS0_4arch9wavefront6targetE1EEEvSQ_
		.amdhsa_group_segment_fixed_size 0
		.amdhsa_private_segment_fixed_size 0
		.amdhsa_kernarg_size 56
		.amdhsa_user_sgpr_count 6
		.amdhsa_user_sgpr_private_segment_buffer 1
		.amdhsa_user_sgpr_dispatch_ptr 0
		.amdhsa_user_sgpr_queue_ptr 0
		.amdhsa_user_sgpr_kernarg_segment_ptr 1
		.amdhsa_user_sgpr_dispatch_id 0
		.amdhsa_user_sgpr_flat_scratch_init 0
		.amdhsa_user_sgpr_kernarg_preload_length 0
		.amdhsa_user_sgpr_kernarg_preload_offset 0
		.amdhsa_user_sgpr_private_segment_size 0
		.amdhsa_uses_dynamic_stack 0
		.amdhsa_system_sgpr_private_segment_wavefront_offset 0
		.amdhsa_system_sgpr_workgroup_id_x 1
		.amdhsa_system_sgpr_workgroup_id_y 0
		.amdhsa_system_sgpr_workgroup_id_z 0
		.amdhsa_system_sgpr_workgroup_info 0
		.amdhsa_system_vgpr_workitem_id 0
		.amdhsa_next_free_vgpr 1
		.amdhsa_next_free_sgpr 0
		.amdhsa_accum_offset 4
		.amdhsa_reserve_vcc 0
		.amdhsa_reserve_flat_scratch 0
		.amdhsa_float_round_mode_32 0
		.amdhsa_float_round_mode_16_64 0
		.amdhsa_float_denorm_mode_32 3
		.amdhsa_float_denorm_mode_16_64 3
		.amdhsa_dx10_clamp 1
		.amdhsa_ieee_mode 1
		.amdhsa_fp16_overflow 0
		.amdhsa_tg_split 0
		.amdhsa_exception_fp_ieee_invalid_op 0
		.amdhsa_exception_fp_denorm_src 0
		.amdhsa_exception_fp_ieee_div_zero 0
		.amdhsa_exception_fp_ieee_overflow 0
		.amdhsa_exception_fp_ieee_underflow 0
		.amdhsa_exception_fp_ieee_inexact 0
		.amdhsa_exception_int_div_zero 0
	.end_amdhsa_kernel
	.section	.text._ZN7rocprim17ROCPRIM_400000_NS6detail17trampoline_kernelINS0_14default_configENS1_22reduce_config_selectorIiEEZNS1_11reduce_implILb1ES3_PiS7_iN6hipcub16HIPCUB_304000_NS6detail34convert_binary_result_type_wrapperISt4plusIvENS9_22TransformInputIteratorIiN2at6native8internal21MapNumberOfTrueValuesEPKhlEEiEEEE10hipError_tPvRmT1_T2_T3_mT4_P12ihipStream_tbEUlT_E0_NS1_11comp_targetILNS1_3genE2ELNS1_11target_archE906ELNS1_3gpuE6ELNS1_3repE0EEENS1_30default_config_static_selectorELNS0_4arch9wavefront6targetE1EEEvSQ_,"axG",@progbits,_ZN7rocprim17ROCPRIM_400000_NS6detail17trampoline_kernelINS0_14default_configENS1_22reduce_config_selectorIiEEZNS1_11reduce_implILb1ES3_PiS7_iN6hipcub16HIPCUB_304000_NS6detail34convert_binary_result_type_wrapperISt4plusIvENS9_22TransformInputIteratorIiN2at6native8internal21MapNumberOfTrueValuesEPKhlEEiEEEE10hipError_tPvRmT1_T2_T3_mT4_P12ihipStream_tbEUlT_E0_NS1_11comp_targetILNS1_3genE2ELNS1_11target_archE906ELNS1_3gpuE6ELNS1_3repE0EEENS1_30default_config_static_selectorELNS0_4arch9wavefront6targetE1EEEvSQ_,comdat
.Lfunc_end101:
	.size	_ZN7rocprim17ROCPRIM_400000_NS6detail17trampoline_kernelINS0_14default_configENS1_22reduce_config_selectorIiEEZNS1_11reduce_implILb1ES3_PiS7_iN6hipcub16HIPCUB_304000_NS6detail34convert_binary_result_type_wrapperISt4plusIvENS9_22TransformInputIteratorIiN2at6native8internal21MapNumberOfTrueValuesEPKhlEEiEEEE10hipError_tPvRmT1_T2_T3_mT4_P12ihipStream_tbEUlT_E0_NS1_11comp_targetILNS1_3genE2ELNS1_11target_archE906ELNS1_3gpuE6ELNS1_3repE0EEENS1_30default_config_static_selectorELNS0_4arch9wavefront6targetE1EEEvSQ_, .Lfunc_end101-_ZN7rocprim17ROCPRIM_400000_NS6detail17trampoline_kernelINS0_14default_configENS1_22reduce_config_selectorIiEEZNS1_11reduce_implILb1ES3_PiS7_iN6hipcub16HIPCUB_304000_NS6detail34convert_binary_result_type_wrapperISt4plusIvENS9_22TransformInputIteratorIiN2at6native8internal21MapNumberOfTrueValuesEPKhlEEiEEEE10hipError_tPvRmT1_T2_T3_mT4_P12ihipStream_tbEUlT_E0_NS1_11comp_targetILNS1_3genE2ELNS1_11target_archE906ELNS1_3gpuE6ELNS1_3repE0EEENS1_30default_config_static_selectorELNS0_4arch9wavefront6targetE1EEEvSQ_
                                        ; -- End function
	.section	.AMDGPU.csdata,"",@progbits
; Kernel info:
; codeLenInByte = 0
; NumSgprs: 4
; NumVgprs: 0
; NumAgprs: 0
; TotalNumVgprs: 0
; ScratchSize: 0
; MemoryBound: 0
; FloatMode: 240
; IeeeMode: 1
; LDSByteSize: 0 bytes/workgroup (compile time only)
; SGPRBlocks: 0
; VGPRBlocks: 0
; NumSGPRsForWavesPerEU: 4
; NumVGPRsForWavesPerEU: 1
; AccumOffset: 4
; Occupancy: 8
; WaveLimiterHint : 0
; COMPUTE_PGM_RSRC2:SCRATCH_EN: 0
; COMPUTE_PGM_RSRC2:USER_SGPR: 6
; COMPUTE_PGM_RSRC2:TRAP_HANDLER: 0
; COMPUTE_PGM_RSRC2:TGID_X_EN: 1
; COMPUTE_PGM_RSRC2:TGID_Y_EN: 0
; COMPUTE_PGM_RSRC2:TGID_Z_EN: 0
; COMPUTE_PGM_RSRC2:TIDIG_COMP_CNT: 0
; COMPUTE_PGM_RSRC3_GFX90A:ACCUM_OFFSET: 0
; COMPUTE_PGM_RSRC3_GFX90A:TG_SPLIT: 0
	.section	.text._ZN7rocprim17ROCPRIM_400000_NS6detail17trampoline_kernelINS0_14default_configENS1_22reduce_config_selectorIiEEZNS1_11reduce_implILb1ES3_PiS7_iN6hipcub16HIPCUB_304000_NS6detail34convert_binary_result_type_wrapperISt4plusIvENS9_22TransformInputIteratorIiN2at6native8internal21MapNumberOfTrueValuesEPKhlEEiEEEE10hipError_tPvRmT1_T2_T3_mT4_P12ihipStream_tbEUlT_E0_NS1_11comp_targetILNS1_3genE10ELNS1_11target_archE1201ELNS1_3gpuE5ELNS1_3repE0EEENS1_30default_config_static_selectorELNS0_4arch9wavefront6targetE1EEEvSQ_,"axG",@progbits,_ZN7rocprim17ROCPRIM_400000_NS6detail17trampoline_kernelINS0_14default_configENS1_22reduce_config_selectorIiEEZNS1_11reduce_implILb1ES3_PiS7_iN6hipcub16HIPCUB_304000_NS6detail34convert_binary_result_type_wrapperISt4plusIvENS9_22TransformInputIteratorIiN2at6native8internal21MapNumberOfTrueValuesEPKhlEEiEEEE10hipError_tPvRmT1_T2_T3_mT4_P12ihipStream_tbEUlT_E0_NS1_11comp_targetILNS1_3genE10ELNS1_11target_archE1201ELNS1_3gpuE5ELNS1_3repE0EEENS1_30default_config_static_selectorELNS0_4arch9wavefront6targetE1EEEvSQ_,comdat
	.protected	_ZN7rocprim17ROCPRIM_400000_NS6detail17trampoline_kernelINS0_14default_configENS1_22reduce_config_selectorIiEEZNS1_11reduce_implILb1ES3_PiS7_iN6hipcub16HIPCUB_304000_NS6detail34convert_binary_result_type_wrapperISt4plusIvENS9_22TransformInputIteratorIiN2at6native8internal21MapNumberOfTrueValuesEPKhlEEiEEEE10hipError_tPvRmT1_T2_T3_mT4_P12ihipStream_tbEUlT_E0_NS1_11comp_targetILNS1_3genE10ELNS1_11target_archE1201ELNS1_3gpuE5ELNS1_3repE0EEENS1_30default_config_static_selectorELNS0_4arch9wavefront6targetE1EEEvSQ_ ; -- Begin function _ZN7rocprim17ROCPRIM_400000_NS6detail17trampoline_kernelINS0_14default_configENS1_22reduce_config_selectorIiEEZNS1_11reduce_implILb1ES3_PiS7_iN6hipcub16HIPCUB_304000_NS6detail34convert_binary_result_type_wrapperISt4plusIvENS9_22TransformInputIteratorIiN2at6native8internal21MapNumberOfTrueValuesEPKhlEEiEEEE10hipError_tPvRmT1_T2_T3_mT4_P12ihipStream_tbEUlT_E0_NS1_11comp_targetILNS1_3genE10ELNS1_11target_archE1201ELNS1_3gpuE5ELNS1_3repE0EEENS1_30default_config_static_selectorELNS0_4arch9wavefront6targetE1EEEvSQ_
	.globl	_ZN7rocprim17ROCPRIM_400000_NS6detail17trampoline_kernelINS0_14default_configENS1_22reduce_config_selectorIiEEZNS1_11reduce_implILb1ES3_PiS7_iN6hipcub16HIPCUB_304000_NS6detail34convert_binary_result_type_wrapperISt4plusIvENS9_22TransformInputIteratorIiN2at6native8internal21MapNumberOfTrueValuesEPKhlEEiEEEE10hipError_tPvRmT1_T2_T3_mT4_P12ihipStream_tbEUlT_E0_NS1_11comp_targetILNS1_3genE10ELNS1_11target_archE1201ELNS1_3gpuE5ELNS1_3repE0EEENS1_30default_config_static_selectorELNS0_4arch9wavefront6targetE1EEEvSQ_
	.p2align	8
	.type	_ZN7rocprim17ROCPRIM_400000_NS6detail17trampoline_kernelINS0_14default_configENS1_22reduce_config_selectorIiEEZNS1_11reduce_implILb1ES3_PiS7_iN6hipcub16HIPCUB_304000_NS6detail34convert_binary_result_type_wrapperISt4plusIvENS9_22TransformInputIteratorIiN2at6native8internal21MapNumberOfTrueValuesEPKhlEEiEEEE10hipError_tPvRmT1_T2_T3_mT4_P12ihipStream_tbEUlT_E0_NS1_11comp_targetILNS1_3genE10ELNS1_11target_archE1201ELNS1_3gpuE5ELNS1_3repE0EEENS1_30default_config_static_selectorELNS0_4arch9wavefront6targetE1EEEvSQ_,@function
_ZN7rocprim17ROCPRIM_400000_NS6detail17trampoline_kernelINS0_14default_configENS1_22reduce_config_selectorIiEEZNS1_11reduce_implILb1ES3_PiS7_iN6hipcub16HIPCUB_304000_NS6detail34convert_binary_result_type_wrapperISt4plusIvENS9_22TransformInputIteratorIiN2at6native8internal21MapNumberOfTrueValuesEPKhlEEiEEEE10hipError_tPvRmT1_T2_T3_mT4_P12ihipStream_tbEUlT_E0_NS1_11comp_targetILNS1_3genE10ELNS1_11target_archE1201ELNS1_3gpuE5ELNS1_3repE0EEENS1_30default_config_static_selectorELNS0_4arch9wavefront6targetE1EEEvSQ_: ; @_ZN7rocprim17ROCPRIM_400000_NS6detail17trampoline_kernelINS0_14default_configENS1_22reduce_config_selectorIiEEZNS1_11reduce_implILb1ES3_PiS7_iN6hipcub16HIPCUB_304000_NS6detail34convert_binary_result_type_wrapperISt4plusIvENS9_22TransformInputIteratorIiN2at6native8internal21MapNumberOfTrueValuesEPKhlEEiEEEE10hipError_tPvRmT1_T2_T3_mT4_P12ihipStream_tbEUlT_E0_NS1_11comp_targetILNS1_3genE10ELNS1_11target_archE1201ELNS1_3gpuE5ELNS1_3repE0EEENS1_30default_config_static_selectorELNS0_4arch9wavefront6targetE1EEEvSQ_
; %bb.0:
	.section	.rodata,"a",@progbits
	.p2align	6, 0x0
	.amdhsa_kernel _ZN7rocprim17ROCPRIM_400000_NS6detail17trampoline_kernelINS0_14default_configENS1_22reduce_config_selectorIiEEZNS1_11reduce_implILb1ES3_PiS7_iN6hipcub16HIPCUB_304000_NS6detail34convert_binary_result_type_wrapperISt4plusIvENS9_22TransformInputIteratorIiN2at6native8internal21MapNumberOfTrueValuesEPKhlEEiEEEE10hipError_tPvRmT1_T2_T3_mT4_P12ihipStream_tbEUlT_E0_NS1_11comp_targetILNS1_3genE10ELNS1_11target_archE1201ELNS1_3gpuE5ELNS1_3repE0EEENS1_30default_config_static_selectorELNS0_4arch9wavefront6targetE1EEEvSQ_
		.amdhsa_group_segment_fixed_size 0
		.amdhsa_private_segment_fixed_size 0
		.amdhsa_kernarg_size 56
		.amdhsa_user_sgpr_count 6
		.amdhsa_user_sgpr_private_segment_buffer 1
		.amdhsa_user_sgpr_dispatch_ptr 0
		.amdhsa_user_sgpr_queue_ptr 0
		.amdhsa_user_sgpr_kernarg_segment_ptr 1
		.amdhsa_user_sgpr_dispatch_id 0
		.amdhsa_user_sgpr_flat_scratch_init 0
		.amdhsa_user_sgpr_kernarg_preload_length 0
		.amdhsa_user_sgpr_kernarg_preload_offset 0
		.amdhsa_user_sgpr_private_segment_size 0
		.amdhsa_uses_dynamic_stack 0
		.amdhsa_system_sgpr_private_segment_wavefront_offset 0
		.amdhsa_system_sgpr_workgroup_id_x 1
		.amdhsa_system_sgpr_workgroup_id_y 0
		.amdhsa_system_sgpr_workgroup_id_z 0
		.amdhsa_system_sgpr_workgroup_info 0
		.amdhsa_system_vgpr_workitem_id 0
		.amdhsa_next_free_vgpr 1
		.amdhsa_next_free_sgpr 0
		.amdhsa_accum_offset 4
		.amdhsa_reserve_vcc 0
		.amdhsa_reserve_flat_scratch 0
		.amdhsa_float_round_mode_32 0
		.amdhsa_float_round_mode_16_64 0
		.amdhsa_float_denorm_mode_32 3
		.amdhsa_float_denorm_mode_16_64 3
		.amdhsa_dx10_clamp 1
		.amdhsa_ieee_mode 1
		.amdhsa_fp16_overflow 0
		.amdhsa_tg_split 0
		.amdhsa_exception_fp_ieee_invalid_op 0
		.amdhsa_exception_fp_denorm_src 0
		.amdhsa_exception_fp_ieee_div_zero 0
		.amdhsa_exception_fp_ieee_overflow 0
		.amdhsa_exception_fp_ieee_underflow 0
		.amdhsa_exception_fp_ieee_inexact 0
		.amdhsa_exception_int_div_zero 0
	.end_amdhsa_kernel
	.section	.text._ZN7rocprim17ROCPRIM_400000_NS6detail17trampoline_kernelINS0_14default_configENS1_22reduce_config_selectorIiEEZNS1_11reduce_implILb1ES3_PiS7_iN6hipcub16HIPCUB_304000_NS6detail34convert_binary_result_type_wrapperISt4plusIvENS9_22TransformInputIteratorIiN2at6native8internal21MapNumberOfTrueValuesEPKhlEEiEEEE10hipError_tPvRmT1_T2_T3_mT4_P12ihipStream_tbEUlT_E0_NS1_11comp_targetILNS1_3genE10ELNS1_11target_archE1201ELNS1_3gpuE5ELNS1_3repE0EEENS1_30default_config_static_selectorELNS0_4arch9wavefront6targetE1EEEvSQ_,"axG",@progbits,_ZN7rocprim17ROCPRIM_400000_NS6detail17trampoline_kernelINS0_14default_configENS1_22reduce_config_selectorIiEEZNS1_11reduce_implILb1ES3_PiS7_iN6hipcub16HIPCUB_304000_NS6detail34convert_binary_result_type_wrapperISt4plusIvENS9_22TransformInputIteratorIiN2at6native8internal21MapNumberOfTrueValuesEPKhlEEiEEEE10hipError_tPvRmT1_T2_T3_mT4_P12ihipStream_tbEUlT_E0_NS1_11comp_targetILNS1_3genE10ELNS1_11target_archE1201ELNS1_3gpuE5ELNS1_3repE0EEENS1_30default_config_static_selectorELNS0_4arch9wavefront6targetE1EEEvSQ_,comdat
.Lfunc_end102:
	.size	_ZN7rocprim17ROCPRIM_400000_NS6detail17trampoline_kernelINS0_14default_configENS1_22reduce_config_selectorIiEEZNS1_11reduce_implILb1ES3_PiS7_iN6hipcub16HIPCUB_304000_NS6detail34convert_binary_result_type_wrapperISt4plusIvENS9_22TransformInputIteratorIiN2at6native8internal21MapNumberOfTrueValuesEPKhlEEiEEEE10hipError_tPvRmT1_T2_T3_mT4_P12ihipStream_tbEUlT_E0_NS1_11comp_targetILNS1_3genE10ELNS1_11target_archE1201ELNS1_3gpuE5ELNS1_3repE0EEENS1_30default_config_static_selectorELNS0_4arch9wavefront6targetE1EEEvSQ_, .Lfunc_end102-_ZN7rocprim17ROCPRIM_400000_NS6detail17trampoline_kernelINS0_14default_configENS1_22reduce_config_selectorIiEEZNS1_11reduce_implILb1ES3_PiS7_iN6hipcub16HIPCUB_304000_NS6detail34convert_binary_result_type_wrapperISt4plusIvENS9_22TransformInputIteratorIiN2at6native8internal21MapNumberOfTrueValuesEPKhlEEiEEEE10hipError_tPvRmT1_T2_T3_mT4_P12ihipStream_tbEUlT_E0_NS1_11comp_targetILNS1_3genE10ELNS1_11target_archE1201ELNS1_3gpuE5ELNS1_3repE0EEENS1_30default_config_static_selectorELNS0_4arch9wavefront6targetE1EEEvSQ_
                                        ; -- End function
	.section	.AMDGPU.csdata,"",@progbits
; Kernel info:
; codeLenInByte = 0
; NumSgprs: 4
; NumVgprs: 0
; NumAgprs: 0
; TotalNumVgprs: 0
; ScratchSize: 0
; MemoryBound: 0
; FloatMode: 240
; IeeeMode: 1
; LDSByteSize: 0 bytes/workgroup (compile time only)
; SGPRBlocks: 0
; VGPRBlocks: 0
; NumSGPRsForWavesPerEU: 4
; NumVGPRsForWavesPerEU: 1
; AccumOffset: 4
; Occupancy: 8
; WaveLimiterHint : 0
; COMPUTE_PGM_RSRC2:SCRATCH_EN: 0
; COMPUTE_PGM_RSRC2:USER_SGPR: 6
; COMPUTE_PGM_RSRC2:TRAP_HANDLER: 0
; COMPUTE_PGM_RSRC2:TGID_X_EN: 1
; COMPUTE_PGM_RSRC2:TGID_Y_EN: 0
; COMPUTE_PGM_RSRC2:TGID_Z_EN: 0
; COMPUTE_PGM_RSRC2:TIDIG_COMP_CNT: 0
; COMPUTE_PGM_RSRC3_GFX90A:ACCUM_OFFSET: 0
; COMPUTE_PGM_RSRC3_GFX90A:TG_SPLIT: 0
	.section	.text._ZN7rocprim17ROCPRIM_400000_NS6detail17trampoline_kernelINS0_14default_configENS1_22reduce_config_selectorIiEEZNS1_11reduce_implILb1ES3_PiS7_iN6hipcub16HIPCUB_304000_NS6detail34convert_binary_result_type_wrapperISt4plusIvENS9_22TransformInputIteratorIiN2at6native8internal21MapNumberOfTrueValuesEPKhlEEiEEEE10hipError_tPvRmT1_T2_T3_mT4_P12ihipStream_tbEUlT_E0_NS1_11comp_targetILNS1_3genE10ELNS1_11target_archE1200ELNS1_3gpuE4ELNS1_3repE0EEENS1_30default_config_static_selectorELNS0_4arch9wavefront6targetE1EEEvSQ_,"axG",@progbits,_ZN7rocprim17ROCPRIM_400000_NS6detail17trampoline_kernelINS0_14default_configENS1_22reduce_config_selectorIiEEZNS1_11reduce_implILb1ES3_PiS7_iN6hipcub16HIPCUB_304000_NS6detail34convert_binary_result_type_wrapperISt4plusIvENS9_22TransformInputIteratorIiN2at6native8internal21MapNumberOfTrueValuesEPKhlEEiEEEE10hipError_tPvRmT1_T2_T3_mT4_P12ihipStream_tbEUlT_E0_NS1_11comp_targetILNS1_3genE10ELNS1_11target_archE1200ELNS1_3gpuE4ELNS1_3repE0EEENS1_30default_config_static_selectorELNS0_4arch9wavefront6targetE1EEEvSQ_,comdat
	.protected	_ZN7rocprim17ROCPRIM_400000_NS6detail17trampoline_kernelINS0_14default_configENS1_22reduce_config_selectorIiEEZNS1_11reduce_implILb1ES3_PiS7_iN6hipcub16HIPCUB_304000_NS6detail34convert_binary_result_type_wrapperISt4plusIvENS9_22TransformInputIteratorIiN2at6native8internal21MapNumberOfTrueValuesEPKhlEEiEEEE10hipError_tPvRmT1_T2_T3_mT4_P12ihipStream_tbEUlT_E0_NS1_11comp_targetILNS1_3genE10ELNS1_11target_archE1200ELNS1_3gpuE4ELNS1_3repE0EEENS1_30default_config_static_selectorELNS0_4arch9wavefront6targetE1EEEvSQ_ ; -- Begin function _ZN7rocprim17ROCPRIM_400000_NS6detail17trampoline_kernelINS0_14default_configENS1_22reduce_config_selectorIiEEZNS1_11reduce_implILb1ES3_PiS7_iN6hipcub16HIPCUB_304000_NS6detail34convert_binary_result_type_wrapperISt4plusIvENS9_22TransformInputIteratorIiN2at6native8internal21MapNumberOfTrueValuesEPKhlEEiEEEE10hipError_tPvRmT1_T2_T3_mT4_P12ihipStream_tbEUlT_E0_NS1_11comp_targetILNS1_3genE10ELNS1_11target_archE1200ELNS1_3gpuE4ELNS1_3repE0EEENS1_30default_config_static_selectorELNS0_4arch9wavefront6targetE1EEEvSQ_
	.globl	_ZN7rocprim17ROCPRIM_400000_NS6detail17trampoline_kernelINS0_14default_configENS1_22reduce_config_selectorIiEEZNS1_11reduce_implILb1ES3_PiS7_iN6hipcub16HIPCUB_304000_NS6detail34convert_binary_result_type_wrapperISt4plusIvENS9_22TransformInputIteratorIiN2at6native8internal21MapNumberOfTrueValuesEPKhlEEiEEEE10hipError_tPvRmT1_T2_T3_mT4_P12ihipStream_tbEUlT_E0_NS1_11comp_targetILNS1_3genE10ELNS1_11target_archE1200ELNS1_3gpuE4ELNS1_3repE0EEENS1_30default_config_static_selectorELNS0_4arch9wavefront6targetE1EEEvSQ_
	.p2align	8
	.type	_ZN7rocprim17ROCPRIM_400000_NS6detail17trampoline_kernelINS0_14default_configENS1_22reduce_config_selectorIiEEZNS1_11reduce_implILb1ES3_PiS7_iN6hipcub16HIPCUB_304000_NS6detail34convert_binary_result_type_wrapperISt4plusIvENS9_22TransformInputIteratorIiN2at6native8internal21MapNumberOfTrueValuesEPKhlEEiEEEE10hipError_tPvRmT1_T2_T3_mT4_P12ihipStream_tbEUlT_E0_NS1_11comp_targetILNS1_3genE10ELNS1_11target_archE1200ELNS1_3gpuE4ELNS1_3repE0EEENS1_30default_config_static_selectorELNS0_4arch9wavefront6targetE1EEEvSQ_,@function
_ZN7rocprim17ROCPRIM_400000_NS6detail17trampoline_kernelINS0_14default_configENS1_22reduce_config_selectorIiEEZNS1_11reduce_implILb1ES3_PiS7_iN6hipcub16HIPCUB_304000_NS6detail34convert_binary_result_type_wrapperISt4plusIvENS9_22TransformInputIteratorIiN2at6native8internal21MapNumberOfTrueValuesEPKhlEEiEEEE10hipError_tPvRmT1_T2_T3_mT4_P12ihipStream_tbEUlT_E0_NS1_11comp_targetILNS1_3genE10ELNS1_11target_archE1200ELNS1_3gpuE4ELNS1_3repE0EEENS1_30default_config_static_selectorELNS0_4arch9wavefront6targetE1EEEvSQ_: ; @_ZN7rocprim17ROCPRIM_400000_NS6detail17trampoline_kernelINS0_14default_configENS1_22reduce_config_selectorIiEEZNS1_11reduce_implILb1ES3_PiS7_iN6hipcub16HIPCUB_304000_NS6detail34convert_binary_result_type_wrapperISt4plusIvENS9_22TransformInputIteratorIiN2at6native8internal21MapNumberOfTrueValuesEPKhlEEiEEEE10hipError_tPvRmT1_T2_T3_mT4_P12ihipStream_tbEUlT_E0_NS1_11comp_targetILNS1_3genE10ELNS1_11target_archE1200ELNS1_3gpuE4ELNS1_3repE0EEENS1_30default_config_static_selectorELNS0_4arch9wavefront6targetE1EEEvSQ_
; %bb.0:
	.section	.rodata,"a",@progbits
	.p2align	6, 0x0
	.amdhsa_kernel _ZN7rocprim17ROCPRIM_400000_NS6detail17trampoline_kernelINS0_14default_configENS1_22reduce_config_selectorIiEEZNS1_11reduce_implILb1ES3_PiS7_iN6hipcub16HIPCUB_304000_NS6detail34convert_binary_result_type_wrapperISt4plusIvENS9_22TransformInputIteratorIiN2at6native8internal21MapNumberOfTrueValuesEPKhlEEiEEEE10hipError_tPvRmT1_T2_T3_mT4_P12ihipStream_tbEUlT_E0_NS1_11comp_targetILNS1_3genE10ELNS1_11target_archE1200ELNS1_3gpuE4ELNS1_3repE0EEENS1_30default_config_static_selectorELNS0_4arch9wavefront6targetE1EEEvSQ_
		.amdhsa_group_segment_fixed_size 0
		.amdhsa_private_segment_fixed_size 0
		.amdhsa_kernarg_size 56
		.amdhsa_user_sgpr_count 6
		.amdhsa_user_sgpr_private_segment_buffer 1
		.amdhsa_user_sgpr_dispatch_ptr 0
		.amdhsa_user_sgpr_queue_ptr 0
		.amdhsa_user_sgpr_kernarg_segment_ptr 1
		.amdhsa_user_sgpr_dispatch_id 0
		.amdhsa_user_sgpr_flat_scratch_init 0
		.amdhsa_user_sgpr_kernarg_preload_length 0
		.amdhsa_user_sgpr_kernarg_preload_offset 0
		.amdhsa_user_sgpr_private_segment_size 0
		.amdhsa_uses_dynamic_stack 0
		.amdhsa_system_sgpr_private_segment_wavefront_offset 0
		.amdhsa_system_sgpr_workgroup_id_x 1
		.amdhsa_system_sgpr_workgroup_id_y 0
		.amdhsa_system_sgpr_workgroup_id_z 0
		.amdhsa_system_sgpr_workgroup_info 0
		.amdhsa_system_vgpr_workitem_id 0
		.amdhsa_next_free_vgpr 1
		.amdhsa_next_free_sgpr 0
		.amdhsa_accum_offset 4
		.amdhsa_reserve_vcc 0
		.amdhsa_reserve_flat_scratch 0
		.amdhsa_float_round_mode_32 0
		.amdhsa_float_round_mode_16_64 0
		.amdhsa_float_denorm_mode_32 3
		.amdhsa_float_denorm_mode_16_64 3
		.amdhsa_dx10_clamp 1
		.amdhsa_ieee_mode 1
		.amdhsa_fp16_overflow 0
		.amdhsa_tg_split 0
		.amdhsa_exception_fp_ieee_invalid_op 0
		.amdhsa_exception_fp_denorm_src 0
		.amdhsa_exception_fp_ieee_div_zero 0
		.amdhsa_exception_fp_ieee_overflow 0
		.amdhsa_exception_fp_ieee_underflow 0
		.amdhsa_exception_fp_ieee_inexact 0
		.amdhsa_exception_int_div_zero 0
	.end_amdhsa_kernel
	.section	.text._ZN7rocprim17ROCPRIM_400000_NS6detail17trampoline_kernelINS0_14default_configENS1_22reduce_config_selectorIiEEZNS1_11reduce_implILb1ES3_PiS7_iN6hipcub16HIPCUB_304000_NS6detail34convert_binary_result_type_wrapperISt4plusIvENS9_22TransformInputIteratorIiN2at6native8internal21MapNumberOfTrueValuesEPKhlEEiEEEE10hipError_tPvRmT1_T2_T3_mT4_P12ihipStream_tbEUlT_E0_NS1_11comp_targetILNS1_3genE10ELNS1_11target_archE1200ELNS1_3gpuE4ELNS1_3repE0EEENS1_30default_config_static_selectorELNS0_4arch9wavefront6targetE1EEEvSQ_,"axG",@progbits,_ZN7rocprim17ROCPRIM_400000_NS6detail17trampoline_kernelINS0_14default_configENS1_22reduce_config_selectorIiEEZNS1_11reduce_implILb1ES3_PiS7_iN6hipcub16HIPCUB_304000_NS6detail34convert_binary_result_type_wrapperISt4plusIvENS9_22TransformInputIteratorIiN2at6native8internal21MapNumberOfTrueValuesEPKhlEEiEEEE10hipError_tPvRmT1_T2_T3_mT4_P12ihipStream_tbEUlT_E0_NS1_11comp_targetILNS1_3genE10ELNS1_11target_archE1200ELNS1_3gpuE4ELNS1_3repE0EEENS1_30default_config_static_selectorELNS0_4arch9wavefront6targetE1EEEvSQ_,comdat
.Lfunc_end103:
	.size	_ZN7rocprim17ROCPRIM_400000_NS6detail17trampoline_kernelINS0_14default_configENS1_22reduce_config_selectorIiEEZNS1_11reduce_implILb1ES3_PiS7_iN6hipcub16HIPCUB_304000_NS6detail34convert_binary_result_type_wrapperISt4plusIvENS9_22TransformInputIteratorIiN2at6native8internal21MapNumberOfTrueValuesEPKhlEEiEEEE10hipError_tPvRmT1_T2_T3_mT4_P12ihipStream_tbEUlT_E0_NS1_11comp_targetILNS1_3genE10ELNS1_11target_archE1200ELNS1_3gpuE4ELNS1_3repE0EEENS1_30default_config_static_selectorELNS0_4arch9wavefront6targetE1EEEvSQ_, .Lfunc_end103-_ZN7rocprim17ROCPRIM_400000_NS6detail17trampoline_kernelINS0_14default_configENS1_22reduce_config_selectorIiEEZNS1_11reduce_implILb1ES3_PiS7_iN6hipcub16HIPCUB_304000_NS6detail34convert_binary_result_type_wrapperISt4plusIvENS9_22TransformInputIteratorIiN2at6native8internal21MapNumberOfTrueValuesEPKhlEEiEEEE10hipError_tPvRmT1_T2_T3_mT4_P12ihipStream_tbEUlT_E0_NS1_11comp_targetILNS1_3genE10ELNS1_11target_archE1200ELNS1_3gpuE4ELNS1_3repE0EEENS1_30default_config_static_selectorELNS0_4arch9wavefront6targetE1EEEvSQ_
                                        ; -- End function
	.section	.AMDGPU.csdata,"",@progbits
; Kernel info:
; codeLenInByte = 0
; NumSgprs: 4
; NumVgprs: 0
; NumAgprs: 0
; TotalNumVgprs: 0
; ScratchSize: 0
; MemoryBound: 0
; FloatMode: 240
; IeeeMode: 1
; LDSByteSize: 0 bytes/workgroup (compile time only)
; SGPRBlocks: 0
; VGPRBlocks: 0
; NumSGPRsForWavesPerEU: 4
; NumVGPRsForWavesPerEU: 1
; AccumOffset: 4
; Occupancy: 8
; WaveLimiterHint : 0
; COMPUTE_PGM_RSRC2:SCRATCH_EN: 0
; COMPUTE_PGM_RSRC2:USER_SGPR: 6
; COMPUTE_PGM_RSRC2:TRAP_HANDLER: 0
; COMPUTE_PGM_RSRC2:TGID_X_EN: 1
; COMPUTE_PGM_RSRC2:TGID_Y_EN: 0
; COMPUTE_PGM_RSRC2:TGID_Z_EN: 0
; COMPUTE_PGM_RSRC2:TIDIG_COMP_CNT: 0
; COMPUTE_PGM_RSRC3_GFX90A:ACCUM_OFFSET: 0
; COMPUTE_PGM_RSRC3_GFX90A:TG_SPLIT: 0
	.section	.text._ZN7rocprim17ROCPRIM_400000_NS6detail17trampoline_kernelINS0_14default_configENS1_22reduce_config_selectorIiEEZNS1_11reduce_implILb1ES3_PiS7_iN6hipcub16HIPCUB_304000_NS6detail34convert_binary_result_type_wrapperISt4plusIvENS9_22TransformInputIteratorIiN2at6native8internal21MapNumberOfTrueValuesEPKhlEEiEEEE10hipError_tPvRmT1_T2_T3_mT4_P12ihipStream_tbEUlT_E0_NS1_11comp_targetILNS1_3genE9ELNS1_11target_archE1100ELNS1_3gpuE3ELNS1_3repE0EEENS1_30default_config_static_selectorELNS0_4arch9wavefront6targetE1EEEvSQ_,"axG",@progbits,_ZN7rocprim17ROCPRIM_400000_NS6detail17trampoline_kernelINS0_14default_configENS1_22reduce_config_selectorIiEEZNS1_11reduce_implILb1ES3_PiS7_iN6hipcub16HIPCUB_304000_NS6detail34convert_binary_result_type_wrapperISt4plusIvENS9_22TransformInputIteratorIiN2at6native8internal21MapNumberOfTrueValuesEPKhlEEiEEEE10hipError_tPvRmT1_T2_T3_mT4_P12ihipStream_tbEUlT_E0_NS1_11comp_targetILNS1_3genE9ELNS1_11target_archE1100ELNS1_3gpuE3ELNS1_3repE0EEENS1_30default_config_static_selectorELNS0_4arch9wavefront6targetE1EEEvSQ_,comdat
	.protected	_ZN7rocprim17ROCPRIM_400000_NS6detail17trampoline_kernelINS0_14default_configENS1_22reduce_config_selectorIiEEZNS1_11reduce_implILb1ES3_PiS7_iN6hipcub16HIPCUB_304000_NS6detail34convert_binary_result_type_wrapperISt4plusIvENS9_22TransformInputIteratorIiN2at6native8internal21MapNumberOfTrueValuesEPKhlEEiEEEE10hipError_tPvRmT1_T2_T3_mT4_P12ihipStream_tbEUlT_E0_NS1_11comp_targetILNS1_3genE9ELNS1_11target_archE1100ELNS1_3gpuE3ELNS1_3repE0EEENS1_30default_config_static_selectorELNS0_4arch9wavefront6targetE1EEEvSQ_ ; -- Begin function _ZN7rocprim17ROCPRIM_400000_NS6detail17trampoline_kernelINS0_14default_configENS1_22reduce_config_selectorIiEEZNS1_11reduce_implILb1ES3_PiS7_iN6hipcub16HIPCUB_304000_NS6detail34convert_binary_result_type_wrapperISt4plusIvENS9_22TransformInputIteratorIiN2at6native8internal21MapNumberOfTrueValuesEPKhlEEiEEEE10hipError_tPvRmT1_T2_T3_mT4_P12ihipStream_tbEUlT_E0_NS1_11comp_targetILNS1_3genE9ELNS1_11target_archE1100ELNS1_3gpuE3ELNS1_3repE0EEENS1_30default_config_static_selectorELNS0_4arch9wavefront6targetE1EEEvSQ_
	.globl	_ZN7rocprim17ROCPRIM_400000_NS6detail17trampoline_kernelINS0_14default_configENS1_22reduce_config_selectorIiEEZNS1_11reduce_implILb1ES3_PiS7_iN6hipcub16HIPCUB_304000_NS6detail34convert_binary_result_type_wrapperISt4plusIvENS9_22TransformInputIteratorIiN2at6native8internal21MapNumberOfTrueValuesEPKhlEEiEEEE10hipError_tPvRmT1_T2_T3_mT4_P12ihipStream_tbEUlT_E0_NS1_11comp_targetILNS1_3genE9ELNS1_11target_archE1100ELNS1_3gpuE3ELNS1_3repE0EEENS1_30default_config_static_selectorELNS0_4arch9wavefront6targetE1EEEvSQ_
	.p2align	8
	.type	_ZN7rocprim17ROCPRIM_400000_NS6detail17trampoline_kernelINS0_14default_configENS1_22reduce_config_selectorIiEEZNS1_11reduce_implILb1ES3_PiS7_iN6hipcub16HIPCUB_304000_NS6detail34convert_binary_result_type_wrapperISt4plusIvENS9_22TransformInputIteratorIiN2at6native8internal21MapNumberOfTrueValuesEPKhlEEiEEEE10hipError_tPvRmT1_T2_T3_mT4_P12ihipStream_tbEUlT_E0_NS1_11comp_targetILNS1_3genE9ELNS1_11target_archE1100ELNS1_3gpuE3ELNS1_3repE0EEENS1_30default_config_static_selectorELNS0_4arch9wavefront6targetE1EEEvSQ_,@function
_ZN7rocprim17ROCPRIM_400000_NS6detail17trampoline_kernelINS0_14default_configENS1_22reduce_config_selectorIiEEZNS1_11reduce_implILb1ES3_PiS7_iN6hipcub16HIPCUB_304000_NS6detail34convert_binary_result_type_wrapperISt4plusIvENS9_22TransformInputIteratorIiN2at6native8internal21MapNumberOfTrueValuesEPKhlEEiEEEE10hipError_tPvRmT1_T2_T3_mT4_P12ihipStream_tbEUlT_E0_NS1_11comp_targetILNS1_3genE9ELNS1_11target_archE1100ELNS1_3gpuE3ELNS1_3repE0EEENS1_30default_config_static_selectorELNS0_4arch9wavefront6targetE1EEEvSQ_: ; @_ZN7rocprim17ROCPRIM_400000_NS6detail17trampoline_kernelINS0_14default_configENS1_22reduce_config_selectorIiEEZNS1_11reduce_implILb1ES3_PiS7_iN6hipcub16HIPCUB_304000_NS6detail34convert_binary_result_type_wrapperISt4plusIvENS9_22TransformInputIteratorIiN2at6native8internal21MapNumberOfTrueValuesEPKhlEEiEEEE10hipError_tPvRmT1_T2_T3_mT4_P12ihipStream_tbEUlT_E0_NS1_11comp_targetILNS1_3genE9ELNS1_11target_archE1100ELNS1_3gpuE3ELNS1_3repE0EEENS1_30default_config_static_selectorELNS0_4arch9wavefront6targetE1EEEvSQ_
; %bb.0:
	.section	.rodata,"a",@progbits
	.p2align	6, 0x0
	.amdhsa_kernel _ZN7rocprim17ROCPRIM_400000_NS6detail17trampoline_kernelINS0_14default_configENS1_22reduce_config_selectorIiEEZNS1_11reduce_implILb1ES3_PiS7_iN6hipcub16HIPCUB_304000_NS6detail34convert_binary_result_type_wrapperISt4plusIvENS9_22TransformInputIteratorIiN2at6native8internal21MapNumberOfTrueValuesEPKhlEEiEEEE10hipError_tPvRmT1_T2_T3_mT4_P12ihipStream_tbEUlT_E0_NS1_11comp_targetILNS1_3genE9ELNS1_11target_archE1100ELNS1_3gpuE3ELNS1_3repE0EEENS1_30default_config_static_selectorELNS0_4arch9wavefront6targetE1EEEvSQ_
		.amdhsa_group_segment_fixed_size 0
		.amdhsa_private_segment_fixed_size 0
		.amdhsa_kernarg_size 56
		.amdhsa_user_sgpr_count 6
		.amdhsa_user_sgpr_private_segment_buffer 1
		.amdhsa_user_sgpr_dispatch_ptr 0
		.amdhsa_user_sgpr_queue_ptr 0
		.amdhsa_user_sgpr_kernarg_segment_ptr 1
		.amdhsa_user_sgpr_dispatch_id 0
		.amdhsa_user_sgpr_flat_scratch_init 0
		.amdhsa_user_sgpr_kernarg_preload_length 0
		.amdhsa_user_sgpr_kernarg_preload_offset 0
		.amdhsa_user_sgpr_private_segment_size 0
		.amdhsa_uses_dynamic_stack 0
		.amdhsa_system_sgpr_private_segment_wavefront_offset 0
		.amdhsa_system_sgpr_workgroup_id_x 1
		.amdhsa_system_sgpr_workgroup_id_y 0
		.amdhsa_system_sgpr_workgroup_id_z 0
		.amdhsa_system_sgpr_workgroup_info 0
		.amdhsa_system_vgpr_workitem_id 0
		.amdhsa_next_free_vgpr 1
		.amdhsa_next_free_sgpr 0
		.amdhsa_accum_offset 4
		.amdhsa_reserve_vcc 0
		.amdhsa_reserve_flat_scratch 0
		.amdhsa_float_round_mode_32 0
		.amdhsa_float_round_mode_16_64 0
		.amdhsa_float_denorm_mode_32 3
		.amdhsa_float_denorm_mode_16_64 3
		.amdhsa_dx10_clamp 1
		.amdhsa_ieee_mode 1
		.amdhsa_fp16_overflow 0
		.amdhsa_tg_split 0
		.amdhsa_exception_fp_ieee_invalid_op 0
		.amdhsa_exception_fp_denorm_src 0
		.amdhsa_exception_fp_ieee_div_zero 0
		.amdhsa_exception_fp_ieee_overflow 0
		.amdhsa_exception_fp_ieee_underflow 0
		.amdhsa_exception_fp_ieee_inexact 0
		.amdhsa_exception_int_div_zero 0
	.end_amdhsa_kernel
	.section	.text._ZN7rocprim17ROCPRIM_400000_NS6detail17trampoline_kernelINS0_14default_configENS1_22reduce_config_selectorIiEEZNS1_11reduce_implILb1ES3_PiS7_iN6hipcub16HIPCUB_304000_NS6detail34convert_binary_result_type_wrapperISt4plusIvENS9_22TransformInputIteratorIiN2at6native8internal21MapNumberOfTrueValuesEPKhlEEiEEEE10hipError_tPvRmT1_T2_T3_mT4_P12ihipStream_tbEUlT_E0_NS1_11comp_targetILNS1_3genE9ELNS1_11target_archE1100ELNS1_3gpuE3ELNS1_3repE0EEENS1_30default_config_static_selectorELNS0_4arch9wavefront6targetE1EEEvSQ_,"axG",@progbits,_ZN7rocprim17ROCPRIM_400000_NS6detail17trampoline_kernelINS0_14default_configENS1_22reduce_config_selectorIiEEZNS1_11reduce_implILb1ES3_PiS7_iN6hipcub16HIPCUB_304000_NS6detail34convert_binary_result_type_wrapperISt4plusIvENS9_22TransformInputIteratorIiN2at6native8internal21MapNumberOfTrueValuesEPKhlEEiEEEE10hipError_tPvRmT1_T2_T3_mT4_P12ihipStream_tbEUlT_E0_NS1_11comp_targetILNS1_3genE9ELNS1_11target_archE1100ELNS1_3gpuE3ELNS1_3repE0EEENS1_30default_config_static_selectorELNS0_4arch9wavefront6targetE1EEEvSQ_,comdat
.Lfunc_end104:
	.size	_ZN7rocprim17ROCPRIM_400000_NS6detail17trampoline_kernelINS0_14default_configENS1_22reduce_config_selectorIiEEZNS1_11reduce_implILb1ES3_PiS7_iN6hipcub16HIPCUB_304000_NS6detail34convert_binary_result_type_wrapperISt4plusIvENS9_22TransformInputIteratorIiN2at6native8internal21MapNumberOfTrueValuesEPKhlEEiEEEE10hipError_tPvRmT1_T2_T3_mT4_P12ihipStream_tbEUlT_E0_NS1_11comp_targetILNS1_3genE9ELNS1_11target_archE1100ELNS1_3gpuE3ELNS1_3repE0EEENS1_30default_config_static_selectorELNS0_4arch9wavefront6targetE1EEEvSQ_, .Lfunc_end104-_ZN7rocprim17ROCPRIM_400000_NS6detail17trampoline_kernelINS0_14default_configENS1_22reduce_config_selectorIiEEZNS1_11reduce_implILb1ES3_PiS7_iN6hipcub16HIPCUB_304000_NS6detail34convert_binary_result_type_wrapperISt4plusIvENS9_22TransformInputIteratorIiN2at6native8internal21MapNumberOfTrueValuesEPKhlEEiEEEE10hipError_tPvRmT1_T2_T3_mT4_P12ihipStream_tbEUlT_E0_NS1_11comp_targetILNS1_3genE9ELNS1_11target_archE1100ELNS1_3gpuE3ELNS1_3repE0EEENS1_30default_config_static_selectorELNS0_4arch9wavefront6targetE1EEEvSQ_
                                        ; -- End function
	.section	.AMDGPU.csdata,"",@progbits
; Kernel info:
; codeLenInByte = 0
; NumSgprs: 4
; NumVgprs: 0
; NumAgprs: 0
; TotalNumVgprs: 0
; ScratchSize: 0
; MemoryBound: 0
; FloatMode: 240
; IeeeMode: 1
; LDSByteSize: 0 bytes/workgroup (compile time only)
; SGPRBlocks: 0
; VGPRBlocks: 0
; NumSGPRsForWavesPerEU: 4
; NumVGPRsForWavesPerEU: 1
; AccumOffset: 4
; Occupancy: 8
; WaveLimiterHint : 0
; COMPUTE_PGM_RSRC2:SCRATCH_EN: 0
; COMPUTE_PGM_RSRC2:USER_SGPR: 6
; COMPUTE_PGM_RSRC2:TRAP_HANDLER: 0
; COMPUTE_PGM_RSRC2:TGID_X_EN: 1
; COMPUTE_PGM_RSRC2:TGID_Y_EN: 0
; COMPUTE_PGM_RSRC2:TGID_Z_EN: 0
; COMPUTE_PGM_RSRC2:TIDIG_COMP_CNT: 0
; COMPUTE_PGM_RSRC3_GFX90A:ACCUM_OFFSET: 0
; COMPUTE_PGM_RSRC3_GFX90A:TG_SPLIT: 0
	.section	.text._ZN7rocprim17ROCPRIM_400000_NS6detail17trampoline_kernelINS0_14default_configENS1_22reduce_config_selectorIiEEZNS1_11reduce_implILb1ES3_PiS7_iN6hipcub16HIPCUB_304000_NS6detail34convert_binary_result_type_wrapperISt4plusIvENS9_22TransformInputIteratorIiN2at6native8internal21MapNumberOfTrueValuesEPKhlEEiEEEE10hipError_tPvRmT1_T2_T3_mT4_P12ihipStream_tbEUlT_E0_NS1_11comp_targetILNS1_3genE8ELNS1_11target_archE1030ELNS1_3gpuE2ELNS1_3repE0EEENS1_30default_config_static_selectorELNS0_4arch9wavefront6targetE1EEEvSQ_,"axG",@progbits,_ZN7rocprim17ROCPRIM_400000_NS6detail17trampoline_kernelINS0_14default_configENS1_22reduce_config_selectorIiEEZNS1_11reduce_implILb1ES3_PiS7_iN6hipcub16HIPCUB_304000_NS6detail34convert_binary_result_type_wrapperISt4plusIvENS9_22TransformInputIteratorIiN2at6native8internal21MapNumberOfTrueValuesEPKhlEEiEEEE10hipError_tPvRmT1_T2_T3_mT4_P12ihipStream_tbEUlT_E0_NS1_11comp_targetILNS1_3genE8ELNS1_11target_archE1030ELNS1_3gpuE2ELNS1_3repE0EEENS1_30default_config_static_selectorELNS0_4arch9wavefront6targetE1EEEvSQ_,comdat
	.protected	_ZN7rocprim17ROCPRIM_400000_NS6detail17trampoline_kernelINS0_14default_configENS1_22reduce_config_selectorIiEEZNS1_11reduce_implILb1ES3_PiS7_iN6hipcub16HIPCUB_304000_NS6detail34convert_binary_result_type_wrapperISt4plusIvENS9_22TransformInputIteratorIiN2at6native8internal21MapNumberOfTrueValuesEPKhlEEiEEEE10hipError_tPvRmT1_T2_T3_mT4_P12ihipStream_tbEUlT_E0_NS1_11comp_targetILNS1_3genE8ELNS1_11target_archE1030ELNS1_3gpuE2ELNS1_3repE0EEENS1_30default_config_static_selectorELNS0_4arch9wavefront6targetE1EEEvSQ_ ; -- Begin function _ZN7rocprim17ROCPRIM_400000_NS6detail17trampoline_kernelINS0_14default_configENS1_22reduce_config_selectorIiEEZNS1_11reduce_implILb1ES3_PiS7_iN6hipcub16HIPCUB_304000_NS6detail34convert_binary_result_type_wrapperISt4plusIvENS9_22TransformInputIteratorIiN2at6native8internal21MapNumberOfTrueValuesEPKhlEEiEEEE10hipError_tPvRmT1_T2_T3_mT4_P12ihipStream_tbEUlT_E0_NS1_11comp_targetILNS1_3genE8ELNS1_11target_archE1030ELNS1_3gpuE2ELNS1_3repE0EEENS1_30default_config_static_selectorELNS0_4arch9wavefront6targetE1EEEvSQ_
	.globl	_ZN7rocprim17ROCPRIM_400000_NS6detail17trampoline_kernelINS0_14default_configENS1_22reduce_config_selectorIiEEZNS1_11reduce_implILb1ES3_PiS7_iN6hipcub16HIPCUB_304000_NS6detail34convert_binary_result_type_wrapperISt4plusIvENS9_22TransformInputIteratorIiN2at6native8internal21MapNumberOfTrueValuesEPKhlEEiEEEE10hipError_tPvRmT1_T2_T3_mT4_P12ihipStream_tbEUlT_E0_NS1_11comp_targetILNS1_3genE8ELNS1_11target_archE1030ELNS1_3gpuE2ELNS1_3repE0EEENS1_30default_config_static_selectorELNS0_4arch9wavefront6targetE1EEEvSQ_
	.p2align	8
	.type	_ZN7rocprim17ROCPRIM_400000_NS6detail17trampoline_kernelINS0_14default_configENS1_22reduce_config_selectorIiEEZNS1_11reduce_implILb1ES3_PiS7_iN6hipcub16HIPCUB_304000_NS6detail34convert_binary_result_type_wrapperISt4plusIvENS9_22TransformInputIteratorIiN2at6native8internal21MapNumberOfTrueValuesEPKhlEEiEEEE10hipError_tPvRmT1_T2_T3_mT4_P12ihipStream_tbEUlT_E0_NS1_11comp_targetILNS1_3genE8ELNS1_11target_archE1030ELNS1_3gpuE2ELNS1_3repE0EEENS1_30default_config_static_selectorELNS0_4arch9wavefront6targetE1EEEvSQ_,@function
_ZN7rocprim17ROCPRIM_400000_NS6detail17trampoline_kernelINS0_14default_configENS1_22reduce_config_selectorIiEEZNS1_11reduce_implILb1ES3_PiS7_iN6hipcub16HIPCUB_304000_NS6detail34convert_binary_result_type_wrapperISt4plusIvENS9_22TransformInputIteratorIiN2at6native8internal21MapNumberOfTrueValuesEPKhlEEiEEEE10hipError_tPvRmT1_T2_T3_mT4_P12ihipStream_tbEUlT_E0_NS1_11comp_targetILNS1_3genE8ELNS1_11target_archE1030ELNS1_3gpuE2ELNS1_3repE0EEENS1_30default_config_static_selectorELNS0_4arch9wavefront6targetE1EEEvSQ_: ; @_ZN7rocprim17ROCPRIM_400000_NS6detail17trampoline_kernelINS0_14default_configENS1_22reduce_config_selectorIiEEZNS1_11reduce_implILb1ES3_PiS7_iN6hipcub16HIPCUB_304000_NS6detail34convert_binary_result_type_wrapperISt4plusIvENS9_22TransformInputIteratorIiN2at6native8internal21MapNumberOfTrueValuesEPKhlEEiEEEE10hipError_tPvRmT1_T2_T3_mT4_P12ihipStream_tbEUlT_E0_NS1_11comp_targetILNS1_3genE8ELNS1_11target_archE1030ELNS1_3gpuE2ELNS1_3repE0EEENS1_30default_config_static_selectorELNS0_4arch9wavefront6targetE1EEEvSQ_
; %bb.0:
	.section	.rodata,"a",@progbits
	.p2align	6, 0x0
	.amdhsa_kernel _ZN7rocprim17ROCPRIM_400000_NS6detail17trampoline_kernelINS0_14default_configENS1_22reduce_config_selectorIiEEZNS1_11reduce_implILb1ES3_PiS7_iN6hipcub16HIPCUB_304000_NS6detail34convert_binary_result_type_wrapperISt4plusIvENS9_22TransformInputIteratorIiN2at6native8internal21MapNumberOfTrueValuesEPKhlEEiEEEE10hipError_tPvRmT1_T2_T3_mT4_P12ihipStream_tbEUlT_E0_NS1_11comp_targetILNS1_3genE8ELNS1_11target_archE1030ELNS1_3gpuE2ELNS1_3repE0EEENS1_30default_config_static_selectorELNS0_4arch9wavefront6targetE1EEEvSQ_
		.amdhsa_group_segment_fixed_size 0
		.amdhsa_private_segment_fixed_size 0
		.amdhsa_kernarg_size 56
		.amdhsa_user_sgpr_count 6
		.amdhsa_user_sgpr_private_segment_buffer 1
		.amdhsa_user_sgpr_dispatch_ptr 0
		.amdhsa_user_sgpr_queue_ptr 0
		.amdhsa_user_sgpr_kernarg_segment_ptr 1
		.amdhsa_user_sgpr_dispatch_id 0
		.amdhsa_user_sgpr_flat_scratch_init 0
		.amdhsa_user_sgpr_kernarg_preload_length 0
		.amdhsa_user_sgpr_kernarg_preload_offset 0
		.amdhsa_user_sgpr_private_segment_size 0
		.amdhsa_uses_dynamic_stack 0
		.amdhsa_system_sgpr_private_segment_wavefront_offset 0
		.amdhsa_system_sgpr_workgroup_id_x 1
		.amdhsa_system_sgpr_workgroup_id_y 0
		.amdhsa_system_sgpr_workgroup_id_z 0
		.amdhsa_system_sgpr_workgroup_info 0
		.amdhsa_system_vgpr_workitem_id 0
		.amdhsa_next_free_vgpr 1
		.amdhsa_next_free_sgpr 0
		.amdhsa_accum_offset 4
		.amdhsa_reserve_vcc 0
		.amdhsa_reserve_flat_scratch 0
		.amdhsa_float_round_mode_32 0
		.amdhsa_float_round_mode_16_64 0
		.amdhsa_float_denorm_mode_32 3
		.amdhsa_float_denorm_mode_16_64 3
		.amdhsa_dx10_clamp 1
		.amdhsa_ieee_mode 1
		.amdhsa_fp16_overflow 0
		.amdhsa_tg_split 0
		.amdhsa_exception_fp_ieee_invalid_op 0
		.amdhsa_exception_fp_denorm_src 0
		.amdhsa_exception_fp_ieee_div_zero 0
		.amdhsa_exception_fp_ieee_overflow 0
		.amdhsa_exception_fp_ieee_underflow 0
		.amdhsa_exception_fp_ieee_inexact 0
		.amdhsa_exception_int_div_zero 0
	.end_amdhsa_kernel
	.section	.text._ZN7rocprim17ROCPRIM_400000_NS6detail17trampoline_kernelINS0_14default_configENS1_22reduce_config_selectorIiEEZNS1_11reduce_implILb1ES3_PiS7_iN6hipcub16HIPCUB_304000_NS6detail34convert_binary_result_type_wrapperISt4plusIvENS9_22TransformInputIteratorIiN2at6native8internal21MapNumberOfTrueValuesEPKhlEEiEEEE10hipError_tPvRmT1_T2_T3_mT4_P12ihipStream_tbEUlT_E0_NS1_11comp_targetILNS1_3genE8ELNS1_11target_archE1030ELNS1_3gpuE2ELNS1_3repE0EEENS1_30default_config_static_selectorELNS0_4arch9wavefront6targetE1EEEvSQ_,"axG",@progbits,_ZN7rocprim17ROCPRIM_400000_NS6detail17trampoline_kernelINS0_14default_configENS1_22reduce_config_selectorIiEEZNS1_11reduce_implILb1ES3_PiS7_iN6hipcub16HIPCUB_304000_NS6detail34convert_binary_result_type_wrapperISt4plusIvENS9_22TransformInputIteratorIiN2at6native8internal21MapNumberOfTrueValuesEPKhlEEiEEEE10hipError_tPvRmT1_T2_T3_mT4_P12ihipStream_tbEUlT_E0_NS1_11comp_targetILNS1_3genE8ELNS1_11target_archE1030ELNS1_3gpuE2ELNS1_3repE0EEENS1_30default_config_static_selectorELNS0_4arch9wavefront6targetE1EEEvSQ_,comdat
.Lfunc_end105:
	.size	_ZN7rocprim17ROCPRIM_400000_NS6detail17trampoline_kernelINS0_14default_configENS1_22reduce_config_selectorIiEEZNS1_11reduce_implILb1ES3_PiS7_iN6hipcub16HIPCUB_304000_NS6detail34convert_binary_result_type_wrapperISt4plusIvENS9_22TransformInputIteratorIiN2at6native8internal21MapNumberOfTrueValuesEPKhlEEiEEEE10hipError_tPvRmT1_T2_T3_mT4_P12ihipStream_tbEUlT_E0_NS1_11comp_targetILNS1_3genE8ELNS1_11target_archE1030ELNS1_3gpuE2ELNS1_3repE0EEENS1_30default_config_static_selectorELNS0_4arch9wavefront6targetE1EEEvSQ_, .Lfunc_end105-_ZN7rocprim17ROCPRIM_400000_NS6detail17trampoline_kernelINS0_14default_configENS1_22reduce_config_selectorIiEEZNS1_11reduce_implILb1ES3_PiS7_iN6hipcub16HIPCUB_304000_NS6detail34convert_binary_result_type_wrapperISt4plusIvENS9_22TransformInputIteratorIiN2at6native8internal21MapNumberOfTrueValuesEPKhlEEiEEEE10hipError_tPvRmT1_T2_T3_mT4_P12ihipStream_tbEUlT_E0_NS1_11comp_targetILNS1_3genE8ELNS1_11target_archE1030ELNS1_3gpuE2ELNS1_3repE0EEENS1_30default_config_static_selectorELNS0_4arch9wavefront6targetE1EEEvSQ_
                                        ; -- End function
	.section	.AMDGPU.csdata,"",@progbits
; Kernel info:
; codeLenInByte = 0
; NumSgprs: 4
; NumVgprs: 0
; NumAgprs: 0
; TotalNumVgprs: 0
; ScratchSize: 0
; MemoryBound: 0
; FloatMode: 240
; IeeeMode: 1
; LDSByteSize: 0 bytes/workgroup (compile time only)
; SGPRBlocks: 0
; VGPRBlocks: 0
; NumSGPRsForWavesPerEU: 4
; NumVGPRsForWavesPerEU: 1
; AccumOffset: 4
; Occupancy: 8
; WaveLimiterHint : 0
; COMPUTE_PGM_RSRC2:SCRATCH_EN: 0
; COMPUTE_PGM_RSRC2:USER_SGPR: 6
; COMPUTE_PGM_RSRC2:TRAP_HANDLER: 0
; COMPUTE_PGM_RSRC2:TGID_X_EN: 1
; COMPUTE_PGM_RSRC2:TGID_Y_EN: 0
; COMPUTE_PGM_RSRC2:TGID_Z_EN: 0
; COMPUTE_PGM_RSRC2:TIDIG_COMP_CNT: 0
; COMPUTE_PGM_RSRC3_GFX90A:ACCUM_OFFSET: 0
; COMPUTE_PGM_RSRC3_GFX90A:TG_SPLIT: 0
	.section	.text._ZN7rocprim17ROCPRIM_400000_NS6detail17trampoline_kernelINS0_14default_configENS1_22reduce_config_selectorIiEEZNS1_11reduce_implILb1ES3_PiS7_iN6hipcub16HIPCUB_304000_NS6detail34convert_binary_result_type_wrapperISt4plusIvENS9_22TransformInputIteratorIiN2at6native8internal21MapNumberOfTrueValuesEPKhlEEiEEEE10hipError_tPvRmT1_T2_T3_mT4_P12ihipStream_tbEUlT_E1_NS1_11comp_targetILNS1_3genE0ELNS1_11target_archE4294967295ELNS1_3gpuE0ELNS1_3repE0EEENS1_30default_config_static_selectorELNS0_4arch9wavefront6targetE1EEEvSQ_,"axG",@progbits,_ZN7rocprim17ROCPRIM_400000_NS6detail17trampoline_kernelINS0_14default_configENS1_22reduce_config_selectorIiEEZNS1_11reduce_implILb1ES3_PiS7_iN6hipcub16HIPCUB_304000_NS6detail34convert_binary_result_type_wrapperISt4plusIvENS9_22TransformInputIteratorIiN2at6native8internal21MapNumberOfTrueValuesEPKhlEEiEEEE10hipError_tPvRmT1_T2_T3_mT4_P12ihipStream_tbEUlT_E1_NS1_11comp_targetILNS1_3genE0ELNS1_11target_archE4294967295ELNS1_3gpuE0ELNS1_3repE0EEENS1_30default_config_static_selectorELNS0_4arch9wavefront6targetE1EEEvSQ_,comdat
	.protected	_ZN7rocprim17ROCPRIM_400000_NS6detail17trampoline_kernelINS0_14default_configENS1_22reduce_config_selectorIiEEZNS1_11reduce_implILb1ES3_PiS7_iN6hipcub16HIPCUB_304000_NS6detail34convert_binary_result_type_wrapperISt4plusIvENS9_22TransformInputIteratorIiN2at6native8internal21MapNumberOfTrueValuesEPKhlEEiEEEE10hipError_tPvRmT1_T2_T3_mT4_P12ihipStream_tbEUlT_E1_NS1_11comp_targetILNS1_3genE0ELNS1_11target_archE4294967295ELNS1_3gpuE0ELNS1_3repE0EEENS1_30default_config_static_selectorELNS0_4arch9wavefront6targetE1EEEvSQ_ ; -- Begin function _ZN7rocprim17ROCPRIM_400000_NS6detail17trampoline_kernelINS0_14default_configENS1_22reduce_config_selectorIiEEZNS1_11reduce_implILb1ES3_PiS7_iN6hipcub16HIPCUB_304000_NS6detail34convert_binary_result_type_wrapperISt4plusIvENS9_22TransformInputIteratorIiN2at6native8internal21MapNumberOfTrueValuesEPKhlEEiEEEE10hipError_tPvRmT1_T2_T3_mT4_P12ihipStream_tbEUlT_E1_NS1_11comp_targetILNS1_3genE0ELNS1_11target_archE4294967295ELNS1_3gpuE0ELNS1_3repE0EEENS1_30default_config_static_selectorELNS0_4arch9wavefront6targetE1EEEvSQ_
	.globl	_ZN7rocprim17ROCPRIM_400000_NS6detail17trampoline_kernelINS0_14default_configENS1_22reduce_config_selectorIiEEZNS1_11reduce_implILb1ES3_PiS7_iN6hipcub16HIPCUB_304000_NS6detail34convert_binary_result_type_wrapperISt4plusIvENS9_22TransformInputIteratorIiN2at6native8internal21MapNumberOfTrueValuesEPKhlEEiEEEE10hipError_tPvRmT1_T2_T3_mT4_P12ihipStream_tbEUlT_E1_NS1_11comp_targetILNS1_3genE0ELNS1_11target_archE4294967295ELNS1_3gpuE0ELNS1_3repE0EEENS1_30default_config_static_selectorELNS0_4arch9wavefront6targetE1EEEvSQ_
	.p2align	8
	.type	_ZN7rocprim17ROCPRIM_400000_NS6detail17trampoline_kernelINS0_14default_configENS1_22reduce_config_selectorIiEEZNS1_11reduce_implILb1ES3_PiS7_iN6hipcub16HIPCUB_304000_NS6detail34convert_binary_result_type_wrapperISt4plusIvENS9_22TransformInputIteratorIiN2at6native8internal21MapNumberOfTrueValuesEPKhlEEiEEEE10hipError_tPvRmT1_T2_T3_mT4_P12ihipStream_tbEUlT_E1_NS1_11comp_targetILNS1_3genE0ELNS1_11target_archE4294967295ELNS1_3gpuE0ELNS1_3repE0EEENS1_30default_config_static_selectorELNS0_4arch9wavefront6targetE1EEEvSQ_,@function
_ZN7rocprim17ROCPRIM_400000_NS6detail17trampoline_kernelINS0_14default_configENS1_22reduce_config_selectorIiEEZNS1_11reduce_implILb1ES3_PiS7_iN6hipcub16HIPCUB_304000_NS6detail34convert_binary_result_type_wrapperISt4plusIvENS9_22TransformInputIteratorIiN2at6native8internal21MapNumberOfTrueValuesEPKhlEEiEEEE10hipError_tPvRmT1_T2_T3_mT4_P12ihipStream_tbEUlT_E1_NS1_11comp_targetILNS1_3genE0ELNS1_11target_archE4294967295ELNS1_3gpuE0ELNS1_3repE0EEENS1_30default_config_static_selectorELNS0_4arch9wavefront6targetE1EEEvSQ_: ; @_ZN7rocprim17ROCPRIM_400000_NS6detail17trampoline_kernelINS0_14default_configENS1_22reduce_config_selectorIiEEZNS1_11reduce_implILb1ES3_PiS7_iN6hipcub16HIPCUB_304000_NS6detail34convert_binary_result_type_wrapperISt4plusIvENS9_22TransformInputIteratorIiN2at6native8internal21MapNumberOfTrueValuesEPKhlEEiEEEE10hipError_tPvRmT1_T2_T3_mT4_P12ihipStream_tbEUlT_E1_NS1_11comp_targetILNS1_3genE0ELNS1_11target_archE4294967295ELNS1_3gpuE0ELNS1_3repE0EEENS1_30default_config_static_selectorELNS0_4arch9wavefront6targetE1EEEvSQ_
; %bb.0:
	.section	.rodata,"a",@progbits
	.p2align	6, 0x0
	.amdhsa_kernel _ZN7rocprim17ROCPRIM_400000_NS6detail17trampoline_kernelINS0_14default_configENS1_22reduce_config_selectorIiEEZNS1_11reduce_implILb1ES3_PiS7_iN6hipcub16HIPCUB_304000_NS6detail34convert_binary_result_type_wrapperISt4plusIvENS9_22TransformInputIteratorIiN2at6native8internal21MapNumberOfTrueValuesEPKhlEEiEEEE10hipError_tPvRmT1_T2_T3_mT4_P12ihipStream_tbEUlT_E1_NS1_11comp_targetILNS1_3genE0ELNS1_11target_archE4294967295ELNS1_3gpuE0ELNS1_3repE0EEENS1_30default_config_static_selectorELNS0_4arch9wavefront6targetE1EEEvSQ_
		.amdhsa_group_segment_fixed_size 0
		.amdhsa_private_segment_fixed_size 0
		.amdhsa_kernarg_size 40
		.amdhsa_user_sgpr_count 6
		.amdhsa_user_sgpr_private_segment_buffer 1
		.amdhsa_user_sgpr_dispatch_ptr 0
		.amdhsa_user_sgpr_queue_ptr 0
		.amdhsa_user_sgpr_kernarg_segment_ptr 1
		.amdhsa_user_sgpr_dispatch_id 0
		.amdhsa_user_sgpr_flat_scratch_init 0
		.amdhsa_user_sgpr_kernarg_preload_length 0
		.amdhsa_user_sgpr_kernarg_preload_offset 0
		.amdhsa_user_sgpr_private_segment_size 0
		.amdhsa_uses_dynamic_stack 0
		.amdhsa_system_sgpr_private_segment_wavefront_offset 0
		.amdhsa_system_sgpr_workgroup_id_x 1
		.amdhsa_system_sgpr_workgroup_id_y 0
		.amdhsa_system_sgpr_workgroup_id_z 0
		.amdhsa_system_sgpr_workgroup_info 0
		.amdhsa_system_vgpr_workitem_id 0
		.amdhsa_next_free_vgpr 1
		.amdhsa_next_free_sgpr 0
		.amdhsa_accum_offset 4
		.amdhsa_reserve_vcc 0
		.amdhsa_reserve_flat_scratch 0
		.amdhsa_float_round_mode_32 0
		.amdhsa_float_round_mode_16_64 0
		.amdhsa_float_denorm_mode_32 3
		.amdhsa_float_denorm_mode_16_64 3
		.amdhsa_dx10_clamp 1
		.amdhsa_ieee_mode 1
		.amdhsa_fp16_overflow 0
		.amdhsa_tg_split 0
		.amdhsa_exception_fp_ieee_invalid_op 0
		.amdhsa_exception_fp_denorm_src 0
		.amdhsa_exception_fp_ieee_div_zero 0
		.amdhsa_exception_fp_ieee_overflow 0
		.amdhsa_exception_fp_ieee_underflow 0
		.amdhsa_exception_fp_ieee_inexact 0
		.amdhsa_exception_int_div_zero 0
	.end_amdhsa_kernel
	.section	.text._ZN7rocprim17ROCPRIM_400000_NS6detail17trampoline_kernelINS0_14default_configENS1_22reduce_config_selectorIiEEZNS1_11reduce_implILb1ES3_PiS7_iN6hipcub16HIPCUB_304000_NS6detail34convert_binary_result_type_wrapperISt4plusIvENS9_22TransformInputIteratorIiN2at6native8internal21MapNumberOfTrueValuesEPKhlEEiEEEE10hipError_tPvRmT1_T2_T3_mT4_P12ihipStream_tbEUlT_E1_NS1_11comp_targetILNS1_3genE0ELNS1_11target_archE4294967295ELNS1_3gpuE0ELNS1_3repE0EEENS1_30default_config_static_selectorELNS0_4arch9wavefront6targetE1EEEvSQ_,"axG",@progbits,_ZN7rocprim17ROCPRIM_400000_NS6detail17trampoline_kernelINS0_14default_configENS1_22reduce_config_selectorIiEEZNS1_11reduce_implILb1ES3_PiS7_iN6hipcub16HIPCUB_304000_NS6detail34convert_binary_result_type_wrapperISt4plusIvENS9_22TransformInputIteratorIiN2at6native8internal21MapNumberOfTrueValuesEPKhlEEiEEEE10hipError_tPvRmT1_T2_T3_mT4_P12ihipStream_tbEUlT_E1_NS1_11comp_targetILNS1_3genE0ELNS1_11target_archE4294967295ELNS1_3gpuE0ELNS1_3repE0EEENS1_30default_config_static_selectorELNS0_4arch9wavefront6targetE1EEEvSQ_,comdat
.Lfunc_end106:
	.size	_ZN7rocprim17ROCPRIM_400000_NS6detail17trampoline_kernelINS0_14default_configENS1_22reduce_config_selectorIiEEZNS1_11reduce_implILb1ES3_PiS7_iN6hipcub16HIPCUB_304000_NS6detail34convert_binary_result_type_wrapperISt4plusIvENS9_22TransformInputIteratorIiN2at6native8internal21MapNumberOfTrueValuesEPKhlEEiEEEE10hipError_tPvRmT1_T2_T3_mT4_P12ihipStream_tbEUlT_E1_NS1_11comp_targetILNS1_3genE0ELNS1_11target_archE4294967295ELNS1_3gpuE0ELNS1_3repE0EEENS1_30default_config_static_selectorELNS0_4arch9wavefront6targetE1EEEvSQ_, .Lfunc_end106-_ZN7rocprim17ROCPRIM_400000_NS6detail17trampoline_kernelINS0_14default_configENS1_22reduce_config_selectorIiEEZNS1_11reduce_implILb1ES3_PiS7_iN6hipcub16HIPCUB_304000_NS6detail34convert_binary_result_type_wrapperISt4plusIvENS9_22TransformInputIteratorIiN2at6native8internal21MapNumberOfTrueValuesEPKhlEEiEEEE10hipError_tPvRmT1_T2_T3_mT4_P12ihipStream_tbEUlT_E1_NS1_11comp_targetILNS1_3genE0ELNS1_11target_archE4294967295ELNS1_3gpuE0ELNS1_3repE0EEENS1_30default_config_static_selectorELNS0_4arch9wavefront6targetE1EEEvSQ_
                                        ; -- End function
	.section	.AMDGPU.csdata,"",@progbits
; Kernel info:
; codeLenInByte = 0
; NumSgprs: 4
; NumVgprs: 0
; NumAgprs: 0
; TotalNumVgprs: 0
; ScratchSize: 0
; MemoryBound: 0
; FloatMode: 240
; IeeeMode: 1
; LDSByteSize: 0 bytes/workgroup (compile time only)
; SGPRBlocks: 0
; VGPRBlocks: 0
; NumSGPRsForWavesPerEU: 4
; NumVGPRsForWavesPerEU: 1
; AccumOffset: 4
; Occupancy: 8
; WaveLimiterHint : 0
; COMPUTE_PGM_RSRC2:SCRATCH_EN: 0
; COMPUTE_PGM_RSRC2:USER_SGPR: 6
; COMPUTE_PGM_RSRC2:TRAP_HANDLER: 0
; COMPUTE_PGM_RSRC2:TGID_X_EN: 1
; COMPUTE_PGM_RSRC2:TGID_Y_EN: 0
; COMPUTE_PGM_RSRC2:TGID_Z_EN: 0
; COMPUTE_PGM_RSRC2:TIDIG_COMP_CNT: 0
; COMPUTE_PGM_RSRC3_GFX90A:ACCUM_OFFSET: 0
; COMPUTE_PGM_RSRC3_GFX90A:TG_SPLIT: 0
	.section	.text._ZN7rocprim17ROCPRIM_400000_NS6detail17trampoline_kernelINS0_14default_configENS1_22reduce_config_selectorIiEEZNS1_11reduce_implILb1ES3_PiS7_iN6hipcub16HIPCUB_304000_NS6detail34convert_binary_result_type_wrapperISt4plusIvENS9_22TransformInputIteratorIiN2at6native8internal21MapNumberOfTrueValuesEPKhlEEiEEEE10hipError_tPvRmT1_T2_T3_mT4_P12ihipStream_tbEUlT_E1_NS1_11comp_targetILNS1_3genE5ELNS1_11target_archE942ELNS1_3gpuE9ELNS1_3repE0EEENS1_30default_config_static_selectorELNS0_4arch9wavefront6targetE1EEEvSQ_,"axG",@progbits,_ZN7rocprim17ROCPRIM_400000_NS6detail17trampoline_kernelINS0_14default_configENS1_22reduce_config_selectorIiEEZNS1_11reduce_implILb1ES3_PiS7_iN6hipcub16HIPCUB_304000_NS6detail34convert_binary_result_type_wrapperISt4plusIvENS9_22TransformInputIteratorIiN2at6native8internal21MapNumberOfTrueValuesEPKhlEEiEEEE10hipError_tPvRmT1_T2_T3_mT4_P12ihipStream_tbEUlT_E1_NS1_11comp_targetILNS1_3genE5ELNS1_11target_archE942ELNS1_3gpuE9ELNS1_3repE0EEENS1_30default_config_static_selectorELNS0_4arch9wavefront6targetE1EEEvSQ_,comdat
	.protected	_ZN7rocprim17ROCPRIM_400000_NS6detail17trampoline_kernelINS0_14default_configENS1_22reduce_config_selectorIiEEZNS1_11reduce_implILb1ES3_PiS7_iN6hipcub16HIPCUB_304000_NS6detail34convert_binary_result_type_wrapperISt4plusIvENS9_22TransformInputIteratorIiN2at6native8internal21MapNumberOfTrueValuesEPKhlEEiEEEE10hipError_tPvRmT1_T2_T3_mT4_P12ihipStream_tbEUlT_E1_NS1_11comp_targetILNS1_3genE5ELNS1_11target_archE942ELNS1_3gpuE9ELNS1_3repE0EEENS1_30default_config_static_selectorELNS0_4arch9wavefront6targetE1EEEvSQ_ ; -- Begin function _ZN7rocprim17ROCPRIM_400000_NS6detail17trampoline_kernelINS0_14default_configENS1_22reduce_config_selectorIiEEZNS1_11reduce_implILb1ES3_PiS7_iN6hipcub16HIPCUB_304000_NS6detail34convert_binary_result_type_wrapperISt4plusIvENS9_22TransformInputIteratorIiN2at6native8internal21MapNumberOfTrueValuesEPKhlEEiEEEE10hipError_tPvRmT1_T2_T3_mT4_P12ihipStream_tbEUlT_E1_NS1_11comp_targetILNS1_3genE5ELNS1_11target_archE942ELNS1_3gpuE9ELNS1_3repE0EEENS1_30default_config_static_selectorELNS0_4arch9wavefront6targetE1EEEvSQ_
	.globl	_ZN7rocprim17ROCPRIM_400000_NS6detail17trampoline_kernelINS0_14default_configENS1_22reduce_config_selectorIiEEZNS1_11reduce_implILb1ES3_PiS7_iN6hipcub16HIPCUB_304000_NS6detail34convert_binary_result_type_wrapperISt4plusIvENS9_22TransformInputIteratorIiN2at6native8internal21MapNumberOfTrueValuesEPKhlEEiEEEE10hipError_tPvRmT1_T2_T3_mT4_P12ihipStream_tbEUlT_E1_NS1_11comp_targetILNS1_3genE5ELNS1_11target_archE942ELNS1_3gpuE9ELNS1_3repE0EEENS1_30default_config_static_selectorELNS0_4arch9wavefront6targetE1EEEvSQ_
	.p2align	8
	.type	_ZN7rocprim17ROCPRIM_400000_NS6detail17trampoline_kernelINS0_14default_configENS1_22reduce_config_selectorIiEEZNS1_11reduce_implILb1ES3_PiS7_iN6hipcub16HIPCUB_304000_NS6detail34convert_binary_result_type_wrapperISt4plusIvENS9_22TransformInputIteratorIiN2at6native8internal21MapNumberOfTrueValuesEPKhlEEiEEEE10hipError_tPvRmT1_T2_T3_mT4_P12ihipStream_tbEUlT_E1_NS1_11comp_targetILNS1_3genE5ELNS1_11target_archE942ELNS1_3gpuE9ELNS1_3repE0EEENS1_30default_config_static_selectorELNS0_4arch9wavefront6targetE1EEEvSQ_,@function
_ZN7rocprim17ROCPRIM_400000_NS6detail17trampoline_kernelINS0_14default_configENS1_22reduce_config_selectorIiEEZNS1_11reduce_implILb1ES3_PiS7_iN6hipcub16HIPCUB_304000_NS6detail34convert_binary_result_type_wrapperISt4plusIvENS9_22TransformInputIteratorIiN2at6native8internal21MapNumberOfTrueValuesEPKhlEEiEEEE10hipError_tPvRmT1_T2_T3_mT4_P12ihipStream_tbEUlT_E1_NS1_11comp_targetILNS1_3genE5ELNS1_11target_archE942ELNS1_3gpuE9ELNS1_3repE0EEENS1_30default_config_static_selectorELNS0_4arch9wavefront6targetE1EEEvSQ_: ; @_ZN7rocprim17ROCPRIM_400000_NS6detail17trampoline_kernelINS0_14default_configENS1_22reduce_config_selectorIiEEZNS1_11reduce_implILb1ES3_PiS7_iN6hipcub16HIPCUB_304000_NS6detail34convert_binary_result_type_wrapperISt4plusIvENS9_22TransformInputIteratorIiN2at6native8internal21MapNumberOfTrueValuesEPKhlEEiEEEE10hipError_tPvRmT1_T2_T3_mT4_P12ihipStream_tbEUlT_E1_NS1_11comp_targetILNS1_3genE5ELNS1_11target_archE942ELNS1_3gpuE9ELNS1_3repE0EEENS1_30default_config_static_selectorELNS0_4arch9wavefront6targetE1EEEvSQ_
; %bb.0:
	.section	.rodata,"a",@progbits
	.p2align	6, 0x0
	.amdhsa_kernel _ZN7rocprim17ROCPRIM_400000_NS6detail17trampoline_kernelINS0_14default_configENS1_22reduce_config_selectorIiEEZNS1_11reduce_implILb1ES3_PiS7_iN6hipcub16HIPCUB_304000_NS6detail34convert_binary_result_type_wrapperISt4plusIvENS9_22TransformInputIteratorIiN2at6native8internal21MapNumberOfTrueValuesEPKhlEEiEEEE10hipError_tPvRmT1_T2_T3_mT4_P12ihipStream_tbEUlT_E1_NS1_11comp_targetILNS1_3genE5ELNS1_11target_archE942ELNS1_3gpuE9ELNS1_3repE0EEENS1_30default_config_static_selectorELNS0_4arch9wavefront6targetE1EEEvSQ_
		.amdhsa_group_segment_fixed_size 0
		.amdhsa_private_segment_fixed_size 0
		.amdhsa_kernarg_size 40
		.amdhsa_user_sgpr_count 6
		.amdhsa_user_sgpr_private_segment_buffer 1
		.amdhsa_user_sgpr_dispatch_ptr 0
		.amdhsa_user_sgpr_queue_ptr 0
		.amdhsa_user_sgpr_kernarg_segment_ptr 1
		.amdhsa_user_sgpr_dispatch_id 0
		.amdhsa_user_sgpr_flat_scratch_init 0
		.amdhsa_user_sgpr_kernarg_preload_length 0
		.amdhsa_user_sgpr_kernarg_preload_offset 0
		.amdhsa_user_sgpr_private_segment_size 0
		.amdhsa_uses_dynamic_stack 0
		.amdhsa_system_sgpr_private_segment_wavefront_offset 0
		.amdhsa_system_sgpr_workgroup_id_x 1
		.amdhsa_system_sgpr_workgroup_id_y 0
		.amdhsa_system_sgpr_workgroup_id_z 0
		.amdhsa_system_sgpr_workgroup_info 0
		.amdhsa_system_vgpr_workitem_id 0
		.amdhsa_next_free_vgpr 1
		.amdhsa_next_free_sgpr 0
		.amdhsa_accum_offset 4
		.amdhsa_reserve_vcc 0
		.amdhsa_reserve_flat_scratch 0
		.amdhsa_float_round_mode_32 0
		.amdhsa_float_round_mode_16_64 0
		.amdhsa_float_denorm_mode_32 3
		.amdhsa_float_denorm_mode_16_64 3
		.amdhsa_dx10_clamp 1
		.amdhsa_ieee_mode 1
		.amdhsa_fp16_overflow 0
		.amdhsa_tg_split 0
		.amdhsa_exception_fp_ieee_invalid_op 0
		.amdhsa_exception_fp_denorm_src 0
		.amdhsa_exception_fp_ieee_div_zero 0
		.amdhsa_exception_fp_ieee_overflow 0
		.amdhsa_exception_fp_ieee_underflow 0
		.amdhsa_exception_fp_ieee_inexact 0
		.amdhsa_exception_int_div_zero 0
	.end_amdhsa_kernel
	.section	.text._ZN7rocprim17ROCPRIM_400000_NS6detail17trampoline_kernelINS0_14default_configENS1_22reduce_config_selectorIiEEZNS1_11reduce_implILb1ES3_PiS7_iN6hipcub16HIPCUB_304000_NS6detail34convert_binary_result_type_wrapperISt4plusIvENS9_22TransformInputIteratorIiN2at6native8internal21MapNumberOfTrueValuesEPKhlEEiEEEE10hipError_tPvRmT1_T2_T3_mT4_P12ihipStream_tbEUlT_E1_NS1_11comp_targetILNS1_3genE5ELNS1_11target_archE942ELNS1_3gpuE9ELNS1_3repE0EEENS1_30default_config_static_selectorELNS0_4arch9wavefront6targetE1EEEvSQ_,"axG",@progbits,_ZN7rocprim17ROCPRIM_400000_NS6detail17trampoline_kernelINS0_14default_configENS1_22reduce_config_selectorIiEEZNS1_11reduce_implILb1ES3_PiS7_iN6hipcub16HIPCUB_304000_NS6detail34convert_binary_result_type_wrapperISt4plusIvENS9_22TransformInputIteratorIiN2at6native8internal21MapNumberOfTrueValuesEPKhlEEiEEEE10hipError_tPvRmT1_T2_T3_mT4_P12ihipStream_tbEUlT_E1_NS1_11comp_targetILNS1_3genE5ELNS1_11target_archE942ELNS1_3gpuE9ELNS1_3repE0EEENS1_30default_config_static_selectorELNS0_4arch9wavefront6targetE1EEEvSQ_,comdat
.Lfunc_end107:
	.size	_ZN7rocprim17ROCPRIM_400000_NS6detail17trampoline_kernelINS0_14default_configENS1_22reduce_config_selectorIiEEZNS1_11reduce_implILb1ES3_PiS7_iN6hipcub16HIPCUB_304000_NS6detail34convert_binary_result_type_wrapperISt4plusIvENS9_22TransformInputIteratorIiN2at6native8internal21MapNumberOfTrueValuesEPKhlEEiEEEE10hipError_tPvRmT1_T2_T3_mT4_P12ihipStream_tbEUlT_E1_NS1_11comp_targetILNS1_3genE5ELNS1_11target_archE942ELNS1_3gpuE9ELNS1_3repE0EEENS1_30default_config_static_selectorELNS0_4arch9wavefront6targetE1EEEvSQ_, .Lfunc_end107-_ZN7rocprim17ROCPRIM_400000_NS6detail17trampoline_kernelINS0_14default_configENS1_22reduce_config_selectorIiEEZNS1_11reduce_implILb1ES3_PiS7_iN6hipcub16HIPCUB_304000_NS6detail34convert_binary_result_type_wrapperISt4plusIvENS9_22TransformInputIteratorIiN2at6native8internal21MapNumberOfTrueValuesEPKhlEEiEEEE10hipError_tPvRmT1_T2_T3_mT4_P12ihipStream_tbEUlT_E1_NS1_11comp_targetILNS1_3genE5ELNS1_11target_archE942ELNS1_3gpuE9ELNS1_3repE0EEENS1_30default_config_static_selectorELNS0_4arch9wavefront6targetE1EEEvSQ_
                                        ; -- End function
	.section	.AMDGPU.csdata,"",@progbits
; Kernel info:
; codeLenInByte = 0
; NumSgprs: 4
; NumVgprs: 0
; NumAgprs: 0
; TotalNumVgprs: 0
; ScratchSize: 0
; MemoryBound: 0
; FloatMode: 240
; IeeeMode: 1
; LDSByteSize: 0 bytes/workgroup (compile time only)
; SGPRBlocks: 0
; VGPRBlocks: 0
; NumSGPRsForWavesPerEU: 4
; NumVGPRsForWavesPerEU: 1
; AccumOffset: 4
; Occupancy: 8
; WaveLimiterHint : 0
; COMPUTE_PGM_RSRC2:SCRATCH_EN: 0
; COMPUTE_PGM_RSRC2:USER_SGPR: 6
; COMPUTE_PGM_RSRC2:TRAP_HANDLER: 0
; COMPUTE_PGM_RSRC2:TGID_X_EN: 1
; COMPUTE_PGM_RSRC2:TGID_Y_EN: 0
; COMPUTE_PGM_RSRC2:TGID_Z_EN: 0
; COMPUTE_PGM_RSRC2:TIDIG_COMP_CNT: 0
; COMPUTE_PGM_RSRC3_GFX90A:ACCUM_OFFSET: 0
; COMPUTE_PGM_RSRC3_GFX90A:TG_SPLIT: 0
	.section	.text._ZN7rocprim17ROCPRIM_400000_NS6detail17trampoline_kernelINS0_14default_configENS1_22reduce_config_selectorIiEEZNS1_11reduce_implILb1ES3_PiS7_iN6hipcub16HIPCUB_304000_NS6detail34convert_binary_result_type_wrapperISt4plusIvENS9_22TransformInputIteratorIiN2at6native8internal21MapNumberOfTrueValuesEPKhlEEiEEEE10hipError_tPvRmT1_T2_T3_mT4_P12ihipStream_tbEUlT_E1_NS1_11comp_targetILNS1_3genE4ELNS1_11target_archE910ELNS1_3gpuE8ELNS1_3repE0EEENS1_30default_config_static_selectorELNS0_4arch9wavefront6targetE1EEEvSQ_,"axG",@progbits,_ZN7rocprim17ROCPRIM_400000_NS6detail17trampoline_kernelINS0_14default_configENS1_22reduce_config_selectorIiEEZNS1_11reduce_implILb1ES3_PiS7_iN6hipcub16HIPCUB_304000_NS6detail34convert_binary_result_type_wrapperISt4plusIvENS9_22TransformInputIteratorIiN2at6native8internal21MapNumberOfTrueValuesEPKhlEEiEEEE10hipError_tPvRmT1_T2_T3_mT4_P12ihipStream_tbEUlT_E1_NS1_11comp_targetILNS1_3genE4ELNS1_11target_archE910ELNS1_3gpuE8ELNS1_3repE0EEENS1_30default_config_static_selectorELNS0_4arch9wavefront6targetE1EEEvSQ_,comdat
	.protected	_ZN7rocprim17ROCPRIM_400000_NS6detail17trampoline_kernelINS0_14default_configENS1_22reduce_config_selectorIiEEZNS1_11reduce_implILb1ES3_PiS7_iN6hipcub16HIPCUB_304000_NS6detail34convert_binary_result_type_wrapperISt4plusIvENS9_22TransformInputIteratorIiN2at6native8internal21MapNumberOfTrueValuesEPKhlEEiEEEE10hipError_tPvRmT1_T2_T3_mT4_P12ihipStream_tbEUlT_E1_NS1_11comp_targetILNS1_3genE4ELNS1_11target_archE910ELNS1_3gpuE8ELNS1_3repE0EEENS1_30default_config_static_selectorELNS0_4arch9wavefront6targetE1EEEvSQ_ ; -- Begin function _ZN7rocprim17ROCPRIM_400000_NS6detail17trampoline_kernelINS0_14default_configENS1_22reduce_config_selectorIiEEZNS1_11reduce_implILb1ES3_PiS7_iN6hipcub16HIPCUB_304000_NS6detail34convert_binary_result_type_wrapperISt4plusIvENS9_22TransformInputIteratorIiN2at6native8internal21MapNumberOfTrueValuesEPKhlEEiEEEE10hipError_tPvRmT1_T2_T3_mT4_P12ihipStream_tbEUlT_E1_NS1_11comp_targetILNS1_3genE4ELNS1_11target_archE910ELNS1_3gpuE8ELNS1_3repE0EEENS1_30default_config_static_selectorELNS0_4arch9wavefront6targetE1EEEvSQ_
	.globl	_ZN7rocprim17ROCPRIM_400000_NS6detail17trampoline_kernelINS0_14default_configENS1_22reduce_config_selectorIiEEZNS1_11reduce_implILb1ES3_PiS7_iN6hipcub16HIPCUB_304000_NS6detail34convert_binary_result_type_wrapperISt4plusIvENS9_22TransformInputIteratorIiN2at6native8internal21MapNumberOfTrueValuesEPKhlEEiEEEE10hipError_tPvRmT1_T2_T3_mT4_P12ihipStream_tbEUlT_E1_NS1_11comp_targetILNS1_3genE4ELNS1_11target_archE910ELNS1_3gpuE8ELNS1_3repE0EEENS1_30default_config_static_selectorELNS0_4arch9wavefront6targetE1EEEvSQ_
	.p2align	8
	.type	_ZN7rocprim17ROCPRIM_400000_NS6detail17trampoline_kernelINS0_14default_configENS1_22reduce_config_selectorIiEEZNS1_11reduce_implILb1ES3_PiS7_iN6hipcub16HIPCUB_304000_NS6detail34convert_binary_result_type_wrapperISt4plusIvENS9_22TransformInputIteratorIiN2at6native8internal21MapNumberOfTrueValuesEPKhlEEiEEEE10hipError_tPvRmT1_T2_T3_mT4_P12ihipStream_tbEUlT_E1_NS1_11comp_targetILNS1_3genE4ELNS1_11target_archE910ELNS1_3gpuE8ELNS1_3repE0EEENS1_30default_config_static_selectorELNS0_4arch9wavefront6targetE1EEEvSQ_,@function
_ZN7rocprim17ROCPRIM_400000_NS6detail17trampoline_kernelINS0_14default_configENS1_22reduce_config_selectorIiEEZNS1_11reduce_implILb1ES3_PiS7_iN6hipcub16HIPCUB_304000_NS6detail34convert_binary_result_type_wrapperISt4plusIvENS9_22TransformInputIteratorIiN2at6native8internal21MapNumberOfTrueValuesEPKhlEEiEEEE10hipError_tPvRmT1_T2_T3_mT4_P12ihipStream_tbEUlT_E1_NS1_11comp_targetILNS1_3genE4ELNS1_11target_archE910ELNS1_3gpuE8ELNS1_3repE0EEENS1_30default_config_static_selectorELNS0_4arch9wavefront6targetE1EEEvSQ_: ; @_ZN7rocprim17ROCPRIM_400000_NS6detail17trampoline_kernelINS0_14default_configENS1_22reduce_config_selectorIiEEZNS1_11reduce_implILb1ES3_PiS7_iN6hipcub16HIPCUB_304000_NS6detail34convert_binary_result_type_wrapperISt4plusIvENS9_22TransformInputIteratorIiN2at6native8internal21MapNumberOfTrueValuesEPKhlEEiEEEE10hipError_tPvRmT1_T2_T3_mT4_P12ihipStream_tbEUlT_E1_NS1_11comp_targetILNS1_3genE4ELNS1_11target_archE910ELNS1_3gpuE8ELNS1_3repE0EEENS1_30default_config_static_selectorELNS0_4arch9wavefront6targetE1EEEvSQ_
; %bb.0:
	s_load_dword s33, s[4:5], 0x4
	s_load_dwordx4 s[36:39], s[4:5], 0x8
	s_waitcnt lgkmcnt(0)
	s_cmp_lt_i32 s33, 8
	s_cbranch_scc1 .LBB108_11
; %bb.1:
	s_cmp_gt_i32 s33, 15
	s_cbranch_scc0 .LBB108_12
; %bb.2:
	s_cmp_gt_i32 s33, 31
	s_cbranch_scc0 .LBB108_13
; %bb.3:
	s_cmp_eq_u32 s33, 32
	s_mov_b64 s[0:1], 0
	s_cbranch_scc0 .LBB108_14
; %bb.4:
	s_mov_b32 s7, 0
	s_lshl_b32 s8, s6, 12
	s_mov_b32 s9, s7
	s_lshr_b64 s[10:11], s[38:39], 12
	s_lshl_b64 s[2:3], s[8:9], 2
	s_add_u32 s2, s36, s2
	s_addc_u32 s3, s37, s3
	s_cmp_lg_u64 s[10:11], s[6:7]
	s_cbranch_scc0 .LBB108_23
; %bb.5:
	v_lshlrev_b32_e32 v1, 2, v0
	v_mov_b32_e32 v2, s3
	v_add_co_u32_e32 v4, vcc, s2, v1
	global_load_dword v6, v1, s[2:3]
	global_load_dword v7, v1, s[2:3] offset:512
	global_load_dword v8, v1, s[2:3] offset:1024
	;; [unrolled: 1-line block ×7, first 2 shown]
	v_addc_co_u32_e32 v5, vcc, 0, v2, vcc
	v_add_co_u32_e32 v2, vcc, 0x1000, v4
	v_addc_co_u32_e32 v3, vcc, 0, v5, vcc
	global_load_dword v1, v[2:3], off
	global_load_dword v14, v[2:3], off offset:512
	global_load_dword v15, v[2:3], off offset:1024
	global_load_dword v16, v[2:3], off offset:1536
	global_load_dword v17, v[2:3], off offset:2048
	global_load_dword v18, v[2:3], off offset:2560
	global_load_dword v19, v[2:3], off offset:3072
	global_load_dword v20, v[2:3], off offset:3584
	v_add_co_u32_e32 v2, vcc, 0x2000, v4
	v_addc_co_u32_e32 v3, vcc, 0, v5, vcc
	global_load_dword v21, v[2:3], off
	global_load_dword v22, v[2:3], off offset:512
	global_load_dword v23, v[2:3], off offset:1024
	global_load_dword v24, v[2:3], off offset:1536
	global_load_dword v25, v[2:3], off offset:2048
	global_load_dword v26, v[2:3], off offset:2560
	global_load_dword v27, v[2:3], off offset:3072
	global_load_dword v28, v[2:3], off offset:3584
	;; [unrolled: 10-line block ×3, first 2 shown]
	v_mbcnt_lo_u32_b32 v2, -1, 0
	v_mbcnt_hi_u32_b32 v2, -1, v2
	v_lshlrev_b32_e32 v3, 2, v2
	v_cmp_eq_u32_e32 vcc, 0, v2
	s_waitcnt vmcnt(30)
	v_add_u32_e32 v6, v7, v6
	s_waitcnt vmcnt(28)
	v_add3_u32 v6, v6, v8, v9
	s_waitcnt vmcnt(26)
	v_add3_u32 v6, v6, v10, v11
	;; [unrolled: 2-line block ×14, first 2 shown]
	v_or_b32_e32 v4, 0xfc, v3
	s_waitcnt vmcnt(0)
	v_add3_u32 v1, v1, v33, v34
	s_nop 1
	v_add_u32_dpp v1, v1, v1 quad_perm:[1,0,3,2] row_mask:0xf bank_mask:0xf bound_ctrl:1
	s_nop 1
	v_add_u32_dpp v1, v1, v1 quad_perm:[2,3,0,1] row_mask:0xf bank_mask:0xf bound_ctrl:1
	s_nop 1
	v_add_u32_dpp v1, v1, v1 row_ror:4 row_mask:0xf bank_mask:0xf bound_ctrl:1
	s_nop 1
	v_add_u32_dpp v1, v1, v1 row_ror:8 row_mask:0xf bank_mask:0xf bound_ctrl:1
	s_nop 1
	v_add_u32_dpp v1, v1, v1 row_bcast:15 row_mask:0xf bank_mask:0xf bound_ctrl:1
	s_nop 1
	v_add_u32_dpp v1, v1, v1 row_bcast:31 row_mask:0xf bank_mask:0xf bound_ctrl:1
	ds_bpermute_b32 v1, v4, v1
	s_and_saveexec_b64 s[10:11], vcc
	s_cbranch_execz .LBB108_7
; %bb.6:
	v_lshrrev_b32_e32 v4, 4, v0
	v_and_b32_e32 v4, 4, v4
	s_waitcnt lgkmcnt(0)
	ds_write_b32 v4, v1 offset:24
.LBB108_7:
	s_or_b64 exec, exec, s[10:11]
	v_cmp_gt_u32_e32 vcc, 64, v0
	s_waitcnt lgkmcnt(0)
	s_barrier
	s_and_saveexec_b64 s[10:11], vcc
	s_cbranch_execz .LBB108_9
; %bb.8:
	v_and_b32_e32 v1, 1, v2
	v_lshlrev_b32_e32 v1, 2, v1
	ds_read_b32 v1, v1 offset:24
	v_or_b32_e32 v2, 4, v3
	s_waitcnt lgkmcnt(0)
	ds_bpermute_b32 v2, v2, v1
	s_waitcnt lgkmcnt(0)
	v_add_u32_e32 v1, v2, v1
.LBB108_9:
	s_or_b64 exec, exec, s[10:11]
.LBB108_10:
	v_cmp_eq_u32_e64 s[2:3], 0, v0
	s_and_b64 vcc, exec, s[0:1]
	s_cbranch_vccnz .LBB108_15
	s_branch .LBB108_93
.LBB108_11:
	s_mov_b64 s[2:3], 0
                                        ; implicit-def: $vgpr1
	s_cbranch_execnz .LBB108_166
	s_branch .LBB108_224
.LBB108_12:
	s_mov_b64 s[2:3], 0
                                        ; implicit-def: $vgpr1
	s_cbranch_execnz .LBB108_134
	s_branch .LBB108_142
.LBB108_13:
	s_mov_b64 s[0:1], -1
.LBB108_14:
	s_mov_b64 s[2:3], 0
                                        ; implicit-def: $vgpr1
	s_and_b64 vcc, exec, s[0:1]
	s_cbranch_vccz .LBB108_93
.LBB108_15:
	s_cmp_eq_u32 s33, 16
	s_cbranch_scc0 .LBB108_22
; %bb.16:
	s_mov_b32 s7, 0
	s_lshl_b32 s0, s6, 11
	s_mov_b32 s1, s7
	s_lshr_b64 s[2:3], s[38:39], 11
	s_lshl_b64 s[8:9], s[0:1], 2
	s_add_u32 s34, s36, s8
	s_addc_u32 s35, s37, s9
	s_cmp_lg_u64 s[2:3], s[6:7]
	s_cbranch_scc0 .LBB108_94
; %bb.17:
	v_lshlrev_b32_e32 v1, 2, v0
	v_mov_b32_e32 v2, s35
	v_add_co_u32_e32 v3, vcc, s34, v1
	global_load_dword v5, v1, s[34:35]
	global_load_dword v6, v1, s[34:35] offset:512
	global_load_dword v7, v1, s[34:35] offset:1024
	;; [unrolled: 1-line block ×7, first 2 shown]
	v_addc_co_u32_e32 v4, vcc, 0, v2, vcc
	v_add_co_u32_e32 v2, vcc, 0x1000, v3
	v_addc_co_u32_e32 v3, vcc, 0, v4, vcc
	global_load_dword v1, v[2:3], off
	global_load_dword v4, v[2:3], off offset:512
	global_load_dword v13, v[2:3], off offset:1024
	;; [unrolled: 1-line block ×7, first 2 shown]
	v_mbcnt_lo_u32_b32 v2, -1, 0
	v_mbcnt_hi_u32_b32 v2, -1, v2
	v_lshlrev_b32_e32 v3, 2, v2
	v_cmp_eq_u32_e32 vcc, 0, v2
	s_waitcnt vmcnt(14)
	v_add_u32_e32 v5, v6, v5
	s_waitcnt vmcnt(12)
	v_add3_u32 v5, v5, v7, v8
	s_waitcnt vmcnt(10)
	v_add3_u32 v5, v5, v9, v10
	;; [unrolled: 2-line block ×4, first 2 shown]
	v_or_b32_e32 v4, 0xfc, v3
	s_waitcnt vmcnt(4)
	v_add3_u32 v1, v1, v13, v14
	s_waitcnt vmcnt(2)
	v_add3_u32 v1, v1, v15, v16
	;; [unrolled: 2-line block ×3, first 2 shown]
	s_nop 1
	v_add_u32_dpp v1, v1, v1 quad_perm:[1,0,3,2] row_mask:0xf bank_mask:0xf bound_ctrl:1
	s_nop 1
	v_add_u32_dpp v1, v1, v1 quad_perm:[2,3,0,1] row_mask:0xf bank_mask:0xf bound_ctrl:1
	s_nop 1
	v_add_u32_dpp v1, v1, v1 row_ror:4 row_mask:0xf bank_mask:0xf bound_ctrl:1
	s_nop 1
	v_add_u32_dpp v1, v1, v1 row_ror:8 row_mask:0xf bank_mask:0xf bound_ctrl:1
	s_nop 1
	v_add_u32_dpp v1, v1, v1 row_bcast:15 row_mask:0xf bank_mask:0xf bound_ctrl:1
	s_nop 1
	v_add_u32_dpp v1, v1, v1 row_bcast:31 row_mask:0xf bank_mask:0xf bound_ctrl:1
	ds_bpermute_b32 v1, v4, v1
	s_and_saveexec_b64 s[2:3], vcc
	s_cbranch_execz .LBB108_19
; %bb.18:
	v_lshrrev_b32_e32 v4, 4, v0
	v_and_b32_e32 v4, 4, v4
	s_waitcnt lgkmcnt(0)
	ds_write_b32 v4, v1
.LBB108_19:
	s_or_b64 exec, exec, s[2:3]
	v_cmp_gt_u32_e32 vcc, 64, v0
	s_waitcnt lgkmcnt(0)
	s_barrier
	s_and_saveexec_b64 s[2:3], vcc
	s_cbranch_execz .LBB108_21
; %bb.20:
	v_and_b32_e32 v1, 1, v2
	v_lshlrev_b32_e32 v1, 2, v1
	ds_read_b32 v1, v1
	v_or_b32_e32 v2, 4, v3
	s_waitcnt lgkmcnt(0)
	ds_bpermute_b32 v2, v2, v1
	s_waitcnt lgkmcnt(0)
	v_add_u32_e32 v1, v2, v1
.LBB108_21:
	s_or_b64 exec, exec, s[2:3]
	s_mov_b64 s[2:3], 0
	s_branch .LBB108_95
.LBB108_22:
                                        ; implicit-def: $vgpr1
	s_branch .LBB108_142
.LBB108_23:
                                        ; implicit-def: $vgpr1
	s_cbranch_execz .LBB108_10
; %bb.24:
	s_sub_i32 s10, s38, s8
	v_cmp_gt_u32_e32 vcc, s10, v0
                                        ; implicit-def: $vgpr1
	s_and_saveexec_b64 s[8:9], vcc
	s_cbranch_execz .LBB108_26
; %bb.25:
	v_lshlrev_b32_e32 v1, 2, v0
	global_load_dword v1, v1, s[2:3]
.LBB108_26:
	s_or_b64 exec, exec, s[8:9]
	v_or_b32_e32 v2, 0x80, v0
	v_cmp_gt_u32_e32 vcc, s10, v2
	v_mov_b32_e32 v2, 0
	v_mov_b32_e32 v3, 0
	s_and_saveexec_b64 s[8:9], vcc
	s_cbranch_execz .LBB108_28
; %bb.27:
	v_lshlrev_b32_e32 v3, 2, v0
	global_load_dword v3, v3, s[2:3] offset:512
.LBB108_28:
	s_or_b64 exec, exec, s[8:9]
	v_or_b32_e32 v4, 0x100, v0
	v_cmp_gt_u32_e32 vcc, s10, v4
	s_and_saveexec_b64 s[8:9], vcc
	s_cbranch_execz .LBB108_30
; %bb.29:
	v_lshlrev_b32_e32 v2, 2, v0
	global_load_dword v2, v2, s[2:3] offset:1024
.LBB108_30:
	s_or_b64 exec, exec, s[8:9]
	v_or_b32_e32 v4, 0x180, v0
	v_cmp_gt_u32_e32 vcc, s10, v4
	v_mov_b32_e32 v4, 0
	v_mov_b32_e32 v5, 0
	s_and_saveexec_b64 s[8:9], vcc
	s_cbranch_execz .LBB108_32
; %bb.31:
	v_lshlrev_b32_e32 v5, 2, v0
	global_load_dword v5, v5, s[2:3] offset:1536
.LBB108_32:
	s_or_b64 exec, exec, s[8:9]
	v_or_b32_e32 v6, 0x200, v0
	v_cmp_gt_u32_e32 vcc, s10, v6
	s_and_saveexec_b64 s[8:9], vcc
	s_cbranch_execz .LBB108_34
; %bb.33:
	v_lshlrev_b32_e32 v4, 2, v0
	global_load_dword v4, v4, s[2:3] offset:2048
.LBB108_34:
	;; [unrolled: 20-line block ×3, first 2 shown]
	s_or_b64 exec, exec, s[8:9]
	v_or_b32_e32 v8, 0x380, v0
	v_cmp_gt_u32_e32 vcc, s10, v8
	v_mov_b32_e32 v8, 0
	v_mov_b32_e32 v9, 0
	s_and_saveexec_b64 s[8:9], vcc
	s_cbranch_execz .LBB108_40
; %bb.39:
	v_lshlrev_b32_e32 v9, 2, v0
	global_load_dword v9, v9, s[2:3] offset:3584
.LBB108_40:
	s_or_b64 exec, exec, s[8:9]
	v_or_b32_e32 v10, 0x400, v0
	v_cmp_gt_u32_e32 vcc, s10, v10
	s_and_saveexec_b64 s[8:9], vcc
	s_cbranch_execz .LBB108_42
; %bb.41:
	v_lshlrev_b32_e32 v8, 2, v10
	global_load_dword v8, v8, s[2:3]
.LBB108_42:
	s_or_b64 exec, exec, s[8:9]
	v_or_b32_e32 v12, 0x480, v0
	v_cmp_gt_u32_e32 vcc, s10, v12
	v_mov_b32_e32 v10, 0
	v_mov_b32_e32 v11, 0
	s_and_saveexec_b64 s[8:9], vcc
	s_cbranch_execz .LBB108_44
; %bb.43:
	v_lshlrev_b32_e32 v11, 2, v12
	global_load_dword v11, v11, s[2:3]
.LBB108_44:
	s_or_b64 exec, exec, s[8:9]
	v_or_b32_e32 v12, 0x500, v0
	v_cmp_gt_u32_e32 vcc, s10, v12
	s_and_saveexec_b64 s[8:9], vcc
	s_cbranch_execz .LBB108_46
; %bb.45:
	v_lshlrev_b32_e32 v10, 2, v12
	global_load_dword v10, v10, s[2:3]
.LBB108_46:
	s_or_b64 exec, exec, s[8:9]
	v_or_b32_e32 v14, 0x580, v0
	v_cmp_gt_u32_e32 vcc, s10, v14
	v_mov_b32_e32 v12, 0
	v_mov_b32_e32 v13, 0
	s_and_saveexec_b64 s[8:9], vcc
	s_cbranch_execz .LBB108_48
; %bb.47:
	v_lshlrev_b32_e32 v13, 2, v14
	global_load_dword v13, v13, s[2:3]
.LBB108_48:
	;; [unrolled: 20-line block ×11, first 2 shown]
	s_or_b64 exec, exec, s[8:9]
	v_or_b32_e32 v32, 0xf00, v0
	v_cmp_gt_u32_e32 vcc, s10, v32
	s_and_saveexec_b64 s[8:9], vcc
	s_cbranch_execz .LBB108_86
; %bb.85:
	v_lshlrev_b32_e32 v30, 2, v32
	global_load_dword v30, v30, s[2:3]
.LBB108_86:
	s_or_b64 exec, exec, s[8:9]
	v_or_b32_e32 v33, 0xf80, v0
	v_cmp_gt_u32_e32 vcc, s10, v33
	v_mov_b32_e32 v32, 0
	s_and_saveexec_b64 s[8:9], vcc
	s_cbranch_execz .LBB108_88
; %bb.87:
	v_lshlrev_b32_e32 v32, 2, v33
	global_load_dword v32, v32, s[2:3]
.LBB108_88:
	s_or_b64 exec, exec, s[8:9]
	s_waitcnt vmcnt(0)
	v_add_u32_e32 v1, v3, v1
	v_add3_u32 v1, v1, v2, v5
	v_add3_u32 v1, v1, v4, v7
	;; [unrolled: 1-line block ×10, first 2 shown]
	v_mbcnt_lo_u32_b32 v2, -1, 0
	v_add3_u32 v1, v1, v22, v25
	v_mbcnt_hi_u32_b32 v2, -1, v2
	v_add3_u32 v1, v1, v24, v27
	v_and_b32_e32 v3, 63, v2
	v_add3_u32 v1, v1, v26, v29
	v_cmp_ne_u32_e32 vcc, 63, v3
	v_add3_u32 v1, v1, v28, v31
	v_addc_co_u32_e32 v4, vcc, 0, v2, vcc
	v_add3_u32 v1, v1, v30, v32
	v_lshlrev_b32_e32 v4, 2, v4
	ds_bpermute_b32 v4, v4, v1
	s_min_u32 s8, s10, 0x80
	v_and_b32_e32 v5, 64, v0
	v_sub_u32_e64 v5, s8, v5 clamp
	v_add_u32_e32 v6, 1, v3
	v_cmp_lt_u32_e32 vcc, v6, v5
	s_waitcnt lgkmcnt(0)
	v_cndmask_b32_e32 v4, 0, v4, vcc
	v_cmp_gt_u32_e32 vcc, 62, v3
	v_add_u32_e32 v1, v4, v1
	v_cndmask_b32_e64 v4, 0, 1, vcc
	v_lshlrev_b32_e32 v4, 1, v4
	v_add_lshl_u32 v4, v4, v2, 2
	ds_bpermute_b32 v4, v4, v1
	v_add_u32_e32 v6, 2, v3
	v_cmp_lt_u32_e32 vcc, v6, v5
	v_add_u32_e32 v6, 4, v3
	s_waitcnt lgkmcnt(0)
	v_cndmask_b32_e32 v4, 0, v4, vcc
	v_cmp_gt_u32_e32 vcc, 60, v3
	v_add_u32_e32 v1, v1, v4
	v_cndmask_b32_e64 v4, 0, 1, vcc
	v_lshlrev_b32_e32 v4, 2, v4
	v_add_lshl_u32 v4, v4, v2, 2
	ds_bpermute_b32 v4, v4, v1
	v_cmp_lt_u32_e32 vcc, v6, v5
	v_add_u32_e32 v6, 8, v3
	s_waitcnt lgkmcnt(0)
	v_cndmask_b32_e32 v4, 0, v4, vcc
	v_cmp_gt_u32_e32 vcc, 56, v3
	v_add_u32_e32 v1, v1, v4
	v_cndmask_b32_e64 v4, 0, 1, vcc
	v_lshlrev_b32_e32 v4, 3, v4
	v_add_lshl_u32 v4, v4, v2, 2
	ds_bpermute_b32 v4, v4, v1
	;; [unrolled: 10-line block ×3, first 2 shown]
	v_cmp_lt_u32_e32 vcc, v6, v5
	s_waitcnt lgkmcnt(0)
	v_cndmask_b32_e32 v4, 0, v4, vcc
	v_cmp_gt_u32_e32 vcc, 32, v3
	v_add_u32_e32 v1, v1, v4
	v_cndmask_b32_e64 v4, 0, 1, vcc
	v_lshlrev_b32_e32 v4, 5, v4
	v_add_lshl_u32 v4, v4, v2, 2
	ds_bpermute_b32 v4, v4, v1
	v_add_u32_e32 v3, 32, v3
	v_cmp_lt_u32_e32 vcc, v3, v5
	s_waitcnt lgkmcnt(0)
	v_cndmask_b32_e32 v3, 0, v4, vcc
	v_add_u32_e32 v1, v1, v3
	v_cmp_eq_u32_e32 vcc, 0, v2
	s_and_saveexec_b64 s[2:3], vcc
	s_cbranch_execz .LBB108_90
; %bb.89:
	v_lshrrev_b32_e32 v3, 4, v0
	v_and_b32_e32 v3, 4, v3
	ds_write_b32 v3, v1 offset:48
.LBB108_90:
	s_or_b64 exec, exec, s[2:3]
	v_cmp_gt_u32_e32 vcc, 2, v0
	s_waitcnt lgkmcnt(0)
	s_barrier
	s_and_saveexec_b64 s[2:3], vcc
	s_cbranch_execz .LBB108_92
; %bb.91:
	v_lshlrev_b32_e32 v1, 2, v2
	ds_read_b32 v3, v1 offset:48
	v_or_b32_e32 v1, 4, v1
	s_add_i32 s8, s8, 63
	v_and_b32_e32 v2, 1, v2
	s_lshr_b32 s8, s8, 6
	s_waitcnt lgkmcnt(0)
	ds_bpermute_b32 v1, v1, v3
	v_add_u32_e32 v2, 1, v2
	v_cmp_gt_u32_e32 vcc, s8, v2
	s_waitcnt lgkmcnt(0)
	v_cndmask_b32_e32 v1, 0, v1, vcc
	v_add_u32_e32 v1, v1, v3
.LBB108_92:
	s_or_b64 exec, exec, s[2:3]
	v_cmp_eq_u32_e64 s[2:3], 0, v0
	s_and_b64 vcc, exec, s[0:1]
	s_cbranch_vccnz .LBB108_15
.LBB108_93:
	s_branch .LBB108_142
.LBB108_94:
	s_mov_b64 s[2:3], -1
                                        ; implicit-def: $vgpr1
.LBB108_95:
	s_and_b64 vcc, exec, s[2:3]
	s_cbranch_vccz .LBB108_133
; %bb.96:
	s_sub_i32 s42, s38, s0
	v_cmp_gt_u32_e32 vcc, s42, v0
                                        ; implicit-def: $vgpr2_vgpr3_vgpr4_vgpr5_vgpr6_vgpr7_vgpr8_vgpr9_vgpr10_vgpr11_vgpr12_vgpr13_vgpr14_vgpr15_vgpr16_vgpr17
	s_and_saveexec_b64 s[0:1], vcc
	s_cbranch_execz .LBB108_98
; %bb.97:
	v_lshlrev_b32_e32 v1, 2, v0
	global_load_dword v2, v1, s[34:35]
.LBB108_98:
	s_or_b64 exec, exec, s[0:1]
	v_or_b32_e32 v1, 0x80, v0
	v_cmp_gt_u32_e32 vcc, s42, v1
	s_and_saveexec_b64 s[0:1], vcc
	s_cbranch_execz .LBB108_100
; %bb.99:
	v_lshlrev_b32_e32 v1, 2, v0
	global_load_dword v3, v1, s[34:35] offset:512
.LBB108_100:
	s_or_b64 exec, exec, s[0:1]
	v_or_b32_e32 v1, 0x100, v0
	v_cmp_gt_u32_e64 s[0:1], s42, v1
	s_and_saveexec_b64 s[2:3], s[0:1]
	s_cbranch_execz .LBB108_102
; %bb.101:
	v_lshlrev_b32_e32 v1, 2, v0
	global_load_dword v4, v1, s[34:35] offset:1024
.LBB108_102:
	s_or_b64 exec, exec, s[2:3]
	v_or_b32_e32 v1, 0x180, v0
	v_cmp_gt_u32_e64 s[2:3], s42, v1
	s_and_saveexec_b64 s[8:9], s[2:3]
	;; [unrolled: 9-line block ×7, first 2 shown]
	s_cbranch_execz .LBB108_114
; %bb.113:
	v_lshlrev_b32_e32 v1, 2, v1
	global_load_dword v10, v1, s[34:35]
.LBB108_114:
	s_or_b64 exec, exec, s[18:19]
	v_or_b32_e32 v1, 0x480, v0
	v_cmp_gt_u32_e64 s[18:19], s42, v1
	s_and_saveexec_b64 s[20:21], s[18:19]
	s_cbranch_execz .LBB108_116
; %bb.115:
	v_lshlrev_b32_e32 v1, 2, v1
	global_load_dword v11, v1, s[34:35]
.LBB108_116:
	s_or_b64 exec, exec, s[20:21]
	v_or_b32_e32 v1, 0x500, v0
	v_cmp_gt_u32_e64 s[20:21], s42, v1
	s_and_saveexec_b64 s[22:23], s[20:21]
	;; [unrolled: 9-line block ×7, first 2 shown]
	s_cbranch_execz .LBB108_128
; %bb.127:
	v_lshlrev_b32_e32 v1, 2, v1
	global_load_dword v17, v1, s[34:35]
.LBB108_128:
	s_or_b64 exec, exec, s[40:41]
	s_waitcnt vmcnt(0)
	v_cndmask_b32_e32 v1, 0, v3, vcc
	v_add_u32_e32 v1, v1, v2
	v_cndmask_b32_e64 v2, 0, v4, s[0:1]
	v_cndmask_b32_e64 v3, 0, v5, s[2:3]
	v_add3_u32 v1, v1, v2, v3
	v_cndmask_b32_e64 v2, 0, v6, s[8:9]
	v_cndmask_b32_e64 v3, 0, v7, s[10:11]
	v_add3_u32 v1, v1, v2, v3
	;; [unrolled: 3-line block ×7, first 2 shown]
	v_mbcnt_lo_u32_b32 v2, -1, 0
	v_mbcnt_hi_u32_b32 v2, -1, v2
	v_and_b32_e32 v3, 63, v2
	v_cmp_ne_u32_e32 vcc, 63, v3
	v_addc_co_u32_e32 v4, vcc, 0, v2, vcc
	v_lshlrev_b32_e32 v4, 2, v4
	ds_bpermute_b32 v4, v4, v1
	s_min_u32 s2, s42, 0x80
	v_and_b32_e32 v5, 64, v0
	v_sub_u32_e64 v5, s2, v5 clamp
	v_add_u32_e32 v6, 1, v3
	v_cmp_lt_u32_e32 vcc, v6, v5
	s_waitcnt lgkmcnt(0)
	v_cndmask_b32_e32 v4, 0, v4, vcc
	v_cmp_gt_u32_e32 vcc, 62, v3
	v_add_u32_e32 v1, v1, v4
	v_cndmask_b32_e64 v4, 0, 1, vcc
	v_lshlrev_b32_e32 v4, 1, v4
	v_add_lshl_u32 v4, v4, v2, 2
	ds_bpermute_b32 v4, v4, v1
	v_add_u32_e32 v6, 2, v3
	v_cmp_lt_u32_e32 vcc, v6, v5
	v_add_u32_e32 v6, 4, v3
	s_waitcnt lgkmcnt(0)
	v_cndmask_b32_e32 v4, 0, v4, vcc
	v_cmp_gt_u32_e32 vcc, 60, v3
	v_add_u32_e32 v1, v1, v4
	v_cndmask_b32_e64 v4, 0, 1, vcc
	v_lshlrev_b32_e32 v4, 2, v4
	v_add_lshl_u32 v4, v4, v2, 2
	ds_bpermute_b32 v4, v4, v1
	v_cmp_lt_u32_e32 vcc, v6, v5
	v_add_u32_e32 v6, 8, v3
	s_waitcnt lgkmcnt(0)
	v_cndmask_b32_e32 v4, 0, v4, vcc
	v_cmp_gt_u32_e32 vcc, 56, v3
	v_add_u32_e32 v1, v1, v4
	v_cndmask_b32_e64 v4, 0, 1, vcc
	v_lshlrev_b32_e32 v4, 3, v4
	v_add_lshl_u32 v4, v4, v2, 2
	ds_bpermute_b32 v4, v4, v1
	;; [unrolled: 10-line block ×3, first 2 shown]
	v_cmp_lt_u32_e32 vcc, v6, v5
	s_waitcnt lgkmcnt(0)
	v_cndmask_b32_e32 v4, 0, v4, vcc
	v_cmp_gt_u32_e32 vcc, 32, v3
	v_add_u32_e32 v1, v1, v4
	v_cndmask_b32_e64 v4, 0, 1, vcc
	v_lshlrev_b32_e32 v4, 5, v4
	v_add_lshl_u32 v4, v4, v2, 2
	ds_bpermute_b32 v4, v4, v1
	v_add_u32_e32 v3, 32, v3
	v_cmp_lt_u32_e32 vcc, v3, v5
	s_waitcnt lgkmcnt(0)
	v_cndmask_b32_e32 v3, 0, v4, vcc
	v_add_u32_e32 v1, v1, v3
	v_cmp_eq_u32_e32 vcc, 0, v2
	s_and_saveexec_b64 s[0:1], vcc
	s_cbranch_execz .LBB108_130
; %bb.129:
	v_lshrrev_b32_e32 v3, 4, v0
	v_and_b32_e32 v3, 4, v3
	ds_write_b32 v3, v1 offset:48
.LBB108_130:
	s_or_b64 exec, exec, s[0:1]
	v_cmp_gt_u32_e32 vcc, 2, v0
	s_waitcnt lgkmcnt(0)
	s_barrier
	s_and_saveexec_b64 s[0:1], vcc
	s_cbranch_execz .LBB108_132
; %bb.131:
	v_lshlrev_b32_e32 v1, 2, v2
	ds_read_b32 v3, v1 offset:48
	v_or_b32_e32 v1, 4, v1
	s_add_i32 s2, s2, 63
	v_and_b32_e32 v2, 1, v2
	s_lshr_b32 s2, s2, 6
	s_waitcnt lgkmcnt(0)
	ds_bpermute_b32 v1, v1, v3
	v_add_u32_e32 v2, 1, v2
	v_cmp_gt_u32_e32 vcc, s2, v2
	s_waitcnt lgkmcnt(0)
	v_cndmask_b32_e32 v1, 0, v1, vcc
	v_add_u32_e32 v1, v1, v3
.LBB108_132:
	s_or_b64 exec, exec, s[0:1]
.LBB108_133:
	v_cmp_eq_u32_e64 s[2:3], 0, v0
	s_branch .LBB108_142
.LBB108_134:
	s_cmp_eq_u32 s33, 8
	s_cbranch_scc0 .LBB108_141
; %bb.135:
	s_mov_b32 s7, 0
	s_lshl_b32 s0, s6, 10
	s_mov_b32 s1, s7
	s_lshr_b64 s[2:3], s[38:39], 10
	s_lshl_b64 s[8:9], s[0:1], 2
	s_add_u32 s16, s36, s8
	s_addc_u32 s17, s37, s9
	s_cmp_lg_u64 s[2:3], s[6:7]
	s_cbranch_scc0 .LBB108_143
; %bb.136:
	v_lshlrev_b32_e32 v1, 2, v0
	global_load_dword v4, v1, s[16:17]
	global_load_dword v5, v1, s[16:17] offset:512
	global_load_dword v6, v1, s[16:17] offset:1024
	global_load_dword v7, v1, s[16:17] offset:1536
	global_load_dword v8, v1, s[16:17] offset:2048
	global_load_dword v9, v1, s[16:17] offset:2560
	global_load_dword v10, v1, s[16:17] offset:3072
	global_load_dword v11, v1, s[16:17] offset:3584
	v_mbcnt_lo_u32_b32 v1, -1, 0
	v_mbcnt_hi_u32_b32 v2, -1, v1
	v_lshlrev_b32_e32 v3, 2, v2
	v_cmp_eq_u32_e32 vcc, 0, v2
	s_waitcnt vmcnt(6)
	v_add_u32_e32 v1, v5, v4
	v_or_b32_e32 v4, 0xfc, v3
	s_waitcnt vmcnt(4)
	v_add3_u32 v1, v1, v6, v7
	s_waitcnt vmcnt(2)
	v_add3_u32 v1, v1, v8, v9
	;; [unrolled: 2-line block ×3, first 2 shown]
	s_nop 1
	v_add_u32_dpp v1, v1, v1 quad_perm:[1,0,3,2] row_mask:0xf bank_mask:0xf bound_ctrl:1
	s_nop 1
	v_add_u32_dpp v1, v1, v1 quad_perm:[2,3,0,1] row_mask:0xf bank_mask:0xf bound_ctrl:1
	s_nop 1
	v_add_u32_dpp v1, v1, v1 row_ror:4 row_mask:0xf bank_mask:0xf bound_ctrl:1
	s_nop 1
	v_add_u32_dpp v1, v1, v1 row_ror:8 row_mask:0xf bank_mask:0xf bound_ctrl:1
	s_nop 1
	v_add_u32_dpp v1, v1, v1 row_bcast:15 row_mask:0xf bank_mask:0xf bound_ctrl:1
	s_nop 1
	v_add_u32_dpp v1, v1, v1 row_bcast:31 row_mask:0xf bank_mask:0xf bound_ctrl:1
	ds_bpermute_b32 v1, v4, v1
	s_and_saveexec_b64 s[2:3], vcc
	s_cbranch_execz .LBB108_138
; %bb.137:
	v_lshrrev_b32_e32 v4, 4, v0
	v_and_b32_e32 v4, 4, v4
	s_waitcnt lgkmcnt(0)
	ds_write_b32 v4, v1 offset:40
.LBB108_138:
	s_or_b64 exec, exec, s[2:3]
	v_cmp_gt_u32_e32 vcc, 64, v0
	s_waitcnt lgkmcnt(0)
	s_barrier
	s_and_saveexec_b64 s[2:3], vcc
	s_cbranch_execz .LBB108_140
; %bb.139:
	v_and_b32_e32 v1, 1, v2
	v_lshlrev_b32_e32 v1, 2, v1
	ds_read_b32 v1, v1 offset:40
	v_or_b32_e32 v2, 4, v3
	s_waitcnt lgkmcnt(0)
	ds_bpermute_b32 v2, v2, v1
	s_waitcnt lgkmcnt(0)
	v_add_u32_e32 v1, v2, v1
.LBB108_140:
	s_or_b64 exec, exec, s[2:3]
	s_branch .LBB108_165
.LBB108_141:
                                        ; implicit-def: $vgpr1
.LBB108_142:
	s_branch .LBB108_224
.LBB108_143:
                                        ; implicit-def: $vgpr1
	s_cbranch_execz .LBB108_165
; %bb.144:
	s_sub_i32 s20, s38, s0
	v_cmp_gt_u32_e32 vcc, s20, v0
                                        ; implicit-def: $vgpr2_vgpr3_vgpr4_vgpr5_vgpr6_vgpr7_vgpr8_vgpr9
	s_and_saveexec_b64 s[0:1], vcc
	s_cbranch_execz .LBB108_146
; %bb.145:
	v_lshlrev_b32_e32 v1, 2, v0
	global_load_dword v2, v1, s[16:17]
.LBB108_146:
	s_or_b64 exec, exec, s[0:1]
	v_or_b32_e32 v1, 0x80, v0
	v_cmp_gt_u32_e32 vcc, s20, v1
	s_and_saveexec_b64 s[0:1], vcc
	s_cbranch_execz .LBB108_148
; %bb.147:
	v_lshlrev_b32_e32 v1, 2, v0
	global_load_dword v3, v1, s[16:17] offset:512
.LBB108_148:
	s_or_b64 exec, exec, s[0:1]
	v_or_b32_e32 v1, 0x100, v0
	v_cmp_gt_u32_e64 s[0:1], s20, v1
	s_and_saveexec_b64 s[2:3], s[0:1]
	s_cbranch_execz .LBB108_150
; %bb.149:
	v_lshlrev_b32_e32 v1, 2, v0
	global_load_dword v4, v1, s[16:17] offset:1024
.LBB108_150:
	s_or_b64 exec, exec, s[2:3]
	v_or_b32_e32 v1, 0x180, v0
	v_cmp_gt_u32_e64 s[2:3], s20, v1
	s_and_saveexec_b64 s[8:9], s[2:3]
	;; [unrolled: 9-line block ×6, first 2 shown]
	s_cbranch_execz .LBB108_160
; %bb.159:
	v_lshlrev_b32_e32 v1, 2, v0
	global_load_dword v9, v1, s[16:17] offset:3584
.LBB108_160:
	s_or_b64 exec, exec, s[18:19]
	s_waitcnt vmcnt(0)
	v_cndmask_b32_e32 v1, 0, v3, vcc
	v_add_u32_e32 v1, v1, v2
	v_cndmask_b32_e64 v2, 0, v4, s[0:1]
	v_cndmask_b32_e64 v3, 0, v5, s[2:3]
	v_add3_u32 v1, v1, v2, v3
	v_cndmask_b32_e64 v2, 0, v6, s[8:9]
	v_cndmask_b32_e64 v3, 0, v7, s[10:11]
	v_add3_u32 v1, v1, v2, v3
	;; [unrolled: 3-line block ×3, first 2 shown]
	v_mbcnt_lo_u32_b32 v2, -1, 0
	v_mbcnt_hi_u32_b32 v2, -1, v2
	v_and_b32_e32 v3, 63, v2
	v_cmp_ne_u32_e32 vcc, 63, v3
	v_addc_co_u32_e32 v4, vcc, 0, v2, vcc
	v_lshlrev_b32_e32 v4, 2, v4
	ds_bpermute_b32 v4, v4, v1
	s_min_u32 s2, s20, 0x80
	v_and_b32_e32 v5, 64, v0
	v_sub_u32_e64 v5, s2, v5 clamp
	v_add_u32_e32 v6, 1, v3
	v_cmp_lt_u32_e32 vcc, v6, v5
	s_waitcnt lgkmcnt(0)
	v_cndmask_b32_e32 v4, 0, v4, vcc
	v_cmp_gt_u32_e32 vcc, 62, v3
	v_add_u32_e32 v1, v1, v4
	v_cndmask_b32_e64 v4, 0, 1, vcc
	v_lshlrev_b32_e32 v4, 1, v4
	v_add_lshl_u32 v4, v4, v2, 2
	ds_bpermute_b32 v4, v4, v1
	v_add_u32_e32 v6, 2, v3
	v_cmp_lt_u32_e32 vcc, v6, v5
	v_add_u32_e32 v6, 4, v3
	s_waitcnt lgkmcnt(0)
	v_cndmask_b32_e32 v4, 0, v4, vcc
	v_cmp_gt_u32_e32 vcc, 60, v3
	v_add_u32_e32 v1, v1, v4
	v_cndmask_b32_e64 v4, 0, 1, vcc
	v_lshlrev_b32_e32 v4, 2, v4
	v_add_lshl_u32 v4, v4, v2, 2
	ds_bpermute_b32 v4, v4, v1
	v_cmp_lt_u32_e32 vcc, v6, v5
	v_add_u32_e32 v6, 8, v3
	s_waitcnt lgkmcnt(0)
	v_cndmask_b32_e32 v4, 0, v4, vcc
	v_cmp_gt_u32_e32 vcc, 56, v3
	v_add_u32_e32 v1, v1, v4
	v_cndmask_b32_e64 v4, 0, 1, vcc
	v_lshlrev_b32_e32 v4, 3, v4
	v_add_lshl_u32 v4, v4, v2, 2
	ds_bpermute_b32 v4, v4, v1
	;; [unrolled: 10-line block ×3, first 2 shown]
	v_cmp_lt_u32_e32 vcc, v6, v5
	s_waitcnt lgkmcnt(0)
	v_cndmask_b32_e32 v4, 0, v4, vcc
	v_cmp_gt_u32_e32 vcc, 32, v3
	v_add_u32_e32 v1, v1, v4
	v_cndmask_b32_e64 v4, 0, 1, vcc
	v_lshlrev_b32_e32 v4, 5, v4
	v_add_lshl_u32 v4, v4, v2, 2
	ds_bpermute_b32 v4, v4, v1
	v_add_u32_e32 v3, 32, v3
	v_cmp_lt_u32_e32 vcc, v3, v5
	s_waitcnt lgkmcnt(0)
	v_cndmask_b32_e32 v3, 0, v4, vcc
	v_add_u32_e32 v1, v1, v3
	v_cmp_eq_u32_e32 vcc, 0, v2
	s_and_saveexec_b64 s[0:1], vcc
	s_cbranch_execz .LBB108_162
; %bb.161:
	v_lshrrev_b32_e32 v3, 4, v0
	v_and_b32_e32 v3, 4, v3
	ds_write_b32 v3, v1 offset:48
.LBB108_162:
	s_or_b64 exec, exec, s[0:1]
	v_cmp_gt_u32_e32 vcc, 2, v0
	s_waitcnt lgkmcnt(0)
	s_barrier
	s_and_saveexec_b64 s[0:1], vcc
	s_cbranch_execz .LBB108_164
; %bb.163:
	v_lshlrev_b32_e32 v1, 2, v2
	ds_read_b32 v3, v1 offset:48
	v_or_b32_e32 v1, 4, v1
	s_add_i32 s2, s2, 63
	v_and_b32_e32 v2, 1, v2
	s_lshr_b32 s2, s2, 6
	s_waitcnt lgkmcnt(0)
	ds_bpermute_b32 v1, v1, v3
	v_add_u32_e32 v2, 1, v2
	v_cmp_gt_u32_e32 vcc, s2, v2
	s_waitcnt lgkmcnt(0)
	v_cndmask_b32_e32 v1, 0, v1, vcc
	v_add_u32_e32 v1, v1, v3
.LBB108_164:
	s_or_b64 exec, exec, s[0:1]
.LBB108_165:
	v_cmp_eq_u32_e64 s[2:3], 0, v0
	s_branch .LBB108_224
.LBB108_166:
	s_cmp_gt_i32 s33, 1
	s_cbranch_scc0 .LBB108_175
; %bb.167:
	s_cmp_gt_i32 s33, 3
	s_cbranch_scc0 .LBB108_176
; %bb.168:
	s_cmp_eq_u32 s33, 4
	s_cbranch_scc0 .LBB108_177
; %bb.169:
	s_mov_b32 s7, 0
	s_lshl_b32 s0, s6, 9
	s_mov_b32 s1, s7
	s_lshr_b64 s[2:3], s[38:39], 9
	s_lshl_b64 s[8:9], s[0:1], 2
	s_add_u32 s8, s36, s8
	s_addc_u32 s9, s37, s9
	s_cmp_lg_u64 s[2:3], s[6:7]
	s_cbranch_scc0 .LBB108_179
; %bb.170:
	v_lshlrev_b32_e32 v1, 2, v0
	global_load_dword v4, v1, s[8:9]
	global_load_dword v5, v1, s[8:9] offset:512
	global_load_dword v6, v1, s[8:9] offset:1024
	;; [unrolled: 1-line block ×3, first 2 shown]
	v_mbcnt_lo_u32_b32 v1, -1, 0
	v_mbcnt_hi_u32_b32 v2, -1, v1
	v_lshlrev_b32_e32 v3, 2, v2
	v_cmp_eq_u32_e32 vcc, 0, v2
	s_waitcnt vmcnt(2)
	v_add_u32_e32 v1, v5, v4
	v_or_b32_e32 v4, 0xfc, v3
	s_waitcnt vmcnt(0)
	v_add3_u32 v1, v1, v6, v7
	s_nop 1
	v_add_u32_dpp v1, v1, v1 quad_perm:[1,0,3,2] row_mask:0xf bank_mask:0xf bound_ctrl:1
	s_nop 1
	v_add_u32_dpp v1, v1, v1 quad_perm:[2,3,0,1] row_mask:0xf bank_mask:0xf bound_ctrl:1
	s_nop 1
	v_add_u32_dpp v1, v1, v1 row_ror:4 row_mask:0xf bank_mask:0xf bound_ctrl:1
	s_nop 1
	v_add_u32_dpp v1, v1, v1 row_ror:8 row_mask:0xf bank_mask:0xf bound_ctrl:1
	s_nop 1
	v_add_u32_dpp v1, v1, v1 row_bcast:15 row_mask:0xf bank_mask:0xf bound_ctrl:1
	s_nop 1
	v_add_u32_dpp v1, v1, v1 row_bcast:31 row_mask:0xf bank_mask:0xf bound_ctrl:1
	ds_bpermute_b32 v1, v4, v1
	s_and_saveexec_b64 s[2:3], vcc
	s_cbranch_execz .LBB108_172
; %bb.171:
	v_lshrrev_b32_e32 v4, 4, v0
	v_and_b32_e32 v4, 4, v4
	s_waitcnt lgkmcnt(0)
	ds_write_b32 v4, v1 offset:32
.LBB108_172:
	s_or_b64 exec, exec, s[2:3]
	v_cmp_gt_u32_e32 vcc, 64, v0
	s_waitcnt lgkmcnt(0)
	s_barrier
	s_and_saveexec_b64 s[2:3], vcc
	s_cbranch_execz .LBB108_174
; %bb.173:
	v_and_b32_e32 v1, 1, v2
	v_lshlrev_b32_e32 v1, 2, v1
	ds_read_b32 v1, v1 offset:32
	v_or_b32_e32 v2, 4, v3
	s_waitcnt lgkmcnt(0)
	ds_bpermute_b32 v2, v2, v1
	s_waitcnt lgkmcnt(0)
	v_add_u32_e32 v1, v2, v1
.LBB108_174:
	s_or_b64 exec, exec, s[2:3]
	s_mov_b64 s[2:3], 0
	s_branch .LBB108_180
.LBB108_175:
                                        ; implicit-def: $vgpr1
	s_cbranch_execnz .LBB108_215
	s_branch .LBB108_224
.LBB108_176:
                                        ; implicit-def: $vgpr1
	s_cbranch_execz .LBB108_178
	s_branch .LBB108_195
.LBB108_177:
                                        ; implicit-def: $vgpr1
.LBB108_178:
	s_branch .LBB108_224
.LBB108_179:
	s_mov_b64 s[2:3], -1
                                        ; implicit-def: $vgpr1
.LBB108_180:
	s_and_b64 vcc, exec, s[2:3]
	s_cbranch_vccz .LBB108_194
; %bb.181:
	s_sub_i32 s12, s38, s0
	v_cmp_gt_u32_e32 vcc, s12, v0
                                        ; implicit-def: $vgpr2_vgpr3_vgpr4_vgpr5
	s_and_saveexec_b64 s[0:1], vcc
	s_cbranch_execz .LBB108_183
; %bb.182:
	v_lshlrev_b32_e32 v1, 2, v0
	global_load_dword v2, v1, s[8:9]
.LBB108_183:
	s_or_b64 exec, exec, s[0:1]
	v_or_b32_e32 v1, 0x80, v0
	v_cmp_gt_u32_e32 vcc, s12, v1
	s_and_saveexec_b64 s[0:1], vcc
	s_cbranch_execz .LBB108_185
; %bb.184:
	v_lshlrev_b32_e32 v1, 2, v0
	global_load_dword v3, v1, s[8:9] offset:512
.LBB108_185:
	s_or_b64 exec, exec, s[0:1]
	v_or_b32_e32 v1, 0x100, v0
	v_cmp_gt_u32_e64 s[0:1], s12, v1
	s_and_saveexec_b64 s[2:3], s[0:1]
	s_cbranch_execz .LBB108_187
; %bb.186:
	v_lshlrev_b32_e32 v1, 2, v0
	global_load_dword v4, v1, s[8:9] offset:1024
.LBB108_187:
	s_or_b64 exec, exec, s[2:3]
	v_or_b32_e32 v1, 0x180, v0
	v_cmp_gt_u32_e64 s[2:3], s12, v1
	s_and_saveexec_b64 s[10:11], s[2:3]
	s_cbranch_execz .LBB108_189
; %bb.188:
	v_lshlrev_b32_e32 v1, 2, v0
	global_load_dword v5, v1, s[8:9] offset:1536
.LBB108_189:
	s_or_b64 exec, exec, s[10:11]
	s_waitcnt vmcnt(0)
	v_cndmask_b32_e32 v1, 0, v3, vcc
	v_add_u32_e32 v1, v1, v2
	v_cndmask_b32_e64 v2, 0, v4, s[0:1]
	v_cndmask_b32_e64 v3, 0, v5, s[2:3]
	v_add3_u32 v1, v1, v2, v3
	v_mbcnt_lo_u32_b32 v2, -1, 0
	v_mbcnt_hi_u32_b32 v2, -1, v2
	v_and_b32_e32 v3, 63, v2
	v_cmp_ne_u32_e32 vcc, 63, v3
	v_addc_co_u32_e32 v4, vcc, 0, v2, vcc
	v_lshlrev_b32_e32 v4, 2, v4
	ds_bpermute_b32 v4, v4, v1
	s_min_u32 s2, s12, 0x80
	v_and_b32_e32 v5, 64, v0
	v_sub_u32_e64 v5, s2, v5 clamp
	v_add_u32_e32 v6, 1, v3
	v_cmp_lt_u32_e32 vcc, v6, v5
	s_waitcnt lgkmcnt(0)
	v_cndmask_b32_e32 v4, 0, v4, vcc
	v_cmp_gt_u32_e32 vcc, 62, v3
	v_add_u32_e32 v1, v4, v1
	v_cndmask_b32_e64 v4, 0, 1, vcc
	v_lshlrev_b32_e32 v4, 1, v4
	v_add_lshl_u32 v4, v4, v2, 2
	ds_bpermute_b32 v4, v4, v1
	v_add_u32_e32 v6, 2, v3
	v_cmp_lt_u32_e32 vcc, v6, v5
	v_add_u32_e32 v6, 4, v3
	s_waitcnt lgkmcnt(0)
	v_cndmask_b32_e32 v4, 0, v4, vcc
	v_cmp_gt_u32_e32 vcc, 60, v3
	v_add_u32_e32 v1, v1, v4
	v_cndmask_b32_e64 v4, 0, 1, vcc
	v_lshlrev_b32_e32 v4, 2, v4
	v_add_lshl_u32 v4, v4, v2, 2
	ds_bpermute_b32 v4, v4, v1
	v_cmp_lt_u32_e32 vcc, v6, v5
	v_add_u32_e32 v6, 8, v3
	s_waitcnt lgkmcnt(0)
	v_cndmask_b32_e32 v4, 0, v4, vcc
	v_cmp_gt_u32_e32 vcc, 56, v3
	v_add_u32_e32 v1, v1, v4
	v_cndmask_b32_e64 v4, 0, 1, vcc
	v_lshlrev_b32_e32 v4, 3, v4
	v_add_lshl_u32 v4, v4, v2, 2
	ds_bpermute_b32 v4, v4, v1
	;; [unrolled: 10-line block ×3, first 2 shown]
	v_cmp_lt_u32_e32 vcc, v6, v5
	s_waitcnt lgkmcnt(0)
	v_cndmask_b32_e32 v4, 0, v4, vcc
	v_cmp_gt_u32_e32 vcc, 32, v3
	v_add_u32_e32 v1, v1, v4
	v_cndmask_b32_e64 v4, 0, 1, vcc
	v_lshlrev_b32_e32 v4, 5, v4
	v_add_lshl_u32 v4, v4, v2, 2
	ds_bpermute_b32 v4, v4, v1
	v_add_u32_e32 v3, 32, v3
	v_cmp_lt_u32_e32 vcc, v3, v5
	s_waitcnt lgkmcnt(0)
	v_cndmask_b32_e32 v3, 0, v4, vcc
	v_add_u32_e32 v1, v1, v3
	v_cmp_eq_u32_e32 vcc, 0, v2
	s_and_saveexec_b64 s[0:1], vcc
	s_cbranch_execz .LBB108_191
; %bb.190:
	v_lshrrev_b32_e32 v3, 4, v0
	v_and_b32_e32 v3, 4, v3
	ds_write_b32 v3, v1 offset:48
.LBB108_191:
	s_or_b64 exec, exec, s[0:1]
	v_cmp_gt_u32_e32 vcc, 2, v0
	s_waitcnt lgkmcnt(0)
	s_barrier
	s_and_saveexec_b64 s[0:1], vcc
	s_cbranch_execz .LBB108_193
; %bb.192:
	v_lshlrev_b32_e32 v1, 2, v2
	ds_read_b32 v3, v1 offset:48
	v_or_b32_e32 v1, 4, v1
	s_add_i32 s2, s2, 63
	v_and_b32_e32 v2, 1, v2
	s_lshr_b32 s2, s2, 6
	s_waitcnt lgkmcnt(0)
	ds_bpermute_b32 v1, v1, v3
	v_add_u32_e32 v2, 1, v2
	v_cmp_gt_u32_e32 vcc, s2, v2
	s_waitcnt lgkmcnt(0)
	v_cndmask_b32_e32 v1, 0, v1, vcc
	v_add_u32_e32 v1, v1, v3
.LBB108_193:
	s_or_b64 exec, exec, s[0:1]
.LBB108_194:
	v_cmp_eq_u32_e64 s[2:3], 0, v0
	s_branch .LBB108_178
.LBB108_195:
	s_cmp_eq_u32 s33, 2
	s_cbranch_scc0 .LBB108_202
; %bb.196:
	s_mov_b32 s7, 0
	s_lshl_b32 s2, s6, 8
	s_mov_b32 s3, s7
	s_lshr_b64 s[8:9], s[38:39], 8
	s_lshl_b64 s[0:1], s[2:3], 2
	s_add_u32 s0, s36, s0
	s_addc_u32 s1, s37, s1
	s_cmp_lg_u64 s[8:9], s[6:7]
	s_cbranch_scc0 .LBB108_203
; %bb.197:
	v_lshlrev_b32_e32 v1, 2, v0
	global_load_dword v4, v1, s[0:1]
	global_load_dword v5, v1, s[0:1] offset:512
	v_mbcnt_lo_u32_b32 v1, -1, 0
	v_mbcnt_hi_u32_b32 v2, -1, v1
	v_lshlrev_b32_e32 v3, 2, v2
	v_cmp_eq_u32_e32 vcc, 0, v2
	s_waitcnt vmcnt(0)
	v_add_u32_e32 v1, v5, v4
	s_nop 1
	v_add_u32_dpp v1, v1, v1 quad_perm:[1,0,3,2] row_mask:0xf bank_mask:0xf bound_ctrl:1
	v_or_b32_e32 v4, 0xfc, v3
	s_nop 0
	v_add_u32_dpp v1, v1, v1 quad_perm:[2,3,0,1] row_mask:0xf bank_mask:0xf bound_ctrl:1
	s_nop 1
	v_add_u32_dpp v1, v1, v1 row_ror:4 row_mask:0xf bank_mask:0xf bound_ctrl:1
	s_nop 1
	v_add_u32_dpp v1, v1, v1 row_ror:8 row_mask:0xf bank_mask:0xf bound_ctrl:1
	s_nop 1
	v_add_u32_dpp v1, v1, v1 row_bcast:15 row_mask:0xf bank_mask:0xf bound_ctrl:1
	s_nop 1
	v_add_u32_dpp v1, v1, v1 row_bcast:31 row_mask:0xf bank_mask:0xf bound_ctrl:1
	ds_bpermute_b32 v1, v4, v1
	s_and_saveexec_b64 s[8:9], vcc
	s_cbranch_execz .LBB108_199
; %bb.198:
	v_lshrrev_b32_e32 v4, 4, v0
	v_and_b32_e32 v4, 4, v4
	s_waitcnt lgkmcnt(0)
	ds_write_b32 v4, v1 offset:16
.LBB108_199:
	s_or_b64 exec, exec, s[8:9]
	v_cmp_gt_u32_e32 vcc, 64, v0
	s_waitcnt lgkmcnt(0)
	s_barrier
	s_and_saveexec_b64 s[8:9], vcc
	s_cbranch_execz .LBB108_201
; %bb.200:
	v_and_b32_e32 v1, 1, v2
	v_lshlrev_b32_e32 v1, 2, v1
	ds_read_b32 v1, v1 offset:16
	v_or_b32_e32 v2, 4, v3
	s_waitcnt lgkmcnt(0)
	ds_bpermute_b32 v2, v2, v1
	s_waitcnt lgkmcnt(0)
	v_add_u32_e32 v1, v2, v1
.LBB108_201:
	s_or_b64 exec, exec, s[8:9]
	s_mov_b64 s[8:9], 0
	s_branch .LBB108_204
.LBB108_202:
                                        ; implicit-def: $vgpr1
	s_branch .LBB108_224
.LBB108_203:
	s_mov_b64 s[8:9], -1
                                        ; implicit-def: $vgpr1
.LBB108_204:
	s_and_b64 vcc, exec, s[8:9]
	s_cbranch_vccz .LBB108_214
; %bb.205:
	s_sub_i32 s8, s38, s2
	v_cmp_gt_u32_e32 vcc, s8, v0
                                        ; implicit-def: $vgpr2_vgpr3
	s_and_saveexec_b64 s[2:3], vcc
	s_cbranch_execz .LBB108_207
; %bb.206:
	v_lshlrev_b32_e32 v1, 2, v0
	global_load_dword v2, v1, s[0:1]
.LBB108_207:
	s_or_b64 exec, exec, s[2:3]
	v_or_b32_e32 v1, 0x80, v0
	v_cmp_gt_u32_e32 vcc, s8, v1
	s_and_saveexec_b64 s[2:3], vcc
	s_cbranch_execz .LBB108_209
; %bb.208:
	v_lshlrev_b32_e32 v1, 2, v0
	global_load_dword v3, v1, s[0:1] offset:512
.LBB108_209:
	s_or_b64 exec, exec, s[2:3]
	s_waitcnt vmcnt(0)
	v_cndmask_b32_e32 v1, 0, v3, vcc
	v_add_u32_e32 v1, v1, v2
	v_mbcnt_lo_u32_b32 v2, -1, 0
	v_mbcnt_hi_u32_b32 v2, -1, v2
	v_and_b32_e32 v3, 63, v2
	v_cmp_ne_u32_e32 vcc, 63, v3
	v_addc_co_u32_e32 v4, vcc, 0, v2, vcc
	v_lshlrev_b32_e32 v4, 2, v4
	ds_bpermute_b32 v4, v4, v1
	s_min_u32 s2, s8, 0x80
	v_and_b32_e32 v5, 64, v0
	v_sub_u32_e64 v5, s2, v5 clamp
	v_add_u32_e32 v6, 1, v3
	v_cmp_lt_u32_e32 vcc, v6, v5
	s_waitcnt lgkmcnt(0)
	v_cndmask_b32_e32 v4, 0, v4, vcc
	v_cmp_gt_u32_e32 vcc, 62, v3
	v_add_u32_e32 v1, v4, v1
	v_cndmask_b32_e64 v4, 0, 1, vcc
	v_lshlrev_b32_e32 v4, 1, v4
	v_add_lshl_u32 v4, v4, v2, 2
	ds_bpermute_b32 v4, v4, v1
	v_add_u32_e32 v6, 2, v3
	v_cmp_lt_u32_e32 vcc, v6, v5
	v_add_u32_e32 v6, 4, v3
	s_waitcnt lgkmcnt(0)
	v_cndmask_b32_e32 v4, 0, v4, vcc
	v_cmp_gt_u32_e32 vcc, 60, v3
	v_add_u32_e32 v1, v1, v4
	v_cndmask_b32_e64 v4, 0, 1, vcc
	v_lshlrev_b32_e32 v4, 2, v4
	v_add_lshl_u32 v4, v4, v2, 2
	ds_bpermute_b32 v4, v4, v1
	v_cmp_lt_u32_e32 vcc, v6, v5
	v_add_u32_e32 v6, 8, v3
	s_waitcnt lgkmcnt(0)
	v_cndmask_b32_e32 v4, 0, v4, vcc
	v_cmp_gt_u32_e32 vcc, 56, v3
	v_add_u32_e32 v1, v1, v4
	v_cndmask_b32_e64 v4, 0, 1, vcc
	v_lshlrev_b32_e32 v4, 3, v4
	v_add_lshl_u32 v4, v4, v2, 2
	ds_bpermute_b32 v4, v4, v1
	;; [unrolled: 10-line block ×3, first 2 shown]
	v_cmp_lt_u32_e32 vcc, v6, v5
	s_waitcnt lgkmcnt(0)
	v_cndmask_b32_e32 v4, 0, v4, vcc
	v_cmp_gt_u32_e32 vcc, 32, v3
	v_add_u32_e32 v1, v1, v4
	v_cndmask_b32_e64 v4, 0, 1, vcc
	v_lshlrev_b32_e32 v4, 5, v4
	v_add_lshl_u32 v4, v4, v2, 2
	ds_bpermute_b32 v4, v4, v1
	v_add_u32_e32 v3, 32, v3
	v_cmp_lt_u32_e32 vcc, v3, v5
	s_waitcnt lgkmcnt(0)
	v_cndmask_b32_e32 v3, 0, v4, vcc
	v_add_u32_e32 v1, v1, v3
	v_cmp_eq_u32_e32 vcc, 0, v2
	s_and_saveexec_b64 s[0:1], vcc
	s_cbranch_execz .LBB108_211
; %bb.210:
	v_lshrrev_b32_e32 v3, 4, v0
	v_and_b32_e32 v3, 4, v3
	ds_write_b32 v3, v1 offset:48
.LBB108_211:
	s_or_b64 exec, exec, s[0:1]
	v_cmp_gt_u32_e32 vcc, 2, v0
	s_waitcnt lgkmcnt(0)
	s_barrier
	s_and_saveexec_b64 s[0:1], vcc
	s_cbranch_execz .LBB108_213
; %bb.212:
	v_lshlrev_b32_e32 v1, 2, v2
	ds_read_b32 v3, v1 offset:48
	v_or_b32_e32 v1, 4, v1
	s_add_i32 s2, s2, 63
	v_and_b32_e32 v2, 1, v2
	s_lshr_b32 s2, s2, 6
	s_waitcnt lgkmcnt(0)
	ds_bpermute_b32 v1, v1, v3
	v_add_u32_e32 v2, 1, v2
	v_cmp_gt_u32_e32 vcc, s2, v2
	s_waitcnt lgkmcnt(0)
	v_cndmask_b32_e32 v1, 0, v1, vcc
	v_add_u32_e32 v1, v1, v3
.LBB108_213:
	s_or_b64 exec, exec, s[0:1]
.LBB108_214:
	v_cmp_eq_u32_e64 s[2:3], 0, v0
	s_branch .LBB108_224
.LBB108_215:
	s_cmp_eq_u32 s33, 1
	s_cbranch_scc0 .LBB108_223
; %bb.216:
	s_mov_b32 s1, 0
	s_lshl_b32 s0, s6, 7
	s_mov_b32 s7, s1
	s_lshr_b64 s[2:3], s[38:39], 7
	s_cmp_lg_u64 s[2:3], s[6:7]
	v_mbcnt_lo_u32_b32 v2, -1, 0
	s_cbranch_scc0 .LBB108_227
; %bb.217:
	s_lshl_b64 s[2:3], s[0:1], 2
	s_add_u32 s2, s36, s2
	s_addc_u32 s3, s37, s3
	v_lshlrev_b32_e32 v1, 2, v0
	global_load_dword v1, v1, s[2:3]
	v_mbcnt_hi_u32_b32 v3, -1, v2
	v_lshlrev_b32_e32 v4, 2, v3
	v_or_b32_e32 v5, 0xfc, v4
	v_cmp_eq_u32_e32 vcc, 0, v3
	s_waitcnt vmcnt(0)
	v_add_u32_dpp v1, v1, v1 quad_perm:[1,0,3,2] row_mask:0xf bank_mask:0xf bound_ctrl:1
	s_nop 1
	v_add_u32_dpp v1, v1, v1 quad_perm:[2,3,0,1] row_mask:0xf bank_mask:0xf bound_ctrl:1
	s_nop 1
	v_add_u32_dpp v1, v1, v1 row_ror:4 row_mask:0xf bank_mask:0xf bound_ctrl:1
	s_nop 1
	v_add_u32_dpp v1, v1, v1 row_ror:8 row_mask:0xf bank_mask:0xf bound_ctrl:1
	s_nop 1
	v_add_u32_dpp v1, v1, v1 row_bcast:15 row_mask:0xf bank_mask:0xf bound_ctrl:1
	s_nop 1
	v_add_u32_dpp v1, v1, v1 row_bcast:31 row_mask:0xf bank_mask:0xf bound_ctrl:1
	ds_bpermute_b32 v1, v5, v1
	s_and_saveexec_b64 s[2:3], vcc
	s_cbranch_execz .LBB108_219
; %bb.218:
	v_lshrrev_b32_e32 v5, 4, v0
	v_and_b32_e32 v5, 4, v5
	s_waitcnt lgkmcnt(0)
	ds_write_b32 v5, v1 offset:8
.LBB108_219:
	s_or_b64 exec, exec, s[2:3]
	v_cmp_gt_u32_e32 vcc, 64, v0
	s_waitcnt lgkmcnt(0)
	s_barrier
	s_and_saveexec_b64 s[2:3], vcc
	s_cbranch_execz .LBB108_221
; %bb.220:
	v_and_b32_e32 v1, 1, v3
	v_lshlrev_b32_e32 v1, 2, v1
	ds_read_b32 v1, v1 offset:8
	v_or_b32_e32 v3, 4, v4
	s_waitcnt lgkmcnt(0)
	ds_bpermute_b32 v3, v3, v1
	s_waitcnt lgkmcnt(0)
	v_add_u32_e32 v1, v3, v1
.LBB108_221:
	s_or_b64 exec, exec, s[2:3]
.LBB108_222:
	v_cmp_eq_u32_e64 s[2:3], 0, v0
	s_and_saveexec_b64 s[0:1], s[2:3]
	s_cbranch_execnz .LBB108_225
	s_branch .LBB108_226
.LBB108_223:
                                        ; implicit-def: $vgpr1
                                        ; implicit-def: $sgpr6_sgpr7
.LBB108_224:
	s_and_saveexec_b64 s[0:1], s[2:3]
	s_cbranch_execz .LBB108_226
.LBB108_225:
	s_load_dwordx2 s[0:1], s[4:5], 0x18
	s_load_dword s8, s[4:5], 0x20
	s_lshl_b64 s[2:3], s[6:7], 2
	v_mov_b32_e32 v0, 0
	s_waitcnt lgkmcnt(0)
	s_add_u32 s0, s0, s2
	s_addc_u32 s1, s1, s3
	s_cmp_lg_u64 s[38:39], 0
	s_cselect_b64 vcc, -1, 0
	v_cndmask_b32_e32 v1, 0, v1, vcc
	v_add_u32_e32 v1, s8, v1
	global_store_dword v0, v1, s[0:1]
.LBB108_226:
	s_endpgm
.LBB108_227:
                                        ; implicit-def: $vgpr1
	s_cbranch_execz .LBB108_222
; %bb.228:
	s_sub_i32 s8, s38, s0
	v_cmp_gt_u32_e32 vcc, s8, v0
                                        ; implicit-def: $vgpr1
	s_and_saveexec_b64 s[2:3], vcc
	s_cbranch_execz .LBB108_230
; %bb.229:
	s_lshl_b64 s[0:1], s[0:1], 2
	s_add_u32 s0, s36, s0
	s_addc_u32 s1, s37, s1
	v_lshlrev_b32_e32 v1, 2, v0
	global_load_dword v1, v1, s[0:1]
.LBB108_230:
	s_or_b64 exec, exec, s[2:3]
	v_mbcnt_hi_u32_b32 v2, -1, v2
	v_and_b32_e32 v3, 63, v2
	v_cmp_ne_u32_e32 vcc, 63, v3
	v_addc_co_u32_e32 v4, vcc, 0, v2, vcc
	v_lshlrev_b32_e32 v4, 2, v4
	s_waitcnt vmcnt(0)
	ds_bpermute_b32 v4, v4, v1
	s_min_u32 s2, s8, 0x80
	v_and_b32_e32 v5, 64, v0
	v_sub_u32_e64 v5, s2, v5 clamp
	v_add_u32_e32 v6, 1, v3
	v_cmp_lt_u32_e32 vcc, v6, v5
	s_waitcnt lgkmcnt(0)
	v_cndmask_b32_e32 v4, 0, v4, vcc
	v_cmp_gt_u32_e32 vcc, 62, v3
	v_add_u32_e32 v1, v4, v1
	v_cndmask_b32_e64 v4, 0, 1, vcc
	v_lshlrev_b32_e32 v4, 1, v4
	v_add_lshl_u32 v4, v4, v2, 2
	ds_bpermute_b32 v4, v4, v1
	v_add_u32_e32 v6, 2, v3
	v_cmp_lt_u32_e32 vcc, v6, v5
	v_add_u32_e32 v6, 4, v3
	s_waitcnt lgkmcnt(0)
	v_cndmask_b32_e32 v4, 0, v4, vcc
	v_cmp_gt_u32_e32 vcc, 60, v3
	v_add_u32_e32 v1, v1, v4
	v_cndmask_b32_e64 v4, 0, 1, vcc
	v_lshlrev_b32_e32 v4, 2, v4
	v_add_lshl_u32 v4, v4, v2, 2
	ds_bpermute_b32 v4, v4, v1
	v_cmp_lt_u32_e32 vcc, v6, v5
	v_add_u32_e32 v6, 8, v3
	s_waitcnt lgkmcnt(0)
	v_cndmask_b32_e32 v4, 0, v4, vcc
	v_cmp_gt_u32_e32 vcc, 56, v3
	v_add_u32_e32 v1, v1, v4
	v_cndmask_b32_e64 v4, 0, 1, vcc
	v_lshlrev_b32_e32 v4, 3, v4
	v_add_lshl_u32 v4, v4, v2, 2
	ds_bpermute_b32 v4, v4, v1
	;; [unrolled: 10-line block ×3, first 2 shown]
	v_cmp_lt_u32_e32 vcc, v6, v5
	s_waitcnt lgkmcnt(0)
	v_cndmask_b32_e32 v4, 0, v4, vcc
	v_cmp_gt_u32_e32 vcc, 32, v3
	v_add_u32_e32 v1, v1, v4
	v_cndmask_b32_e64 v4, 0, 1, vcc
	v_lshlrev_b32_e32 v4, 5, v4
	v_add_lshl_u32 v4, v4, v2, 2
	ds_bpermute_b32 v4, v4, v1
	v_add_u32_e32 v3, 32, v3
	v_cmp_lt_u32_e32 vcc, v3, v5
	s_waitcnt lgkmcnt(0)
	v_cndmask_b32_e32 v3, 0, v4, vcc
	v_add_u32_e32 v1, v1, v3
	v_cmp_eq_u32_e32 vcc, 0, v2
	s_and_saveexec_b64 s[0:1], vcc
	s_cbranch_execz .LBB108_232
; %bb.231:
	v_lshrrev_b32_e32 v3, 4, v0
	v_and_b32_e32 v3, 4, v3
	ds_write_b32 v3, v1 offset:48
.LBB108_232:
	s_or_b64 exec, exec, s[0:1]
	v_cmp_gt_u32_e32 vcc, 2, v0
	s_waitcnt lgkmcnt(0)
	s_barrier
	s_and_saveexec_b64 s[0:1], vcc
	s_cbranch_execz .LBB108_234
; %bb.233:
	v_lshlrev_b32_e32 v1, 2, v2
	ds_read_b32 v3, v1 offset:48
	v_or_b32_e32 v1, 4, v1
	s_add_i32 s2, s2, 63
	v_and_b32_e32 v2, 1, v2
	s_lshr_b32 s2, s2, 6
	s_waitcnt lgkmcnt(0)
	ds_bpermute_b32 v1, v1, v3
	v_add_u32_e32 v2, 1, v2
	v_cmp_gt_u32_e32 vcc, s2, v2
	s_waitcnt lgkmcnt(0)
	v_cndmask_b32_e32 v1, 0, v1, vcc
	v_add_u32_e32 v1, v1, v3
.LBB108_234:
	s_or_b64 exec, exec, s[0:1]
	v_cmp_eq_u32_e64 s[2:3], 0, v0
	s_and_saveexec_b64 s[0:1], s[2:3]
	s_cbranch_execnz .LBB108_225
	s_branch .LBB108_226
	.section	.rodata,"a",@progbits
	.p2align	6, 0x0
	.amdhsa_kernel _ZN7rocprim17ROCPRIM_400000_NS6detail17trampoline_kernelINS0_14default_configENS1_22reduce_config_selectorIiEEZNS1_11reduce_implILb1ES3_PiS7_iN6hipcub16HIPCUB_304000_NS6detail34convert_binary_result_type_wrapperISt4plusIvENS9_22TransformInputIteratorIiN2at6native8internal21MapNumberOfTrueValuesEPKhlEEiEEEE10hipError_tPvRmT1_T2_T3_mT4_P12ihipStream_tbEUlT_E1_NS1_11comp_targetILNS1_3genE4ELNS1_11target_archE910ELNS1_3gpuE8ELNS1_3repE0EEENS1_30default_config_static_selectorELNS0_4arch9wavefront6targetE1EEEvSQ_
		.amdhsa_group_segment_fixed_size 56
		.amdhsa_private_segment_fixed_size 0
		.amdhsa_kernarg_size 40
		.amdhsa_user_sgpr_count 6
		.amdhsa_user_sgpr_private_segment_buffer 1
		.amdhsa_user_sgpr_dispatch_ptr 0
		.amdhsa_user_sgpr_queue_ptr 0
		.amdhsa_user_sgpr_kernarg_segment_ptr 1
		.amdhsa_user_sgpr_dispatch_id 0
		.amdhsa_user_sgpr_flat_scratch_init 0
		.amdhsa_user_sgpr_kernarg_preload_length 0
		.amdhsa_user_sgpr_kernarg_preload_offset 0
		.amdhsa_user_sgpr_private_segment_size 0
		.amdhsa_uses_dynamic_stack 0
		.amdhsa_system_sgpr_private_segment_wavefront_offset 0
		.amdhsa_system_sgpr_workgroup_id_x 1
		.amdhsa_system_sgpr_workgroup_id_y 0
		.amdhsa_system_sgpr_workgroup_id_z 0
		.amdhsa_system_sgpr_workgroup_info 0
		.amdhsa_system_vgpr_workitem_id 0
		.amdhsa_next_free_vgpr 35
		.amdhsa_next_free_sgpr 43
		.amdhsa_accum_offset 36
		.amdhsa_reserve_vcc 1
		.amdhsa_reserve_flat_scratch 0
		.amdhsa_float_round_mode_32 0
		.amdhsa_float_round_mode_16_64 0
		.amdhsa_float_denorm_mode_32 3
		.amdhsa_float_denorm_mode_16_64 3
		.amdhsa_dx10_clamp 1
		.amdhsa_ieee_mode 1
		.amdhsa_fp16_overflow 0
		.amdhsa_tg_split 0
		.amdhsa_exception_fp_ieee_invalid_op 0
		.amdhsa_exception_fp_denorm_src 0
		.amdhsa_exception_fp_ieee_div_zero 0
		.amdhsa_exception_fp_ieee_overflow 0
		.amdhsa_exception_fp_ieee_underflow 0
		.amdhsa_exception_fp_ieee_inexact 0
		.amdhsa_exception_int_div_zero 0
	.end_amdhsa_kernel
	.section	.text._ZN7rocprim17ROCPRIM_400000_NS6detail17trampoline_kernelINS0_14default_configENS1_22reduce_config_selectorIiEEZNS1_11reduce_implILb1ES3_PiS7_iN6hipcub16HIPCUB_304000_NS6detail34convert_binary_result_type_wrapperISt4plusIvENS9_22TransformInputIteratorIiN2at6native8internal21MapNumberOfTrueValuesEPKhlEEiEEEE10hipError_tPvRmT1_T2_T3_mT4_P12ihipStream_tbEUlT_E1_NS1_11comp_targetILNS1_3genE4ELNS1_11target_archE910ELNS1_3gpuE8ELNS1_3repE0EEENS1_30default_config_static_selectorELNS0_4arch9wavefront6targetE1EEEvSQ_,"axG",@progbits,_ZN7rocprim17ROCPRIM_400000_NS6detail17trampoline_kernelINS0_14default_configENS1_22reduce_config_selectorIiEEZNS1_11reduce_implILb1ES3_PiS7_iN6hipcub16HIPCUB_304000_NS6detail34convert_binary_result_type_wrapperISt4plusIvENS9_22TransformInputIteratorIiN2at6native8internal21MapNumberOfTrueValuesEPKhlEEiEEEE10hipError_tPvRmT1_T2_T3_mT4_P12ihipStream_tbEUlT_E1_NS1_11comp_targetILNS1_3genE4ELNS1_11target_archE910ELNS1_3gpuE8ELNS1_3repE0EEENS1_30default_config_static_selectorELNS0_4arch9wavefront6targetE1EEEvSQ_,comdat
.Lfunc_end108:
	.size	_ZN7rocprim17ROCPRIM_400000_NS6detail17trampoline_kernelINS0_14default_configENS1_22reduce_config_selectorIiEEZNS1_11reduce_implILb1ES3_PiS7_iN6hipcub16HIPCUB_304000_NS6detail34convert_binary_result_type_wrapperISt4plusIvENS9_22TransformInputIteratorIiN2at6native8internal21MapNumberOfTrueValuesEPKhlEEiEEEE10hipError_tPvRmT1_T2_T3_mT4_P12ihipStream_tbEUlT_E1_NS1_11comp_targetILNS1_3genE4ELNS1_11target_archE910ELNS1_3gpuE8ELNS1_3repE0EEENS1_30default_config_static_selectorELNS0_4arch9wavefront6targetE1EEEvSQ_, .Lfunc_end108-_ZN7rocprim17ROCPRIM_400000_NS6detail17trampoline_kernelINS0_14default_configENS1_22reduce_config_selectorIiEEZNS1_11reduce_implILb1ES3_PiS7_iN6hipcub16HIPCUB_304000_NS6detail34convert_binary_result_type_wrapperISt4plusIvENS9_22TransformInputIteratorIiN2at6native8internal21MapNumberOfTrueValuesEPKhlEEiEEEE10hipError_tPvRmT1_T2_T3_mT4_P12ihipStream_tbEUlT_E1_NS1_11comp_targetILNS1_3genE4ELNS1_11target_archE910ELNS1_3gpuE8ELNS1_3repE0EEENS1_30default_config_static_selectorELNS0_4arch9wavefront6targetE1EEEvSQ_
                                        ; -- End function
	.section	.AMDGPU.csdata,"",@progbits
; Kernel info:
; codeLenInByte = 8516
; NumSgprs: 47
; NumVgprs: 35
; NumAgprs: 0
; TotalNumVgprs: 35
; ScratchSize: 0
; MemoryBound: 0
; FloatMode: 240
; IeeeMode: 1
; LDSByteSize: 56 bytes/workgroup (compile time only)
; SGPRBlocks: 5
; VGPRBlocks: 4
; NumSGPRsForWavesPerEU: 47
; NumVGPRsForWavesPerEU: 35
; AccumOffset: 36
; Occupancy: 8
; WaveLimiterHint : 1
; COMPUTE_PGM_RSRC2:SCRATCH_EN: 0
; COMPUTE_PGM_RSRC2:USER_SGPR: 6
; COMPUTE_PGM_RSRC2:TRAP_HANDLER: 0
; COMPUTE_PGM_RSRC2:TGID_X_EN: 1
; COMPUTE_PGM_RSRC2:TGID_Y_EN: 0
; COMPUTE_PGM_RSRC2:TGID_Z_EN: 0
; COMPUTE_PGM_RSRC2:TIDIG_COMP_CNT: 0
; COMPUTE_PGM_RSRC3_GFX90A:ACCUM_OFFSET: 8
; COMPUTE_PGM_RSRC3_GFX90A:TG_SPLIT: 0
	.section	.text._ZN7rocprim17ROCPRIM_400000_NS6detail17trampoline_kernelINS0_14default_configENS1_22reduce_config_selectorIiEEZNS1_11reduce_implILb1ES3_PiS7_iN6hipcub16HIPCUB_304000_NS6detail34convert_binary_result_type_wrapperISt4plusIvENS9_22TransformInputIteratorIiN2at6native8internal21MapNumberOfTrueValuesEPKhlEEiEEEE10hipError_tPvRmT1_T2_T3_mT4_P12ihipStream_tbEUlT_E1_NS1_11comp_targetILNS1_3genE3ELNS1_11target_archE908ELNS1_3gpuE7ELNS1_3repE0EEENS1_30default_config_static_selectorELNS0_4arch9wavefront6targetE1EEEvSQ_,"axG",@progbits,_ZN7rocprim17ROCPRIM_400000_NS6detail17trampoline_kernelINS0_14default_configENS1_22reduce_config_selectorIiEEZNS1_11reduce_implILb1ES3_PiS7_iN6hipcub16HIPCUB_304000_NS6detail34convert_binary_result_type_wrapperISt4plusIvENS9_22TransformInputIteratorIiN2at6native8internal21MapNumberOfTrueValuesEPKhlEEiEEEE10hipError_tPvRmT1_T2_T3_mT4_P12ihipStream_tbEUlT_E1_NS1_11comp_targetILNS1_3genE3ELNS1_11target_archE908ELNS1_3gpuE7ELNS1_3repE0EEENS1_30default_config_static_selectorELNS0_4arch9wavefront6targetE1EEEvSQ_,comdat
	.protected	_ZN7rocprim17ROCPRIM_400000_NS6detail17trampoline_kernelINS0_14default_configENS1_22reduce_config_selectorIiEEZNS1_11reduce_implILb1ES3_PiS7_iN6hipcub16HIPCUB_304000_NS6detail34convert_binary_result_type_wrapperISt4plusIvENS9_22TransformInputIteratorIiN2at6native8internal21MapNumberOfTrueValuesEPKhlEEiEEEE10hipError_tPvRmT1_T2_T3_mT4_P12ihipStream_tbEUlT_E1_NS1_11comp_targetILNS1_3genE3ELNS1_11target_archE908ELNS1_3gpuE7ELNS1_3repE0EEENS1_30default_config_static_selectorELNS0_4arch9wavefront6targetE1EEEvSQ_ ; -- Begin function _ZN7rocprim17ROCPRIM_400000_NS6detail17trampoline_kernelINS0_14default_configENS1_22reduce_config_selectorIiEEZNS1_11reduce_implILb1ES3_PiS7_iN6hipcub16HIPCUB_304000_NS6detail34convert_binary_result_type_wrapperISt4plusIvENS9_22TransformInputIteratorIiN2at6native8internal21MapNumberOfTrueValuesEPKhlEEiEEEE10hipError_tPvRmT1_T2_T3_mT4_P12ihipStream_tbEUlT_E1_NS1_11comp_targetILNS1_3genE3ELNS1_11target_archE908ELNS1_3gpuE7ELNS1_3repE0EEENS1_30default_config_static_selectorELNS0_4arch9wavefront6targetE1EEEvSQ_
	.globl	_ZN7rocprim17ROCPRIM_400000_NS6detail17trampoline_kernelINS0_14default_configENS1_22reduce_config_selectorIiEEZNS1_11reduce_implILb1ES3_PiS7_iN6hipcub16HIPCUB_304000_NS6detail34convert_binary_result_type_wrapperISt4plusIvENS9_22TransformInputIteratorIiN2at6native8internal21MapNumberOfTrueValuesEPKhlEEiEEEE10hipError_tPvRmT1_T2_T3_mT4_P12ihipStream_tbEUlT_E1_NS1_11comp_targetILNS1_3genE3ELNS1_11target_archE908ELNS1_3gpuE7ELNS1_3repE0EEENS1_30default_config_static_selectorELNS0_4arch9wavefront6targetE1EEEvSQ_
	.p2align	8
	.type	_ZN7rocprim17ROCPRIM_400000_NS6detail17trampoline_kernelINS0_14default_configENS1_22reduce_config_selectorIiEEZNS1_11reduce_implILb1ES3_PiS7_iN6hipcub16HIPCUB_304000_NS6detail34convert_binary_result_type_wrapperISt4plusIvENS9_22TransformInputIteratorIiN2at6native8internal21MapNumberOfTrueValuesEPKhlEEiEEEE10hipError_tPvRmT1_T2_T3_mT4_P12ihipStream_tbEUlT_E1_NS1_11comp_targetILNS1_3genE3ELNS1_11target_archE908ELNS1_3gpuE7ELNS1_3repE0EEENS1_30default_config_static_selectorELNS0_4arch9wavefront6targetE1EEEvSQ_,@function
_ZN7rocprim17ROCPRIM_400000_NS6detail17trampoline_kernelINS0_14default_configENS1_22reduce_config_selectorIiEEZNS1_11reduce_implILb1ES3_PiS7_iN6hipcub16HIPCUB_304000_NS6detail34convert_binary_result_type_wrapperISt4plusIvENS9_22TransformInputIteratorIiN2at6native8internal21MapNumberOfTrueValuesEPKhlEEiEEEE10hipError_tPvRmT1_T2_T3_mT4_P12ihipStream_tbEUlT_E1_NS1_11comp_targetILNS1_3genE3ELNS1_11target_archE908ELNS1_3gpuE7ELNS1_3repE0EEENS1_30default_config_static_selectorELNS0_4arch9wavefront6targetE1EEEvSQ_: ; @_ZN7rocprim17ROCPRIM_400000_NS6detail17trampoline_kernelINS0_14default_configENS1_22reduce_config_selectorIiEEZNS1_11reduce_implILb1ES3_PiS7_iN6hipcub16HIPCUB_304000_NS6detail34convert_binary_result_type_wrapperISt4plusIvENS9_22TransformInputIteratorIiN2at6native8internal21MapNumberOfTrueValuesEPKhlEEiEEEE10hipError_tPvRmT1_T2_T3_mT4_P12ihipStream_tbEUlT_E1_NS1_11comp_targetILNS1_3genE3ELNS1_11target_archE908ELNS1_3gpuE7ELNS1_3repE0EEENS1_30default_config_static_selectorELNS0_4arch9wavefront6targetE1EEEvSQ_
; %bb.0:
	.section	.rodata,"a",@progbits
	.p2align	6, 0x0
	.amdhsa_kernel _ZN7rocprim17ROCPRIM_400000_NS6detail17trampoline_kernelINS0_14default_configENS1_22reduce_config_selectorIiEEZNS1_11reduce_implILb1ES3_PiS7_iN6hipcub16HIPCUB_304000_NS6detail34convert_binary_result_type_wrapperISt4plusIvENS9_22TransformInputIteratorIiN2at6native8internal21MapNumberOfTrueValuesEPKhlEEiEEEE10hipError_tPvRmT1_T2_T3_mT4_P12ihipStream_tbEUlT_E1_NS1_11comp_targetILNS1_3genE3ELNS1_11target_archE908ELNS1_3gpuE7ELNS1_3repE0EEENS1_30default_config_static_selectorELNS0_4arch9wavefront6targetE1EEEvSQ_
		.amdhsa_group_segment_fixed_size 0
		.amdhsa_private_segment_fixed_size 0
		.amdhsa_kernarg_size 40
		.amdhsa_user_sgpr_count 6
		.amdhsa_user_sgpr_private_segment_buffer 1
		.amdhsa_user_sgpr_dispatch_ptr 0
		.amdhsa_user_sgpr_queue_ptr 0
		.amdhsa_user_sgpr_kernarg_segment_ptr 1
		.amdhsa_user_sgpr_dispatch_id 0
		.amdhsa_user_sgpr_flat_scratch_init 0
		.amdhsa_user_sgpr_kernarg_preload_length 0
		.amdhsa_user_sgpr_kernarg_preload_offset 0
		.amdhsa_user_sgpr_private_segment_size 0
		.amdhsa_uses_dynamic_stack 0
		.amdhsa_system_sgpr_private_segment_wavefront_offset 0
		.amdhsa_system_sgpr_workgroup_id_x 1
		.amdhsa_system_sgpr_workgroup_id_y 0
		.amdhsa_system_sgpr_workgroup_id_z 0
		.amdhsa_system_sgpr_workgroup_info 0
		.amdhsa_system_vgpr_workitem_id 0
		.amdhsa_next_free_vgpr 1
		.amdhsa_next_free_sgpr 0
		.amdhsa_accum_offset 4
		.amdhsa_reserve_vcc 0
		.amdhsa_reserve_flat_scratch 0
		.amdhsa_float_round_mode_32 0
		.amdhsa_float_round_mode_16_64 0
		.amdhsa_float_denorm_mode_32 3
		.amdhsa_float_denorm_mode_16_64 3
		.amdhsa_dx10_clamp 1
		.amdhsa_ieee_mode 1
		.amdhsa_fp16_overflow 0
		.amdhsa_tg_split 0
		.amdhsa_exception_fp_ieee_invalid_op 0
		.amdhsa_exception_fp_denorm_src 0
		.amdhsa_exception_fp_ieee_div_zero 0
		.amdhsa_exception_fp_ieee_overflow 0
		.amdhsa_exception_fp_ieee_underflow 0
		.amdhsa_exception_fp_ieee_inexact 0
		.amdhsa_exception_int_div_zero 0
	.end_amdhsa_kernel
	.section	.text._ZN7rocprim17ROCPRIM_400000_NS6detail17trampoline_kernelINS0_14default_configENS1_22reduce_config_selectorIiEEZNS1_11reduce_implILb1ES3_PiS7_iN6hipcub16HIPCUB_304000_NS6detail34convert_binary_result_type_wrapperISt4plusIvENS9_22TransformInputIteratorIiN2at6native8internal21MapNumberOfTrueValuesEPKhlEEiEEEE10hipError_tPvRmT1_T2_T3_mT4_P12ihipStream_tbEUlT_E1_NS1_11comp_targetILNS1_3genE3ELNS1_11target_archE908ELNS1_3gpuE7ELNS1_3repE0EEENS1_30default_config_static_selectorELNS0_4arch9wavefront6targetE1EEEvSQ_,"axG",@progbits,_ZN7rocprim17ROCPRIM_400000_NS6detail17trampoline_kernelINS0_14default_configENS1_22reduce_config_selectorIiEEZNS1_11reduce_implILb1ES3_PiS7_iN6hipcub16HIPCUB_304000_NS6detail34convert_binary_result_type_wrapperISt4plusIvENS9_22TransformInputIteratorIiN2at6native8internal21MapNumberOfTrueValuesEPKhlEEiEEEE10hipError_tPvRmT1_T2_T3_mT4_P12ihipStream_tbEUlT_E1_NS1_11comp_targetILNS1_3genE3ELNS1_11target_archE908ELNS1_3gpuE7ELNS1_3repE0EEENS1_30default_config_static_selectorELNS0_4arch9wavefront6targetE1EEEvSQ_,comdat
.Lfunc_end109:
	.size	_ZN7rocprim17ROCPRIM_400000_NS6detail17trampoline_kernelINS0_14default_configENS1_22reduce_config_selectorIiEEZNS1_11reduce_implILb1ES3_PiS7_iN6hipcub16HIPCUB_304000_NS6detail34convert_binary_result_type_wrapperISt4plusIvENS9_22TransformInputIteratorIiN2at6native8internal21MapNumberOfTrueValuesEPKhlEEiEEEE10hipError_tPvRmT1_T2_T3_mT4_P12ihipStream_tbEUlT_E1_NS1_11comp_targetILNS1_3genE3ELNS1_11target_archE908ELNS1_3gpuE7ELNS1_3repE0EEENS1_30default_config_static_selectorELNS0_4arch9wavefront6targetE1EEEvSQ_, .Lfunc_end109-_ZN7rocprim17ROCPRIM_400000_NS6detail17trampoline_kernelINS0_14default_configENS1_22reduce_config_selectorIiEEZNS1_11reduce_implILb1ES3_PiS7_iN6hipcub16HIPCUB_304000_NS6detail34convert_binary_result_type_wrapperISt4plusIvENS9_22TransformInputIteratorIiN2at6native8internal21MapNumberOfTrueValuesEPKhlEEiEEEE10hipError_tPvRmT1_T2_T3_mT4_P12ihipStream_tbEUlT_E1_NS1_11comp_targetILNS1_3genE3ELNS1_11target_archE908ELNS1_3gpuE7ELNS1_3repE0EEENS1_30default_config_static_selectorELNS0_4arch9wavefront6targetE1EEEvSQ_
                                        ; -- End function
	.section	.AMDGPU.csdata,"",@progbits
; Kernel info:
; codeLenInByte = 0
; NumSgprs: 4
; NumVgprs: 0
; NumAgprs: 0
; TotalNumVgprs: 0
; ScratchSize: 0
; MemoryBound: 0
; FloatMode: 240
; IeeeMode: 1
; LDSByteSize: 0 bytes/workgroup (compile time only)
; SGPRBlocks: 0
; VGPRBlocks: 0
; NumSGPRsForWavesPerEU: 4
; NumVGPRsForWavesPerEU: 1
; AccumOffset: 4
; Occupancy: 8
; WaveLimiterHint : 0
; COMPUTE_PGM_RSRC2:SCRATCH_EN: 0
; COMPUTE_PGM_RSRC2:USER_SGPR: 6
; COMPUTE_PGM_RSRC2:TRAP_HANDLER: 0
; COMPUTE_PGM_RSRC2:TGID_X_EN: 1
; COMPUTE_PGM_RSRC2:TGID_Y_EN: 0
; COMPUTE_PGM_RSRC2:TGID_Z_EN: 0
; COMPUTE_PGM_RSRC2:TIDIG_COMP_CNT: 0
; COMPUTE_PGM_RSRC3_GFX90A:ACCUM_OFFSET: 0
; COMPUTE_PGM_RSRC3_GFX90A:TG_SPLIT: 0
	.section	.text._ZN7rocprim17ROCPRIM_400000_NS6detail17trampoline_kernelINS0_14default_configENS1_22reduce_config_selectorIiEEZNS1_11reduce_implILb1ES3_PiS7_iN6hipcub16HIPCUB_304000_NS6detail34convert_binary_result_type_wrapperISt4plusIvENS9_22TransformInputIteratorIiN2at6native8internal21MapNumberOfTrueValuesEPKhlEEiEEEE10hipError_tPvRmT1_T2_T3_mT4_P12ihipStream_tbEUlT_E1_NS1_11comp_targetILNS1_3genE2ELNS1_11target_archE906ELNS1_3gpuE6ELNS1_3repE0EEENS1_30default_config_static_selectorELNS0_4arch9wavefront6targetE1EEEvSQ_,"axG",@progbits,_ZN7rocprim17ROCPRIM_400000_NS6detail17trampoline_kernelINS0_14default_configENS1_22reduce_config_selectorIiEEZNS1_11reduce_implILb1ES3_PiS7_iN6hipcub16HIPCUB_304000_NS6detail34convert_binary_result_type_wrapperISt4plusIvENS9_22TransformInputIteratorIiN2at6native8internal21MapNumberOfTrueValuesEPKhlEEiEEEE10hipError_tPvRmT1_T2_T3_mT4_P12ihipStream_tbEUlT_E1_NS1_11comp_targetILNS1_3genE2ELNS1_11target_archE906ELNS1_3gpuE6ELNS1_3repE0EEENS1_30default_config_static_selectorELNS0_4arch9wavefront6targetE1EEEvSQ_,comdat
	.protected	_ZN7rocprim17ROCPRIM_400000_NS6detail17trampoline_kernelINS0_14default_configENS1_22reduce_config_selectorIiEEZNS1_11reduce_implILb1ES3_PiS7_iN6hipcub16HIPCUB_304000_NS6detail34convert_binary_result_type_wrapperISt4plusIvENS9_22TransformInputIteratorIiN2at6native8internal21MapNumberOfTrueValuesEPKhlEEiEEEE10hipError_tPvRmT1_T2_T3_mT4_P12ihipStream_tbEUlT_E1_NS1_11comp_targetILNS1_3genE2ELNS1_11target_archE906ELNS1_3gpuE6ELNS1_3repE0EEENS1_30default_config_static_selectorELNS0_4arch9wavefront6targetE1EEEvSQ_ ; -- Begin function _ZN7rocprim17ROCPRIM_400000_NS6detail17trampoline_kernelINS0_14default_configENS1_22reduce_config_selectorIiEEZNS1_11reduce_implILb1ES3_PiS7_iN6hipcub16HIPCUB_304000_NS6detail34convert_binary_result_type_wrapperISt4plusIvENS9_22TransformInputIteratorIiN2at6native8internal21MapNumberOfTrueValuesEPKhlEEiEEEE10hipError_tPvRmT1_T2_T3_mT4_P12ihipStream_tbEUlT_E1_NS1_11comp_targetILNS1_3genE2ELNS1_11target_archE906ELNS1_3gpuE6ELNS1_3repE0EEENS1_30default_config_static_selectorELNS0_4arch9wavefront6targetE1EEEvSQ_
	.globl	_ZN7rocprim17ROCPRIM_400000_NS6detail17trampoline_kernelINS0_14default_configENS1_22reduce_config_selectorIiEEZNS1_11reduce_implILb1ES3_PiS7_iN6hipcub16HIPCUB_304000_NS6detail34convert_binary_result_type_wrapperISt4plusIvENS9_22TransformInputIteratorIiN2at6native8internal21MapNumberOfTrueValuesEPKhlEEiEEEE10hipError_tPvRmT1_T2_T3_mT4_P12ihipStream_tbEUlT_E1_NS1_11comp_targetILNS1_3genE2ELNS1_11target_archE906ELNS1_3gpuE6ELNS1_3repE0EEENS1_30default_config_static_selectorELNS0_4arch9wavefront6targetE1EEEvSQ_
	.p2align	8
	.type	_ZN7rocprim17ROCPRIM_400000_NS6detail17trampoline_kernelINS0_14default_configENS1_22reduce_config_selectorIiEEZNS1_11reduce_implILb1ES3_PiS7_iN6hipcub16HIPCUB_304000_NS6detail34convert_binary_result_type_wrapperISt4plusIvENS9_22TransformInputIteratorIiN2at6native8internal21MapNumberOfTrueValuesEPKhlEEiEEEE10hipError_tPvRmT1_T2_T3_mT4_P12ihipStream_tbEUlT_E1_NS1_11comp_targetILNS1_3genE2ELNS1_11target_archE906ELNS1_3gpuE6ELNS1_3repE0EEENS1_30default_config_static_selectorELNS0_4arch9wavefront6targetE1EEEvSQ_,@function
_ZN7rocprim17ROCPRIM_400000_NS6detail17trampoline_kernelINS0_14default_configENS1_22reduce_config_selectorIiEEZNS1_11reduce_implILb1ES3_PiS7_iN6hipcub16HIPCUB_304000_NS6detail34convert_binary_result_type_wrapperISt4plusIvENS9_22TransformInputIteratorIiN2at6native8internal21MapNumberOfTrueValuesEPKhlEEiEEEE10hipError_tPvRmT1_T2_T3_mT4_P12ihipStream_tbEUlT_E1_NS1_11comp_targetILNS1_3genE2ELNS1_11target_archE906ELNS1_3gpuE6ELNS1_3repE0EEENS1_30default_config_static_selectorELNS0_4arch9wavefront6targetE1EEEvSQ_: ; @_ZN7rocprim17ROCPRIM_400000_NS6detail17trampoline_kernelINS0_14default_configENS1_22reduce_config_selectorIiEEZNS1_11reduce_implILb1ES3_PiS7_iN6hipcub16HIPCUB_304000_NS6detail34convert_binary_result_type_wrapperISt4plusIvENS9_22TransformInputIteratorIiN2at6native8internal21MapNumberOfTrueValuesEPKhlEEiEEEE10hipError_tPvRmT1_T2_T3_mT4_P12ihipStream_tbEUlT_E1_NS1_11comp_targetILNS1_3genE2ELNS1_11target_archE906ELNS1_3gpuE6ELNS1_3repE0EEENS1_30default_config_static_selectorELNS0_4arch9wavefront6targetE1EEEvSQ_
; %bb.0:
	.section	.rodata,"a",@progbits
	.p2align	6, 0x0
	.amdhsa_kernel _ZN7rocprim17ROCPRIM_400000_NS6detail17trampoline_kernelINS0_14default_configENS1_22reduce_config_selectorIiEEZNS1_11reduce_implILb1ES3_PiS7_iN6hipcub16HIPCUB_304000_NS6detail34convert_binary_result_type_wrapperISt4plusIvENS9_22TransformInputIteratorIiN2at6native8internal21MapNumberOfTrueValuesEPKhlEEiEEEE10hipError_tPvRmT1_T2_T3_mT4_P12ihipStream_tbEUlT_E1_NS1_11comp_targetILNS1_3genE2ELNS1_11target_archE906ELNS1_3gpuE6ELNS1_3repE0EEENS1_30default_config_static_selectorELNS0_4arch9wavefront6targetE1EEEvSQ_
		.amdhsa_group_segment_fixed_size 0
		.amdhsa_private_segment_fixed_size 0
		.amdhsa_kernarg_size 40
		.amdhsa_user_sgpr_count 6
		.amdhsa_user_sgpr_private_segment_buffer 1
		.amdhsa_user_sgpr_dispatch_ptr 0
		.amdhsa_user_sgpr_queue_ptr 0
		.amdhsa_user_sgpr_kernarg_segment_ptr 1
		.amdhsa_user_sgpr_dispatch_id 0
		.amdhsa_user_sgpr_flat_scratch_init 0
		.amdhsa_user_sgpr_kernarg_preload_length 0
		.amdhsa_user_sgpr_kernarg_preload_offset 0
		.amdhsa_user_sgpr_private_segment_size 0
		.amdhsa_uses_dynamic_stack 0
		.amdhsa_system_sgpr_private_segment_wavefront_offset 0
		.amdhsa_system_sgpr_workgroup_id_x 1
		.amdhsa_system_sgpr_workgroup_id_y 0
		.amdhsa_system_sgpr_workgroup_id_z 0
		.amdhsa_system_sgpr_workgroup_info 0
		.amdhsa_system_vgpr_workitem_id 0
		.amdhsa_next_free_vgpr 1
		.amdhsa_next_free_sgpr 0
		.amdhsa_accum_offset 4
		.amdhsa_reserve_vcc 0
		.amdhsa_reserve_flat_scratch 0
		.amdhsa_float_round_mode_32 0
		.amdhsa_float_round_mode_16_64 0
		.amdhsa_float_denorm_mode_32 3
		.amdhsa_float_denorm_mode_16_64 3
		.amdhsa_dx10_clamp 1
		.amdhsa_ieee_mode 1
		.amdhsa_fp16_overflow 0
		.amdhsa_tg_split 0
		.amdhsa_exception_fp_ieee_invalid_op 0
		.amdhsa_exception_fp_denorm_src 0
		.amdhsa_exception_fp_ieee_div_zero 0
		.amdhsa_exception_fp_ieee_overflow 0
		.amdhsa_exception_fp_ieee_underflow 0
		.amdhsa_exception_fp_ieee_inexact 0
		.amdhsa_exception_int_div_zero 0
	.end_amdhsa_kernel
	.section	.text._ZN7rocprim17ROCPRIM_400000_NS6detail17trampoline_kernelINS0_14default_configENS1_22reduce_config_selectorIiEEZNS1_11reduce_implILb1ES3_PiS7_iN6hipcub16HIPCUB_304000_NS6detail34convert_binary_result_type_wrapperISt4plusIvENS9_22TransformInputIteratorIiN2at6native8internal21MapNumberOfTrueValuesEPKhlEEiEEEE10hipError_tPvRmT1_T2_T3_mT4_P12ihipStream_tbEUlT_E1_NS1_11comp_targetILNS1_3genE2ELNS1_11target_archE906ELNS1_3gpuE6ELNS1_3repE0EEENS1_30default_config_static_selectorELNS0_4arch9wavefront6targetE1EEEvSQ_,"axG",@progbits,_ZN7rocprim17ROCPRIM_400000_NS6detail17trampoline_kernelINS0_14default_configENS1_22reduce_config_selectorIiEEZNS1_11reduce_implILb1ES3_PiS7_iN6hipcub16HIPCUB_304000_NS6detail34convert_binary_result_type_wrapperISt4plusIvENS9_22TransformInputIteratorIiN2at6native8internal21MapNumberOfTrueValuesEPKhlEEiEEEE10hipError_tPvRmT1_T2_T3_mT4_P12ihipStream_tbEUlT_E1_NS1_11comp_targetILNS1_3genE2ELNS1_11target_archE906ELNS1_3gpuE6ELNS1_3repE0EEENS1_30default_config_static_selectorELNS0_4arch9wavefront6targetE1EEEvSQ_,comdat
.Lfunc_end110:
	.size	_ZN7rocprim17ROCPRIM_400000_NS6detail17trampoline_kernelINS0_14default_configENS1_22reduce_config_selectorIiEEZNS1_11reduce_implILb1ES3_PiS7_iN6hipcub16HIPCUB_304000_NS6detail34convert_binary_result_type_wrapperISt4plusIvENS9_22TransformInputIteratorIiN2at6native8internal21MapNumberOfTrueValuesEPKhlEEiEEEE10hipError_tPvRmT1_T2_T3_mT4_P12ihipStream_tbEUlT_E1_NS1_11comp_targetILNS1_3genE2ELNS1_11target_archE906ELNS1_3gpuE6ELNS1_3repE0EEENS1_30default_config_static_selectorELNS0_4arch9wavefront6targetE1EEEvSQ_, .Lfunc_end110-_ZN7rocprim17ROCPRIM_400000_NS6detail17trampoline_kernelINS0_14default_configENS1_22reduce_config_selectorIiEEZNS1_11reduce_implILb1ES3_PiS7_iN6hipcub16HIPCUB_304000_NS6detail34convert_binary_result_type_wrapperISt4plusIvENS9_22TransformInputIteratorIiN2at6native8internal21MapNumberOfTrueValuesEPKhlEEiEEEE10hipError_tPvRmT1_T2_T3_mT4_P12ihipStream_tbEUlT_E1_NS1_11comp_targetILNS1_3genE2ELNS1_11target_archE906ELNS1_3gpuE6ELNS1_3repE0EEENS1_30default_config_static_selectorELNS0_4arch9wavefront6targetE1EEEvSQ_
                                        ; -- End function
	.section	.AMDGPU.csdata,"",@progbits
; Kernel info:
; codeLenInByte = 0
; NumSgprs: 4
; NumVgprs: 0
; NumAgprs: 0
; TotalNumVgprs: 0
; ScratchSize: 0
; MemoryBound: 0
; FloatMode: 240
; IeeeMode: 1
; LDSByteSize: 0 bytes/workgroup (compile time only)
; SGPRBlocks: 0
; VGPRBlocks: 0
; NumSGPRsForWavesPerEU: 4
; NumVGPRsForWavesPerEU: 1
; AccumOffset: 4
; Occupancy: 8
; WaveLimiterHint : 0
; COMPUTE_PGM_RSRC2:SCRATCH_EN: 0
; COMPUTE_PGM_RSRC2:USER_SGPR: 6
; COMPUTE_PGM_RSRC2:TRAP_HANDLER: 0
; COMPUTE_PGM_RSRC2:TGID_X_EN: 1
; COMPUTE_PGM_RSRC2:TGID_Y_EN: 0
; COMPUTE_PGM_RSRC2:TGID_Z_EN: 0
; COMPUTE_PGM_RSRC2:TIDIG_COMP_CNT: 0
; COMPUTE_PGM_RSRC3_GFX90A:ACCUM_OFFSET: 0
; COMPUTE_PGM_RSRC3_GFX90A:TG_SPLIT: 0
	.section	.text._ZN7rocprim17ROCPRIM_400000_NS6detail17trampoline_kernelINS0_14default_configENS1_22reduce_config_selectorIiEEZNS1_11reduce_implILb1ES3_PiS7_iN6hipcub16HIPCUB_304000_NS6detail34convert_binary_result_type_wrapperISt4plusIvENS9_22TransformInputIteratorIiN2at6native8internal21MapNumberOfTrueValuesEPKhlEEiEEEE10hipError_tPvRmT1_T2_T3_mT4_P12ihipStream_tbEUlT_E1_NS1_11comp_targetILNS1_3genE10ELNS1_11target_archE1201ELNS1_3gpuE5ELNS1_3repE0EEENS1_30default_config_static_selectorELNS0_4arch9wavefront6targetE1EEEvSQ_,"axG",@progbits,_ZN7rocprim17ROCPRIM_400000_NS6detail17trampoline_kernelINS0_14default_configENS1_22reduce_config_selectorIiEEZNS1_11reduce_implILb1ES3_PiS7_iN6hipcub16HIPCUB_304000_NS6detail34convert_binary_result_type_wrapperISt4plusIvENS9_22TransformInputIteratorIiN2at6native8internal21MapNumberOfTrueValuesEPKhlEEiEEEE10hipError_tPvRmT1_T2_T3_mT4_P12ihipStream_tbEUlT_E1_NS1_11comp_targetILNS1_3genE10ELNS1_11target_archE1201ELNS1_3gpuE5ELNS1_3repE0EEENS1_30default_config_static_selectorELNS0_4arch9wavefront6targetE1EEEvSQ_,comdat
	.protected	_ZN7rocprim17ROCPRIM_400000_NS6detail17trampoline_kernelINS0_14default_configENS1_22reduce_config_selectorIiEEZNS1_11reduce_implILb1ES3_PiS7_iN6hipcub16HIPCUB_304000_NS6detail34convert_binary_result_type_wrapperISt4plusIvENS9_22TransformInputIteratorIiN2at6native8internal21MapNumberOfTrueValuesEPKhlEEiEEEE10hipError_tPvRmT1_T2_T3_mT4_P12ihipStream_tbEUlT_E1_NS1_11comp_targetILNS1_3genE10ELNS1_11target_archE1201ELNS1_3gpuE5ELNS1_3repE0EEENS1_30default_config_static_selectorELNS0_4arch9wavefront6targetE1EEEvSQ_ ; -- Begin function _ZN7rocprim17ROCPRIM_400000_NS6detail17trampoline_kernelINS0_14default_configENS1_22reduce_config_selectorIiEEZNS1_11reduce_implILb1ES3_PiS7_iN6hipcub16HIPCUB_304000_NS6detail34convert_binary_result_type_wrapperISt4plusIvENS9_22TransformInputIteratorIiN2at6native8internal21MapNumberOfTrueValuesEPKhlEEiEEEE10hipError_tPvRmT1_T2_T3_mT4_P12ihipStream_tbEUlT_E1_NS1_11comp_targetILNS1_3genE10ELNS1_11target_archE1201ELNS1_3gpuE5ELNS1_3repE0EEENS1_30default_config_static_selectorELNS0_4arch9wavefront6targetE1EEEvSQ_
	.globl	_ZN7rocprim17ROCPRIM_400000_NS6detail17trampoline_kernelINS0_14default_configENS1_22reduce_config_selectorIiEEZNS1_11reduce_implILb1ES3_PiS7_iN6hipcub16HIPCUB_304000_NS6detail34convert_binary_result_type_wrapperISt4plusIvENS9_22TransformInputIteratorIiN2at6native8internal21MapNumberOfTrueValuesEPKhlEEiEEEE10hipError_tPvRmT1_T2_T3_mT4_P12ihipStream_tbEUlT_E1_NS1_11comp_targetILNS1_3genE10ELNS1_11target_archE1201ELNS1_3gpuE5ELNS1_3repE0EEENS1_30default_config_static_selectorELNS0_4arch9wavefront6targetE1EEEvSQ_
	.p2align	8
	.type	_ZN7rocprim17ROCPRIM_400000_NS6detail17trampoline_kernelINS0_14default_configENS1_22reduce_config_selectorIiEEZNS1_11reduce_implILb1ES3_PiS7_iN6hipcub16HIPCUB_304000_NS6detail34convert_binary_result_type_wrapperISt4plusIvENS9_22TransformInputIteratorIiN2at6native8internal21MapNumberOfTrueValuesEPKhlEEiEEEE10hipError_tPvRmT1_T2_T3_mT4_P12ihipStream_tbEUlT_E1_NS1_11comp_targetILNS1_3genE10ELNS1_11target_archE1201ELNS1_3gpuE5ELNS1_3repE0EEENS1_30default_config_static_selectorELNS0_4arch9wavefront6targetE1EEEvSQ_,@function
_ZN7rocprim17ROCPRIM_400000_NS6detail17trampoline_kernelINS0_14default_configENS1_22reduce_config_selectorIiEEZNS1_11reduce_implILb1ES3_PiS7_iN6hipcub16HIPCUB_304000_NS6detail34convert_binary_result_type_wrapperISt4plusIvENS9_22TransformInputIteratorIiN2at6native8internal21MapNumberOfTrueValuesEPKhlEEiEEEE10hipError_tPvRmT1_T2_T3_mT4_P12ihipStream_tbEUlT_E1_NS1_11comp_targetILNS1_3genE10ELNS1_11target_archE1201ELNS1_3gpuE5ELNS1_3repE0EEENS1_30default_config_static_selectorELNS0_4arch9wavefront6targetE1EEEvSQ_: ; @_ZN7rocprim17ROCPRIM_400000_NS6detail17trampoline_kernelINS0_14default_configENS1_22reduce_config_selectorIiEEZNS1_11reduce_implILb1ES3_PiS7_iN6hipcub16HIPCUB_304000_NS6detail34convert_binary_result_type_wrapperISt4plusIvENS9_22TransformInputIteratorIiN2at6native8internal21MapNumberOfTrueValuesEPKhlEEiEEEE10hipError_tPvRmT1_T2_T3_mT4_P12ihipStream_tbEUlT_E1_NS1_11comp_targetILNS1_3genE10ELNS1_11target_archE1201ELNS1_3gpuE5ELNS1_3repE0EEENS1_30default_config_static_selectorELNS0_4arch9wavefront6targetE1EEEvSQ_
; %bb.0:
	.section	.rodata,"a",@progbits
	.p2align	6, 0x0
	.amdhsa_kernel _ZN7rocprim17ROCPRIM_400000_NS6detail17trampoline_kernelINS0_14default_configENS1_22reduce_config_selectorIiEEZNS1_11reduce_implILb1ES3_PiS7_iN6hipcub16HIPCUB_304000_NS6detail34convert_binary_result_type_wrapperISt4plusIvENS9_22TransformInputIteratorIiN2at6native8internal21MapNumberOfTrueValuesEPKhlEEiEEEE10hipError_tPvRmT1_T2_T3_mT4_P12ihipStream_tbEUlT_E1_NS1_11comp_targetILNS1_3genE10ELNS1_11target_archE1201ELNS1_3gpuE5ELNS1_3repE0EEENS1_30default_config_static_selectorELNS0_4arch9wavefront6targetE1EEEvSQ_
		.amdhsa_group_segment_fixed_size 0
		.amdhsa_private_segment_fixed_size 0
		.amdhsa_kernarg_size 40
		.amdhsa_user_sgpr_count 6
		.amdhsa_user_sgpr_private_segment_buffer 1
		.amdhsa_user_sgpr_dispatch_ptr 0
		.amdhsa_user_sgpr_queue_ptr 0
		.amdhsa_user_sgpr_kernarg_segment_ptr 1
		.amdhsa_user_sgpr_dispatch_id 0
		.amdhsa_user_sgpr_flat_scratch_init 0
		.amdhsa_user_sgpr_kernarg_preload_length 0
		.amdhsa_user_sgpr_kernarg_preload_offset 0
		.amdhsa_user_sgpr_private_segment_size 0
		.amdhsa_uses_dynamic_stack 0
		.amdhsa_system_sgpr_private_segment_wavefront_offset 0
		.amdhsa_system_sgpr_workgroup_id_x 1
		.amdhsa_system_sgpr_workgroup_id_y 0
		.amdhsa_system_sgpr_workgroup_id_z 0
		.amdhsa_system_sgpr_workgroup_info 0
		.amdhsa_system_vgpr_workitem_id 0
		.amdhsa_next_free_vgpr 1
		.amdhsa_next_free_sgpr 0
		.amdhsa_accum_offset 4
		.amdhsa_reserve_vcc 0
		.amdhsa_reserve_flat_scratch 0
		.amdhsa_float_round_mode_32 0
		.amdhsa_float_round_mode_16_64 0
		.amdhsa_float_denorm_mode_32 3
		.amdhsa_float_denorm_mode_16_64 3
		.amdhsa_dx10_clamp 1
		.amdhsa_ieee_mode 1
		.amdhsa_fp16_overflow 0
		.amdhsa_tg_split 0
		.amdhsa_exception_fp_ieee_invalid_op 0
		.amdhsa_exception_fp_denorm_src 0
		.amdhsa_exception_fp_ieee_div_zero 0
		.amdhsa_exception_fp_ieee_overflow 0
		.amdhsa_exception_fp_ieee_underflow 0
		.amdhsa_exception_fp_ieee_inexact 0
		.amdhsa_exception_int_div_zero 0
	.end_amdhsa_kernel
	.section	.text._ZN7rocprim17ROCPRIM_400000_NS6detail17trampoline_kernelINS0_14default_configENS1_22reduce_config_selectorIiEEZNS1_11reduce_implILb1ES3_PiS7_iN6hipcub16HIPCUB_304000_NS6detail34convert_binary_result_type_wrapperISt4plusIvENS9_22TransformInputIteratorIiN2at6native8internal21MapNumberOfTrueValuesEPKhlEEiEEEE10hipError_tPvRmT1_T2_T3_mT4_P12ihipStream_tbEUlT_E1_NS1_11comp_targetILNS1_3genE10ELNS1_11target_archE1201ELNS1_3gpuE5ELNS1_3repE0EEENS1_30default_config_static_selectorELNS0_4arch9wavefront6targetE1EEEvSQ_,"axG",@progbits,_ZN7rocprim17ROCPRIM_400000_NS6detail17trampoline_kernelINS0_14default_configENS1_22reduce_config_selectorIiEEZNS1_11reduce_implILb1ES3_PiS7_iN6hipcub16HIPCUB_304000_NS6detail34convert_binary_result_type_wrapperISt4plusIvENS9_22TransformInputIteratorIiN2at6native8internal21MapNumberOfTrueValuesEPKhlEEiEEEE10hipError_tPvRmT1_T2_T3_mT4_P12ihipStream_tbEUlT_E1_NS1_11comp_targetILNS1_3genE10ELNS1_11target_archE1201ELNS1_3gpuE5ELNS1_3repE0EEENS1_30default_config_static_selectorELNS0_4arch9wavefront6targetE1EEEvSQ_,comdat
.Lfunc_end111:
	.size	_ZN7rocprim17ROCPRIM_400000_NS6detail17trampoline_kernelINS0_14default_configENS1_22reduce_config_selectorIiEEZNS1_11reduce_implILb1ES3_PiS7_iN6hipcub16HIPCUB_304000_NS6detail34convert_binary_result_type_wrapperISt4plusIvENS9_22TransformInputIteratorIiN2at6native8internal21MapNumberOfTrueValuesEPKhlEEiEEEE10hipError_tPvRmT1_T2_T3_mT4_P12ihipStream_tbEUlT_E1_NS1_11comp_targetILNS1_3genE10ELNS1_11target_archE1201ELNS1_3gpuE5ELNS1_3repE0EEENS1_30default_config_static_selectorELNS0_4arch9wavefront6targetE1EEEvSQ_, .Lfunc_end111-_ZN7rocprim17ROCPRIM_400000_NS6detail17trampoline_kernelINS0_14default_configENS1_22reduce_config_selectorIiEEZNS1_11reduce_implILb1ES3_PiS7_iN6hipcub16HIPCUB_304000_NS6detail34convert_binary_result_type_wrapperISt4plusIvENS9_22TransformInputIteratorIiN2at6native8internal21MapNumberOfTrueValuesEPKhlEEiEEEE10hipError_tPvRmT1_T2_T3_mT4_P12ihipStream_tbEUlT_E1_NS1_11comp_targetILNS1_3genE10ELNS1_11target_archE1201ELNS1_3gpuE5ELNS1_3repE0EEENS1_30default_config_static_selectorELNS0_4arch9wavefront6targetE1EEEvSQ_
                                        ; -- End function
	.section	.AMDGPU.csdata,"",@progbits
; Kernel info:
; codeLenInByte = 0
; NumSgprs: 4
; NumVgprs: 0
; NumAgprs: 0
; TotalNumVgprs: 0
; ScratchSize: 0
; MemoryBound: 0
; FloatMode: 240
; IeeeMode: 1
; LDSByteSize: 0 bytes/workgroup (compile time only)
; SGPRBlocks: 0
; VGPRBlocks: 0
; NumSGPRsForWavesPerEU: 4
; NumVGPRsForWavesPerEU: 1
; AccumOffset: 4
; Occupancy: 8
; WaveLimiterHint : 0
; COMPUTE_PGM_RSRC2:SCRATCH_EN: 0
; COMPUTE_PGM_RSRC2:USER_SGPR: 6
; COMPUTE_PGM_RSRC2:TRAP_HANDLER: 0
; COMPUTE_PGM_RSRC2:TGID_X_EN: 1
; COMPUTE_PGM_RSRC2:TGID_Y_EN: 0
; COMPUTE_PGM_RSRC2:TGID_Z_EN: 0
; COMPUTE_PGM_RSRC2:TIDIG_COMP_CNT: 0
; COMPUTE_PGM_RSRC3_GFX90A:ACCUM_OFFSET: 0
; COMPUTE_PGM_RSRC3_GFX90A:TG_SPLIT: 0
	.section	.text._ZN7rocprim17ROCPRIM_400000_NS6detail17trampoline_kernelINS0_14default_configENS1_22reduce_config_selectorIiEEZNS1_11reduce_implILb1ES3_PiS7_iN6hipcub16HIPCUB_304000_NS6detail34convert_binary_result_type_wrapperISt4plusIvENS9_22TransformInputIteratorIiN2at6native8internal21MapNumberOfTrueValuesEPKhlEEiEEEE10hipError_tPvRmT1_T2_T3_mT4_P12ihipStream_tbEUlT_E1_NS1_11comp_targetILNS1_3genE10ELNS1_11target_archE1200ELNS1_3gpuE4ELNS1_3repE0EEENS1_30default_config_static_selectorELNS0_4arch9wavefront6targetE1EEEvSQ_,"axG",@progbits,_ZN7rocprim17ROCPRIM_400000_NS6detail17trampoline_kernelINS0_14default_configENS1_22reduce_config_selectorIiEEZNS1_11reduce_implILb1ES3_PiS7_iN6hipcub16HIPCUB_304000_NS6detail34convert_binary_result_type_wrapperISt4plusIvENS9_22TransformInputIteratorIiN2at6native8internal21MapNumberOfTrueValuesEPKhlEEiEEEE10hipError_tPvRmT1_T2_T3_mT4_P12ihipStream_tbEUlT_E1_NS1_11comp_targetILNS1_3genE10ELNS1_11target_archE1200ELNS1_3gpuE4ELNS1_3repE0EEENS1_30default_config_static_selectorELNS0_4arch9wavefront6targetE1EEEvSQ_,comdat
	.protected	_ZN7rocprim17ROCPRIM_400000_NS6detail17trampoline_kernelINS0_14default_configENS1_22reduce_config_selectorIiEEZNS1_11reduce_implILb1ES3_PiS7_iN6hipcub16HIPCUB_304000_NS6detail34convert_binary_result_type_wrapperISt4plusIvENS9_22TransformInputIteratorIiN2at6native8internal21MapNumberOfTrueValuesEPKhlEEiEEEE10hipError_tPvRmT1_T2_T3_mT4_P12ihipStream_tbEUlT_E1_NS1_11comp_targetILNS1_3genE10ELNS1_11target_archE1200ELNS1_3gpuE4ELNS1_3repE0EEENS1_30default_config_static_selectorELNS0_4arch9wavefront6targetE1EEEvSQ_ ; -- Begin function _ZN7rocprim17ROCPRIM_400000_NS6detail17trampoline_kernelINS0_14default_configENS1_22reduce_config_selectorIiEEZNS1_11reduce_implILb1ES3_PiS7_iN6hipcub16HIPCUB_304000_NS6detail34convert_binary_result_type_wrapperISt4plusIvENS9_22TransformInputIteratorIiN2at6native8internal21MapNumberOfTrueValuesEPKhlEEiEEEE10hipError_tPvRmT1_T2_T3_mT4_P12ihipStream_tbEUlT_E1_NS1_11comp_targetILNS1_3genE10ELNS1_11target_archE1200ELNS1_3gpuE4ELNS1_3repE0EEENS1_30default_config_static_selectorELNS0_4arch9wavefront6targetE1EEEvSQ_
	.globl	_ZN7rocprim17ROCPRIM_400000_NS6detail17trampoline_kernelINS0_14default_configENS1_22reduce_config_selectorIiEEZNS1_11reduce_implILb1ES3_PiS7_iN6hipcub16HIPCUB_304000_NS6detail34convert_binary_result_type_wrapperISt4plusIvENS9_22TransformInputIteratorIiN2at6native8internal21MapNumberOfTrueValuesEPKhlEEiEEEE10hipError_tPvRmT1_T2_T3_mT4_P12ihipStream_tbEUlT_E1_NS1_11comp_targetILNS1_3genE10ELNS1_11target_archE1200ELNS1_3gpuE4ELNS1_3repE0EEENS1_30default_config_static_selectorELNS0_4arch9wavefront6targetE1EEEvSQ_
	.p2align	8
	.type	_ZN7rocprim17ROCPRIM_400000_NS6detail17trampoline_kernelINS0_14default_configENS1_22reduce_config_selectorIiEEZNS1_11reduce_implILb1ES3_PiS7_iN6hipcub16HIPCUB_304000_NS6detail34convert_binary_result_type_wrapperISt4plusIvENS9_22TransformInputIteratorIiN2at6native8internal21MapNumberOfTrueValuesEPKhlEEiEEEE10hipError_tPvRmT1_T2_T3_mT4_P12ihipStream_tbEUlT_E1_NS1_11comp_targetILNS1_3genE10ELNS1_11target_archE1200ELNS1_3gpuE4ELNS1_3repE0EEENS1_30default_config_static_selectorELNS0_4arch9wavefront6targetE1EEEvSQ_,@function
_ZN7rocprim17ROCPRIM_400000_NS6detail17trampoline_kernelINS0_14default_configENS1_22reduce_config_selectorIiEEZNS1_11reduce_implILb1ES3_PiS7_iN6hipcub16HIPCUB_304000_NS6detail34convert_binary_result_type_wrapperISt4plusIvENS9_22TransformInputIteratorIiN2at6native8internal21MapNumberOfTrueValuesEPKhlEEiEEEE10hipError_tPvRmT1_T2_T3_mT4_P12ihipStream_tbEUlT_E1_NS1_11comp_targetILNS1_3genE10ELNS1_11target_archE1200ELNS1_3gpuE4ELNS1_3repE0EEENS1_30default_config_static_selectorELNS0_4arch9wavefront6targetE1EEEvSQ_: ; @_ZN7rocprim17ROCPRIM_400000_NS6detail17trampoline_kernelINS0_14default_configENS1_22reduce_config_selectorIiEEZNS1_11reduce_implILb1ES3_PiS7_iN6hipcub16HIPCUB_304000_NS6detail34convert_binary_result_type_wrapperISt4plusIvENS9_22TransformInputIteratorIiN2at6native8internal21MapNumberOfTrueValuesEPKhlEEiEEEE10hipError_tPvRmT1_T2_T3_mT4_P12ihipStream_tbEUlT_E1_NS1_11comp_targetILNS1_3genE10ELNS1_11target_archE1200ELNS1_3gpuE4ELNS1_3repE0EEENS1_30default_config_static_selectorELNS0_4arch9wavefront6targetE1EEEvSQ_
; %bb.0:
	.section	.rodata,"a",@progbits
	.p2align	6, 0x0
	.amdhsa_kernel _ZN7rocprim17ROCPRIM_400000_NS6detail17trampoline_kernelINS0_14default_configENS1_22reduce_config_selectorIiEEZNS1_11reduce_implILb1ES3_PiS7_iN6hipcub16HIPCUB_304000_NS6detail34convert_binary_result_type_wrapperISt4plusIvENS9_22TransformInputIteratorIiN2at6native8internal21MapNumberOfTrueValuesEPKhlEEiEEEE10hipError_tPvRmT1_T2_T3_mT4_P12ihipStream_tbEUlT_E1_NS1_11comp_targetILNS1_3genE10ELNS1_11target_archE1200ELNS1_3gpuE4ELNS1_3repE0EEENS1_30default_config_static_selectorELNS0_4arch9wavefront6targetE1EEEvSQ_
		.amdhsa_group_segment_fixed_size 0
		.amdhsa_private_segment_fixed_size 0
		.amdhsa_kernarg_size 40
		.amdhsa_user_sgpr_count 6
		.amdhsa_user_sgpr_private_segment_buffer 1
		.amdhsa_user_sgpr_dispatch_ptr 0
		.amdhsa_user_sgpr_queue_ptr 0
		.amdhsa_user_sgpr_kernarg_segment_ptr 1
		.amdhsa_user_sgpr_dispatch_id 0
		.amdhsa_user_sgpr_flat_scratch_init 0
		.amdhsa_user_sgpr_kernarg_preload_length 0
		.amdhsa_user_sgpr_kernarg_preload_offset 0
		.amdhsa_user_sgpr_private_segment_size 0
		.amdhsa_uses_dynamic_stack 0
		.amdhsa_system_sgpr_private_segment_wavefront_offset 0
		.amdhsa_system_sgpr_workgroup_id_x 1
		.amdhsa_system_sgpr_workgroup_id_y 0
		.amdhsa_system_sgpr_workgroup_id_z 0
		.amdhsa_system_sgpr_workgroup_info 0
		.amdhsa_system_vgpr_workitem_id 0
		.amdhsa_next_free_vgpr 1
		.amdhsa_next_free_sgpr 0
		.amdhsa_accum_offset 4
		.amdhsa_reserve_vcc 0
		.amdhsa_reserve_flat_scratch 0
		.amdhsa_float_round_mode_32 0
		.amdhsa_float_round_mode_16_64 0
		.amdhsa_float_denorm_mode_32 3
		.amdhsa_float_denorm_mode_16_64 3
		.amdhsa_dx10_clamp 1
		.amdhsa_ieee_mode 1
		.amdhsa_fp16_overflow 0
		.amdhsa_tg_split 0
		.amdhsa_exception_fp_ieee_invalid_op 0
		.amdhsa_exception_fp_denorm_src 0
		.amdhsa_exception_fp_ieee_div_zero 0
		.amdhsa_exception_fp_ieee_overflow 0
		.amdhsa_exception_fp_ieee_underflow 0
		.amdhsa_exception_fp_ieee_inexact 0
		.amdhsa_exception_int_div_zero 0
	.end_amdhsa_kernel
	.section	.text._ZN7rocprim17ROCPRIM_400000_NS6detail17trampoline_kernelINS0_14default_configENS1_22reduce_config_selectorIiEEZNS1_11reduce_implILb1ES3_PiS7_iN6hipcub16HIPCUB_304000_NS6detail34convert_binary_result_type_wrapperISt4plusIvENS9_22TransformInputIteratorIiN2at6native8internal21MapNumberOfTrueValuesEPKhlEEiEEEE10hipError_tPvRmT1_T2_T3_mT4_P12ihipStream_tbEUlT_E1_NS1_11comp_targetILNS1_3genE10ELNS1_11target_archE1200ELNS1_3gpuE4ELNS1_3repE0EEENS1_30default_config_static_selectorELNS0_4arch9wavefront6targetE1EEEvSQ_,"axG",@progbits,_ZN7rocprim17ROCPRIM_400000_NS6detail17trampoline_kernelINS0_14default_configENS1_22reduce_config_selectorIiEEZNS1_11reduce_implILb1ES3_PiS7_iN6hipcub16HIPCUB_304000_NS6detail34convert_binary_result_type_wrapperISt4plusIvENS9_22TransformInputIteratorIiN2at6native8internal21MapNumberOfTrueValuesEPKhlEEiEEEE10hipError_tPvRmT1_T2_T3_mT4_P12ihipStream_tbEUlT_E1_NS1_11comp_targetILNS1_3genE10ELNS1_11target_archE1200ELNS1_3gpuE4ELNS1_3repE0EEENS1_30default_config_static_selectorELNS0_4arch9wavefront6targetE1EEEvSQ_,comdat
.Lfunc_end112:
	.size	_ZN7rocprim17ROCPRIM_400000_NS6detail17trampoline_kernelINS0_14default_configENS1_22reduce_config_selectorIiEEZNS1_11reduce_implILb1ES3_PiS7_iN6hipcub16HIPCUB_304000_NS6detail34convert_binary_result_type_wrapperISt4plusIvENS9_22TransformInputIteratorIiN2at6native8internal21MapNumberOfTrueValuesEPKhlEEiEEEE10hipError_tPvRmT1_T2_T3_mT4_P12ihipStream_tbEUlT_E1_NS1_11comp_targetILNS1_3genE10ELNS1_11target_archE1200ELNS1_3gpuE4ELNS1_3repE0EEENS1_30default_config_static_selectorELNS0_4arch9wavefront6targetE1EEEvSQ_, .Lfunc_end112-_ZN7rocprim17ROCPRIM_400000_NS6detail17trampoline_kernelINS0_14default_configENS1_22reduce_config_selectorIiEEZNS1_11reduce_implILb1ES3_PiS7_iN6hipcub16HIPCUB_304000_NS6detail34convert_binary_result_type_wrapperISt4plusIvENS9_22TransformInputIteratorIiN2at6native8internal21MapNumberOfTrueValuesEPKhlEEiEEEE10hipError_tPvRmT1_T2_T3_mT4_P12ihipStream_tbEUlT_E1_NS1_11comp_targetILNS1_3genE10ELNS1_11target_archE1200ELNS1_3gpuE4ELNS1_3repE0EEENS1_30default_config_static_selectorELNS0_4arch9wavefront6targetE1EEEvSQ_
                                        ; -- End function
	.section	.AMDGPU.csdata,"",@progbits
; Kernel info:
; codeLenInByte = 0
; NumSgprs: 4
; NumVgprs: 0
; NumAgprs: 0
; TotalNumVgprs: 0
; ScratchSize: 0
; MemoryBound: 0
; FloatMode: 240
; IeeeMode: 1
; LDSByteSize: 0 bytes/workgroup (compile time only)
; SGPRBlocks: 0
; VGPRBlocks: 0
; NumSGPRsForWavesPerEU: 4
; NumVGPRsForWavesPerEU: 1
; AccumOffset: 4
; Occupancy: 8
; WaveLimiterHint : 0
; COMPUTE_PGM_RSRC2:SCRATCH_EN: 0
; COMPUTE_PGM_RSRC2:USER_SGPR: 6
; COMPUTE_PGM_RSRC2:TRAP_HANDLER: 0
; COMPUTE_PGM_RSRC2:TGID_X_EN: 1
; COMPUTE_PGM_RSRC2:TGID_Y_EN: 0
; COMPUTE_PGM_RSRC2:TGID_Z_EN: 0
; COMPUTE_PGM_RSRC2:TIDIG_COMP_CNT: 0
; COMPUTE_PGM_RSRC3_GFX90A:ACCUM_OFFSET: 0
; COMPUTE_PGM_RSRC3_GFX90A:TG_SPLIT: 0
	.section	.text._ZN7rocprim17ROCPRIM_400000_NS6detail17trampoline_kernelINS0_14default_configENS1_22reduce_config_selectorIiEEZNS1_11reduce_implILb1ES3_PiS7_iN6hipcub16HIPCUB_304000_NS6detail34convert_binary_result_type_wrapperISt4plusIvENS9_22TransformInputIteratorIiN2at6native8internal21MapNumberOfTrueValuesEPKhlEEiEEEE10hipError_tPvRmT1_T2_T3_mT4_P12ihipStream_tbEUlT_E1_NS1_11comp_targetILNS1_3genE9ELNS1_11target_archE1100ELNS1_3gpuE3ELNS1_3repE0EEENS1_30default_config_static_selectorELNS0_4arch9wavefront6targetE1EEEvSQ_,"axG",@progbits,_ZN7rocprim17ROCPRIM_400000_NS6detail17trampoline_kernelINS0_14default_configENS1_22reduce_config_selectorIiEEZNS1_11reduce_implILb1ES3_PiS7_iN6hipcub16HIPCUB_304000_NS6detail34convert_binary_result_type_wrapperISt4plusIvENS9_22TransformInputIteratorIiN2at6native8internal21MapNumberOfTrueValuesEPKhlEEiEEEE10hipError_tPvRmT1_T2_T3_mT4_P12ihipStream_tbEUlT_E1_NS1_11comp_targetILNS1_3genE9ELNS1_11target_archE1100ELNS1_3gpuE3ELNS1_3repE0EEENS1_30default_config_static_selectorELNS0_4arch9wavefront6targetE1EEEvSQ_,comdat
	.protected	_ZN7rocprim17ROCPRIM_400000_NS6detail17trampoline_kernelINS0_14default_configENS1_22reduce_config_selectorIiEEZNS1_11reduce_implILb1ES3_PiS7_iN6hipcub16HIPCUB_304000_NS6detail34convert_binary_result_type_wrapperISt4plusIvENS9_22TransformInputIteratorIiN2at6native8internal21MapNumberOfTrueValuesEPKhlEEiEEEE10hipError_tPvRmT1_T2_T3_mT4_P12ihipStream_tbEUlT_E1_NS1_11comp_targetILNS1_3genE9ELNS1_11target_archE1100ELNS1_3gpuE3ELNS1_3repE0EEENS1_30default_config_static_selectorELNS0_4arch9wavefront6targetE1EEEvSQ_ ; -- Begin function _ZN7rocprim17ROCPRIM_400000_NS6detail17trampoline_kernelINS0_14default_configENS1_22reduce_config_selectorIiEEZNS1_11reduce_implILb1ES3_PiS7_iN6hipcub16HIPCUB_304000_NS6detail34convert_binary_result_type_wrapperISt4plusIvENS9_22TransformInputIteratorIiN2at6native8internal21MapNumberOfTrueValuesEPKhlEEiEEEE10hipError_tPvRmT1_T2_T3_mT4_P12ihipStream_tbEUlT_E1_NS1_11comp_targetILNS1_3genE9ELNS1_11target_archE1100ELNS1_3gpuE3ELNS1_3repE0EEENS1_30default_config_static_selectorELNS0_4arch9wavefront6targetE1EEEvSQ_
	.globl	_ZN7rocprim17ROCPRIM_400000_NS6detail17trampoline_kernelINS0_14default_configENS1_22reduce_config_selectorIiEEZNS1_11reduce_implILb1ES3_PiS7_iN6hipcub16HIPCUB_304000_NS6detail34convert_binary_result_type_wrapperISt4plusIvENS9_22TransformInputIteratorIiN2at6native8internal21MapNumberOfTrueValuesEPKhlEEiEEEE10hipError_tPvRmT1_T2_T3_mT4_P12ihipStream_tbEUlT_E1_NS1_11comp_targetILNS1_3genE9ELNS1_11target_archE1100ELNS1_3gpuE3ELNS1_3repE0EEENS1_30default_config_static_selectorELNS0_4arch9wavefront6targetE1EEEvSQ_
	.p2align	8
	.type	_ZN7rocprim17ROCPRIM_400000_NS6detail17trampoline_kernelINS0_14default_configENS1_22reduce_config_selectorIiEEZNS1_11reduce_implILb1ES3_PiS7_iN6hipcub16HIPCUB_304000_NS6detail34convert_binary_result_type_wrapperISt4plusIvENS9_22TransformInputIteratorIiN2at6native8internal21MapNumberOfTrueValuesEPKhlEEiEEEE10hipError_tPvRmT1_T2_T3_mT4_P12ihipStream_tbEUlT_E1_NS1_11comp_targetILNS1_3genE9ELNS1_11target_archE1100ELNS1_3gpuE3ELNS1_3repE0EEENS1_30default_config_static_selectorELNS0_4arch9wavefront6targetE1EEEvSQ_,@function
_ZN7rocprim17ROCPRIM_400000_NS6detail17trampoline_kernelINS0_14default_configENS1_22reduce_config_selectorIiEEZNS1_11reduce_implILb1ES3_PiS7_iN6hipcub16HIPCUB_304000_NS6detail34convert_binary_result_type_wrapperISt4plusIvENS9_22TransformInputIteratorIiN2at6native8internal21MapNumberOfTrueValuesEPKhlEEiEEEE10hipError_tPvRmT1_T2_T3_mT4_P12ihipStream_tbEUlT_E1_NS1_11comp_targetILNS1_3genE9ELNS1_11target_archE1100ELNS1_3gpuE3ELNS1_3repE0EEENS1_30default_config_static_selectorELNS0_4arch9wavefront6targetE1EEEvSQ_: ; @_ZN7rocprim17ROCPRIM_400000_NS6detail17trampoline_kernelINS0_14default_configENS1_22reduce_config_selectorIiEEZNS1_11reduce_implILb1ES3_PiS7_iN6hipcub16HIPCUB_304000_NS6detail34convert_binary_result_type_wrapperISt4plusIvENS9_22TransformInputIteratorIiN2at6native8internal21MapNumberOfTrueValuesEPKhlEEiEEEE10hipError_tPvRmT1_T2_T3_mT4_P12ihipStream_tbEUlT_E1_NS1_11comp_targetILNS1_3genE9ELNS1_11target_archE1100ELNS1_3gpuE3ELNS1_3repE0EEENS1_30default_config_static_selectorELNS0_4arch9wavefront6targetE1EEEvSQ_
; %bb.0:
	.section	.rodata,"a",@progbits
	.p2align	6, 0x0
	.amdhsa_kernel _ZN7rocprim17ROCPRIM_400000_NS6detail17trampoline_kernelINS0_14default_configENS1_22reduce_config_selectorIiEEZNS1_11reduce_implILb1ES3_PiS7_iN6hipcub16HIPCUB_304000_NS6detail34convert_binary_result_type_wrapperISt4plusIvENS9_22TransformInputIteratorIiN2at6native8internal21MapNumberOfTrueValuesEPKhlEEiEEEE10hipError_tPvRmT1_T2_T3_mT4_P12ihipStream_tbEUlT_E1_NS1_11comp_targetILNS1_3genE9ELNS1_11target_archE1100ELNS1_3gpuE3ELNS1_3repE0EEENS1_30default_config_static_selectorELNS0_4arch9wavefront6targetE1EEEvSQ_
		.amdhsa_group_segment_fixed_size 0
		.amdhsa_private_segment_fixed_size 0
		.amdhsa_kernarg_size 40
		.amdhsa_user_sgpr_count 6
		.amdhsa_user_sgpr_private_segment_buffer 1
		.amdhsa_user_sgpr_dispatch_ptr 0
		.amdhsa_user_sgpr_queue_ptr 0
		.amdhsa_user_sgpr_kernarg_segment_ptr 1
		.amdhsa_user_sgpr_dispatch_id 0
		.amdhsa_user_sgpr_flat_scratch_init 0
		.amdhsa_user_sgpr_kernarg_preload_length 0
		.amdhsa_user_sgpr_kernarg_preload_offset 0
		.amdhsa_user_sgpr_private_segment_size 0
		.amdhsa_uses_dynamic_stack 0
		.amdhsa_system_sgpr_private_segment_wavefront_offset 0
		.amdhsa_system_sgpr_workgroup_id_x 1
		.amdhsa_system_sgpr_workgroup_id_y 0
		.amdhsa_system_sgpr_workgroup_id_z 0
		.amdhsa_system_sgpr_workgroup_info 0
		.amdhsa_system_vgpr_workitem_id 0
		.amdhsa_next_free_vgpr 1
		.amdhsa_next_free_sgpr 0
		.amdhsa_accum_offset 4
		.amdhsa_reserve_vcc 0
		.amdhsa_reserve_flat_scratch 0
		.amdhsa_float_round_mode_32 0
		.amdhsa_float_round_mode_16_64 0
		.amdhsa_float_denorm_mode_32 3
		.amdhsa_float_denorm_mode_16_64 3
		.amdhsa_dx10_clamp 1
		.amdhsa_ieee_mode 1
		.amdhsa_fp16_overflow 0
		.amdhsa_tg_split 0
		.amdhsa_exception_fp_ieee_invalid_op 0
		.amdhsa_exception_fp_denorm_src 0
		.amdhsa_exception_fp_ieee_div_zero 0
		.amdhsa_exception_fp_ieee_overflow 0
		.amdhsa_exception_fp_ieee_underflow 0
		.amdhsa_exception_fp_ieee_inexact 0
		.amdhsa_exception_int_div_zero 0
	.end_amdhsa_kernel
	.section	.text._ZN7rocprim17ROCPRIM_400000_NS6detail17trampoline_kernelINS0_14default_configENS1_22reduce_config_selectorIiEEZNS1_11reduce_implILb1ES3_PiS7_iN6hipcub16HIPCUB_304000_NS6detail34convert_binary_result_type_wrapperISt4plusIvENS9_22TransformInputIteratorIiN2at6native8internal21MapNumberOfTrueValuesEPKhlEEiEEEE10hipError_tPvRmT1_T2_T3_mT4_P12ihipStream_tbEUlT_E1_NS1_11comp_targetILNS1_3genE9ELNS1_11target_archE1100ELNS1_3gpuE3ELNS1_3repE0EEENS1_30default_config_static_selectorELNS0_4arch9wavefront6targetE1EEEvSQ_,"axG",@progbits,_ZN7rocprim17ROCPRIM_400000_NS6detail17trampoline_kernelINS0_14default_configENS1_22reduce_config_selectorIiEEZNS1_11reduce_implILb1ES3_PiS7_iN6hipcub16HIPCUB_304000_NS6detail34convert_binary_result_type_wrapperISt4plusIvENS9_22TransformInputIteratorIiN2at6native8internal21MapNumberOfTrueValuesEPKhlEEiEEEE10hipError_tPvRmT1_T2_T3_mT4_P12ihipStream_tbEUlT_E1_NS1_11comp_targetILNS1_3genE9ELNS1_11target_archE1100ELNS1_3gpuE3ELNS1_3repE0EEENS1_30default_config_static_selectorELNS0_4arch9wavefront6targetE1EEEvSQ_,comdat
.Lfunc_end113:
	.size	_ZN7rocprim17ROCPRIM_400000_NS6detail17trampoline_kernelINS0_14default_configENS1_22reduce_config_selectorIiEEZNS1_11reduce_implILb1ES3_PiS7_iN6hipcub16HIPCUB_304000_NS6detail34convert_binary_result_type_wrapperISt4plusIvENS9_22TransformInputIteratorIiN2at6native8internal21MapNumberOfTrueValuesEPKhlEEiEEEE10hipError_tPvRmT1_T2_T3_mT4_P12ihipStream_tbEUlT_E1_NS1_11comp_targetILNS1_3genE9ELNS1_11target_archE1100ELNS1_3gpuE3ELNS1_3repE0EEENS1_30default_config_static_selectorELNS0_4arch9wavefront6targetE1EEEvSQ_, .Lfunc_end113-_ZN7rocprim17ROCPRIM_400000_NS6detail17trampoline_kernelINS0_14default_configENS1_22reduce_config_selectorIiEEZNS1_11reduce_implILb1ES3_PiS7_iN6hipcub16HIPCUB_304000_NS6detail34convert_binary_result_type_wrapperISt4plusIvENS9_22TransformInputIteratorIiN2at6native8internal21MapNumberOfTrueValuesEPKhlEEiEEEE10hipError_tPvRmT1_T2_T3_mT4_P12ihipStream_tbEUlT_E1_NS1_11comp_targetILNS1_3genE9ELNS1_11target_archE1100ELNS1_3gpuE3ELNS1_3repE0EEENS1_30default_config_static_selectorELNS0_4arch9wavefront6targetE1EEEvSQ_
                                        ; -- End function
	.section	.AMDGPU.csdata,"",@progbits
; Kernel info:
; codeLenInByte = 0
; NumSgprs: 4
; NumVgprs: 0
; NumAgprs: 0
; TotalNumVgprs: 0
; ScratchSize: 0
; MemoryBound: 0
; FloatMode: 240
; IeeeMode: 1
; LDSByteSize: 0 bytes/workgroup (compile time only)
; SGPRBlocks: 0
; VGPRBlocks: 0
; NumSGPRsForWavesPerEU: 4
; NumVGPRsForWavesPerEU: 1
; AccumOffset: 4
; Occupancy: 8
; WaveLimiterHint : 0
; COMPUTE_PGM_RSRC2:SCRATCH_EN: 0
; COMPUTE_PGM_RSRC2:USER_SGPR: 6
; COMPUTE_PGM_RSRC2:TRAP_HANDLER: 0
; COMPUTE_PGM_RSRC2:TGID_X_EN: 1
; COMPUTE_PGM_RSRC2:TGID_Y_EN: 0
; COMPUTE_PGM_RSRC2:TGID_Z_EN: 0
; COMPUTE_PGM_RSRC2:TIDIG_COMP_CNT: 0
; COMPUTE_PGM_RSRC3_GFX90A:ACCUM_OFFSET: 0
; COMPUTE_PGM_RSRC3_GFX90A:TG_SPLIT: 0
	.section	.text._ZN7rocprim17ROCPRIM_400000_NS6detail17trampoline_kernelINS0_14default_configENS1_22reduce_config_selectorIiEEZNS1_11reduce_implILb1ES3_PiS7_iN6hipcub16HIPCUB_304000_NS6detail34convert_binary_result_type_wrapperISt4plusIvENS9_22TransformInputIteratorIiN2at6native8internal21MapNumberOfTrueValuesEPKhlEEiEEEE10hipError_tPvRmT1_T2_T3_mT4_P12ihipStream_tbEUlT_E1_NS1_11comp_targetILNS1_3genE8ELNS1_11target_archE1030ELNS1_3gpuE2ELNS1_3repE0EEENS1_30default_config_static_selectorELNS0_4arch9wavefront6targetE1EEEvSQ_,"axG",@progbits,_ZN7rocprim17ROCPRIM_400000_NS6detail17trampoline_kernelINS0_14default_configENS1_22reduce_config_selectorIiEEZNS1_11reduce_implILb1ES3_PiS7_iN6hipcub16HIPCUB_304000_NS6detail34convert_binary_result_type_wrapperISt4plusIvENS9_22TransformInputIteratorIiN2at6native8internal21MapNumberOfTrueValuesEPKhlEEiEEEE10hipError_tPvRmT1_T2_T3_mT4_P12ihipStream_tbEUlT_E1_NS1_11comp_targetILNS1_3genE8ELNS1_11target_archE1030ELNS1_3gpuE2ELNS1_3repE0EEENS1_30default_config_static_selectorELNS0_4arch9wavefront6targetE1EEEvSQ_,comdat
	.protected	_ZN7rocprim17ROCPRIM_400000_NS6detail17trampoline_kernelINS0_14default_configENS1_22reduce_config_selectorIiEEZNS1_11reduce_implILb1ES3_PiS7_iN6hipcub16HIPCUB_304000_NS6detail34convert_binary_result_type_wrapperISt4plusIvENS9_22TransformInputIteratorIiN2at6native8internal21MapNumberOfTrueValuesEPKhlEEiEEEE10hipError_tPvRmT1_T2_T3_mT4_P12ihipStream_tbEUlT_E1_NS1_11comp_targetILNS1_3genE8ELNS1_11target_archE1030ELNS1_3gpuE2ELNS1_3repE0EEENS1_30default_config_static_selectorELNS0_4arch9wavefront6targetE1EEEvSQ_ ; -- Begin function _ZN7rocprim17ROCPRIM_400000_NS6detail17trampoline_kernelINS0_14default_configENS1_22reduce_config_selectorIiEEZNS1_11reduce_implILb1ES3_PiS7_iN6hipcub16HIPCUB_304000_NS6detail34convert_binary_result_type_wrapperISt4plusIvENS9_22TransformInputIteratorIiN2at6native8internal21MapNumberOfTrueValuesEPKhlEEiEEEE10hipError_tPvRmT1_T2_T3_mT4_P12ihipStream_tbEUlT_E1_NS1_11comp_targetILNS1_3genE8ELNS1_11target_archE1030ELNS1_3gpuE2ELNS1_3repE0EEENS1_30default_config_static_selectorELNS0_4arch9wavefront6targetE1EEEvSQ_
	.globl	_ZN7rocprim17ROCPRIM_400000_NS6detail17trampoline_kernelINS0_14default_configENS1_22reduce_config_selectorIiEEZNS1_11reduce_implILb1ES3_PiS7_iN6hipcub16HIPCUB_304000_NS6detail34convert_binary_result_type_wrapperISt4plusIvENS9_22TransformInputIteratorIiN2at6native8internal21MapNumberOfTrueValuesEPKhlEEiEEEE10hipError_tPvRmT1_T2_T3_mT4_P12ihipStream_tbEUlT_E1_NS1_11comp_targetILNS1_3genE8ELNS1_11target_archE1030ELNS1_3gpuE2ELNS1_3repE0EEENS1_30default_config_static_selectorELNS0_4arch9wavefront6targetE1EEEvSQ_
	.p2align	8
	.type	_ZN7rocprim17ROCPRIM_400000_NS6detail17trampoline_kernelINS0_14default_configENS1_22reduce_config_selectorIiEEZNS1_11reduce_implILb1ES3_PiS7_iN6hipcub16HIPCUB_304000_NS6detail34convert_binary_result_type_wrapperISt4plusIvENS9_22TransformInputIteratorIiN2at6native8internal21MapNumberOfTrueValuesEPKhlEEiEEEE10hipError_tPvRmT1_T2_T3_mT4_P12ihipStream_tbEUlT_E1_NS1_11comp_targetILNS1_3genE8ELNS1_11target_archE1030ELNS1_3gpuE2ELNS1_3repE0EEENS1_30default_config_static_selectorELNS0_4arch9wavefront6targetE1EEEvSQ_,@function
_ZN7rocprim17ROCPRIM_400000_NS6detail17trampoline_kernelINS0_14default_configENS1_22reduce_config_selectorIiEEZNS1_11reduce_implILb1ES3_PiS7_iN6hipcub16HIPCUB_304000_NS6detail34convert_binary_result_type_wrapperISt4plusIvENS9_22TransformInputIteratorIiN2at6native8internal21MapNumberOfTrueValuesEPKhlEEiEEEE10hipError_tPvRmT1_T2_T3_mT4_P12ihipStream_tbEUlT_E1_NS1_11comp_targetILNS1_3genE8ELNS1_11target_archE1030ELNS1_3gpuE2ELNS1_3repE0EEENS1_30default_config_static_selectorELNS0_4arch9wavefront6targetE1EEEvSQ_: ; @_ZN7rocprim17ROCPRIM_400000_NS6detail17trampoline_kernelINS0_14default_configENS1_22reduce_config_selectorIiEEZNS1_11reduce_implILb1ES3_PiS7_iN6hipcub16HIPCUB_304000_NS6detail34convert_binary_result_type_wrapperISt4plusIvENS9_22TransformInputIteratorIiN2at6native8internal21MapNumberOfTrueValuesEPKhlEEiEEEE10hipError_tPvRmT1_T2_T3_mT4_P12ihipStream_tbEUlT_E1_NS1_11comp_targetILNS1_3genE8ELNS1_11target_archE1030ELNS1_3gpuE2ELNS1_3repE0EEENS1_30default_config_static_selectorELNS0_4arch9wavefront6targetE1EEEvSQ_
; %bb.0:
	.section	.rodata,"a",@progbits
	.p2align	6, 0x0
	.amdhsa_kernel _ZN7rocprim17ROCPRIM_400000_NS6detail17trampoline_kernelINS0_14default_configENS1_22reduce_config_selectorIiEEZNS1_11reduce_implILb1ES3_PiS7_iN6hipcub16HIPCUB_304000_NS6detail34convert_binary_result_type_wrapperISt4plusIvENS9_22TransformInputIteratorIiN2at6native8internal21MapNumberOfTrueValuesEPKhlEEiEEEE10hipError_tPvRmT1_T2_T3_mT4_P12ihipStream_tbEUlT_E1_NS1_11comp_targetILNS1_3genE8ELNS1_11target_archE1030ELNS1_3gpuE2ELNS1_3repE0EEENS1_30default_config_static_selectorELNS0_4arch9wavefront6targetE1EEEvSQ_
		.amdhsa_group_segment_fixed_size 0
		.amdhsa_private_segment_fixed_size 0
		.amdhsa_kernarg_size 40
		.amdhsa_user_sgpr_count 6
		.amdhsa_user_sgpr_private_segment_buffer 1
		.amdhsa_user_sgpr_dispatch_ptr 0
		.amdhsa_user_sgpr_queue_ptr 0
		.amdhsa_user_sgpr_kernarg_segment_ptr 1
		.amdhsa_user_sgpr_dispatch_id 0
		.amdhsa_user_sgpr_flat_scratch_init 0
		.amdhsa_user_sgpr_kernarg_preload_length 0
		.amdhsa_user_sgpr_kernarg_preload_offset 0
		.amdhsa_user_sgpr_private_segment_size 0
		.amdhsa_uses_dynamic_stack 0
		.amdhsa_system_sgpr_private_segment_wavefront_offset 0
		.amdhsa_system_sgpr_workgroup_id_x 1
		.amdhsa_system_sgpr_workgroup_id_y 0
		.amdhsa_system_sgpr_workgroup_id_z 0
		.amdhsa_system_sgpr_workgroup_info 0
		.amdhsa_system_vgpr_workitem_id 0
		.amdhsa_next_free_vgpr 1
		.amdhsa_next_free_sgpr 0
		.amdhsa_accum_offset 4
		.amdhsa_reserve_vcc 0
		.amdhsa_reserve_flat_scratch 0
		.amdhsa_float_round_mode_32 0
		.amdhsa_float_round_mode_16_64 0
		.amdhsa_float_denorm_mode_32 3
		.amdhsa_float_denorm_mode_16_64 3
		.amdhsa_dx10_clamp 1
		.amdhsa_ieee_mode 1
		.amdhsa_fp16_overflow 0
		.amdhsa_tg_split 0
		.amdhsa_exception_fp_ieee_invalid_op 0
		.amdhsa_exception_fp_denorm_src 0
		.amdhsa_exception_fp_ieee_div_zero 0
		.amdhsa_exception_fp_ieee_overflow 0
		.amdhsa_exception_fp_ieee_underflow 0
		.amdhsa_exception_fp_ieee_inexact 0
		.amdhsa_exception_int_div_zero 0
	.end_amdhsa_kernel
	.section	.text._ZN7rocprim17ROCPRIM_400000_NS6detail17trampoline_kernelINS0_14default_configENS1_22reduce_config_selectorIiEEZNS1_11reduce_implILb1ES3_PiS7_iN6hipcub16HIPCUB_304000_NS6detail34convert_binary_result_type_wrapperISt4plusIvENS9_22TransformInputIteratorIiN2at6native8internal21MapNumberOfTrueValuesEPKhlEEiEEEE10hipError_tPvRmT1_T2_T3_mT4_P12ihipStream_tbEUlT_E1_NS1_11comp_targetILNS1_3genE8ELNS1_11target_archE1030ELNS1_3gpuE2ELNS1_3repE0EEENS1_30default_config_static_selectorELNS0_4arch9wavefront6targetE1EEEvSQ_,"axG",@progbits,_ZN7rocprim17ROCPRIM_400000_NS6detail17trampoline_kernelINS0_14default_configENS1_22reduce_config_selectorIiEEZNS1_11reduce_implILb1ES3_PiS7_iN6hipcub16HIPCUB_304000_NS6detail34convert_binary_result_type_wrapperISt4plusIvENS9_22TransformInputIteratorIiN2at6native8internal21MapNumberOfTrueValuesEPKhlEEiEEEE10hipError_tPvRmT1_T2_T3_mT4_P12ihipStream_tbEUlT_E1_NS1_11comp_targetILNS1_3genE8ELNS1_11target_archE1030ELNS1_3gpuE2ELNS1_3repE0EEENS1_30default_config_static_selectorELNS0_4arch9wavefront6targetE1EEEvSQ_,comdat
.Lfunc_end114:
	.size	_ZN7rocprim17ROCPRIM_400000_NS6detail17trampoline_kernelINS0_14default_configENS1_22reduce_config_selectorIiEEZNS1_11reduce_implILb1ES3_PiS7_iN6hipcub16HIPCUB_304000_NS6detail34convert_binary_result_type_wrapperISt4plusIvENS9_22TransformInputIteratorIiN2at6native8internal21MapNumberOfTrueValuesEPKhlEEiEEEE10hipError_tPvRmT1_T2_T3_mT4_P12ihipStream_tbEUlT_E1_NS1_11comp_targetILNS1_3genE8ELNS1_11target_archE1030ELNS1_3gpuE2ELNS1_3repE0EEENS1_30default_config_static_selectorELNS0_4arch9wavefront6targetE1EEEvSQ_, .Lfunc_end114-_ZN7rocprim17ROCPRIM_400000_NS6detail17trampoline_kernelINS0_14default_configENS1_22reduce_config_selectorIiEEZNS1_11reduce_implILb1ES3_PiS7_iN6hipcub16HIPCUB_304000_NS6detail34convert_binary_result_type_wrapperISt4plusIvENS9_22TransformInputIteratorIiN2at6native8internal21MapNumberOfTrueValuesEPKhlEEiEEEE10hipError_tPvRmT1_T2_T3_mT4_P12ihipStream_tbEUlT_E1_NS1_11comp_targetILNS1_3genE8ELNS1_11target_archE1030ELNS1_3gpuE2ELNS1_3repE0EEENS1_30default_config_static_selectorELNS0_4arch9wavefront6targetE1EEEvSQ_
                                        ; -- End function
	.section	.AMDGPU.csdata,"",@progbits
; Kernel info:
; codeLenInByte = 0
; NumSgprs: 4
; NumVgprs: 0
; NumAgprs: 0
; TotalNumVgprs: 0
; ScratchSize: 0
; MemoryBound: 0
; FloatMode: 240
; IeeeMode: 1
; LDSByteSize: 0 bytes/workgroup (compile time only)
; SGPRBlocks: 0
; VGPRBlocks: 0
; NumSGPRsForWavesPerEU: 4
; NumVGPRsForWavesPerEU: 1
; AccumOffset: 4
; Occupancy: 8
; WaveLimiterHint : 0
; COMPUTE_PGM_RSRC2:SCRATCH_EN: 0
; COMPUTE_PGM_RSRC2:USER_SGPR: 6
; COMPUTE_PGM_RSRC2:TRAP_HANDLER: 0
; COMPUTE_PGM_RSRC2:TGID_X_EN: 1
; COMPUTE_PGM_RSRC2:TGID_Y_EN: 0
; COMPUTE_PGM_RSRC2:TGID_Z_EN: 0
; COMPUTE_PGM_RSRC2:TIDIG_COMP_CNT: 0
; COMPUTE_PGM_RSRC3_GFX90A:ACCUM_OFFSET: 0
; COMPUTE_PGM_RSRC3_GFX90A:TG_SPLIT: 0
	.section	.text._ZN7rocprim17ROCPRIM_400000_NS6detail17trampoline_kernelINS0_14default_configENS1_22reduce_config_selectorIiEEZNS1_11reduce_implILb1ES3_N6hipcub16HIPCUB_304000_NS22TransformInputIteratorIiN2at6native8internal21MapNumberOfTrueValuesEPKhlEEPiiNS8_6detail34convert_binary_result_type_wrapperISt4plusIvESG_iEEEE10hipError_tPvRmT1_T2_T3_mT4_P12ihipStream_tbEUlT_E0_NS1_11comp_targetILNS1_3genE0ELNS1_11target_archE4294967295ELNS1_3gpuE0ELNS1_3repE0EEENS1_30default_config_static_selectorELNS0_4arch9wavefront6targetE1EEEvSQ_,"axG",@progbits,_ZN7rocprim17ROCPRIM_400000_NS6detail17trampoline_kernelINS0_14default_configENS1_22reduce_config_selectorIiEEZNS1_11reduce_implILb1ES3_N6hipcub16HIPCUB_304000_NS22TransformInputIteratorIiN2at6native8internal21MapNumberOfTrueValuesEPKhlEEPiiNS8_6detail34convert_binary_result_type_wrapperISt4plusIvESG_iEEEE10hipError_tPvRmT1_T2_T3_mT4_P12ihipStream_tbEUlT_E0_NS1_11comp_targetILNS1_3genE0ELNS1_11target_archE4294967295ELNS1_3gpuE0ELNS1_3repE0EEENS1_30default_config_static_selectorELNS0_4arch9wavefront6targetE1EEEvSQ_,comdat
	.protected	_ZN7rocprim17ROCPRIM_400000_NS6detail17trampoline_kernelINS0_14default_configENS1_22reduce_config_selectorIiEEZNS1_11reduce_implILb1ES3_N6hipcub16HIPCUB_304000_NS22TransformInputIteratorIiN2at6native8internal21MapNumberOfTrueValuesEPKhlEEPiiNS8_6detail34convert_binary_result_type_wrapperISt4plusIvESG_iEEEE10hipError_tPvRmT1_T2_T3_mT4_P12ihipStream_tbEUlT_E0_NS1_11comp_targetILNS1_3genE0ELNS1_11target_archE4294967295ELNS1_3gpuE0ELNS1_3repE0EEENS1_30default_config_static_selectorELNS0_4arch9wavefront6targetE1EEEvSQ_ ; -- Begin function _ZN7rocprim17ROCPRIM_400000_NS6detail17trampoline_kernelINS0_14default_configENS1_22reduce_config_selectorIiEEZNS1_11reduce_implILb1ES3_N6hipcub16HIPCUB_304000_NS22TransformInputIteratorIiN2at6native8internal21MapNumberOfTrueValuesEPKhlEEPiiNS8_6detail34convert_binary_result_type_wrapperISt4plusIvESG_iEEEE10hipError_tPvRmT1_T2_T3_mT4_P12ihipStream_tbEUlT_E0_NS1_11comp_targetILNS1_3genE0ELNS1_11target_archE4294967295ELNS1_3gpuE0ELNS1_3repE0EEENS1_30default_config_static_selectorELNS0_4arch9wavefront6targetE1EEEvSQ_
	.globl	_ZN7rocprim17ROCPRIM_400000_NS6detail17trampoline_kernelINS0_14default_configENS1_22reduce_config_selectorIiEEZNS1_11reduce_implILb1ES3_N6hipcub16HIPCUB_304000_NS22TransformInputIteratorIiN2at6native8internal21MapNumberOfTrueValuesEPKhlEEPiiNS8_6detail34convert_binary_result_type_wrapperISt4plusIvESG_iEEEE10hipError_tPvRmT1_T2_T3_mT4_P12ihipStream_tbEUlT_E0_NS1_11comp_targetILNS1_3genE0ELNS1_11target_archE4294967295ELNS1_3gpuE0ELNS1_3repE0EEENS1_30default_config_static_selectorELNS0_4arch9wavefront6targetE1EEEvSQ_
	.p2align	8
	.type	_ZN7rocprim17ROCPRIM_400000_NS6detail17trampoline_kernelINS0_14default_configENS1_22reduce_config_selectorIiEEZNS1_11reduce_implILb1ES3_N6hipcub16HIPCUB_304000_NS22TransformInputIteratorIiN2at6native8internal21MapNumberOfTrueValuesEPKhlEEPiiNS8_6detail34convert_binary_result_type_wrapperISt4plusIvESG_iEEEE10hipError_tPvRmT1_T2_T3_mT4_P12ihipStream_tbEUlT_E0_NS1_11comp_targetILNS1_3genE0ELNS1_11target_archE4294967295ELNS1_3gpuE0ELNS1_3repE0EEENS1_30default_config_static_selectorELNS0_4arch9wavefront6targetE1EEEvSQ_,@function
_ZN7rocprim17ROCPRIM_400000_NS6detail17trampoline_kernelINS0_14default_configENS1_22reduce_config_selectorIiEEZNS1_11reduce_implILb1ES3_N6hipcub16HIPCUB_304000_NS22TransformInputIteratorIiN2at6native8internal21MapNumberOfTrueValuesEPKhlEEPiiNS8_6detail34convert_binary_result_type_wrapperISt4plusIvESG_iEEEE10hipError_tPvRmT1_T2_T3_mT4_P12ihipStream_tbEUlT_E0_NS1_11comp_targetILNS1_3genE0ELNS1_11target_archE4294967295ELNS1_3gpuE0ELNS1_3repE0EEENS1_30default_config_static_selectorELNS0_4arch9wavefront6targetE1EEEvSQ_: ; @_ZN7rocprim17ROCPRIM_400000_NS6detail17trampoline_kernelINS0_14default_configENS1_22reduce_config_selectorIiEEZNS1_11reduce_implILb1ES3_N6hipcub16HIPCUB_304000_NS22TransformInputIteratorIiN2at6native8internal21MapNumberOfTrueValuesEPKhlEEPiiNS8_6detail34convert_binary_result_type_wrapperISt4plusIvESG_iEEEE10hipError_tPvRmT1_T2_T3_mT4_P12ihipStream_tbEUlT_E0_NS1_11comp_targetILNS1_3genE0ELNS1_11target_archE4294967295ELNS1_3gpuE0ELNS1_3repE0EEENS1_30default_config_static_selectorELNS0_4arch9wavefront6targetE1EEEvSQ_
; %bb.0:
	.section	.rodata,"a",@progbits
	.p2align	6, 0x0
	.amdhsa_kernel _ZN7rocprim17ROCPRIM_400000_NS6detail17trampoline_kernelINS0_14default_configENS1_22reduce_config_selectorIiEEZNS1_11reduce_implILb1ES3_N6hipcub16HIPCUB_304000_NS22TransformInputIteratorIiN2at6native8internal21MapNumberOfTrueValuesEPKhlEEPiiNS8_6detail34convert_binary_result_type_wrapperISt4plusIvESG_iEEEE10hipError_tPvRmT1_T2_T3_mT4_P12ihipStream_tbEUlT_E0_NS1_11comp_targetILNS1_3genE0ELNS1_11target_archE4294967295ELNS1_3gpuE0ELNS1_3repE0EEENS1_30default_config_static_selectorELNS0_4arch9wavefront6targetE1EEEvSQ_
		.amdhsa_group_segment_fixed_size 0
		.amdhsa_private_segment_fixed_size 0
		.amdhsa_kernarg_size 64
		.amdhsa_user_sgpr_count 6
		.amdhsa_user_sgpr_private_segment_buffer 1
		.amdhsa_user_sgpr_dispatch_ptr 0
		.amdhsa_user_sgpr_queue_ptr 0
		.amdhsa_user_sgpr_kernarg_segment_ptr 1
		.amdhsa_user_sgpr_dispatch_id 0
		.amdhsa_user_sgpr_flat_scratch_init 0
		.amdhsa_user_sgpr_kernarg_preload_length 0
		.amdhsa_user_sgpr_kernarg_preload_offset 0
		.amdhsa_user_sgpr_private_segment_size 0
		.amdhsa_uses_dynamic_stack 0
		.amdhsa_system_sgpr_private_segment_wavefront_offset 0
		.amdhsa_system_sgpr_workgroup_id_x 1
		.amdhsa_system_sgpr_workgroup_id_y 0
		.amdhsa_system_sgpr_workgroup_id_z 0
		.amdhsa_system_sgpr_workgroup_info 0
		.amdhsa_system_vgpr_workitem_id 0
		.amdhsa_next_free_vgpr 1
		.amdhsa_next_free_sgpr 0
		.amdhsa_accum_offset 4
		.amdhsa_reserve_vcc 0
		.amdhsa_reserve_flat_scratch 0
		.amdhsa_float_round_mode_32 0
		.amdhsa_float_round_mode_16_64 0
		.amdhsa_float_denorm_mode_32 3
		.amdhsa_float_denorm_mode_16_64 3
		.amdhsa_dx10_clamp 1
		.amdhsa_ieee_mode 1
		.amdhsa_fp16_overflow 0
		.amdhsa_tg_split 0
		.amdhsa_exception_fp_ieee_invalid_op 0
		.amdhsa_exception_fp_denorm_src 0
		.amdhsa_exception_fp_ieee_div_zero 0
		.amdhsa_exception_fp_ieee_overflow 0
		.amdhsa_exception_fp_ieee_underflow 0
		.amdhsa_exception_fp_ieee_inexact 0
		.amdhsa_exception_int_div_zero 0
	.end_amdhsa_kernel
	.section	.text._ZN7rocprim17ROCPRIM_400000_NS6detail17trampoline_kernelINS0_14default_configENS1_22reduce_config_selectorIiEEZNS1_11reduce_implILb1ES3_N6hipcub16HIPCUB_304000_NS22TransformInputIteratorIiN2at6native8internal21MapNumberOfTrueValuesEPKhlEEPiiNS8_6detail34convert_binary_result_type_wrapperISt4plusIvESG_iEEEE10hipError_tPvRmT1_T2_T3_mT4_P12ihipStream_tbEUlT_E0_NS1_11comp_targetILNS1_3genE0ELNS1_11target_archE4294967295ELNS1_3gpuE0ELNS1_3repE0EEENS1_30default_config_static_selectorELNS0_4arch9wavefront6targetE1EEEvSQ_,"axG",@progbits,_ZN7rocprim17ROCPRIM_400000_NS6detail17trampoline_kernelINS0_14default_configENS1_22reduce_config_selectorIiEEZNS1_11reduce_implILb1ES3_N6hipcub16HIPCUB_304000_NS22TransformInputIteratorIiN2at6native8internal21MapNumberOfTrueValuesEPKhlEEPiiNS8_6detail34convert_binary_result_type_wrapperISt4plusIvESG_iEEEE10hipError_tPvRmT1_T2_T3_mT4_P12ihipStream_tbEUlT_E0_NS1_11comp_targetILNS1_3genE0ELNS1_11target_archE4294967295ELNS1_3gpuE0ELNS1_3repE0EEENS1_30default_config_static_selectorELNS0_4arch9wavefront6targetE1EEEvSQ_,comdat
.Lfunc_end115:
	.size	_ZN7rocprim17ROCPRIM_400000_NS6detail17trampoline_kernelINS0_14default_configENS1_22reduce_config_selectorIiEEZNS1_11reduce_implILb1ES3_N6hipcub16HIPCUB_304000_NS22TransformInputIteratorIiN2at6native8internal21MapNumberOfTrueValuesEPKhlEEPiiNS8_6detail34convert_binary_result_type_wrapperISt4plusIvESG_iEEEE10hipError_tPvRmT1_T2_T3_mT4_P12ihipStream_tbEUlT_E0_NS1_11comp_targetILNS1_3genE0ELNS1_11target_archE4294967295ELNS1_3gpuE0ELNS1_3repE0EEENS1_30default_config_static_selectorELNS0_4arch9wavefront6targetE1EEEvSQ_, .Lfunc_end115-_ZN7rocprim17ROCPRIM_400000_NS6detail17trampoline_kernelINS0_14default_configENS1_22reduce_config_selectorIiEEZNS1_11reduce_implILb1ES3_N6hipcub16HIPCUB_304000_NS22TransformInputIteratorIiN2at6native8internal21MapNumberOfTrueValuesEPKhlEEPiiNS8_6detail34convert_binary_result_type_wrapperISt4plusIvESG_iEEEE10hipError_tPvRmT1_T2_T3_mT4_P12ihipStream_tbEUlT_E0_NS1_11comp_targetILNS1_3genE0ELNS1_11target_archE4294967295ELNS1_3gpuE0ELNS1_3repE0EEENS1_30default_config_static_selectorELNS0_4arch9wavefront6targetE1EEEvSQ_
                                        ; -- End function
	.section	.AMDGPU.csdata,"",@progbits
; Kernel info:
; codeLenInByte = 0
; NumSgprs: 4
; NumVgprs: 0
; NumAgprs: 0
; TotalNumVgprs: 0
; ScratchSize: 0
; MemoryBound: 0
; FloatMode: 240
; IeeeMode: 1
; LDSByteSize: 0 bytes/workgroup (compile time only)
; SGPRBlocks: 0
; VGPRBlocks: 0
; NumSGPRsForWavesPerEU: 4
; NumVGPRsForWavesPerEU: 1
; AccumOffset: 4
; Occupancy: 8
; WaveLimiterHint : 0
; COMPUTE_PGM_RSRC2:SCRATCH_EN: 0
; COMPUTE_PGM_RSRC2:USER_SGPR: 6
; COMPUTE_PGM_RSRC2:TRAP_HANDLER: 0
; COMPUTE_PGM_RSRC2:TGID_X_EN: 1
; COMPUTE_PGM_RSRC2:TGID_Y_EN: 0
; COMPUTE_PGM_RSRC2:TGID_Z_EN: 0
; COMPUTE_PGM_RSRC2:TIDIG_COMP_CNT: 0
; COMPUTE_PGM_RSRC3_GFX90A:ACCUM_OFFSET: 0
; COMPUTE_PGM_RSRC3_GFX90A:TG_SPLIT: 0
	.section	.text._ZN7rocprim17ROCPRIM_400000_NS6detail17trampoline_kernelINS0_14default_configENS1_22reduce_config_selectorIiEEZNS1_11reduce_implILb1ES3_N6hipcub16HIPCUB_304000_NS22TransformInputIteratorIiN2at6native8internal21MapNumberOfTrueValuesEPKhlEEPiiNS8_6detail34convert_binary_result_type_wrapperISt4plusIvESG_iEEEE10hipError_tPvRmT1_T2_T3_mT4_P12ihipStream_tbEUlT_E0_NS1_11comp_targetILNS1_3genE5ELNS1_11target_archE942ELNS1_3gpuE9ELNS1_3repE0EEENS1_30default_config_static_selectorELNS0_4arch9wavefront6targetE1EEEvSQ_,"axG",@progbits,_ZN7rocprim17ROCPRIM_400000_NS6detail17trampoline_kernelINS0_14default_configENS1_22reduce_config_selectorIiEEZNS1_11reduce_implILb1ES3_N6hipcub16HIPCUB_304000_NS22TransformInputIteratorIiN2at6native8internal21MapNumberOfTrueValuesEPKhlEEPiiNS8_6detail34convert_binary_result_type_wrapperISt4plusIvESG_iEEEE10hipError_tPvRmT1_T2_T3_mT4_P12ihipStream_tbEUlT_E0_NS1_11comp_targetILNS1_3genE5ELNS1_11target_archE942ELNS1_3gpuE9ELNS1_3repE0EEENS1_30default_config_static_selectorELNS0_4arch9wavefront6targetE1EEEvSQ_,comdat
	.protected	_ZN7rocprim17ROCPRIM_400000_NS6detail17trampoline_kernelINS0_14default_configENS1_22reduce_config_selectorIiEEZNS1_11reduce_implILb1ES3_N6hipcub16HIPCUB_304000_NS22TransformInputIteratorIiN2at6native8internal21MapNumberOfTrueValuesEPKhlEEPiiNS8_6detail34convert_binary_result_type_wrapperISt4plusIvESG_iEEEE10hipError_tPvRmT1_T2_T3_mT4_P12ihipStream_tbEUlT_E0_NS1_11comp_targetILNS1_3genE5ELNS1_11target_archE942ELNS1_3gpuE9ELNS1_3repE0EEENS1_30default_config_static_selectorELNS0_4arch9wavefront6targetE1EEEvSQ_ ; -- Begin function _ZN7rocprim17ROCPRIM_400000_NS6detail17trampoline_kernelINS0_14default_configENS1_22reduce_config_selectorIiEEZNS1_11reduce_implILb1ES3_N6hipcub16HIPCUB_304000_NS22TransformInputIteratorIiN2at6native8internal21MapNumberOfTrueValuesEPKhlEEPiiNS8_6detail34convert_binary_result_type_wrapperISt4plusIvESG_iEEEE10hipError_tPvRmT1_T2_T3_mT4_P12ihipStream_tbEUlT_E0_NS1_11comp_targetILNS1_3genE5ELNS1_11target_archE942ELNS1_3gpuE9ELNS1_3repE0EEENS1_30default_config_static_selectorELNS0_4arch9wavefront6targetE1EEEvSQ_
	.globl	_ZN7rocprim17ROCPRIM_400000_NS6detail17trampoline_kernelINS0_14default_configENS1_22reduce_config_selectorIiEEZNS1_11reduce_implILb1ES3_N6hipcub16HIPCUB_304000_NS22TransformInputIteratorIiN2at6native8internal21MapNumberOfTrueValuesEPKhlEEPiiNS8_6detail34convert_binary_result_type_wrapperISt4plusIvESG_iEEEE10hipError_tPvRmT1_T2_T3_mT4_P12ihipStream_tbEUlT_E0_NS1_11comp_targetILNS1_3genE5ELNS1_11target_archE942ELNS1_3gpuE9ELNS1_3repE0EEENS1_30default_config_static_selectorELNS0_4arch9wavefront6targetE1EEEvSQ_
	.p2align	8
	.type	_ZN7rocprim17ROCPRIM_400000_NS6detail17trampoline_kernelINS0_14default_configENS1_22reduce_config_selectorIiEEZNS1_11reduce_implILb1ES3_N6hipcub16HIPCUB_304000_NS22TransformInputIteratorIiN2at6native8internal21MapNumberOfTrueValuesEPKhlEEPiiNS8_6detail34convert_binary_result_type_wrapperISt4plusIvESG_iEEEE10hipError_tPvRmT1_T2_T3_mT4_P12ihipStream_tbEUlT_E0_NS1_11comp_targetILNS1_3genE5ELNS1_11target_archE942ELNS1_3gpuE9ELNS1_3repE0EEENS1_30default_config_static_selectorELNS0_4arch9wavefront6targetE1EEEvSQ_,@function
_ZN7rocprim17ROCPRIM_400000_NS6detail17trampoline_kernelINS0_14default_configENS1_22reduce_config_selectorIiEEZNS1_11reduce_implILb1ES3_N6hipcub16HIPCUB_304000_NS22TransformInputIteratorIiN2at6native8internal21MapNumberOfTrueValuesEPKhlEEPiiNS8_6detail34convert_binary_result_type_wrapperISt4plusIvESG_iEEEE10hipError_tPvRmT1_T2_T3_mT4_P12ihipStream_tbEUlT_E0_NS1_11comp_targetILNS1_3genE5ELNS1_11target_archE942ELNS1_3gpuE9ELNS1_3repE0EEENS1_30default_config_static_selectorELNS0_4arch9wavefront6targetE1EEEvSQ_: ; @_ZN7rocprim17ROCPRIM_400000_NS6detail17trampoline_kernelINS0_14default_configENS1_22reduce_config_selectorIiEEZNS1_11reduce_implILb1ES3_N6hipcub16HIPCUB_304000_NS22TransformInputIteratorIiN2at6native8internal21MapNumberOfTrueValuesEPKhlEEPiiNS8_6detail34convert_binary_result_type_wrapperISt4plusIvESG_iEEEE10hipError_tPvRmT1_T2_T3_mT4_P12ihipStream_tbEUlT_E0_NS1_11comp_targetILNS1_3genE5ELNS1_11target_archE942ELNS1_3gpuE9ELNS1_3repE0EEENS1_30default_config_static_selectorELNS0_4arch9wavefront6targetE1EEEvSQ_
; %bb.0:
	.section	.rodata,"a",@progbits
	.p2align	6, 0x0
	.amdhsa_kernel _ZN7rocprim17ROCPRIM_400000_NS6detail17trampoline_kernelINS0_14default_configENS1_22reduce_config_selectorIiEEZNS1_11reduce_implILb1ES3_N6hipcub16HIPCUB_304000_NS22TransformInputIteratorIiN2at6native8internal21MapNumberOfTrueValuesEPKhlEEPiiNS8_6detail34convert_binary_result_type_wrapperISt4plusIvESG_iEEEE10hipError_tPvRmT1_T2_T3_mT4_P12ihipStream_tbEUlT_E0_NS1_11comp_targetILNS1_3genE5ELNS1_11target_archE942ELNS1_3gpuE9ELNS1_3repE0EEENS1_30default_config_static_selectorELNS0_4arch9wavefront6targetE1EEEvSQ_
		.amdhsa_group_segment_fixed_size 0
		.amdhsa_private_segment_fixed_size 0
		.amdhsa_kernarg_size 64
		.amdhsa_user_sgpr_count 6
		.amdhsa_user_sgpr_private_segment_buffer 1
		.amdhsa_user_sgpr_dispatch_ptr 0
		.amdhsa_user_sgpr_queue_ptr 0
		.amdhsa_user_sgpr_kernarg_segment_ptr 1
		.amdhsa_user_sgpr_dispatch_id 0
		.amdhsa_user_sgpr_flat_scratch_init 0
		.amdhsa_user_sgpr_kernarg_preload_length 0
		.amdhsa_user_sgpr_kernarg_preload_offset 0
		.amdhsa_user_sgpr_private_segment_size 0
		.amdhsa_uses_dynamic_stack 0
		.amdhsa_system_sgpr_private_segment_wavefront_offset 0
		.amdhsa_system_sgpr_workgroup_id_x 1
		.amdhsa_system_sgpr_workgroup_id_y 0
		.amdhsa_system_sgpr_workgroup_id_z 0
		.amdhsa_system_sgpr_workgroup_info 0
		.amdhsa_system_vgpr_workitem_id 0
		.amdhsa_next_free_vgpr 1
		.amdhsa_next_free_sgpr 0
		.amdhsa_accum_offset 4
		.amdhsa_reserve_vcc 0
		.amdhsa_reserve_flat_scratch 0
		.amdhsa_float_round_mode_32 0
		.amdhsa_float_round_mode_16_64 0
		.amdhsa_float_denorm_mode_32 3
		.amdhsa_float_denorm_mode_16_64 3
		.amdhsa_dx10_clamp 1
		.amdhsa_ieee_mode 1
		.amdhsa_fp16_overflow 0
		.amdhsa_tg_split 0
		.amdhsa_exception_fp_ieee_invalid_op 0
		.amdhsa_exception_fp_denorm_src 0
		.amdhsa_exception_fp_ieee_div_zero 0
		.amdhsa_exception_fp_ieee_overflow 0
		.amdhsa_exception_fp_ieee_underflow 0
		.amdhsa_exception_fp_ieee_inexact 0
		.amdhsa_exception_int_div_zero 0
	.end_amdhsa_kernel
	.section	.text._ZN7rocprim17ROCPRIM_400000_NS6detail17trampoline_kernelINS0_14default_configENS1_22reduce_config_selectorIiEEZNS1_11reduce_implILb1ES3_N6hipcub16HIPCUB_304000_NS22TransformInputIteratorIiN2at6native8internal21MapNumberOfTrueValuesEPKhlEEPiiNS8_6detail34convert_binary_result_type_wrapperISt4plusIvESG_iEEEE10hipError_tPvRmT1_T2_T3_mT4_P12ihipStream_tbEUlT_E0_NS1_11comp_targetILNS1_3genE5ELNS1_11target_archE942ELNS1_3gpuE9ELNS1_3repE0EEENS1_30default_config_static_selectorELNS0_4arch9wavefront6targetE1EEEvSQ_,"axG",@progbits,_ZN7rocprim17ROCPRIM_400000_NS6detail17trampoline_kernelINS0_14default_configENS1_22reduce_config_selectorIiEEZNS1_11reduce_implILb1ES3_N6hipcub16HIPCUB_304000_NS22TransformInputIteratorIiN2at6native8internal21MapNumberOfTrueValuesEPKhlEEPiiNS8_6detail34convert_binary_result_type_wrapperISt4plusIvESG_iEEEE10hipError_tPvRmT1_T2_T3_mT4_P12ihipStream_tbEUlT_E0_NS1_11comp_targetILNS1_3genE5ELNS1_11target_archE942ELNS1_3gpuE9ELNS1_3repE0EEENS1_30default_config_static_selectorELNS0_4arch9wavefront6targetE1EEEvSQ_,comdat
.Lfunc_end116:
	.size	_ZN7rocprim17ROCPRIM_400000_NS6detail17trampoline_kernelINS0_14default_configENS1_22reduce_config_selectorIiEEZNS1_11reduce_implILb1ES3_N6hipcub16HIPCUB_304000_NS22TransformInputIteratorIiN2at6native8internal21MapNumberOfTrueValuesEPKhlEEPiiNS8_6detail34convert_binary_result_type_wrapperISt4plusIvESG_iEEEE10hipError_tPvRmT1_T2_T3_mT4_P12ihipStream_tbEUlT_E0_NS1_11comp_targetILNS1_3genE5ELNS1_11target_archE942ELNS1_3gpuE9ELNS1_3repE0EEENS1_30default_config_static_selectorELNS0_4arch9wavefront6targetE1EEEvSQ_, .Lfunc_end116-_ZN7rocprim17ROCPRIM_400000_NS6detail17trampoline_kernelINS0_14default_configENS1_22reduce_config_selectorIiEEZNS1_11reduce_implILb1ES3_N6hipcub16HIPCUB_304000_NS22TransformInputIteratorIiN2at6native8internal21MapNumberOfTrueValuesEPKhlEEPiiNS8_6detail34convert_binary_result_type_wrapperISt4plusIvESG_iEEEE10hipError_tPvRmT1_T2_T3_mT4_P12ihipStream_tbEUlT_E0_NS1_11comp_targetILNS1_3genE5ELNS1_11target_archE942ELNS1_3gpuE9ELNS1_3repE0EEENS1_30default_config_static_selectorELNS0_4arch9wavefront6targetE1EEEvSQ_
                                        ; -- End function
	.section	.AMDGPU.csdata,"",@progbits
; Kernel info:
; codeLenInByte = 0
; NumSgprs: 4
; NumVgprs: 0
; NumAgprs: 0
; TotalNumVgprs: 0
; ScratchSize: 0
; MemoryBound: 0
; FloatMode: 240
; IeeeMode: 1
; LDSByteSize: 0 bytes/workgroup (compile time only)
; SGPRBlocks: 0
; VGPRBlocks: 0
; NumSGPRsForWavesPerEU: 4
; NumVGPRsForWavesPerEU: 1
; AccumOffset: 4
; Occupancy: 8
; WaveLimiterHint : 0
; COMPUTE_PGM_RSRC2:SCRATCH_EN: 0
; COMPUTE_PGM_RSRC2:USER_SGPR: 6
; COMPUTE_PGM_RSRC2:TRAP_HANDLER: 0
; COMPUTE_PGM_RSRC2:TGID_X_EN: 1
; COMPUTE_PGM_RSRC2:TGID_Y_EN: 0
; COMPUTE_PGM_RSRC2:TGID_Z_EN: 0
; COMPUTE_PGM_RSRC2:TIDIG_COMP_CNT: 0
; COMPUTE_PGM_RSRC3_GFX90A:ACCUM_OFFSET: 0
; COMPUTE_PGM_RSRC3_GFX90A:TG_SPLIT: 0
	.section	.text._ZN7rocprim17ROCPRIM_400000_NS6detail17trampoline_kernelINS0_14default_configENS1_22reduce_config_selectorIiEEZNS1_11reduce_implILb1ES3_N6hipcub16HIPCUB_304000_NS22TransformInputIteratorIiN2at6native8internal21MapNumberOfTrueValuesEPKhlEEPiiNS8_6detail34convert_binary_result_type_wrapperISt4plusIvESG_iEEEE10hipError_tPvRmT1_T2_T3_mT4_P12ihipStream_tbEUlT_E0_NS1_11comp_targetILNS1_3genE4ELNS1_11target_archE910ELNS1_3gpuE8ELNS1_3repE0EEENS1_30default_config_static_selectorELNS0_4arch9wavefront6targetE1EEEvSQ_,"axG",@progbits,_ZN7rocprim17ROCPRIM_400000_NS6detail17trampoline_kernelINS0_14default_configENS1_22reduce_config_selectorIiEEZNS1_11reduce_implILb1ES3_N6hipcub16HIPCUB_304000_NS22TransformInputIteratorIiN2at6native8internal21MapNumberOfTrueValuesEPKhlEEPiiNS8_6detail34convert_binary_result_type_wrapperISt4plusIvESG_iEEEE10hipError_tPvRmT1_T2_T3_mT4_P12ihipStream_tbEUlT_E0_NS1_11comp_targetILNS1_3genE4ELNS1_11target_archE910ELNS1_3gpuE8ELNS1_3repE0EEENS1_30default_config_static_selectorELNS0_4arch9wavefront6targetE1EEEvSQ_,comdat
	.protected	_ZN7rocprim17ROCPRIM_400000_NS6detail17trampoline_kernelINS0_14default_configENS1_22reduce_config_selectorIiEEZNS1_11reduce_implILb1ES3_N6hipcub16HIPCUB_304000_NS22TransformInputIteratorIiN2at6native8internal21MapNumberOfTrueValuesEPKhlEEPiiNS8_6detail34convert_binary_result_type_wrapperISt4plusIvESG_iEEEE10hipError_tPvRmT1_T2_T3_mT4_P12ihipStream_tbEUlT_E0_NS1_11comp_targetILNS1_3genE4ELNS1_11target_archE910ELNS1_3gpuE8ELNS1_3repE0EEENS1_30default_config_static_selectorELNS0_4arch9wavefront6targetE1EEEvSQ_ ; -- Begin function _ZN7rocprim17ROCPRIM_400000_NS6detail17trampoline_kernelINS0_14default_configENS1_22reduce_config_selectorIiEEZNS1_11reduce_implILb1ES3_N6hipcub16HIPCUB_304000_NS22TransformInputIteratorIiN2at6native8internal21MapNumberOfTrueValuesEPKhlEEPiiNS8_6detail34convert_binary_result_type_wrapperISt4plusIvESG_iEEEE10hipError_tPvRmT1_T2_T3_mT4_P12ihipStream_tbEUlT_E0_NS1_11comp_targetILNS1_3genE4ELNS1_11target_archE910ELNS1_3gpuE8ELNS1_3repE0EEENS1_30default_config_static_selectorELNS0_4arch9wavefront6targetE1EEEvSQ_
	.globl	_ZN7rocprim17ROCPRIM_400000_NS6detail17trampoline_kernelINS0_14default_configENS1_22reduce_config_selectorIiEEZNS1_11reduce_implILb1ES3_N6hipcub16HIPCUB_304000_NS22TransformInputIteratorIiN2at6native8internal21MapNumberOfTrueValuesEPKhlEEPiiNS8_6detail34convert_binary_result_type_wrapperISt4plusIvESG_iEEEE10hipError_tPvRmT1_T2_T3_mT4_P12ihipStream_tbEUlT_E0_NS1_11comp_targetILNS1_3genE4ELNS1_11target_archE910ELNS1_3gpuE8ELNS1_3repE0EEENS1_30default_config_static_selectorELNS0_4arch9wavefront6targetE1EEEvSQ_
	.p2align	8
	.type	_ZN7rocprim17ROCPRIM_400000_NS6detail17trampoline_kernelINS0_14default_configENS1_22reduce_config_selectorIiEEZNS1_11reduce_implILb1ES3_N6hipcub16HIPCUB_304000_NS22TransformInputIteratorIiN2at6native8internal21MapNumberOfTrueValuesEPKhlEEPiiNS8_6detail34convert_binary_result_type_wrapperISt4plusIvESG_iEEEE10hipError_tPvRmT1_T2_T3_mT4_P12ihipStream_tbEUlT_E0_NS1_11comp_targetILNS1_3genE4ELNS1_11target_archE910ELNS1_3gpuE8ELNS1_3repE0EEENS1_30default_config_static_selectorELNS0_4arch9wavefront6targetE1EEEvSQ_,@function
_ZN7rocprim17ROCPRIM_400000_NS6detail17trampoline_kernelINS0_14default_configENS1_22reduce_config_selectorIiEEZNS1_11reduce_implILb1ES3_N6hipcub16HIPCUB_304000_NS22TransformInputIteratorIiN2at6native8internal21MapNumberOfTrueValuesEPKhlEEPiiNS8_6detail34convert_binary_result_type_wrapperISt4plusIvESG_iEEEE10hipError_tPvRmT1_T2_T3_mT4_P12ihipStream_tbEUlT_E0_NS1_11comp_targetILNS1_3genE4ELNS1_11target_archE910ELNS1_3gpuE8ELNS1_3repE0EEENS1_30default_config_static_selectorELNS0_4arch9wavefront6targetE1EEEvSQ_: ; @_ZN7rocprim17ROCPRIM_400000_NS6detail17trampoline_kernelINS0_14default_configENS1_22reduce_config_selectorIiEEZNS1_11reduce_implILb1ES3_N6hipcub16HIPCUB_304000_NS22TransformInputIteratorIiN2at6native8internal21MapNumberOfTrueValuesEPKhlEEPiiNS8_6detail34convert_binary_result_type_wrapperISt4plusIvESG_iEEEE10hipError_tPvRmT1_T2_T3_mT4_P12ihipStream_tbEUlT_E0_NS1_11comp_targetILNS1_3genE4ELNS1_11target_archE910ELNS1_3gpuE8ELNS1_3repE0EEENS1_30default_config_static_selectorELNS0_4arch9wavefront6targetE1EEEvSQ_
; %bb.0:
	s_load_dwordx2 s[0:1], s[4:5], 0x0
	s_load_dwordx8 s[16:23], s[4:5], 0x10
	s_load_dwordx2 s[24:25], s[4:5], 0x30
	s_mov_b32 s7, 0
	v_mbcnt_lo_u32_b32 v1, -1, 0
	s_waitcnt lgkmcnt(0)
	s_add_u32 s3, s0, s16
	s_addc_u32 s8, s1, s17
	s_lshl_b32 s2, s6, 10
	s_lshr_b64 s[0:1], s[18:19], 10
	s_add_u32 s14, s3, s2
	s_addc_u32 s15, s8, 0
	s_cmp_lg_u64 s[0:1], s[6:7]
	s_cbranch_scc0 .LBB117_6
; %bb.1:
	global_load_ubyte v2, v0, s[14:15]
	global_load_ubyte v5, v0, s[14:15] offset:256
	global_load_ubyte v6, v0, s[14:15] offset:512
	;; [unrolled: 1-line block ×7, first 2 shown]
	v_mbcnt_hi_u32_b32 v3, -1, v1
	v_lshlrev_b32_e32 v4, 2, v3
	s_waitcnt vmcnt(7)
	v_cmp_ne_u16_e32 vcc, 0, v2
	v_cndmask_b32_e64 v2, 0, 1, vcc
	s_waitcnt vmcnt(6)
	v_cmp_ne_u16_e32 vcc, 0, v5
	v_cndmask_b32_e64 v5, 0, 1, vcc
	;; [unrolled: 3-line block ×4, first 2 shown]
	s_waitcnt vmcnt(3)
	v_cmp_ne_u16_e32 vcc, 0, v8
	v_addc_co_u32_e32 v2, vcc, 0, v2, vcc
	s_waitcnt vmcnt(2)
	v_cmp_ne_u16_e32 vcc, 0, v9
	v_addc_co_u32_e32 v2, vcc, v2, v5, vcc
	;; [unrolled: 3-line block ×4, first 2 shown]
	v_or_b32_e32 v5, 0xfc, v4
	s_nop 0
	v_add_u32_dpp v2, v2, v2 quad_perm:[1,0,3,2] row_mask:0xf bank_mask:0xf bound_ctrl:1
	v_cmp_eq_u32_e32 vcc, 0, v3
	s_nop 0
	v_add_u32_dpp v2, v2, v2 quad_perm:[2,3,0,1] row_mask:0xf bank_mask:0xf bound_ctrl:1
	s_nop 1
	v_add_u32_dpp v2, v2, v2 row_ror:4 row_mask:0xf bank_mask:0xf bound_ctrl:1
	s_nop 1
	v_add_u32_dpp v2, v2, v2 row_ror:8 row_mask:0xf bank_mask:0xf bound_ctrl:1
	s_nop 1
	v_add_u32_dpp v2, v2, v2 row_bcast:15 row_mask:0xf bank_mask:0xf bound_ctrl:1
	s_nop 1
	v_add_u32_dpp v2, v2, v2 row_bcast:31 row_mask:0xf bank_mask:0xf bound_ctrl:1
	ds_bpermute_b32 v2, v5, v2
	s_and_saveexec_b64 s[0:1], vcc
	s_cbranch_execz .LBB117_3
; %bb.2:
	v_lshrrev_b32_e32 v5, 4, v0
	v_and_b32_e32 v5, 4, v5
	s_waitcnt lgkmcnt(0)
	ds_write_b32 v5, v2
.LBB117_3:
	s_or_b64 exec, exec, s[0:1]
	v_cmp_gt_u32_e32 vcc, 64, v0
	s_waitcnt lgkmcnt(0)
	s_barrier
	s_and_saveexec_b64 s[0:1], vcc
	s_cbranch_execz .LBB117_5
; %bb.4:
	v_and_b32_e32 v2, 1, v3
	v_lshlrev_b32_e32 v2, 2, v2
	ds_read_b32 v2, v2
	v_or_b32_e32 v3, 4, v4
	s_waitcnt lgkmcnt(0)
	ds_bpermute_b32 v3, v3, v2
	s_waitcnt lgkmcnt(0)
	v_add_u32_e32 v2, v3, v2
.LBB117_5:
	s_or_b64 exec, exec, s[0:1]
	s_load_dword s26, s[4:5], 0x38
	s_branch .LBB117_28
.LBB117_6:
                                        ; implicit-def: $vgpr2
	s_load_dword s26, s[4:5], 0x38
	s_cbranch_execz .LBB117_28
; %bb.7:
	s_sub_i32 s27, s18, s2
	v_cmp_gt_u32_e32 vcc, s27, v0
                                        ; implicit-def: $vgpr2_vgpr3_vgpr4_vgpr5_vgpr6_vgpr7_vgpr8_vgpr9
	s_and_saveexec_b64 s[0:1], vcc
	s_cbranch_execz .LBB117_9
; %bb.8:
	global_load_ubyte v2, v0, s[14:15]
	s_waitcnt vmcnt(0)
	v_cmp_ne_u16_e32 vcc, 0, v2
	v_cndmask_b32_e64 v2, 0, 1, vcc
.LBB117_9:
	s_or_b64 exec, exec, s[0:1]
	v_or_b32_e32 v10, 0x80, v0
	v_cmp_gt_u32_e32 vcc, s27, v10
	s_and_saveexec_b64 s[2:3], vcc
	s_cbranch_execz .LBB117_11
; %bb.10:
	global_load_ubyte v3, v0, s[14:15] offset:128
	s_waitcnt vmcnt(0)
	v_cmp_ne_u16_e64 s[0:1], 0, v3
	v_cndmask_b32_e64 v3, 0, 1, s[0:1]
.LBB117_11:
	s_or_b64 exec, exec, s[2:3]
	v_or_b32_e32 v10, 0x100, v0
	v_cmp_gt_u32_e64 s[0:1], s27, v10
	s_and_saveexec_b64 s[4:5], s[0:1]
	s_cbranch_execz .LBB117_13
; %bb.12:
	global_load_ubyte v4, v0, s[14:15] offset:256
	s_waitcnt vmcnt(0)
	v_cmp_ne_u16_e64 s[2:3], 0, v4
	v_cndmask_b32_e64 v4, 0, 1, s[2:3]
.LBB117_13:
	s_or_b64 exec, exec, s[4:5]
	v_or_b32_e32 v10, 0x180, v0
	v_cmp_gt_u32_e64 s[2:3], s27, v10
	s_and_saveexec_b64 s[8:9], s[2:3]
	;; [unrolled: 11-line block ×6, first 2 shown]
	s_cbranch_execz .LBB117_23
; %bb.22:
	global_load_ubyte v9, v0, s[14:15] offset:896
	s_waitcnt vmcnt(0)
	v_cmp_ne_u16_e64 s[14:15], 0, v9
	v_cndmask_b32_e64 v9, 0, 1, s[14:15]
.LBB117_23:
	s_or_b64 exec, exec, s[16:17]
	v_cndmask_b32_e32 v3, 0, v3, vcc
	v_add_u32_e32 v2, v3, v2
	v_cndmask_b32_e64 v3, 0, v4, s[0:1]
	v_cndmask_b32_e64 v4, 0, v5, s[2:3]
	v_add3_u32 v2, v2, v3, v4
	v_cndmask_b32_e64 v3, 0, v6, s[4:5]
	v_cndmask_b32_e64 v4, 0, v7, s[8:9]
	v_add3_u32 v2, v2, v3, v4
	v_cndmask_b32_e64 v3, 0, v8, s[10:11]
	v_cndmask_b32_e64 v4, 0, v9, s[12:13]
	v_mbcnt_hi_u32_b32 v1, -1, v1
	v_add3_u32 v2, v2, v3, v4
	v_and_b32_e32 v3, 63, v1
	v_cmp_ne_u32_e32 vcc, 63, v3
	v_addc_co_u32_e32 v4, vcc, 0, v1, vcc
	v_lshlrev_b32_e32 v4, 2, v4
	ds_bpermute_b32 v4, v4, v2
	s_min_u32 s2, s27, 0x80
	v_and_b32_e32 v5, 64, v0
	v_sub_u32_e64 v5, s2, v5 clamp
	v_add_u32_e32 v6, 1, v3
	v_cmp_lt_u32_e32 vcc, v6, v5
	s_waitcnt lgkmcnt(0)
	v_cndmask_b32_e32 v4, 0, v4, vcc
	v_cmp_gt_u32_e32 vcc, 62, v3
	v_add_u32_e32 v2, v2, v4
	v_cndmask_b32_e64 v4, 0, 1, vcc
	v_lshlrev_b32_e32 v4, 1, v4
	v_add_lshl_u32 v4, v4, v1, 2
	ds_bpermute_b32 v4, v4, v2
	v_add_u32_e32 v6, 2, v3
	v_cmp_lt_u32_e32 vcc, v6, v5
	v_add_u32_e32 v6, 4, v3
	s_waitcnt lgkmcnt(0)
	v_cndmask_b32_e32 v4, 0, v4, vcc
	v_cmp_gt_u32_e32 vcc, 60, v3
	v_add_u32_e32 v2, v2, v4
	v_cndmask_b32_e64 v4, 0, 1, vcc
	v_lshlrev_b32_e32 v4, 2, v4
	v_add_lshl_u32 v4, v4, v1, 2
	ds_bpermute_b32 v4, v4, v2
	v_cmp_lt_u32_e32 vcc, v6, v5
	v_add_u32_e32 v6, 8, v3
	s_waitcnt lgkmcnt(0)
	v_cndmask_b32_e32 v4, 0, v4, vcc
	v_cmp_gt_u32_e32 vcc, 56, v3
	v_add_u32_e32 v2, v2, v4
	v_cndmask_b32_e64 v4, 0, 1, vcc
	v_lshlrev_b32_e32 v4, 3, v4
	v_add_lshl_u32 v4, v4, v1, 2
	ds_bpermute_b32 v4, v4, v2
	;; [unrolled: 10-line block ×3, first 2 shown]
	v_cmp_lt_u32_e32 vcc, v6, v5
	s_waitcnt lgkmcnt(0)
	v_cndmask_b32_e32 v4, 0, v4, vcc
	v_cmp_gt_u32_e32 vcc, 32, v3
	v_add_u32_e32 v2, v2, v4
	v_cndmask_b32_e64 v4, 0, 1, vcc
	v_lshlrev_b32_e32 v4, 5, v4
	v_add_lshl_u32 v4, v4, v1, 2
	ds_bpermute_b32 v4, v4, v2
	v_add_u32_e32 v3, 32, v3
	v_cmp_lt_u32_e32 vcc, v3, v5
	s_waitcnt lgkmcnt(0)
	v_cndmask_b32_e32 v3, 0, v4, vcc
	v_add_u32_e32 v2, v2, v3
	v_cmp_eq_u32_e32 vcc, 0, v1
	s_and_saveexec_b64 s[0:1], vcc
	s_cbranch_execz .LBB117_25
; %bb.24:
	v_lshrrev_b32_e32 v3, 4, v0
	v_and_b32_e32 v3, 4, v3
	ds_write_b32 v3, v2 offset:8
.LBB117_25:
	s_or_b64 exec, exec, s[0:1]
	v_cmp_gt_u32_e32 vcc, 2, v0
	s_waitcnt lgkmcnt(0)
	s_barrier
	s_and_saveexec_b64 s[0:1], vcc
	s_cbranch_execz .LBB117_27
; %bb.26:
	v_lshlrev_b32_e32 v2, 2, v1
	ds_read_b32 v3, v2 offset:8
	v_or_b32_e32 v2, 4, v2
	s_add_i32 s2, s2, 63
	v_and_b32_e32 v1, 1, v1
	s_lshr_b32 s2, s2, 6
	s_waitcnt lgkmcnt(0)
	ds_bpermute_b32 v2, v2, v3
	v_add_u32_e32 v1, 1, v1
	v_cmp_gt_u32_e32 vcc, s2, v1
	s_waitcnt lgkmcnt(0)
	v_cndmask_b32_e32 v1, 0, v2, vcc
	v_add_u32_e32 v2, v1, v3
.LBB117_27:
	s_or_b64 exec, exec, s[0:1]
.LBB117_28:
	v_cmp_eq_u32_e32 vcc, 0, v0
	s_and_saveexec_b64 s[0:1], vcc
	s_cbranch_execnz .LBB117_30
; %bb.29:
	s_endpgm
.LBB117_30:
	s_mul_i32 s0, s24, s23
	s_mul_hi_u32 s1, s24, s22
	s_add_i32 s0, s1, s0
	s_mul_i32 s1, s25, s22
	s_add_i32 s1, s0, s1
	s_mul_i32 s0, s24, s22
	s_lshl_b64 s[0:1], s[0:1], 2
	s_add_u32 s2, s20, s0
	s_addc_u32 s3, s21, s1
	s_cmp_eq_u64 s[18:19], 0
	s_cselect_b64 vcc, -1, 0
	s_lshl_b64 s[0:1], s[6:7], 2
	s_waitcnt lgkmcnt(0)
	v_mov_b32_e32 v0, s26
	s_add_u32 s0, s2, s0
	v_cndmask_b32_e32 v0, v2, v0, vcc
	s_addc_u32 s1, s3, s1
	v_mov_b32_e32 v1, 0
	global_store_dword v1, v0, s[0:1]
	s_endpgm
	.section	.rodata,"a",@progbits
	.p2align	6, 0x0
	.amdhsa_kernel _ZN7rocprim17ROCPRIM_400000_NS6detail17trampoline_kernelINS0_14default_configENS1_22reduce_config_selectorIiEEZNS1_11reduce_implILb1ES3_N6hipcub16HIPCUB_304000_NS22TransformInputIteratorIiN2at6native8internal21MapNumberOfTrueValuesEPKhlEEPiiNS8_6detail34convert_binary_result_type_wrapperISt4plusIvESG_iEEEE10hipError_tPvRmT1_T2_T3_mT4_P12ihipStream_tbEUlT_E0_NS1_11comp_targetILNS1_3genE4ELNS1_11target_archE910ELNS1_3gpuE8ELNS1_3repE0EEENS1_30default_config_static_selectorELNS0_4arch9wavefront6targetE1EEEvSQ_
		.amdhsa_group_segment_fixed_size 16
		.amdhsa_private_segment_fixed_size 0
		.amdhsa_kernarg_size 64
		.amdhsa_user_sgpr_count 6
		.amdhsa_user_sgpr_private_segment_buffer 1
		.amdhsa_user_sgpr_dispatch_ptr 0
		.amdhsa_user_sgpr_queue_ptr 0
		.amdhsa_user_sgpr_kernarg_segment_ptr 1
		.amdhsa_user_sgpr_dispatch_id 0
		.amdhsa_user_sgpr_flat_scratch_init 0
		.amdhsa_user_sgpr_kernarg_preload_length 0
		.amdhsa_user_sgpr_kernarg_preload_offset 0
		.amdhsa_user_sgpr_private_segment_size 0
		.amdhsa_uses_dynamic_stack 0
		.amdhsa_system_sgpr_private_segment_wavefront_offset 0
		.amdhsa_system_sgpr_workgroup_id_x 1
		.amdhsa_system_sgpr_workgroup_id_y 0
		.amdhsa_system_sgpr_workgroup_id_z 0
		.amdhsa_system_sgpr_workgroup_info 0
		.amdhsa_system_vgpr_workitem_id 0
		.amdhsa_next_free_vgpr 12
		.amdhsa_next_free_sgpr 28
		.amdhsa_accum_offset 12
		.amdhsa_reserve_vcc 1
		.amdhsa_reserve_flat_scratch 0
		.amdhsa_float_round_mode_32 0
		.amdhsa_float_round_mode_16_64 0
		.amdhsa_float_denorm_mode_32 3
		.amdhsa_float_denorm_mode_16_64 3
		.amdhsa_dx10_clamp 1
		.amdhsa_ieee_mode 1
		.amdhsa_fp16_overflow 0
		.amdhsa_tg_split 0
		.amdhsa_exception_fp_ieee_invalid_op 0
		.amdhsa_exception_fp_denorm_src 0
		.amdhsa_exception_fp_ieee_div_zero 0
		.amdhsa_exception_fp_ieee_overflow 0
		.amdhsa_exception_fp_ieee_underflow 0
		.amdhsa_exception_fp_ieee_inexact 0
		.amdhsa_exception_int_div_zero 0
	.end_amdhsa_kernel
	.section	.text._ZN7rocprim17ROCPRIM_400000_NS6detail17trampoline_kernelINS0_14default_configENS1_22reduce_config_selectorIiEEZNS1_11reduce_implILb1ES3_N6hipcub16HIPCUB_304000_NS22TransformInputIteratorIiN2at6native8internal21MapNumberOfTrueValuesEPKhlEEPiiNS8_6detail34convert_binary_result_type_wrapperISt4plusIvESG_iEEEE10hipError_tPvRmT1_T2_T3_mT4_P12ihipStream_tbEUlT_E0_NS1_11comp_targetILNS1_3genE4ELNS1_11target_archE910ELNS1_3gpuE8ELNS1_3repE0EEENS1_30default_config_static_selectorELNS0_4arch9wavefront6targetE1EEEvSQ_,"axG",@progbits,_ZN7rocprim17ROCPRIM_400000_NS6detail17trampoline_kernelINS0_14default_configENS1_22reduce_config_selectorIiEEZNS1_11reduce_implILb1ES3_N6hipcub16HIPCUB_304000_NS22TransformInputIteratorIiN2at6native8internal21MapNumberOfTrueValuesEPKhlEEPiiNS8_6detail34convert_binary_result_type_wrapperISt4plusIvESG_iEEEE10hipError_tPvRmT1_T2_T3_mT4_P12ihipStream_tbEUlT_E0_NS1_11comp_targetILNS1_3genE4ELNS1_11target_archE910ELNS1_3gpuE8ELNS1_3repE0EEENS1_30default_config_static_selectorELNS0_4arch9wavefront6targetE1EEEvSQ_,comdat
.Lfunc_end117:
	.size	_ZN7rocprim17ROCPRIM_400000_NS6detail17trampoline_kernelINS0_14default_configENS1_22reduce_config_selectorIiEEZNS1_11reduce_implILb1ES3_N6hipcub16HIPCUB_304000_NS22TransformInputIteratorIiN2at6native8internal21MapNumberOfTrueValuesEPKhlEEPiiNS8_6detail34convert_binary_result_type_wrapperISt4plusIvESG_iEEEE10hipError_tPvRmT1_T2_T3_mT4_P12ihipStream_tbEUlT_E0_NS1_11comp_targetILNS1_3genE4ELNS1_11target_archE910ELNS1_3gpuE8ELNS1_3repE0EEENS1_30default_config_static_selectorELNS0_4arch9wavefront6targetE1EEEvSQ_, .Lfunc_end117-_ZN7rocprim17ROCPRIM_400000_NS6detail17trampoline_kernelINS0_14default_configENS1_22reduce_config_selectorIiEEZNS1_11reduce_implILb1ES3_N6hipcub16HIPCUB_304000_NS22TransformInputIteratorIiN2at6native8internal21MapNumberOfTrueValuesEPKhlEEPiiNS8_6detail34convert_binary_result_type_wrapperISt4plusIvESG_iEEEE10hipError_tPvRmT1_T2_T3_mT4_P12ihipStream_tbEUlT_E0_NS1_11comp_targetILNS1_3genE4ELNS1_11target_archE910ELNS1_3gpuE8ELNS1_3repE0EEENS1_30default_config_static_selectorELNS0_4arch9wavefront6targetE1EEEvSQ_
                                        ; -- End function
	.section	.AMDGPU.csdata,"",@progbits
; Kernel info:
; codeLenInByte = 1532
; NumSgprs: 32
; NumVgprs: 12
; NumAgprs: 0
; TotalNumVgprs: 12
; ScratchSize: 0
; MemoryBound: 0
; FloatMode: 240
; IeeeMode: 1
; LDSByteSize: 16 bytes/workgroup (compile time only)
; SGPRBlocks: 3
; VGPRBlocks: 1
; NumSGPRsForWavesPerEU: 32
; NumVGPRsForWavesPerEU: 12
; AccumOffset: 12
; Occupancy: 8
; WaveLimiterHint : 1
; COMPUTE_PGM_RSRC2:SCRATCH_EN: 0
; COMPUTE_PGM_RSRC2:USER_SGPR: 6
; COMPUTE_PGM_RSRC2:TRAP_HANDLER: 0
; COMPUTE_PGM_RSRC2:TGID_X_EN: 1
; COMPUTE_PGM_RSRC2:TGID_Y_EN: 0
; COMPUTE_PGM_RSRC2:TGID_Z_EN: 0
; COMPUTE_PGM_RSRC2:TIDIG_COMP_CNT: 0
; COMPUTE_PGM_RSRC3_GFX90A:ACCUM_OFFSET: 2
; COMPUTE_PGM_RSRC3_GFX90A:TG_SPLIT: 0
	.section	.text._ZN7rocprim17ROCPRIM_400000_NS6detail17trampoline_kernelINS0_14default_configENS1_22reduce_config_selectorIiEEZNS1_11reduce_implILb1ES3_N6hipcub16HIPCUB_304000_NS22TransformInputIteratorIiN2at6native8internal21MapNumberOfTrueValuesEPKhlEEPiiNS8_6detail34convert_binary_result_type_wrapperISt4plusIvESG_iEEEE10hipError_tPvRmT1_T2_T3_mT4_P12ihipStream_tbEUlT_E0_NS1_11comp_targetILNS1_3genE3ELNS1_11target_archE908ELNS1_3gpuE7ELNS1_3repE0EEENS1_30default_config_static_selectorELNS0_4arch9wavefront6targetE1EEEvSQ_,"axG",@progbits,_ZN7rocprim17ROCPRIM_400000_NS6detail17trampoline_kernelINS0_14default_configENS1_22reduce_config_selectorIiEEZNS1_11reduce_implILb1ES3_N6hipcub16HIPCUB_304000_NS22TransformInputIteratorIiN2at6native8internal21MapNumberOfTrueValuesEPKhlEEPiiNS8_6detail34convert_binary_result_type_wrapperISt4plusIvESG_iEEEE10hipError_tPvRmT1_T2_T3_mT4_P12ihipStream_tbEUlT_E0_NS1_11comp_targetILNS1_3genE3ELNS1_11target_archE908ELNS1_3gpuE7ELNS1_3repE0EEENS1_30default_config_static_selectorELNS0_4arch9wavefront6targetE1EEEvSQ_,comdat
	.protected	_ZN7rocprim17ROCPRIM_400000_NS6detail17trampoline_kernelINS0_14default_configENS1_22reduce_config_selectorIiEEZNS1_11reduce_implILb1ES3_N6hipcub16HIPCUB_304000_NS22TransformInputIteratorIiN2at6native8internal21MapNumberOfTrueValuesEPKhlEEPiiNS8_6detail34convert_binary_result_type_wrapperISt4plusIvESG_iEEEE10hipError_tPvRmT1_T2_T3_mT4_P12ihipStream_tbEUlT_E0_NS1_11comp_targetILNS1_3genE3ELNS1_11target_archE908ELNS1_3gpuE7ELNS1_3repE0EEENS1_30default_config_static_selectorELNS0_4arch9wavefront6targetE1EEEvSQ_ ; -- Begin function _ZN7rocprim17ROCPRIM_400000_NS6detail17trampoline_kernelINS0_14default_configENS1_22reduce_config_selectorIiEEZNS1_11reduce_implILb1ES3_N6hipcub16HIPCUB_304000_NS22TransformInputIteratorIiN2at6native8internal21MapNumberOfTrueValuesEPKhlEEPiiNS8_6detail34convert_binary_result_type_wrapperISt4plusIvESG_iEEEE10hipError_tPvRmT1_T2_T3_mT4_P12ihipStream_tbEUlT_E0_NS1_11comp_targetILNS1_3genE3ELNS1_11target_archE908ELNS1_3gpuE7ELNS1_3repE0EEENS1_30default_config_static_selectorELNS0_4arch9wavefront6targetE1EEEvSQ_
	.globl	_ZN7rocprim17ROCPRIM_400000_NS6detail17trampoline_kernelINS0_14default_configENS1_22reduce_config_selectorIiEEZNS1_11reduce_implILb1ES3_N6hipcub16HIPCUB_304000_NS22TransformInputIteratorIiN2at6native8internal21MapNumberOfTrueValuesEPKhlEEPiiNS8_6detail34convert_binary_result_type_wrapperISt4plusIvESG_iEEEE10hipError_tPvRmT1_T2_T3_mT4_P12ihipStream_tbEUlT_E0_NS1_11comp_targetILNS1_3genE3ELNS1_11target_archE908ELNS1_3gpuE7ELNS1_3repE0EEENS1_30default_config_static_selectorELNS0_4arch9wavefront6targetE1EEEvSQ_
	.p2align	8
	.type	_ZN7rocprim17ROCPRIM_400000_NS6detail17trampoline_kernelINS0_14default_configENS1_22reduce_config_selectorIiEEZNS1_11reduce_implILb1ES3_N6hipcub16HIPCUB_304000_NS22TransformInputIteratorIiN2at6native8internal21MapNumberOfTrueValuesEPKhlEEPiiNS8_6detail34convert_binary_result_type_wrapperISt4plusIvESG_iEEEE10hipError_tPvRmT1_T2_T3_mT4_P12ihipStream_tbEUlT_E0_NS1_11comp_targetILNS1_3genE3ELNS1_11target_archE908ELNS1_3gpuE7ELNS1_3repE0EEENS1_30default_config_static_selectorELNS0_4arch9wavefront6targetE1EEEvSQ_,@function
_ZN7rocprim17ROCPRIM_400000_NS6detail17trampoline_kernelINS0_14default_configENS1_22reduce_config_selectorIiEEZNS1_11reduce_implILb1ES3_N6hipcub16HIPCUB_304000_NS22TransformInputIteratorIiN2at6native8internal21MapNumberOfTrueValuesEPKhlEEPiiNS8_6detail34convert_binary_result_type_wrapperISt4plusIvESG_iEEEE10hipError_tPvRmT1_T2_T3_mT4_P12ihipStream_tbEUlT_E0_NS1_11comp_targetILNS1_3genE3ELNS1_11target_archE908ELNS1_3gpuE7ELNS1_3repE0EEENS1_30default_config_static_selectorELNS0_4arch9wavefront6targetE1EEEvSQ_: ; @_ZN7rocprim17ROCPRIM_400000_NS6detail17trampoline_kernelINS0_14default_configENS1_22reduce_config_selectorIiEEZNS1_11reduce_implILb1ES3_N6hipcub16HIPCUB_304000_NS22TransformInputIteratorIiN2at6native8internal21MapNumberOfTrueValuesEPKhlEEPiiNS8_6detail34convert_binary_result_type_wrapperISt4plusIvESG_iEEEE10hipError_tPvRmT1_T2_T3_mT4_P12ihipStream_tbEUlT_E0_NS1_11comp_targetILNS1_3genE3ELNS1_11target_archE908ELNS1_3gpuE7ELNS1_3repE0EEENS1_30default_config_static_selectorELNS0_4arch9wavefront6targetE1EEEvSQ_
; %bb.0:
	.section	.rodata,"a",@progbits
	.p2align	6, 0x0
	.amdhsa_kernel _ZN7rocprim17ROCPRIM_400000_NS6detail17trampoline_kernelINS0_14default_configENS1_22reduce_config_selectorIiEEZNS1_11reduce_implILb1ES3_N6hipcub16HIPCUB_304000_NS22TransformInputIteratorIiN2at6native8internal21MapNumberOfTrueValuesEPKhlEEPiiNS8_6detail34convert_binary_result_type_wrapperISt4plusIvESG_iEEEE10hipError_tPvRmT1_T2_T3_mT4_P12ihipStream_tbEUlT_E0_NS1_11comp_targetILNS1_3genE3ELNS1_11target_archE908ELNS1_3gpuE7ELNS1_3repE0EEENS1_30default_config_static_selectorELNS0_4arch9wavefront6targetE1EEEvSQ_
		.amdhsa_group_segment_fixed_size 0
		.amdhsa_private_segment_fixed_size 0
		.amdhsa_kernarg_size 64
		.amdhsa_user_sgpr_count 6
		.amdhsa_user_sgpr_private_segment_buffer 1
		.amdhsa_user_sgpr_dispatch_ptr 0
		.amdhsa_user_sgpr_queue_ptr 0
		.amdhsa_user_sgpr_kernarg_segment_ptr 1
		.amdhsa_user_sgpr_dispatch_id 0
		.amdhsa_user_sgpr_flat_scratch_init 0
		.amdhsa_user_sgpr_kernarg_preload_length 0
		.amdhsa_user_sgpr_kernarg_preload_offset 0
		.amdhsa_user_sgpr_private_segment_size 0
		.amdhsa_uses_dynamic_stack 0
		.amdhsa_system_sgpr_private_segment_wavefront_offset 0
		.amdhsa_system_sgpr_workgroup_id_x 1
		.amdhsa_system_sgpr_workgroup_id_y 0
		.amdhsa_system_sgpr_workgroup_id_z 0
		.amdhsa_system_sgpr_workgroup_info 0
		.amdhsa_system_vgpr_workitem_id 0
		.amdhsa_next_free_vgpr 1
		.amdhsa_next_free_sgpr 0
		.amdhsa_accum_offset 4
		.amdhsa_reserve_vcc 0
		.amdhsa_reserve_flat_scratch 0
		.amdhsa_float_round_mode_32 0
		.amdhsa_float_round_mode_16_64 0
		.amdhsa_float_denorm_mode_32 3
		.amdhsa_float_denorm_mode_16_64 3
		.amdhsa_dx10_clamp 1
		.amdhsa_ieee_mode 1
		.amdhsa_fp16_overflow 0
		.amdhsa_tg_split 0
		.amdhsa_exception_fp_ieee_invalid_op 0
		.amdhsa_exception_fp_denorm_src 0
		.amdhsa_exception_fp_ieee_div_zero 0
		.amdhsa_exception_fp_ieee_overflow 0
		.amdhsa_exception_fp_ieee_underflow 0
		.amdhsa_exception_fp_ieee_inexact 0
		.amdhsa_exception_int_div_zero 0
	.end_amdhsa_kernel
	.section	.text._ZN7rocprim17ROCPRIM_400000_NS6detail17trampoline_kernelINS0_14default_configENS1_22reduce_config_selectorIiEEZNS1_11reduce_implILb1ES3_N6hipcub16HIPCUB_304000_NS22TransformInputIteratorIiN2at6native8internal21MapNumberOfTrueValuesEPKhlEEPiiNS8_6detail34convert_binary_result_type_wrapperISt4plusIvESG_iEEEE10hipError_tPvRmT1_T2_T3_mT4_P12ihipStream_tbEUlT_E0_NS1_11comp_targetILNS1_3genE3ELNS1_11target_archE908ELNS1_3gpuE7ELNS1_3repE0EEENS1_30default_config_static_selectorELNS0_4arch9wavefront6targetE1EEEvSQ_,"axG",@progbits,_ZN7rocprim17ROCPRIM_400000_NS6detail17trampoline_kernelINS0_14default_configENS1_22reduce_config_selectorIiEEZNS1_11reduce_implILb1ES3_N6hipcub16HIPCUB_304000_NS22TransformInputIteratorIiN2at6native8internal21MapNumberOfTrueValuesEPKhlEEPiiNS8_6detail34convert_binary_result_type_wrapperISt4plusIvESG_iEEEE10hipError_tPvRmT1_T2_T3_mT4_P12ihipStream_tbEUlT_E0_NS1_11comp_targetILNS1_3genE3ELNS1_11target_archE908ELNS1_3gpuE7ELNS1_3repE0EEENS1_30default_config_static_selectorELNS0_4arch9wavefront6targetE1EEEvSQ_,comdat
.Lfunc_end118:
	.size	_ZN7rocprim17ROCPRIM_400000_NS6detail17trampoline_kernelINS0_14default_configENS1_22reduce_config_selectorIiEEZNS1_11reduce_implILb1ES3_N6hipcub16HIPCUB_304000_NS22TransformInputIteratorIiN2at6native8internal21MapNumberOfTrueValuesEPKhlEEPiiNS8_6detail34convert_binary_result_type_wrapperISt4plusIvESG_iEEEE10hipError_tPvRmT1_T2_T3_mT4_P12ihipStream_tbEUlT_E0_NS1_11comp_targetILNS1_3genE3ELNS1_11target_archE908ELNS1_3gpuE7ELNS1_3repE0EEENS1_30default_config_static_selectorELNS0_4arch9wavefront6targetE1EEEvSQ_, .Lfunc_end118-_ZN7rocprim17ROCPRIM_400000_NS6detail17trampoline_kernelINS0_14default_configENS1_22reduce_config_selectorIiEEZNS1_11reduce_implILb1ES3_N6hipcub16HIPCUB_304000_NS22TransformInputIteratorIiN2at6native8internal21MapNumberOfTrueValuesEPKhlEEPiiNS8_6detail34convert_binary_result_type_wrapperISt4plusIvESG_iEEEE10hipError_tPvRmT1_T2_T3_mT4_P12ihipStream_tbEUlT_E0_NS1_11comp_targetILNS1_3genE3ELNS1_11target_archE908ELNS1_3gpuE7ELNS1_3repE0EEENS1_30default_config_static_selectorELNS0_4arch9wavefront6targetE1EEEvSQ_
                                        ; -- End function
	.section	.AMDGPU.csdata,"",@progbits
; Kernel info:
; codeLenInByte = 0
; NumSgprs: 4
; NumVgprs: 0
; NumAgprs: 0
; TotalNumVgprs: 0
; ScratchSize: 0
; MemoryBound: 0
; FloatMode: 240
; IeeeMode: 1
; LDSByteSize: 0 bytes/workgroup (compile time only)
; SGPRBlocks: 0
; VGPRBlocks: 0
; NumSGPRsForWavesPerEU: 4
; NumVGPRsForWavesPerEU: 1
; AccumOffset: 4
; Occupancy: 8
; WaveLimiterHint : 0
; COMPUTE_PGM_RSRC2:SCRATCH_EN: 0
; COMPUTE_PGM_RSRC2:USER_SGPR: 6
; COMPUTE_PGM_RSRC2:TRAP_HANDLER: 0
; COMPUTE_PGM_RSRC2:TGID_X_EN: 1
; COMPUTE_PGM_RSRC2:TGID_Y_EN: 0
; COMPUTE_PGM_RSRC2:TGID_Z_EN: 0
; COMPUTE_PGM_RSRC2:TIDIG_COMP_CNT: 0
; COMPUTE_PGM_RSRC3_GFX90A:ACCUM_OFFSET: 0
; COMPUTE_PGM_RSRC3_GFX90A:TG_SPLIT: 0
	.section	.text._ZN7rocprim17ROCPRIM_400000_NS6detail17trampoline_kernelINS0_14default_configENS1_22reduce_config_selectorIiEEZNS1_11reduce_implILb1ES3_N6hipcub16HIPCUB_304000_NS22TransformInputIteratorIiN2at6native8internal21MapNumberOfTrueValuesEPKhlEEPiiNS8_6detail34convert_binary_result_type_wrapperISt4plusIvESG_iEEEE10hipError_tPvRmT1_T2_T3_mT4_P12ihipStream_tbEUlT_E0_NS1_11comp_targetILNS1_3genE2ELNS1_11target_archE906ELNS1_3gpuE6ELNS1_3repE0EEENS1_30default_config_static_selectorELNS0_4arch9wavefront6targetE1EEEvSQ_,"axG",@progbits,_ZN7rocprim17ROCPRIM_400000_NS6detail17trampoline_kernelINS0_14default_configENS1_22reduce_config_selectorIiEEZNS1_11reduce_implILb1ES3_N6hipcub16HIPCUB_304000_NS22TransformInputIteratorIiN2at6native8internal21MapNumberOfTrueValuesEPKhlEEPiiNS8_6detail34convert_binary_result_type_wrapperISt4plusIvESG_iEEEE10hipError_tPvRmT1_T2_T3_mT4_P12ihipStream_tbEUlT_E0_NS1_11comp_targetILNS1_3genE2ELNS1_11target_archE906ELNS1_3gpuE6ELNS1_3repE0EEENS1_30default_config_static_selectorELNS0_4arch9wavefront6targetE1EEEvSQ_,comdat
	.protected	_ZN7rocprim17ROCPRIM_400000_NS6detail17trampoline_kernelINS0_14default_configENS1_22reduce_config_selectorIiEEZNS1_11reduce_implILb1ES3_N6hipcub16HIPCUB_304000_NS22TransformInputIteratorIiN2at6native8internal21MapNumberOfTrueValuesEPKhlEEPiiNS8_6detail34convert_binary_result_type_wrapperISt4plusIvESG_iEEEE10hipError_tPvRmT1_T2_T3_mT4_P12ihipStream_tbEUlT_E0_NS1_11comp_targetILNS1_3genE2ELNS1_11target_archE906ELNS1_3gpuE6ELNS1_3repE0EEENS1_30default_config_static_selectorELNS0_4arch9wavefront6targetE1EEEvSQ_ ; -- Begin function _ZN7rocprim17ROCPRIM_400000_NS6detail17trampoline_kernelINS0_14default_configENS1_22reduce_config_selectorIiEEZNS1_11reduce_implILb1ES3_N6hipcub16HIPCUB_304000_NS22TransformInputIteratorIiN2at6native8internal21MapNumberOfTrueValuesEPKhlEEPiiNS8_6detail34convert_binary_result_type_wrapperISt4plusIvESG_iEEEE10hipError_tPvRmT1_T2_T3_mT4_P12ihipStream_tbEUlT_E0_NS1_11comp_targetILNS1_3genE2ELNS1_11target_archE906ELNS1_3gpuE6ELNS1_3repE0EEENS1_30default_config_static_selectorELNS0_4arch9wavefront6targetE1EEEvSQ_
	.globl	_ZN7rocprim17ROCPRIM_400000_NS6detail17trampoline_kernelINS0_14default_configENS1_22reduce_config_selectorIiEEZNS1_11reduce_implILb1ES3_N6hipcub16HIPCUB_304000_NS22TransformInputIteratorIiN2at6native8internal21MapNumberOfTrueValuesEPKhlEEPiiNS8_6detail34convert_binary_result_type_wrapperISt4plusIvESG_iEEEE10hipError_tPvRmT1_T2_T3_mT4_P12ihipStream_tbEUlT_E0_NS1_11comp_targetILNS1_3genE2ELNS1_11target_archE906ELNS1_3gpuE6ELNS1_3repE0EEENS1_30default_config_static_selectorELNS0_4arch9wavefront6targetE1EEEvSQ_
	.p2align	8
	.type	_ZN7rocprim17ROCPRIM_400000_NS6detail17trampoline_kernelINS0_14default_configENS1_22reduce_config_selectorIiEEZNS1_11reduce_implILb1ES3_N6hipcub16HIPCUB_304000_NS22TransformInputIteratorIiN2at6native8internal21MapNumberOfTrueValuesEPKhlEEPiiNS8_6detail34convert_binary_result_type_wrapperISt4plusIvESG_iEEEE10hipError_tPvRmT1_T2_T3_mT4_P12ihipStream_tbEUlT_E0_NS1_11comp_targetILNS1_3genE2ELNS1_11target_archE906ELNS1_3gpuE6ELNS1_3repE0EEENS1_30default_config_static_selectorELNS0_4arch9wavefront6targetE1EEEvSQ_,@function
_ZN7rocprim17ROCPRIM_400000_NS6detail17trampoline_kernelINS0_14default_configENS1_22reduce_config_selectorIiEEZNS1_11reduce_implILb1ES3_N6hipcub16HIPCUB_304000_NS22TransformInputIteratorIiN2at6native8internal21MapNumberOfTrueValuesEPKhlEEPiiNS8_6detail34convert_binary_result_type_wrapperISt4plusIvESG_iEEEE10hipError_tPvRmT1_T2_T3_mT4_P12ihipStream_tbEUlT_E0_NS1_11comp_targetILNS1_3genE2ELNS1_11target_archE906ELNS1_3gpuE6ELNS1_3repE0EEENS1_30default_config_static_selectorELNS0_4arch9wavefront6targetE1EEEvSQ_: ; @_ZN7rocprim17ROCPRIM_400000_NS6detail17trampoline_kernelINS0_14default_configENS1_22reduce_config_selectorIiEEZNS1_11reduce_implILb1ES3_N6hipcub16HIPCUB_304000_NS22TransformInputIteratorIiN2at6native8internal21MapNumberOfTrueValuesEPKhlEEPiiNS8_6detail34convert_binary_result_type_wrapperISt4plusIvESG_iEEEE10hipError_tPvRmT1_T2_T3_mT4_P12ihipStream_tbEUlT_E0_NS1_11comp_targetILNS1_3genE2ELNS1_11target_archE906ELNS1_3gpuE6ELNS1_3repE0EEENS1_30default_config_static_selectorELNS0_4arch9wavefront6targetE1EEEvSQ_
; %bb.0:
	.section	.rodata,"a",@progbits
	.p2align	6, 0x0
	.amdhsa_kernel _ZN7rocprim17ROCPRIM_400000_NS6detail17trampoline_kernelINS0_14default_configENS1_22reduce_config_selectorIiEEZNS1_11reduce_implILb1ES3_N6hipcub16HIPCUB_304000_NS22TransformInputIteratorIiN2at6native8internal21MapNumberOfTrueValuesEPKhlEEPiiNS8_6detail34convert_binary_result_type_wrapperISt4plusIvESG_iEEEE10hipError_tPvRmT1_T2_T3_mT4_P12ihipStream_tbEUlT_E0_NS1_11comp_targetILNS1_3genE2ELNS1_11target_archE906ELNS1_3gpuE6ELNS1_3repE0EEENS1_30default_config_static_selectorELNS0_4arch9wavefront6targetE1EEEvSQ_
		.amdhsa_group_segment_fixed_size 0
		.amdhsa_private_segment_fixed_size 0
		.amdhsa_kernarg_size 64
		.amdhsa_user_sgpr_count 6
		.amdhsa_user_sgpr_private_segment_buffer 1
		.amdhsa_user_sgpr_dispatch_ptr 0
		.amdhsa_user_sgpr_queue_ptr 0
		.amdhsa_user_sgpr_kernarg_segment_ptr 1
		.amdhsa_user_sgpr_dispatch_id 0
		.amdhsa_user_sgpr_flat_scratch_init 0
		.amdhsa_user_sgpr_kernarg_preload_length 0
		.amdhsa_user_sgpr_kernarg_preload_offset 0
		.amdhsa_user_sgpr_private_segment_size 0
		.amdhsa_uses_dynamic_stack 0
		.amdhsa_system_sgpr_private_segment_wavefront_offset 0
		.amdhsa_system_sgpr_workgroup_id_x 1
		.amdhsa_system_sgpr_workgroup_id_y 0
		.amdhsa_system_sgpr_workgroup_id_z 0
		.amdhsa_system_sgpr_workgroup_info 0
		.amdhsa_system_vgpr_workitem_id 0
		.amdhsa_next_free_vgpr 1
		.amdhsa_next_free_sgpr 0
		.amdhsa_accum_offset 4
		.amdhsa_reserve_vcc 0
		.amdhsa_reserve_flat_scratch 0
		.amdhsa_float_round_mode_32 0
		.amdhsa_float_round_mode_16_64 0
		.amdhsa_float_denorm_mode_32 3
		.amdhsa_float_denorm_mode_16_64 3
		.amdhsa_dx10_clamp 1
		.amdhsa_ieee_mode 1
		.amdhsa_fp16_overflow 0
		.amdhsa_tg_split 0
		.amdhsa_exception_fp_ieee_invalid_op 0
		.amdhsa_exception_fp_denorm_src 0
		.amdhsa_exception_fp_ieee_div_zero 0
		.amdhsa_exception_fp_ieee_overflow 0
		.amdhsa_exception_fp_ieee_underflow 0
		.amdhsa_exception_fp_ieee_inexact 0
		.amdhsa_exception_int_div_zero 0
	.end_amdhsa_kernel
	.section	.text._ZN7rocprim17ROCPRIM_400000_NS6detail17trampoline_kernelINS0_14default_configENS1_22reduce_config_selectorIiEEZNS1_11reduce_implILb1ES3_N6hipcub16HIPCUB_304000_NS22TransformInputIteratorIiN2at6native8internal21MapNumberOfTrueValuesEPKhlEEPiiNS8_6detail34convert_binary_result_type_wrapperISt4plusIvESG_iEEEE10hipError_tPvRmT1_T2_T3_mT4_P12ihipStream_tbEUlT_E0_NS1_11comp_targetILNS1_3genE2ELNS1_11target_archE906ELNS1_3gpuE6ELNS1_3repE0EEENS1_30default_config_static_selectorELNS0_4arch9wavefront6targetE1EEEvSQ_,"axG",@progbits,_ZN7rocprim17ROCPRIM_400000_NS6detail17trampoline_kernelINS0_14default_configENS1_22reduce_config_selectorIiEEZNS1_11reduce_implILb1ES3_N6hipcub16HIPCUB_304000_NS22TransformInputIteratorIiN2at6native8internal21MapNumberOfTrueValuesEPKhlEEPiiNS8_6detail34convert_binary_result_type_wrapperISt4plusIvESG_iEEEE10hipError_tPvRmT1_T2_T3_mT4_P12ihipStream_tbEUlT_E0_NS1_11comp_targetILNS1_3genE2ELNS1_11target_archE906ELNS1_3gpuE6ELNS1_3repE0EEENS1_30default_config_static_selectorELNS0_4arch9wavefront6targetE1EEEvSQ_,comdat
.Lfunc_end119:
	.size	_ZN7rocprim17ROCPRIM_400000_NS6detail17trampoline_kernelINS0_14default_configENS1_22reduce_config_selectorIiEEZNS1_11reduce_implILb1ES3_N6hipcub16HIPCUB_304000_NS22TransformInputIteratorIiN2at6native8internal21MapNumberOfTrueValuesEPKhlEEPiiNS8_6detail34convert_binary_result_type_wrapperISt4plusIvESG_iEEEE10hipError_tPvRmT1_T2_T3_mT4_P12ihipStream_tbEUlT_E0_NS1_11comp_targetILNS1_3genE2ELNS1_11target_archE906ELNS1_3gpuE6ELNS1_3repE0EEENS1_30default_config_static_selectorELNS0_4arch9wavefront6targetE1EEEvSQ_, .Lfunc_end119-_ZN7rocprim17ROCPRIM_400000_NS6detail17trampoline_kernelINS0_14default_configENS1_22reduce_config_selectorIiEEZNS1_11reduce_implILb1ES3_N6hipcub16HIPCUB_304000_NS22TransformInputIteratorIiN2at6native8internal21MapNumberOfTrueValuesEPKhlEEPiiNS8_6detail34convert_binary_result_type_wrapperISt4plusIvESG_iEEEE10hipError_tPvRmT1_T2_T3_mT4_P12ihipStream_tbEUlT_E0_NS1_11comp_targetILNS1_3genE2ELNS1_11target_archE906ELNS1_3gpuE6ELNS1_3repE0EEENS1_30default_config_static_selectorELNS0_4arch9wavefront6targetE1EEEvSQ_
                                        ; -- End function
	.section	.AMDGPU.csdata,"",@progbits
; Kernel info:
; codeLenInByte = 0
; NumSgprs: 4
; NumVgprs: 0
; NumAgprs: 0
; TotalNumVgprs: 0
; ScratchSize: 0
; MemoryBound: 0
; FloatMode: 240
; IeeeMode: 1
; LDSByteSize: 0 bytes/workgroup (compile time only)
; SGPRBlocks: 0
; VGPRBlocks: 0
; NumSGPRsForWavesPerEU: 4
; NumVGPRsForWavesPerEU: 1
; AccumOffset: 4
; Occupancy: 8
; WaveLimiterHint : 0
; COMPUTE_PGM_RSRC2:SCRATCH_EN: 0
; COMPUTE_PGM_RSRC2:USER_SGPR: 6
; COMPUTE_PGM_RSRC2:TRAP_HANDLER: 0
; COMPUTE_PGM_RSRC2:TGID_X_EN: 1
; COMPUTE_PGM_RSRC2:TGID_Y_EN: 0
; COMPUTE_PGM_RSRC2:TGID_Z_EN: 0
; COMPUTE_PGM_RSRC2:TIDIG_COMP_CNT: 0
; COMPUTE_PGM_RSRC3_GFX90A:ACCUM_OFFSET: 0
; COMPUTE_PGM_RSRC3_GFX90A:TG_SPLIT: 0
	.section	.text._ZN7rocprim17ROCPRIM_400000_NS6detail17trampoline_kernelINS0_14default_configENS1_22reduce_config_selectorIiEEZNS1_11reduce_implILb1ES3_N6hipcub16HIPCUB_304000_NS22TransformInputIteratorIiN2at6native8internal21MapNumberOfTrueValuesEPKhlEEPiiNS8_6detail34convert_binary_result_type_wrapperISt4plusIvESG_iEEEE10hipError_tPvRmT1_T2_T3_mT4_P12ihipStream_tbEUlT_E0_NS1_11comp_targetILNS1_3genE10ELNS1_11target_archE1201ELNS1_3gpuE5ELNS1_3repE0EEENS1_30default_config_static_selectorELNS0_4arch9wavefront6targetE1EEEvSQ_,"axG",@progbits,_ZN7rocprim17ROCPRIM_400000_NS6detail17trampoline_kernelINS0_14default_configENS1_22reduce_config_selectorIiEEZNS1_11reduce_implILb1ES3_N6hipcub16HIPCUB_304000_NS22TransformInputIteratorIiN2at6native8internal21MapNumberOfTrueValuesEPKhlEEPiiNS8_6detail34convert_binary_result_type_wrapperISt4plusIvESG_iEEEE10hipError_tPvRmT1_T2_T3_mT4_P12ihipStream_tbEUlT_E0_NS1_11comp_targetILNS1_3genE10ELNS1_11target_archE1201ELNS1_3gpuE5ELNS1_3repE0EEENS1_30default_config_static_selectorELNS0_4arch9wavefront6targetE1EEEvSQ_,comdat
	.protected	_ZN7rocprim17ROCPRIM_400000_NS6detail17trampoline_kernelINS0_14default_configENS1_22reduce_config_selectorIiEEZNS1_11reduce_implILb1ES3_N6hipcub16HIPCUB_304000_NS22TransformInputIteratorIiN2at6native8internal21MapNumberOfTrueValuesEPKhlEEPiiNS8_6detail34convert_binary_result_type_wrapperISt4plusIvESG_iEEEE10hipError_tPvRmT1_T2_T3_mT4_P12ihipStream_tbEUlT_E0_NS1_11comp_targetILNS1_3genE10ELNS1_11target_archE1201ELNS1_3gpuE5ELNS1_3repE0EEENS1_30default_config_static_selectorELNS0_4arch9wavefront6targetE1EEEvSQ_ ; -- Begin function _ZN7rocprim17ROCPRIM_400000_NS6detail17trampoline_kernelINS0_14default_configENS1_22reduce_config_selectorIiEEZNS1_11reduce_implILb1ES3_N6hipcub16HIPCUB_304000_NS22TransformInputIteratorIiN2at6native8internal21MapNumberOfTrueValuesEPKhlEEPiiNS8_6detail34convert_binary_result_type_wrapperISt4plusIvESG_iEEEE10hipError_tPvRmT1_T2_T3_mT4_P12ihipStream_tbEUlT_E0_NS1_11comp_targetILNS1_3genE10ELNS1_11target_archE1201ELNS1_3gpuE5ELNS1_3repE0EEENS1_30default_config_static_selectorELNS0_4arch9wavefront6targetE1EEEvSQ_
	.globl	_ZN7rocprim17ROCPRIM_400000_NS6detail17trampoline_kernelINS0_14default_configENS1_22reduce_config_selectorIiEEZNS1_11reduce_implILb1ES3_N6hipcub16HIPCUB_304000_NS22TransformInputIteratorIiN2at6native8internal21MapNumberOfTrueValuesEPKhlEEPiiNS8_6detail34convert_binary_result_type_wrapperISt4plusIvESG_iEEEE10hipError_tPvRmT1_T2_T3_mT4_P12ihipStream_tbEUlT_E0_NS1_11comp_targetILNS1_3genE10ELNS1_11target_archE1201ELNS1_3gpuE5ELNS1_3repE0EEENS1_30default_config_static_selectorELNS0_4arch9wavefront6targetE1EEEvSQ_
	.p2align	8
	.type	_ZN7rocprim17ROCPRIM_400000_NS6detail17trampoline_kernelINS0_14default_configENS1_22reduce_config_selectorIiEEZNS1_11reduce_implILb1ES3_N6hipcub16HIPCUB_304000_NS22TransformInputIteratorIiN2at6native8internal21MapNumberOfTrueValuesEPKhlEEPiiNS8_6detail34convert_binary_result_type_wrapperISt4plusIvESG_iEEEE10hipError_tPvRmT1_T2_T3_mT4_P12ihipStream_tbEUlT_E0_NS1_11comp_targetILNS1_3genE10ELNS1_11target_archE1201ELNS1_3gpuE5ELNS1_3repE0EEENS1_30default_config_static_selectorELNS0_4arch9wavefront6targetE1EEEvSQ_,@function
_ZN7rocprim17ROCPRIM_400000_NS6detail17trampoline_kernelINS0_14default_configENS1_22reduce_config_selectorIiEEZNS1_11reduce_implILb1ES3_N6hipcub16HIPCUB_304000_NS22TransformInputIteratorIiN2at6native8internal21MapNumberOfTrueValuesEPKhlEEPiiNS8_6detail34convert_binary_result_type_wrapperISt4plusIvESG_iEEEE10hipError_tPvRmT1_T2_T3_mT4_P12ihipStream_tbEUlT_E0_NS1_11comp_targetILNS1_3genE10ELNS1_11target_archE1201ELNS1_3gpuE5ELNS1_3repE0EEENS1_30default_config_static_selectorELNS0_4arch9wavefront6targetE1EEEvSQ_: ; @_ZN7rocprim17ROCPRIM_400000_NS6detail17trampoline_kernelINS0_14default_configENS1_22reduce_config_selectorIiEEZNS1_11reduce_implILb1ES3_N6hipcub16HIPCUB_304000_NS22TransformInputIteratorIiN2at6native8internal21MapNumberOfTrueValuesEPKhlEEPiiNS8_6detail34convert_binary_result_type_wrapperISt4plusIvESG_iEEEE10hipError_tPvRmT1_T2_T3_mT4_P12ihipStream_tbEUlT_E0_NS1_11comp_targetILNS1_3genE10ELNS1_11target_archE1201ELNS1_3gpuE5ELNS1_3repE0EEENS1_30default_config_static_selectorELNS0_4arch9wavefront6targetE1EEEvSQ_
; %bb.0:
	.section	.rodata,"a",@progbits
	.p2align	6, 0x0
	.amdhsa_kernel _ZN7rocprim17ROCPRIM_400000_NS6detail17trampoline_kernelINS0_14default_configENS1_22reduce_config_selectorIiEEZNS1_11reduce_implILb1ES3_N6hipcub16HIPCUB_304000_NS22TransformInputIteratorIiN2at6native8internal21MapNumberOfTrueValuesEPKhlEEPiiNS8_6detail34convert_binary_result_type_wrapperISt4plusIvESG_iEEEE10hipError_tPvRmT1_T2_T3_mT4_P12ihipStream_tbEUlT_E0_NS1_11comp_targetILNS1_3genE10ELNS1_11target_archE1201ELNS1_3gpuE5ELNS1_3repE0EEENS1_30default_config_static_selectorELNS0_4arch9wavefront6targetE1EEEvSQ_
		.amdhsa_group_segment_fixed_size 0
		.amdhsa_private_segment_fixed_size 0
		.amdhsa_kernarg_size 64
		.amdhsa_user_sgpr_count 6
		.amdhsa_user_sgpr_private_segment_buffer 1
		.amdhsa_user_sgpr_dispatch_ptr 0
		.amdhsa_user_sgpr_queue_ptr 0
		.amdhsa_user_sgpr_kernarg_segment_ptr 1
		.amdhsa_user_sgpr_dispatch_id 0
		.amdhsa_user_sgpr_flat_scratch_init 0
		.amdhsa_user_sgpr_kernarg_preload_length 0
		.amdhsa_user_sgpr_kernarg_preload_offset 0
		.amdhsa_user_sgpr_private_segment_size 0
		.amdhsa_uses_dynamic_stack 0
		.amdhsa_system_sgpr_private_segment_wavefront_offset 0
		.amdhsa_system_sgpr_workgroup_id_x 1
		.amdhsa_system_sgpr_workgroup_id_y 0
		.amdhsa_system_sgpr_workgroup_id_z 0
		.amdhsa_system_sgpr_workgroup_info 0
		.amdhsa_system_vgpr_workitem_id 0
		.amdhsa_next_free_vgpr 1
		.amdhsa_next_free_sgpr 0
		.amdhsa_accum_offset 4
		.amdhsa_reserve_vcc 0
		.amdhsa_reserve_flat_scratch 0
		.amdhsa_float_round_mode_32 0
		.amdhsa_float_round_mode_16_64 0
		.amdhsa_float_denorm_mode_32 3
		.amdhsa_float_denorm_mode_16_64 3
		.amdhsa_dx10_clamp 1
		.amdhsa_ieee_mode 1
		.amdhsa_fp16_overflow 0
		.amdhsa_tg_split 0
		.amdhsa_exception_fp_ieee_invalid_op 0
		.amdhsa_exception_fp_denorm_src 0
		.amdhsa_exception_fp_ieee_div_zero 0
		.amdhsa_exception_fp_ieee_overflow 0
		.amdhsa_exception_fp_ieee_underflow 0
		.amdhsa_exception_fp_ieee_inexact 0
		.amdhsa_exception_int_div_zero 0
	.end_amdhsa_kernel
	.section	.text._ZN7rocprim17ROCPRIM_400000_NS6detail17trampoline_kernelINS0_14default_configENS1_22reduce_config_selectorIiEEZNS1_11reduce_implILb1ES3_N6hipcub16HIPCUB_304000_NS22TransformInputIteratorIiN2at6native8internal21MapNumberOfTrueValuesEPKhlEEPiiNS8_6detail34convert_binary_result_type_wrapperISt4plusIvESG_iEEEE10hipError_tPvRmT1_T2_T3_mT4_P12ihipStream_tbEUlT_E0_NS1_11comp_targetILNS1_3genE10ELNS1_11target_archE1201ELNS1_3gpuE5ELNS1_3repE0EEENS1_30default_config_static_selectorELNS0_4arch9wavefront6targetE1EEEvSQ_,"axG",@progbits,_ZN7rocprim17ROCPRIM_400000_NS6detail17trampoline_kernelINS0_14default_configENS1_22reduce_config_selectorIiEEZNS1_11reduce_implILb1ES3_N6hipcub16HIPCUB_304000_NS22TransformInputIteratorIiN2at6native8internal21MapNumberOfTrueValuesEPKhlEEPiiNS8_6detail34convert_binary_result_type_wrapperISt4plusIvESG_iEEEE10hipError_tPvRmT1_T2_T3_mT4_P12ihipStream_tbEUlT_E0_NS1_11comp_targetILNS1_3genE10ELNS1_11target_archE1201ELNS1_3gpuE5ELNS1_3repE0EEENS1_30default_config_static_selectorELNS0_4arch9wavefront6targetE1EEEvSQ_,comdat
.Lfunc_end120:
	.size	_ZN7rocprim17ROCPRIM_400000_NS6detail17trampoline_kernelINS0_14default_configENS1_22reduce_config_selectorIiEEZNS1_11reduce_implILb1ES3_N6hipcub16HIPCUB_304000_NS22TransformInputIteratorIiN2at6native8internal21MapNumberOfTrueValuesEPKhlEEPiiNS8_6detail34convert_binary_result_type_wrapperISt4plusIvESG_iEEEE10hipError_tPvRmT1_T2_T3_mT4_P12ihipStream_tbEUlT_E0_NS1_11comp_targetILNS1_3genE10ELNS1_11target_archE1201ELNS1_3gpuE5ELNS1_3repE0EEENS1_30default_config_static_selectorELNS0_4arch9wavefront6targetE1EEEvSQ_, .Lfunc_end120-_ZN7rocprim17ROCPRIM_400000_NS6detail17trampoline_kernelINS0_14default_configENS1_22reduce_config_selectorIiEEZNS1_11reduce_implILb1ES3_N6hipcub16HIPCUB_304000_NS22TransformInputIteratorIiN2at6native8internal21MapNumberOfTrueValuesEPKhlEEPiiNS8_6detail34convert_binary_result_type_wrapperISt4plusIvESG_iEEEE10hipError_tPvRmT1_T2_T3_mT4_P12ihipStream_tbEUlT_E0_NS1_11comp_targetILNS1_3genE10ELNS1_11target_archE1201ELNS1_3gpuE5ELNS1_3repE0EEENS1_30default_config_static_selectorELNS0_4arch9wavefront6targetE1EEEvSQ_
                                        ; -- End function
	.section	.AMDGPU.csdata,"",@progbits
; Kernel info:
; codeLenInByte = 0
; NumSgprs: 4
; NumVgprs: 0
; NumAgprs: 0
; TotalNumVgprs: 0
; ScratchSize: 0
; MemoryBound: 0
; FloatMode: 240
; IeeeMode: 1
; LDSByteSize: 0 bytes/workgroup (compile time only)
; SGPRBlocks: 0
; VGPRBlocks: 0
; NumSGPRsForWavesPerEU: 4
; NumVGPRsForWavesPerEU: 1
; AccumOffset: 4
; Occupancy: 8
; WaveLimiterHint : 0
; COMPUTE_PGM_RSRC2:SCRATCH_EN: 0
; COMPUTE_PGM_RSRC2:USER_SGPR: 6
; COMPUTE_PGM_RSRC2:TRAP_HANDLER: 0
; COMPUTE_PGM_RSRC2:TGID_X_EN: 1
; COMPUTE_PGM_RSRC2:TGID_Y_EN: 0
; COMPUTE_PGM_RSRC2:TGID_Z_EN: 0
; COMPUTE_PGM_RSRC2:TIDIG_COMP_CNT: 0
; COMPUTE_PGM_RSRC3_GFX90A:ACCUM_OFFSET: 0
; COMPUTE_PGM_RSRC3_GFX90A:TG_SPLIT: 0
	.section	.text._ZN7rocprim17ROCPRIM_400000_NS6detail17trampoline_kernelINS0_14default_configENS1_22reduce_config_selectorIiEEZNS1_11reduce_implILb1ES3_N6hipcub16HIPCUB_304000_NS22TransformInputIteratorIiN2at6native8internal21MapNumberOfTrueValuesEPKhlEEPiiNS8_6detail34convert_binary_result_type_wrapperISt4plusIvESG_iEEEE10hipError_tPvRmT1_T2_T3_mT4_P12ihipStream_tbEUlT_E0_NS1_11comp_targetILNS1_3genE10ELNS1_11target_archE1200ELNS1_3gpuE4ELNS1_3repE0EEENS1_30default_config_static_selectorELNS0_4arch9wavefront6targetE1EEEvSQ_,"axG",@progbits,_ZN7rocprim17ROCPRIM_400000_NS6detail17trampoline_kernelINS0_14default_configENS1_22reduce_config_selectorIiEEZNS1_11reduce_implILb1ES3_N6hipcub16HIPCUB_304000_NS22TransformInputIteratorIiN2at6native8internal21MapNumberOfTrueValuesEPKhlEEPiiNS8_6detail34convert_binary_result_type_wrapperISt4plusIvESG_iEEEE10hipError_tPvRmT1_T2_T3_mT4_P12ihipStream_tbEUlT_E0_NS1_11comp_targetILNS1_3genE10ELNS1_11target_archE1200ELNS1_3gpuE4ELNS1_3repE0EEENS1_30default_config_static_selectorELNS0_4arch9wavefront6targetE1EEEvSQ_,comdat
	.protected	_ZN7rocprim17ROCPRIM_400000_NS6detail17trampoline_kernelINS0_14default_configENS1_22reduce_config_selectorIiEEZNS1_11reduce_implILb1ES3_N6hipcub16HIPCUB_304000_NS22TransformInputIteratorIiN2at6native8internal21MapNumberOfTrueValuesEPKhlEEPiiNS8_6detail34convert_binary_result_type_wrapperISt4plusIvESG_iEEEE10hipError_tPvRmT1_T2_T3_mT4_P12ihipStream_tbEUlT_E0_NS1_11comp_targetILNS1_3genE10ELNS1_11target_archE1200ELNS1_3gpuE4ELNS1_3repE0EEENS1_30default_config_static_selectorELNS0_4arch9wavefront6targetE1EEEvSQ_ ; -- Begin function _ZN7rocprim17ROCPRIM_400000_NS6detail17trampoline_kernelINS0_14default_configENS1_22reduce_config_selectorIiEEZNS1_11reduce_implILb1ES3_N6hipcub16HIPCUB_304000_NS22TransformInputIteratorIiN2at6native8internal21MapNumberOfTrueValuesEPKhlEEPiiNS8_6detail34convert_binary_result_type_wrapperISt4plusIvESG_iEEEE10hipError_tPvRmT1_T2_T3_mT4_P12ihipStream_tbEUlT_E0_NS1_11comp_targetILNS1_3genE10ELNS1_11target_archE1200ELNS1_3gpuE4ELNS1_3repE0EEENS1_30default_config_static_selectorELNS0_4arch9wavefront6targetE1EEEvSQ_
	.globl	_ZN7rocprim17ROCPRIM_400000_NS6detail17trampoline_kernelINS0_14default_configENS1_22reduce_config_selectorIiEEZNS1_11reduce_implILb1ES3_N6hipcub16HIPCUB_304000_NS22TransformInputIteratorIiN2at6native8internal21MapNumberOfTrueValuesEPKhlEEPiiNS8_6detail34convert_binary_result_type_wrapperISt4plusIvESG_iEEEE10hipError_tPvRmT1_T2_T3_mT4_P12ihipStream_tbEUlT_E0_NS1_11comp_targetILNS1_3genE10ELNS1_11target_archE1200ELNS1_3gpuE4ELNS1_3repE0EEENS1_30default_config_static_selectorELNS0_4arch9wavefront6targetE1EEEvSQ_
	.p2align	8
	.type	_ZN7rocprim17ROCPRIM_400000_NS6detail17trampoline_kernelINS0_14default_configENS1_22reduce_config_selectorIiEEZNS1_11reduce_implILb1ES3_N6hipcub16HIPCUB_304000_NS22TransformInputIteratorIiN2at6native8internal21MapNumberOfTrueValuesEPKhlEEPiiNS8_6detail34convert_binary_result_type_wrapperISt4plusIvESG_iEEEE10hipError_tPvRmT1_T2_T3_mT4_P12ihipStream_tbEUlT_E0_NS1_11comp_targetILNS1_3genE10ELNS1_11target_archE1200ELNS1_3gpuE4ELNS1_3repE0EEENS1_30default_config_static_selectorELNS0_4arch9wavefront6targetE1EEEvSQ_,@function
_ZN7rocprim17ROCPRIM_400000_NS6detail17trampoline_kernelINS0_14default_configENS1_22reduce_config_selectorIiEEZNS1_11reduce_implILb1ES3_N6hipcub16HIPCUB_304000_NS22TransformInputIteratorIiN2at6native8internal21MapNumberOfTrueValuesEPKhlEEPiiNS8_6detail34convert_binary_result_type_wrapperISt4plusIvESG_iEEEE10hipError_tPvRmT1_T2_T3_mT4_P12ihipStream_tbEUlT_E0_NS1_11comp_targetILNS1_3genE10ELNS1_11target_archE1200ELNS1_3gpuE4ELNS1_3repE0EEENS1_30default_config_static_selectorELNS0_4arch9wavefront6targetE1EEEvSQ_: ; @_ZN7rocprim17ROCPRIM_400000_NS6detail17trampoline_kernelINS0_14default_configENS1_22reduce_config_selectorIiEEZNS1_11reduce_implILb1ES3_N6hipcub16HIPCUB_304000_NS22TransformInputIteratorIiN2at6native8internal21MapNumberOfTrueValuesEPKhlEEPiiNS8_6detail34convert_binary_result_type_wrapperISt4plusIvESG_iEEEE10hipError_tPvRmT1_T2_T3_mT4_P12ihipStream_tbEUlT_E0_NS1_11comp_targetILNS1_3genE10ELNS1_11target_archE1200ELNS1_3gpuE4ELNS1_3repE0EEENS1_30default_config_static_selectorELNS0_4arch9wavefront6targetE1EEEvSQ_
; %bb.0:
	.section	.rodata,"a",@progbits
	.p2align	6, 0x0
	.amdhsa_kernel _ZN7rocprim17ROCPRIM_400000_NS6detail17trampoline_kernelINS0_14default_configENS1_22reduce_config_selectorIiEEZNS1_11reduce_implILb1ES3_N6hipcub16HIPCUB_304000_NS22TransformInputIteratorIiN2at6native8internal21MapNumberOfTrueValuesEPKhlEEPiiNS8_6detail34convert_binary_result_type_wrapperISt4plusIvESG_iEEEE10hipError_tPvRmT1_T2_T3_mT4_P12ihipStream_tbEUlT_E0_NS1_11comp_targetILNS1_3genE10ELNS1_11target_archE1200ELNS1_3gpuE4ELNS1_3repE0EEENS1_30default_config_static_selectorELNS0_4arch9wavefront6targetE1EEEvSQ_
		.amdhsa_group_segment_fixed_size 0
		.amdhsa_private_segment_fixed_size 0
		.amdhsa_kernarg_size 64
		.amdhsa_user_sgpr_count 6
		.amdhsa_user_sgpr_private_segment_buffer 1
		.amdhsa_user_sgpr_dispatch_ptr 0
		.amdhsa_user_sgpr_queue_ptr 0
		.amdhsa_user_sgpr_kernarg_segment_ptr 1
		.amdhsa_user_sgpr_dispatch_id 0
		.amdhsa_user_sgpr_flat_scratch_init 0
		.amdhsa_user_sgpr_kernarg_preload_length 0
		.amdhsa_user_sgpr_kernarg_preload_offset 0
		.amdhsa_user_sgpr_private_segment_size 0
		.amdhsa_uses_dynamic_stack 0
		.amdhsa_system_sgpr_private_segment_wavefront_offset 0
		.amdhsa_system_sgpr_workgroup_id_x 1
		.amdhsa_system_sgpr_workgroup_id_y 0
		.amdhsa_system_sgpr_workgroup_id_z 0
		.amdhsa_system_sgpr_workgroup_info 0
		.amdhsa_system_vgpr_workitem_id 0
		.amdhsa_next_free_vgpr 1
		.amdhsa_next_free_sgpr 0
		.amdhsa_accum_offset 4
		.amdhsa_reserve_vcc 0
		.amdhsa_reserve_flat_scratch 0
		.amdhsa_float_round_mode_32 0
		.amdhsa_float_round_mode_16_64 0
		.amdhsa_float_denorm_mode_32 3
		.amdhsa_float_denorm_mode_16_64 3
		.amdhsa_dx10_clamp 1
		.amdhsa_ieee_mode 1
		.amdhsa_fp16_overflow 0
		.amdhsa_tg_split 0
		.amdhsa_exception_fp_ieee_invalid_op 0
		.amdhsa_exception_fp_denorm_src 0
		.amdhsa_exception_fp_ieee_div_zero 0
		.amdhsa_exception_fp_ieee_overflow 0
		.amdhsa_exception_fp_ieee_underflow 0
		.amdhsa_exception_fp_ieee_inexact 0
		.amdhsa_exception_int_div_zero 0
	.end_amdhsa_kernel
	.section	.text._ZN7rocprim17ROCPRIM_400000_NS6detail17trampoline_kernelINS0_14default_configENS1_22reduce_config_selectorIiEEZNS1_11reduce_implILb1ES3_N6hipcub16HIPCUB_304000_NS22TransformInputIteratorIiN2at6native8internal21MapNumberOfTrueValuesEPKhlEEPiiNS8_6detail34convert_binary_result_type_wrapperISt4plusIvESG_iEEEE10hipError_tPvRmT1_T2_T3_mT4_P12ihipStream_tbEUlT_E0_NS1_11comp_targetILNS1_3genE10ELNS1_11target_archE1200ELNS1_3gpuE4ELNS1_3repE0EEENS1_30default_config_static_selectorELNS0_4arch9wavefront6targetE1EEEvSQ_,"axG",@progbits,_ZN7rocprim17ROCPRIM_400000_NS6detail17trampoline_kernelINS0_14default_configENS1_22reduce_config_selectorIiEEZNS1_11reduce_implILb1ES3_N6hipcub16HIPCUB_304000_NS22TransformInputIteratorIiN2at6native8internal21MapNumberOfTrueValuesEPKhlEEPiiNS8_6detail34convert_binary_result_type_wrapperISt4plusIvESG_iEEEE10hipError_tPvRmT1_T2_T3_mT4_P12ihipStream_tbEUlT_E0_NS1_11comp_targetILNS1_3genE10ELNS1_11target_archE1200ELNS1_3gpuE4ELNS1_3repE0EEENS1_30default_config_static_selectorELNS0_4arch9wavefront6targetE1EEEvSQ_,comdat
.Lfunc_end121:
	.size	_ZN7rocprim17ROCPRIM_400000_NS6detail17trampoline_kernelINS0_14default_configENS1_22reduce_config_selectorIiEEZNS1_11reduce_implILb1ES3_N6hipcub16HIPCUB_304000_NS22TransformInputIteratorIiN2at6native8internal21MapNumberOfTrueValuesEPKhlEEPiiNS8_6detail34convert_binary_result_type_wrapperISt4plusIvESG_iEEEE10hipError_tPvRmT1_T2_T3_mT4_P12ihipStream_tbEUlT_E0_NS1_11comp_targetILNS1_3genE10ELNS1_11target_archE1200ELNS1_3gpuE4ELNS1_3repE0EEENS1_30default_config_static_selectorELNS0_4arch9wavefront6targetE1EEEvSQ_, .Lfunc_end121-_ZN7rocprim17ROCPRIM_400000_NS6detail17trampoline_kernelINS0_14default_configENS1_22reduce_config_selectorIiEEZNS1_11reduce_implILb1ES3_N6hipcub16HIPCUB_304000_NS22TransformInputIteratorIiN2at6native8internal21MapNumberOfTrueValuesEPKhlEEPiiNS8_6detail34convert_binary_result_type_wrapperISt4plusIvESG_iEEEE10hipError_tPvRmT1_T2_T3_mT4_P12ihipStream_tbEUlT_E0_NS1_11comp_targetILNS1_3genE10ELNS1_11target_archE1200ELNS1_3gpuE4ELNS1_3repE0EEENS1_30default_config_static_selectorELNS0_4arch9wavefront6targetE1EEEvSQ_
                                        ; -- End function
	.section	.AMDGPU.csdata,"",@progbits
; Kernel info:
; codeLenInByte = 0
; NumSgprs: 4
; NumVgprs: 0
; NumAgprs: 0
; TotalNumVgprs: 0
; ScratchSize: 0
; MemoryBound: 0
; FloatMode: 240
; IeeeMode: 1
; LDSByteSize: 0 bytes/workgroup (compile time only)
; SGPRBlocks: 0
; VGPRBlocks: 0
; NumSGPRsForWavesPerEU: 4
; NumVGPRsForWavesPerEU: 1
; AccumOffset: 4
; Occupancy: 8
; WaveLimiterHint : 0
; COMPUTE_PGM_RSRC2:SCRATCH_EN: 0
; COMPUTE_PGM_RSRC2:USER_SGPR: 6
; COMPUTE_PGM_RSRC2:TRAP_HANDLER: 0
; COMPUTE_PGM_RSRC2:TGID_X_EN: 1
; COMPUTE_PGM_RSRC2:TGID_Y_EN: 0
; COMPUTE_PGM_RSRC2:TGID_Z_EN: 0
; COMPUTE_PGM_RSRC2:TIDIG_COMP_CNT: 0
; COMPUTE_PGM_RSRC3_GFX90A:ACCUM_OFFSET: 0
; COMPUTE_PGM_RSRC3_GFX90A:TG_SPLIT: 0
	.section	.text._ZN7rocprim17ROCPRIM_400000_NS6detail17trampoline_kernelINS0_14default_configENS1_22reduce_config_selectorIiEEZNS1_11reduce_implILb1ES3_N6hipcub16HIPCUB_304000_NS22TransformInputIteratorIiN2at6native8internal21MapNumberOfTrueValuesEPKhlEEPiiNS8_6detail34convert_binary_result_type_wrapperISt4plusIvESG_iEEEE10hipError_tPvRmT1_T2_T3_mT4_P12ihipStream_tbEUlT_E0_NS1_11comp_targetILNS1_3genE9ELNS1_11target_archE1100ELNS1_3gpuE3ELNS1_3repE0EEENS1_30default_config_static_selectorELNS0_4arch9wavefront6targetE1EEEvSQ_,"axG",@progbits,_ZN7rocprim17ROCPRIM_400000_NS6detail17trampoline_kernelINS0_14default_configENS1_22reduce_config_selectorIiEEZNS1_11reduce_implILb1ES3_N6hipcub16HIPCUB_304000_NS22TransformInputIteratorIiN2at6native8internal21MapNumberOfTrueValuesEPKhlEEPiiNS8_6detail34convert_binary_result_type_wrapperISt4plusIvESG_iEEEE10hipError_tPvRmT1_T2_T3_mT4_P12ihipStream_tbEUlT_E0_NS1_11comp_targetILNS1_3genE9ELNS1_11target_archE1100ELNS1_3gpuE3ELNS1_3repE0EEENS1_30default_config_static_selectorELNS0_4arch9wavefront6targetE1EEEvSQ_,comdat
	.protected	_ZN7rocprim17ROCPRIM_400000_NS6detail17trampoline_kernelINS0_14default_configENS1_22reduce_config_selectorIiEEZNS1_11reduce_implILb1ES3_N6hipcub16HIPCUB_304000_NS22TransformInputIteratorIiN2at6native8internal21MapNumberOfTrueValuesEPKhlEEPiiNS8_6detail34convert_binary_result_type_wrapperISt4plusIvESG_iEEEE10hipError_tPvRmT1_T2_T3_mT4_P12ihipStream_tbEUlT_E0_NS1_11comp_targetILNS1_3genE9ELNS1_11target_archE1100ELNS1_3gpuE3ELNS1_3repE0EEENS1_30default_config_static_selectorELNS0_4arch9wavefront6targetE1EEEvSQ_ ; -- Begin function _ZN7rocprim17ROCPRIM_400000_NS6detail17trampoline_kernelINS0_14default_configENS1_22reduce_config_selectorIiEEZNS1_11reduce_implILb1ES3_N6hipcub16HIPCUB_304000_NS22TransformInputIteratorIiN2at6native8internal21MapNumberOfTrueValuesEPKhlEEPiiNS8_6detail34convert_binary_result_type_wrapperISt4plusIvESG_iEEEE10hipError_tPvRmT1_T2_T3_mT4_P12ihipStream_tbEUlT_E0_NS1_11comp_targetILNS1_3genE9ELNS1_11target_archE1100ELNS1_3gpuE3ELNS1_3repE0EEENS1_30default_config_static_selectorELNS0_4arch9wavefront6targetE1EEEvSQ_
	.globl	_ZN7rocprim17ROCPRIM_400000_NS6detail17trampoline_kernelINS0_14default_configENS1_22reduce_config_selectorIiEEZNS1_11reduce_implILb1ES3_N6hipcub16HIPCUB_304000_NS22TransformInputIteratorIiN2at6native8internal21MapNumberOfTrueValuesEPKhlEEPiiNS8_6detail34convert_binary_result_type_wrapperISt4plusIvESG_iEEEE10hipError_tPvRmT1_T2_T3_mT4_P12ihipStream_tbEUlT_E0_NS1_11comp_targetILNS1_3genE9ELNS1_11target_archE1100ELNS1_3gpuE3ELNS1_3repE0EEENS1_30default_config_static_selectorELNS0_4arch9wavefront6targetE1EEEvSQ_
	.p2align	8
	.type	_ZN7rocprim17ROCPRIM_400000_NS6detail17trampoline_kernelINS0_14default_configENS1_22reduce_config_selectorIiEEZNS1_11reduce_implILb1ES3_N6hipcub16HIPCUB_304000_NS22TransformInputIteratorIiN2at6native8internal21MapNumberOfTrueValuesEPKhlEEPiiNS8_6detail34convert_binary_result_type_wrapperISt4plusIvESG_iEEEE10hipError_tPvRmT1_T2_T3_mT4_P12ihipStream_tbEUlT_E0_NS1_11comp_targetILNS1_3genE9ELNS1_11target_archE1100ELNS1_3gpuE3ELNS1_3repE0EEENS1_30default_config_static_selectorELNS0_4arch9wavefront6targetE1EEEvSQ_,@function
_ZN7rocprim17ROCPRIM_400000_NS6detail17trampoline_kernelINS0_14default_configENS1_22reduce_config_selectorIiEEZNS1_11reduce_implILb1ES3_N6hipcub16HIPCUB_304000_NS22TransformInputIteratorIiN2at6native8internal21MapNumberOfTrueValuesEPKhlEEPiiNS8_6detail34convert_binary_result_type_wrapperISt4plusIvESG_iEEEE10hipError_tPvRmT1_T2_T3_mT4_P12ihipStream_tbEUlT_E0_NS1_11comp_targetILNS1_3genE9ELNS1_11target_archE1100ELNS1_3gpuE3ELNS1_3repE0EEENS1_30default_config_static_selectorELNS0_4arch9wavefront6targetE1EEEvSQ_: ; @_ZN7rocprim17ROCPRIM_400000_NS6detail17trampoline_kernelINS0_14default_configENS1_22reduce_config_selectorIiEEZNS1_11reduce_implILb1ES3_N6hipcub16HIPCUB_304000_NS22TransformInputIteratorIiN2at6native8internal21MapNumberOfTrueValuesEPKhlEEPiiNS8_6detail34convert_binary_result_type_wrapperISt4plusIvESG_iEEEE10hipError_tPvRmT1_T2_T3_mT4_P12ihipStream_tbEUlT_E0_NS1_11comp_targetILNS1_3genE9ELNS1_11target_archE1100ELNS1_3gpuE3ELNS1_3repE0EEENS1_30default_config_static_selectorELNS0_4arch9wavefront6targetE1EEEvSQ_
; %bb.0:
	.section	.rodata,"a",@progbits
	.p2align	6, 0x0
	.amdhsa_kernel _ZN7rocprim17ROCPRIM_400000_NS6detail17trampoline_kernelINS0_14default_configENS1_22reduce_config_selectorIiEEZNS1_11reduce_implILb1ES3_N6hipcub16HIPCUB_304000_NS22TransformInputIteratorIiN2at6native8internal21MapNumberOfTrueValuesEPKhlEEPiiNS8_6detail34convert_binary_result_type_wrapperISt4plusIvESG_iEEEE10hipError_tPvRmT1_T2_T3_mT4_P12ihipStream_tbEUlT_E0_NS1_11comp_targetILNS1_3genE9ELNS1_11target_archE1100ELNS1_3gpuE3ELNS1_3repE0EEENS1_30default_config_static_selectorELNS0_4arch9wavefront6targetE1EEEvSQ_
		.amdhsa_group_segment_fixed_size 0
		.amdhsa_private_segment_fixed_size 0
		.amdhsa_kernarg_size 64
		.amdhsa_user_sgpr_count 6
		.amdhsa_user_sgpr_private_segment_buffer 1
		.amdhsa_user_sgpr_dispatch_ptr 0
		.amdhsa_user_sgpr_queue_ptr 0
		.amdhsa_user_sgpr_kernarg_segment_ptr 1
		.amdhsa_user_sgpr_dispatch_id 0
		.amdhsa_user_sgpr_flat_scratch_init 0
		.amdhsa_user_sgpr_kernarg_preload_length 0
		.amdhsa_user_sgpr_kernarg_preload_offset 0
		.amdhsa_user_sgpr_private_segment_size 0
		.amdhsa_uses_dynamic_stack 0
		.amdhsa_system_sgpr_private_segment_wavefront_offset 0
		.amdhsa_system_sgpr_workgroup_id_x 1
		.amdhsa_system_sgpr_workgroup_id_y 0
		.amdhsa_system_sgpr_workgroup_id_z 0
		.amdhsa_system_sgpr_workgroup_info 0
		.amdhsa_system_vgpr_workitem_id 0
		.amdhsa_next_free_vgpr 1
		.amdhsa_next_free_sgpr 0
		.amdhsa_accum_offset 4
		.amdhsa_reserve_vcc 0
		.amdhsa_reserve_flat_scratch 0
		.amdhsa_float_round_mode_32 0
		.amdhsa_float_round_mode_16_64 0
		.amdhsa_float_denorm_mode_32 3
		.amdhsa_float_denorm_mode_16_64 3
		.amdhsa_dx10_clamp 1
		.amdhsa_ieee_mode 1
		.amdhsa_fp16_overflow 0
		.amdhsa_tg_split 0
		.amdhsa_exception_fp_ieee_invalid_op 0
		.amdhsa_exception_fp_denorm_src 0
		.amdhsa_exception_fp_ieee_div_zero 0
		.amdhsa_exception_fp_ieee_overflow 0
		.amdhsa_exception_fp_ieee_underflow 0
		.amdhsa_exception_fp_ieee_inexact 0
		.amdhsa_exception_int_div_zero 0
	.end_amdhsa_kernel
	.section	.text._ZN7rocprim17ROCPRIM_400000_NS6detail17trampoline_kernelINS0_14default_configENS1_22reduce_config_selectorIiEEZNS1_11reduce_implILb1ES3_N6hipcub16HIPCUB_304000_NS22TransformInputIteratorIiN2at6native8internal21MapNumberOfTrueValuesEPKhlEEPiiNS8_6detail34convert_binary_result_type_wrapperISt4plusIvESG_iEEEE10hipError_tPvRmT1_T2_T3_mT4_P12ihipStream_tbEUlT_E0_NS1_11comp_targetILNS1_3genE9ELNS1_11target_archE1100ELNS1_3gpuE3ELNS1_3repE0EEENS1_30default_config_static_selectorELNS0_4arch9wavefront6targetE1EEEvSQ_,"axG",@progbits,_ZN7rocprim17ROCPRIM_400000_NS6detail17trampoline_kernelINS0_14default_configENS1_22reduce_config_selectorIiEEZNS1_11reduce_implILb1ES3_N6hipcub16HIPCUB_304000_NS22TransformInputIteratorIiN2at6native8internal21MapNumberOfTrueValuesEPKhlEEPiiNS8_6detail34convert_binary_result_type_wrapperISt4plusIvESG_iEEEE10hipError_tPvRmT1_T2_T3_mT4_P12ihipStream_tbEUlT_E0_NS1_11comp_targetILNS1_3genE9ELNS1_11target_archE1100ELNS1_3gpuE3ELNS1_3repE0EEENS1_30default_config_static_selectorELNS0_4arch9wavefront6targetE1EEEvSQ_,comdat
.Lfunc_end122:
	.size	_ZN7rocprim17ROCPRIM_400000_NS6detail17trampoline_kernelINS0_14default_configENS1_22reduce_config_selectorIiEEZNS1_11reduce_implILb1ES3_N6hipcub16HIPCUB_304000_NS22TransformInputIteratorIiN2at6native8internal21MapNumberOfTrueValuesEPKhlEEPiiNS8_6detail34convert_binary_result_type_wrapperISt4plusIvESG_iEEEE10hipError_tPvRmT1_T2_T3_mT4_P12ihipStream_tbEUlT_E0_NS1_11comp_targetILNS1_3genE9ELNS1_11target_archE1100ELNS1_3gpuE3ELNS1_3repE0EEENS1_30default_config_static_selectorELNS0_4arch9wavefront6targetE1EEEvSQ_, .Lfunc_end122-_ZN7rocprim17ROCPRIM_400000_NS6detail17trampoline_kernelINS0_14default_configENS1_22reduce_config_selectorIiEEZNS1_11reduce_implILb1ES3_N6hipcub16HIPCUB_304000_NS22TransformInputIteratorIiN2at6native8internal21MapNumberOfTrueValuesEPKhlEEPiiNS8_6detail34convert_binary_result_type_wrapperISt4plusIvESG_iEEEE10hipError_tPvRmT1_T2_T3_mT4_P12ihipStream_tbEUlT_E0_NS1_11comp_targetILNS1_3genE9ELNS1_11target_archE1100ELNS1_3gpuE3ELNS1_3repE0EEENS1_30default_config_static_selectorELNS0_4arch9wavefront6targetE1EEEvSQ_
                                        ; -- End function
	.section	.AMDGPU.csdata,"",@progbits
; Kernel info:
; codeLenInByte = 0
; NumSgprs: 4
; NumVgprs: 0
; NumAgprs: 0
; TotalNumVgprs: 0
; ScratchSize: 0
; MemoryBound: 0
; FloatMode: 240
; IeeeMode: 1
; LDSByteSize: 0 bytes/workgroup (compile time only)
; SGPRBlocks: 0
; VGPRBlocks: 0
; NumSGPRsForWavesPerEU: 4
; NumVGPRsForWavesPerEU: 1
; AccumOffset: 4
; Occupancy: 8
; WaveLimiterHint : 0
; COMPUTE_PGM_RSRC2:SCRATCH_EN: 0
; COMPUTE_PGM_RSRC2:USER_SGPR: 6
; COMPUTE_PGM_RSRC2:TRAP_HANDLER: 0
; COMPUTE_PGM_RSRC2:TGID_X_EN: 1
; COMPUTE_PGM_RSRC2:TGID_Y_EN: 0
; COMPUTE_PGM_RSRC2:TGID_Z_EN: 0
; COMPUTE_PGM_RSRC2:TIDIG_COMP_CNT: 0
; COMPUTE_PGM_RSRC3_GFX90A:ACCUM_OFFSET: 0
; COMPUTE_PGM_RSRC3_GFX90A:TG_SPLIT: 0
	.section	.text._ZN7rocprim17ROCPRIM_400000_NS6detail17trampoline_kernelINS0_14default_configENS1_22reduce_config_selectorIiEEZNS1_11reduce_implILb1ES3_N6hipcub16HIPCUB_304000_NS22TransformInputIteratorIiN2at6native8internal21MapNumberOfTrueValuesEPKhlEEPiiNS8_6detail34convert_binary_result_type_wrapperISt4plusIvESG_iEEEE10hipError_tPvRmT1_T2_T3_mT4_P12ihipStream_tbEUlT_E0_NS1_11comp_targetILNS1_3genE8ELNS1_11target_archE1030ELNS1_3gpuE2ELNS1_3repE0EEENS1_30default_config_static_selectorELNS0_4arch9wavefront6targetE1EEEvSQ_,"axG",@progbits,_ZN7rocprim17ROCPRIM_400000_NS6detail17trampoline_kernelINS0_14default_configENS1_22reduce_config_selectorIiEEZNS1_11reduce_implILb1ES3_N6hipcub16HIPCUB_304000_NS22TransformInputIteratorIiN2at6native8internal21MapNumberOfTrueValuesEPKhlEEPiiNS8_6detail34convert_binary_result_type_wrapperISt4plusIvESG_iEEEE10hipError_tPvRmT1_T2_T3_mT4_P12ihipStream_tbEUlT_E0_NS1_11comp_targetILNS1_3genE8ELNS1_11target_archE1030ELNS1_3gpuE2ELNS1_3repE0EEENS1_30default_config_static_selectorELNS0_4arch9wavefront6targetE1EEEvSQ_,comdat
	.protected	_ZN7rocprim17ROCPRIM_400000_NS6detail17trampoline_kernelINS0_14default_configENS1_22reduce_config_selectorIiEEZNS1_11reduce_implILb1ES3_N6hipcub16HIPCUB_304000_NS22TransformInputIteratorIiN2at6native8internal21MapNumberOfTrueValuesEPKhlEEPiiNS8_6detail34convert_binary_result_type_wrapperISt4plusIvESG_iEEEE10hipError_tPvRmT1_T2_T3_mT4_P12ihipStream_tbEUlT_E0_NS1_11comp_targetILNS1_3genE8ELNS1_11target_archE1030ELNS1_3gpuE2ELNS1_3repE0EEENS1_30default_config_static_selectorELNS0_4arch9wavefront6targetE1EEEvSQ_ ; -- Begin function _ZN7rocprim17ROCPRIM_400000_NS6detail17trampoline_kernelINS0_14default_configENS1_22reduce_config_selectorIiEEZNS1_11reduce_implILb1ES3_N6hipcub16HIPCUB_304000_NS22TransformInputIteratorIiN2at6native8internal21MapNumberOfTrueValuesEPKhlEEPiiNS8_6detail34convert_binary_result_type_wrapperISt4plusIvESG_iEEEE10hipError_tPvRmT1_T2_T3_mT4_P12ihipStream_tbEUlT_E0_NS1_11comp_targetILNS1_3genE8ELNS1_11target_archE1030ELNS1_3gpuE2ELNS1_3repE0EEENS1_30default_config_static_selectorELNS0_4arch9wavefront6targetE1EEEvSQ_
	.globl	_ZN7rocprim17ROCPRIM_400000_NS6detail17trampoline_kernelINS0_14default_configENS1_22reduce_config_selectorIiEEZNS1_11reduce_implILb1ES3_N6hipcub16HIPCUB_304000_NS22TransformInputIteratorIiN2at6native8internal21MapNumberOfTrueValuesEPKhlEEPiiNS8_6detail34convert_binary_result_type_wrapperISt4plusIvESG_iEEEE10hipError_tPvRmT1_T2_T3_mT4_P12ihipStream_tbEUlT_E0_NS1_11comp_targetILNS1_3genE8ELNS1_11target_archE1030ELNS1_3gpuE2ELNS1_3repE0EEENS1_30default_config_static_selectorELNS0_4arch9wavefront6targetE1EEEvSQ_
	.p2align	8
	.type	_ZN7rocprim17ROCPRIM_400000_NS6detail17trampoline_kernelINS0_14default_configENS1_22reduce_config_selectorIiEEZNS1_11reduce_implILb1ES3_N6hipcub16HIPCUB_304000_NS22TransformInputIteratorIiN2at6native8internal21MapNumberOfTrueValuesEPKhlEEPiiNS8_6detail34convert_binary_result_type_wrapperISt4plusIvESG_iEEEE10hipError_tPvRmT1_T2_T3_mT4_P12ihipStream_tbEUlT_E0_NS1_11comp_targetILNS1_3genE8ELNS1_11target_archE1030ELNS1_3gpuE2ELNS1_3repE0EEENS1_30default_config_static_selectorELNS0_4arch9wavefront6targetE1EEEvSQ_,@function
_ZN7rocprim17ROCPRIM_400000_NS6detail17trampoline_kernelINS0_14default_configENS1_22reduce_config_selectorIiEEZNS1_11reduce_implILb1ES3_N6hipcub16HIPCUB_304000_NS22TransformInputIteratorIiN2at6native8internal21MapNumberOfTrueValuesEPKhlEEPiiNS8_6detail34convert_binary_result_type_wrapperISt4plusIvESG_iEEEE10hipError_tPvRmT1_T2_T3_mT4_P12ihipStream_tbEUlT_E0_NS1_11comp_targetILNS1_3genE8ELNS1_11target_archE1030ELNS1_3gpuE2ELNS1_3repE0EEENS1_30default_config_static_selectorELNS0_4arch9wavefront6targetE1EEEvSQ_: ; @_ZN7rocprim17ROCPRIM_400000_NS6detail17trampoline_kernelINS0_14default_configENS1_22reduce_config_selectorIiEEZNS1_11reduce_implILb1ES3_N6hipcub16HIPCUB_304000_NS22TransformInputIteratorIiN2at6native8internal21MapNumberOfTrueValuesEPKhlEEPiiNS8_6detail34convert_binary_result_type_wrapperISt4plusIvESG_iEEEE10hipError_tPvRmT1_T2_T3_mT4_P12ihipStream_tbEUlT_E0_NS1_11comp_targetILNS1_3genE8ELNS1_11target_archE1030ELNS1_3gpuE2ELNS1_3repE0EEENS1_30default_config_static_selectorELNS0_4arch9wavefront6targetE1EEEvSQ_
; %bb.0:
	.section	.rodata,"a",@progbits
	.p2align	6, 0x0
	.amdhsa_kernel _ZN7rocprim17ROCPRIM_400000_NS6detail17trampoline_kernelINS0_14default_configENS1_22reduce_config_selectorIiEEZNS1_11reduce_implILb1ES3_N6hipcub16HIPCUB_304000_NS22TransformInputIteratorIiN2at6native8internal21MapNumberOfTrueValuesEPKhlEEPiiNS8_6detail34convert_binary_result_type_wrapperISt4plusIvESG_iEEEE10hipError_tPvRmT1_T2_T3_mT4_P12ihipStream_tbEUlT_E0_NS1_11comp_targetILNS1_3genE8ELNS1_11target_archE1030ELNS1_3gpuE2ELNS1_3repE0EEENS1_30default_config_static_selectorELNS0_4arch9wavefront6targetE1EEEvSQ_
		.amdhsa_group_segment_fixed_size 0
		.amdhsa_private_segment_fixed_size 0
		.amdhsa_kernarg_size 64
		.amdhsa_user_sgpr_count 6
		.amdhsa_user_sgpr_private_segment_buffer 1
		.amdhsa_user_sgpr_dispatch_ptr 0
		.amdhsa_user_sgpr_queue_ptr 0
		.amdhsa_user_sgpr_kernarg_segment_ptr 1
		.amdhsa_user_sgpr_dispatch_id 0
		.amdhsa_user_sgpr_flat_scratch_init 0
		.amdhsa_user_sgpr_kernarg_preload_length 0
		.amdhsa_user_sgpr_kernarg_preload_offset 0
		.amdhsa_user_sgpr_private_segment_size 0
		.amdhsa_uses_dynamic_stack 0
		.amdhsa_system_sgpr_private_segment_wavefront_offset 0
		.amdhsa_system_sgpr_workgroup_id_x 1
		.amdhsa_system_sgpr_workgroup_id_y 0
		.amdhsa_system_sgpr_workgroup_id_z 0
		.amdhsa_system_sgpr_workgroup_info 0
		.amdhsa_system_vgpr_workitem_id 0
		.amdhsa_next_free_vgpr 1
		.amdhsa_next_free_sgpr 0
		.amdhsa_accum_offset 4
		.amdhsa_reserve_vcc 0
		.amdhsa_reserve_flat_scratch 0
		.amdhsa_float_round_mode_32 0
		.amdhsa_float_round_mode_16_64 0
		.amdhsa_float_denorm_mode_32 3
		.amdhsa_float_denorm_mode_16_64 3
		.amdhsa_dx10_clamp 1
		.amdhsa_ieee_mode 1
		.amdhsa_fp16_overflow 0
		.amdhsa_tg_split 0
		.amdhsa_exception_fp_ieee_invalid_op 0
		.amdhsa_exception_fp_denorm_src 0
		.amdhsa_exception_fp_ieee_div_zero 0
		.amdhsa_exception_fp_ieee_overflow 0
		.amdhsa_exception_fp_ieee_underflow 0
		.amdhsa_exception_fp_ieee_inexact 0
		.amdhsa_exception_int_div_zero 0
	.end_amdhsa_kernel
	.section	.text._ZN7rocprim17ROCPRIM_400000_NS6detail17trampoline_kernelINS0_14default_configENS1_22reduce_config_selectorIiEEZNS1_11reduce_implILb1ES3_N6hipcub16HIPCUB_304000_NS22TransformInputIteratorIiN2at6native8internal21MapNumberOfTrueValuesEPKhlEEPiiNS8_6detail34convert_binary_result_type_wrapperISt4plusIvESG_iEEEE10hipError_tPvRmT1_T2_T3_mT4_P12ihipStream_tbEUlT_E0_NS1_11comp_targetILNS1_3genE8ELNS1_11target_archE1030ELNS1_3gpuE2ELNS1_3repE0EEENS1_30default_config_static_selectorELNS0_4arch9wavefront6targetE1EEEvSQ_,"axG",@progbits,_ZN7rocprim17ROCPRIM_400000_NS6detail17trampoline_kernelINS0_14default_configENS1_22reduce_config_selectorIiEEZNS1_11reduce_implILb1ES3_N6hipcub16HIPCUB_304000_NS22TransformInputIteratorIiN2at6native8internal21MapNumberOfTrueValuesEPKhlEEPiiNS8_6detail34convert_binary_result_type_wrapperISt4plusIvESG_iEEEE10hipError_tPvRmT1_T2_T3_mT4_P12ihipStream_tbEUlT_E0_NS1_11comp_targetILNS1_3genE8ELNS1_11target_archE1030ELNS1_3gpuE2ELNS1_3repE0EEENS1_30default_config_static_selectorELNS0_4arch9wavefront6targetE1EEEvSQ_,comdat
.Lfunc_end123:
	.size	_ZN7rocprim17ROCPRIM_400000_NS6detail17trampoline_kernelINS0_14default_configENS1_22reduce_config_selectorIiEEZNS1_11reduce_implILb1ES3_N6hipcub16HIPCUB_304000_NS22TransformInputIteratorIiN2at6native8internal21MapNumberOfTrueValuesEPKhlEEPiiNS8_6detail34convert_binary_result_type_wrapperISt4plusIvESG_iEEEE10hipError_tPvRmT1_T2_T3_mT4_P12ihipStream_tbEUlT_E0_NS1_11comp_targetILNS1_3genE8ELNS1_11target_archE1030ELNS1_3gpuE2ELNS1_3repE0EEENS1_30default_config_static_selectorELNS0_4arch9wavefront6targetE1EEEvSQ_, .Lfunc_end123-_ZN7rocprim17ROCPRIM_400000_NS6detail17trampoline_kernelINS0_14default_configENS1_22reduce_config_selectorIiEEZNS1_11reduce_implILb1ES3_N6hipcub16HIPCUB_304000_NS22TransformInputIteratorIiN2at6native8internal21MapNumberOfTrueValuesEPKhlEEPiiNS8_6detail34convert_binary_result_type_wrapperISt4plusIvESG_iEEEE10hipError_tPvRmT1_T2_T3_mT4_P12ihipStream_tbEUlT_E0_NS1_11comp_targetILNS1_3genE8ELNS1_11target_archE1030ELNS1_3gpuE2ELNS1_3repE0EEENS1_30default_config_static_selectorELNS0_4arch9wavefront6targetE1EEEvSQ_
                                        ; -- End function
	.section	.AMDGPU.csdata,"",@progbits
; Kernel info:
; codeLenInByte = 0
; NumSgprs: 4
; NumVgprs: 0
; NumAgprs: 0
; TotalNumVgprs: 0
; ScratchSize: 0
; MemoryBound: 0
; FloatMode: 240
; IeeeMode: 1
; LDSByteSize: 0 bytes/workgroup (compile time only)
; SGPRBlocks: 0
; VGPRBlocks: 0
; NumSGPRsForWavesPerEU: 4
; NumVGPRsForWavesPerEU: 1
; AccumOffset: 4
; Occupancy: 8
; WaveLimiterHint : 0
; COMPUTE_PGM_RSRC2:SCRATCH_EN: 0
; COMPUTE_PGM_RSRC2:USER_SGPR: 6
; COMPUTE_PGM_RSRC2:TRAP_HANDLER: 0
; COMPUTE_PGM_RSRC2:TGID_X_EN: 1
; COMPUTE_PGM_RSRC2:TGID_Y_EN: 0
; COMPUTE_PGM_RSRC2:TGID_Z_EN: 0
; COMPUTE_PGM_RSRC2:TIDIG_COMP_CNT: 0
; COMPUTE_PGM_RSRC3_GFX90A:ACCUM_OFFSET: 0
; COMPUTE_PGM_RSRC3_GFX90A:TG_SPLIT: 0
	.section	.text._ZN7rocprim17ROCPRIM_400000_NS6detail17trampoline_kernelINS0_14default_configENS1_22reduce_config_selectorIiEEZNS1_11reduce_implILb1ES3_N6hipcub16HIPCUB_304000_NS22TransformInputIteratorIiN2at6native8internal21MapNumberOfTrueValuesEPKhlEEPiiNS8_6detail34convert_binary_result_type_wrapperISt4plusIvESG_iEEEE10hipError_tPvRmT1_T2_T3_mT4_P12ihipStream_tbEUlT_E1_NS1_11comp_targetILNS1_3genE0ELNS1_11target_archE4294967295ELNS1_3gpuE0ELNS1_3repE0EEENS1_30default_config_static_selectorELNS0_4arch9wavefront6targetE1EEEvSQ_,"axG",@progbits,_ZN7rocprim17ROCPRIM_400000_NS6detail17trampoline_kernelINS0_14default_configENS1_22reduce_config_selectorIiEEZNS1_11reduce_implILb1ES3_N6hipcub16HIPCUB_304000_NS22TransformInputIteratorIiN2at6native8internal21MapNumberOfTrueValuesEPKhlEEPiiNS8_6detail34convert_binary_result_type_wrapperISt4plusIvESG_iEEEE10hipError_tPvRmT1_T2_T3_mT4_P12ihipStream_tbEUlT_E1_NS1_11comp_targetILNS1_3genE0ELNS1_11target_archE4294967295ELNS1_3gpuE0ELNS1_3repE0EEENS1_30default_config_static_selectorELNS0_4arch9wavefront6targetE1EEEvSQ_,comdat
	.protected	_ZN7rocprim17ROCPRIM_400000_NS6detail17trampoline_kernelINS0_14default_configENS1_22reduce_config_selectorIiEEZNS1_11reduce_implILb1ES3_N6hipcub16HIPCUB_304000_NS22TransformInputIteratorIiN2at6native8internal21MapNumberOfTrueValuesEPKhlEEPiiNS8_6detail34convert_binary_result_type_wrapperISt4plusIvESG_iEEEE10hipError_tPvRmT1_T2_T3_mT4_P12ihipStream_tbEUlT_E1_NS1_11comp_targetILNS1_3genE0ELNS1_11target_archE4294967295ELNS1_3gpuE0ELNS1_3repE0EEENS1_30default_config_static_selectorELNS0_4arch9wavefront6targetE1EEEvSQ_ ; -- Begin function _ZN7rocprim17ROCPRIM_400000_NS6detail17trampoline_kernelINS0_14default_configENS1_22reduce_config_selectorIiEEZNS1_11reduce_implILb1ES3_N6hipcub16HIPCUB_304000_NS22TransformInputIteratorIiN2at6native8internal21MapNumberOfTrueValuesEPKhlEEPiiNS8_6detail34convert_binary_result_type_wrapperISt4plusIvESG_iEEEE10hipError_tPvRmT1_T2_T3_mT4_P12ihipStream_tbEUlT_E1_NS1_11comp_targetILNS1_3genE0ELNS1_11target_archE4294967295ELNS1_3gpuE0ELNS1_3repE0EEENS1_30default_config_static_selectorELNS0_4arch9wavefront6targetE1EEEvSQ_
	.globl	_ZN7rocprim17ROCPRIM_400000_NS6detail17trampoline_kernelINS0_14default_configENS1_22reduce_config_selectorIiEEZNS1_11reduce_implILb1ES3_N6hipcub16HIPCUB_304000_NS22TransformInputIteratorIiN2at6native8internal21MapNumberOfTrueValuesEPKhlEEPiiNS8_6detail34convert_binary_result_type_wrapperISt4plusIvESG_iEEEE10hipError_tPvRmT1_T2_T3_mT4_P12ihipStream_tbEUlT_E1_NS1_11comp_targetILNS1_3genE0ELNS1_11target_archE4294967295ELNS1_3gpuE0ELNS1_3repE0EEENS1_30default_config_static_selectorELNS0_4arch9wavefront6targetE1EEEvSQ_
	.p2align	8
	.type	_ZN7rocprim17ROCPRIM_400000_NS6detail17trampoline_kernelINS0_14default_configENS1_22reduce_config_selectorIiEEZNS1_11reduce_implILb1ES3_N6hipcub16HIPCUB_304000_NS22TransformInputIteratorIiN2at6native8internal21MapNumberOfTrueValuesEPKhlEEPiiNS8_6detail34convert_binary_result_type_wrapperISt4plusIvESG_iEEEE10hipError_tPvRmT1_T2_T3_mT4_P12ihipStream_tbEUlT_E1_NS1_11comp_targetILNS1_3genE0ELNS1_11target_archE4294967295ELNS1_3gpuE0ELNS1_3repE0EEENS1_30default_config_static_selectorELNS0_4arch9wavefront6targetE1EEEvSQ_,@function
_ZN7rocprim17ROCPRIM_400000_NS6detail17trampoline_kernelINS0_14default_configENS1_22reduce_config_selectorIiEEZNS1_11reduce_implILb1ES3_N6hipcub16HIPCUB_304000_NS22TransformInputIteratorIiN2at6native8internal21MapNumberOfTrueValuesEPKhlEEPiiNS8_6detail34convert_binary_result_type_wrapperISt4plusIvESG_iEEEE10hipError_tPvRmT1_T2_T3_mT4_P12ihipStream_tbEUlT_E1_NS1_11comp_targetILNS1_3genE0ELNS1_11target_archE4294967295ELNS1_3gpuE0ELNS1_3repE0EEENS1_30default_config_static_selectorELNS0_4arch9wavefront6targetE1EEEvSQ_: ; @_ZN7rocprim17ROCPRIM_400000_NS6detail17trampoline_kernelINS0_14default_configENS1_22reduce_config_selectorIiEEZNS1_11reduce_implILb1ES3_N6hipcub16HIPCUB_304000_NS22TransformInputIteratorIiN2at6native8internal21MapNumberOfTrueValuesEPKhlEEPiiNS8_6detail34convert_binary_result_type_wrapperISt4plusIvESG_iEEEE10hipError_tPvRmT1_T2_T3_mT4_P12ihipStream_tbEUlT_E1_NS1_11comp_targetILNS1_3genE0ELNS1_11target_archE4294967295ELNS1_3gpuE0ELNS1_3repE0EEENS1_30default_config_static_selectorELNS0_4arch9wavefront6targetE1EEEvSQ_
; %bb.0:
	.section	.rodata,"a",@progbits
	.p2align	6, 0x0
	.amdhsa_kernel _ZN7rocprim17ROCPRIM_400000_NS6detail17trampoline_kernelINS0_14default_configENS1_22reduce_config_selectorIiEEZNS1_11reduce_implILb1ES3_N6hipcub16HIPCUB_304000_NS22TransformInputIteratorIiN2at6native8internal21MapNumberOfTrueValuesEPKhlEEPiiNS8_6detail34convert_binary_result_type_wrapperISt4plusIvESG_iEEEE10hipError_tPvRmT1_T2_T3_mT4_P12ihipStream_tbEUlT_E1_NS1_11comp_targetILNS1_3genE0ELNS1_11target_archE4294967295ELNS1_3gpuE0ELNS1_3repE0EEENS1_30default_config_static_selectorELNS0_4arch9wavefront6targetE1EEEvSQ_
		.amdhsa_group_segment_fixed_size 0
		.amdhsa_private_segment_fixed_size 0
		.amdhsa_kernarg_size 48
		.amdhsa_user_sgpr_count 6
		.amdhsa_user_sgpr_private_segment_buffer 1
		.amdhsa_user_sgpr_dispatch_ptr 0
		.amdhsa_user_sgpr_queue_ptr 0
		.amdhsa_user_sgpr_kernarg_segment_ptr 1
		.amdhsa_user_sgpr_dispatch_id 0
		.amdhsa_user_sgpr_flat_scratch_init 0
		.amdhsa_user_sgpr_kernarg_preload_length 0
		.amdhsa_user_sgpr_kernarg_preload_offset 0
		.amdhsa_user_sgpr_private_segment_size 0
		.amdhsa_uses_dynamic_stack 0
		.amdhsa_system_sgpr_private_segment_wavefront_offset 0
		.amdhsa_system_sgpr_workgroup_id_x 1
		.amdhsa_system_sgpr_workgroup_id_y 0
		.amdhsa_system_sgpr_workgroup_id_z 0
		.amdhsa_system_sgpr_workgroup_info 0
		.amdhsa_system_vgpr_workitem_id 0
		.amdhsa_next_free_vgpr 1
		.amdhsa_next_free_sgpr 0
		.amdhsa_accum_offset 4
		.amdhsa_reserve_vcc 0
		.amdhsa_reserve_flat_scratch 0
		.amdhsa_float_round_mode_32 0
		.amdhsa_float_round_mode_16_64 0
		.amdhsa_float_denorm_mode_32 3
		.amdhsa_float_denorm_mode_16_64 3
		.amdhsa_dx10_clamp 1
		.amdhsa_ieee_mode 1
		.amdhsa_fp16_overflow 0
		.amdhsa_tg_split 0
		.amdhsa_exception_fp_ieee_invalid_op 0
		.amdhsa_exception_fp_denorm_src 0
		.amdhsa_exception_fp_ieee_div_zero 0
		.amdhsa_exception_fp_ieee_overflow 0
		.amdhsa_exception_fp_ieee_underflow 0
		.amdhsa_exception_fp_ieee_inexact 0
		.amdhsa_exception_int_div_zero 0
	.end_amdhsa_kernel
	.section	.text._ZN7rocprim17ROCPRIM_400000_NS6detail17trampoline_kernelINS0_14default_configENS1_22reduce_config_selectorIiEEZNS1_11reduce_implILb1ES3_N6hipcub16HIPCUB_304000_NS22TransformInputIteratorIiN2at6native8internal21MapNumberOfTrueValuesEPKhlEEPiiNS8_6detail34convert_binary_result_type_wrapperISt4plusIvESG_iEEEE10hipError_tPvRmT1_T2_T3_mT4_P12ihipStream_tbEUlT_E1_NS1_11comp_targetILNS1_3genE0ELNS1_11target_archE4294967295ELNS1_3gpuE0ELNS1_3repE0EEENS1_30default_config_static_selectorELNS0_4arch9wavefront6targetE1EEEvSQ_,"axG",@progbits,_ZN7rocprim17ROCPRIM_400000_NS6detail17trampoline_kernelINS0_14default_configENS1_22reduce_config_selectorIiEEZNS1_11reduce_implILb1ES3_N6hipcub16HIPCUB_304000_NS22TransformInputIteratorIiN2at6native8internal21MapNumberOfTrueValuesEPKhlEEPiiNS8_6detail34convert_binary_result_type_wrapperISt4plusIvESG_iEEEE10hipError_tPvRmT1_T2_T3_mT4_P12ihipStream_tbEUlT_E1_NS1_11comp_targetILNS1_3genE0ELNS1_11target_archE4294967295ELNS1_3gpuE0ELNS1_3repE0EEENS1_30default_config_static_selectorELNS0_4arch9wavefront6targetE1EEEvSQ_,comdat
.Lfunc_end124:
	.size	_ZN7rocprim17ROCPRIM_400000_NS6detail17trampoline_kernelINS0_14default_configENS1_22reduce_config_selectorIiEEZNS1_11reduce_implILb1ES3_N6hipcub16HIPCUB_304000_NS22TransformInputIteratorIiN2at6native8internal21MapNumberOfTrueValuesEPKhlEEPiiNS8_6detail34convert_binary_result_type_wrapperISt4plusIvESG_iEEEE10hipError_tPvRmT1_T2_T3_mT4_P12ihipStream_tbEUlT_E1_NS1_11comp_targetILNS1_3genE0ELNS1_11target_archE4294967295ELNS1_3gpuE0ELNS1_3repE0EEENS1_30default_config_static_selectorELNS0_4arch9wavefront6targetE1EEEvSQ_, .Lfunc_end124-_ZN7rocprim17ROCPRIM_400000_NS6detail17trampoline_kernelINS0_14default_configENS1_22reduce_config_selectorIiEEZNS1_11reduce_implILb1ES3_N6hipcub16HIPCUB_304000_NS22TransformInputIteratorIiN2at6native8internal21MapNumberOfTrueValuesEPKhlEEPiiNS8_6detail34convert_binary_result_type_wrapperISt4plusIvESG_iEEEE10hipError_tPvRmT1_T2_T3_mT4_P12ihipStream_tbEUlT_E1_NS1_11comp_targetILNS1_3genE0ELNS1_11target_archE4294967295ELNS1_3gpuE0ELNS1_3repE0EEENS1_30default_config_static_selectorELNS0_4arch9wavefront6targetE1EEEvSQ_
                                        ; -- End function
	.section	.AMDGPU.csdata,"",@progbits
; Kernel info:
; codeLenInByte = 0
; NumSgprs: 4
; NumVgprs: 0
; NumAgprs: 0
; TotalNumVgprs: 0
; ScratchSize: 0
; MemoryBound: 0
; FloatMode: 240
; IeeeMode: 1
; LDSByteSize: 0 bytes/workgroup (compile time only)
; SGPRBlocks: 0
; VGPRBlocks: 0
; NumSGPRsForWavesPerEU: 4
; NumVGPRsForWavesPerEU: 1
; AccumOffset: 4
; Occupancy: 8
; WaveLimiterHint : 0
; COMPUTE_PGM_RSRC2:SCRATCH_EN: 0
; COMPUTE_PGM_RSRC2:USER_SGPR: 6
; COMPUTE_PGM_RSRC2:TRAP_HANDLER: 0
; COMPUTE_PGM_RSRC2:TGID_X_EN: 1
; COMPUTE_PGM_RSRC2:TGID_Y_EN: 0
; COMPUTE_PGM_RSRC2:TGID_Z_EN: 0
; COMPUTE_PGM_RSRC2:TIDIG_COMP_CNT: 0
; COMPUTE_PGM_RSRC3_GFX90A:ACCUM_OFFSET: 0
; COMPUTE_PGM_RSRC3_GFX90A:TG_SPLIT: 0
	.section	.text._ZN7rocprim17ROCPRIM_400000_NS6detail17trampoline_kernelINS0_14default_configENS1_22reduce_config_selectorIiEEZNS1_11reduce_implILb1ES3_N6hipcub16HIPCUB_304000_NS22TransformInputIteratorIiN2at6native8internal21MapNumberOfTrueValuesEPKhlEEPiiNS8_6detail34convert_binary_result_type_wrapperISt4plusIvESG_iEEEE10hipError_tPvRmT1_T2_T3_mT4_P12ihipStream_tbEUlT_E1_NS1_11comp_targetILNS1_3genE5ELNS1_11target_archE942ELNS1_3gpuE9ELNS1_3repE0EEENS1_30default_config_static_selectorELNS0_4arch9wavefront6targetE1EEEvSQ_,"axG",@progbits,_ZN7rocprim17ROCPRIM_400000_NS6detail17trampoline_kernelINS0_14default_configENS1_22reduce_config_selectorIiEEZNS1_11reduce_implILb1ES3_N6hipcub16HIPCUB_304000_NS22TransformInputIteratorIiN2at6native8internal21MapNumberOfTrueValuesEPKhlEEPiiNS8_6detail34convert_binary_result_type_wrapperISt4plusIvESG_iEEEE10hipError_tPvRmT1_T2_T3_mT4_P12ihipStream_tbEUlT_E1_NS1_11comp_targetILNS1_3genE5ELNS1_11target_archE942ELNS1_3gpuE9ELNS1_3repE0EEENS1_30default_config_static_selectorELNS0_4arch9wavefront6targetE1EEEvSQ_,comdat
	.protected	_ZN7rocprim17ROCPRIM_400000_NS6detail17trampoline_kernelINS0_14default_configENS1_22reduce_config_selectorIiEEZNS1_11reduce_implILb1ES3_N6hipcub16HIPCUB_304000_NS22TransformInputIteratorIiN2at6native8internal21MapNumberOfTrueValuesEPKhlEEPiiNS8_6detail34convert_binary_result_type_wrapperISt4plusIvESG_iEEEE10hipError_tPvRmT1_T2_T3_mT4_P12ihipStream_tbEUlT_E1_NS1_11comp_targetILNS1_3genE5ELNS1_11target_archE942ELNS1_3gpuE9ELNS1_3repE0EEENS1_30default_config_static_selectorELNS0_4arch9wavefront6targetE1EEEvSQ_ ; -- Begin function _ZN7rocprim17ROCPRIM_400000_NS6detail17trampoline_kernelINS0_14default_configENS1_22reduce_config_selectorIiEEZNS1_11reduce_implILb1ES3_N6hipcub16HIPCUB_304000_NS22TransformInputIteratorIiN2at6native8internal21MapNumberOfTrueValuesEPKhlEEPiiNS8_6detail34convert_binary_result_type_wrapperISt4plusIvESG_iEEEE10hipError_tPvRmT1_T2_T3_mT4_P12ihipStream_tbEUlT_E1_NS1_11comp_targetILNS1_3genE5ELNS1_11target_archE942ELNS1_3gpuE9ELNS1_3repE0EEENS1_30default_config_static_selectorELNS0_4arch9wavefront6targetE1EEEvSQ_
	.globl	_ZN7rocprim17ROCPRIM_400000_NS6detail17trampoline_kernelINS0_14default_configENS1_22reduce_config_selectorIiEEZNS1_11reduce_implILb1ES3_N6hipcub16HIPCUB_304000_NS22TransformInputIteratorIiN2at6native8internal21MapNumberOfTrueValuesEPKhlEEPiiNS8_6detail34convert_binary_result_type_wrapperISt4plusIvESG_iEEEE10hipError_tPvRmT1_T2_T3_mT4_P12ihipStream_tbEUlT_E1_NS1_11comp_targetILNS1_3genE5ELNS1_11target_archE942ELNS1_3gpuE9ELNS1_3repE0EEENS1_30default_config_static_selectorELNS0_4arch9wavefront6targetE1EEEvSQ_
	.p2align	8
	.type	_ZN7rocprim17ROCPRIM_400000_NS6detail17trampoline_kernelINS0_14default_configENS1_22reduce_config_selectorIiEEZNS1_11reduce_implILb1ES3_N6hipcub16HIPCUB_304000_NS22TransformInputIteratorIiN2at6native8internal21MapNumberOfTrueValuesEPKhlEEPiiNS8_6detail34convert_binary_result_type_wrapperISt4plusIvESG_iEEEE10hipError_tPvRmT1_T2_T3_mT4_P12ihipStream_tbEUlT_E1_NS1_11comp_targetILNS1_3genE5ELNS1_11target_archE942ELNS1_3gpuE9ELNS1_3repE0EEENS1_30default_config_static_selectorELNS0_4arch9wavefront6targetE1EEEvSQ_,@function
_ZN7rocprim17ROCPRIM_400000_NS6detail17trampoline_kernelINS0_14default_configENS1_22reduce_config_selectorIiEEZNS1_11reduce_implILb1ES3_N6hipcub16HIPCUB_304000_NS22TransformInputIteratorIiN2at6native8internal21MapNumberOfTrueValuesEPKhlEEPiiNS8_6detail34convert_binary_result_type_wrapperISt4plusIvESG_iEEEE10hipError_tPvRmT1_T2_T3_mT4_P12ihipStream_tbEUlT_E1_NS1_11comp_targetILNS1_3genE5ELNS1_11target_archE942ELNS1_3gpuE9ELNS1_3repE0EEENS1_30default_config_static_selectorELNS0_4arch9wavefront6targetE1EEEvSQ_: ; @_ZN7rocprim17ROCPRIM_400000_NS6detail17trampoline_kernelINS0_14default_configENS1_22reduce_config_selectorIiEEZNS1_11reduce_implILb1ES3_N6hipcub16HIPCUB_304000_NS22TransformInputIteratorIiN2at6native8internal21MapNumberOfTrueValuesEPKhlEEPiiNS8_6detail34convert_binary_result_type_wrapperISt4plusIvESG_iEEEE10hipError_tPvRmT1_T2_T3_mT4_P12ihipStream_tbEUlT_E1_NS1_11comp_targetILNS1_3genE5ELNS1_11target_archE942ELNS1_3gpuE9ELNS1_3repE0EEENS1_30default_config_static_selectorELNS0_4arch9wavefront6targetE1EEEvSQ_
; %bb.0:
	.section	.rodata,"a",@progbits
	.p2align	6, 0x0
	.amdhsa_kernel _ZN7rocprim17ROCPRIM_400000_NS6detail17trampoline_kernelINS0_14default_configENS1_22reduce_config_selectorIiEEZNS1_11reduce_implILb1ES3_N6hipcub16HIPCUB_304000_NS22TransformInputIteratorIiN2at6native8internal21MapNumberOfTrueValuesEPKhlEEPiiNS8_6detail34convert_binary_result_type_wrapperISt4plusIvESG_iEEEE10hipError_tPvRmT1_T2_T3_mT4_P12ihipStream_tbEUlT_E1_NS1_11comp_targetILNS1_3genE5ELNS1_11target_archE942ELNS1_3gpuE9ELNS1_3repE0EEENS1_30default_config_static_selectorELNS0_4arch9wavefront6targetE1EEEvSQ_
		.amdhsa_group_segment_fixed_size 0
		.amdhsa_private_segment_fixed_size 0
		.amdhsa_kernarg_size 48
		.amdhsa_user_sgpr_count 6
		.amdhsa_user_sgpr_private_segment_buffer 1
		.amdhsa_user_sgpr_dispatch_ptr 0
		.amdhsa_user_sgpr_queue_ptr 0
		.amdhsa_user_sgpr_kernarg_segment_ptr 1
		.amdhsa_user_sgpr_dispatch_id 0
		.amdhsa_user_sgpr_flat_scratch_init 0
		.amdhsa_user_sgpr_kernarg_preload_length 0
		.amdhsa_user_sgpr_kernarg_preload_offset 0
		.amdhsa_user_sgpr_private_segment_size 0
		.amdhsa_uses_dynamic_stack 0
		.amdhsa_system_sgpr_private_segment_wavefront_offset 0
		.amdhsa_system_sgpr_workgroup_id_x 1
		.amdhsa_system_sgpr_workgroup_id_y 0
		.amdhsa_system_sgpr_workgroup_id_z 0
		.amdhsa_system_sgpr_workgroup_info 0
		.amdhsa_system_vgpr_workitem_id 0
		.amdhsa_next_free_vgpr 1
		.amdhsa_next_free_sgpr 0
		.amdhsa_accum_offset 4
		.amdhsa_reserve_vcc 0
		.amdhsa_reserve_flat_scratch 0
		.amdhsa_float_round_mode_32 0
		.amdhsa_float_round_mode_16_64 0
		.amdhsa_float_denorm_mode_32 3
		.amdhsa_float_denorm_mode_16_64 3
		.amdhsa_dx10_clamp 1
		.amdhsa_ieee_mode 1
		.amdhsa_fp16_overflow 0
		.amdhsa_tg_split 0
		.amdhsa_exception_fp_ieee_invalid_op 0
		.amdhsa_exception_fp_denorm_src 0
		.amdhsa_exception_fp_ieee_div_zero 0
		.amdhsa_exception_fp_ieee_overflow 0
		.amdhsa_exception_fp_ieee_underflow 0
		.amdhsa_exception_fp_ieee_inexact 0
		.amdhsa_exception_int_div_zero 0
	.end_amdhsa_kernel
	.section	.text._ZN7rocprim17ROCPRIM_400000_NS6detail17trampoline_kernelINS0_14default_configENS1_22reduce_config_selectorIiEEZNS1_11reduce_implILb1ES3_N6hipcub16HIPCUB_304000_NS22TransformInputIteratorIiN2at6native8internal21MapNumberOfTrueValuesEPKhlEEPiiNS8_6detail34convert_binary_result_type_wrapperISt4plusIvESG_iEEEE10hipError_tPvRmT1_T2_T3_mT4_P12ihipStream_tbEUlT_E1_NS1_11comp_targetILNS1_3genE5ELNS1_11target_archE942ELNS1_3gpuE9ELNS1_3repE0EEENS1_30default_config_static_selectorELNS0_4arch9wavefront6targetE1EEEvSQ_,"axG",@progbits,_ZN7rocprim17ROCPRIM_400000_NS6detail17trampoline_kernelINS0_14default_configENS1_22reduce_config_selectorIiEEZNS1_11reduce_implILb1ES3_N6hipcub16HIPCUB_304000_NS22TransformInputIteratorIiN2at6native8internal21MapNumberOfTrueValuesEPKhlEEPiiNS8_6detail34convert_binary_result_type_wrapperISt4plusIvESG_iEEEE10hipError_tPvRmT1_T2_T3_mT4_P12ihipStream_tbEUlT_E1_NS1_11comp_targetILNS1_3genE5ELNS1_11target_archE942ELNS1_3gpuE9ELNS1_3repE0EEENS1_30default_config_static_selectorELNS0_4arch9wavefront6targetE1EEEvSQ_,comdat
.Lfunc_end125:
	.size	_ZN7rocprim17ROCPRIM_400000_NS6detail17trampoline_kernelINS0_14default_configENS1_22reduce_config_selectorIiEEZNS1_11reduce_implILb1ES3_N6hipcub16HIPCUB_304000_NS22TransformInputIteratorIiN2at6native8internal21MapNumberOfTrueValuesEPKhlEEPiiNS8_6detail34convert_binary_result_type_wrapperISt4plusIvESG_iEEEE10hipError_tPvRmT1_T2_T3_mT4_P12ihipStream_tbEUlT_E1_NS1_11comp_targetILNS1_3genE5ELNS1_11target_archE942ELNS1_3gpuE9ELNS1_3repE0EEENS1_30default_config_static_selectorELNS0_4arch9wavefront6targetE1EEEvSQ_, .Lfunc_end125-_ZN7rocprim17ROCPRIM_400000_NS6detail17trampoline_kernelINS0_14default_configENS1_22reduce_config_selectorIiEEZNS1_11reduce_implILb1ES3_N6hipcub16HIPCUB_304000_NS22TransformInputIteratorIiN2at6native8internal21MapNumberOfTrueValuesEPKhlEEPiiNS8_6detail34convert_binary_result_type_wrapperISt4plusIvESG_iEEEE10hipError_tPvRmT1_T2_T3_mT4_P12ihipStream_tbEUlT_E1_NS1_11comp_targetILNS1_3genE5ELNS1_11target_archE942ELNS1_3gpuE9ELNS1_3repE0EEENS1_30default_config_static_selectorELNS0_4arch9wavefront6targetE1EEEvSQ_
                                        ; -- End function
	.section	.AMDGPU.csdata,"",@progbits
; Kernel info:
; codeLenInByte = 0
; NumSgprs: 4
; NumVgprs: 0
; NumAgprs: 0
; TotalNumVgprs: 0
; ScratchSize: 0
; MemoryBound: 0
; FloatMode: 240
; IeeeMode: 1
; LDSByteSize: 0 bytes/workgroup (compile time only)
; SGPRBlocks: 0
; VGPRBlocks: 0
; NumSGPRsForWavesPerEU: 4
; NumVGPRsForWavesPerEU: 1
; AccumOffset: 4
; Occupancy: 8
; WaveLimiterHint : 0
; COMPUTE_PGM_RSRC2:SCRATCH_EN: 0
; COMPUTE_PGM_RSRC2:USER_SGPR: 6
; COMPUTE_PGM_RSRC2:TRAP_HANDLER: 0
; COMPUTE_PGM_RSRC2:TGID_X_EN: 1
; COMPUTE_PGM_RSRC2:TGID_Y_EN: 0
; COMPUTE_PGM_RSRC2:TGID_Z_EN: 0
; COMPUTE_PGM_RSRC2:TIDIG_COMP_CNT: 0
; COMPUTE_PGM_RSRC3_GFX90A:ACCUM_OFFSET: 0
; COMPUTE_PGM_RSRC3_GFX90A:TG_SPLIT: 0
	.section	.text._ZN7rocprim17ROCPRIM_400000_NS6detail17trampoline_kernelINS0_14default_configENS1_22reduce_config_selectorIiEEZNS1_11reduce_implILb1ES3_N6hipcub16HIPCUB_304000_NS22TransformInputIteratorIiN2at6native8internal21MapNumberOfTrueValuesEPKhlEEPiiNS8_6detail34convert_binary_result_type_wrapperISt4plusIvESG_iEEEE10hipError_tPvRmT1_T2_T3_mT4_P12ihipStream_tbEUlT_E1_NS1_11comp_targetILNS1_3genE4ELNS1_11target_archE910ELNS1_3gpuE8ELNS1_3repE0EEENS1_30default_config_static_selectorELNS0_4arch9wavefront6targetE1EEEvSQ_,"axG",@progbits,_ZN7rocprim17ROCPRIM_400000_NS6detail17trampoline_kernelINS0_14default_configENS1_22reduce_config_selectorIiEEZNS1_11reduce_implILb1ES3_N6hipcub16HIPCUB_304000_NS22TransformInputIteratorIiN2at6native8internal21MapNumberOfTrueValuesEPKhlEEPiiNS8_6detail34convert_binary_result_type_wrapperISt4plusIvESG_iEEEE10hipError_tPvRmT1_T2_T3_mT4_P12ihipStream_tbEUlT_E1_NS1_11comp_targetILNS1_3genE4ELNS1_11target_archE910ELNS1_3gpuE8ELNS1_3repE0EEENS1_30default_config_static_selectorELNS0_4arch9wavefront6targetE1EEEvSQ_,comdat
	.protected	_ZN7rocprim17ROCPRIM_400000_NS6detail17trampoline_kernelINS0_14default_configENS1_22reduce_config_selectorIiEEZNS1_11reduce_implILb1ES3_N6hipcub16HIPCUB_304000_NS22TransformInputIteratorIiN2at6native8internal21MapNumberOfTrueValuesEPKhlEEPiiNS8_6detail34convert_binary_result_type_wrapperISt4plusIvESG_iEEEE10hipError_tPvRmT1_T2_T3_mT4_P12ihipStream_tbEUlT_E1_NS1_11comp_targetILNS1_3genE4ELNS1_11target_archE910ELNS1_3gpuE8ELNS1_3repE0EEENS1_30default_config_static_selectorELNS0_4arch9wavefront6targetE1EEEvSQ_ ; -- Begin function _ZN7rocprim17ROCPRIM_400000_NS6detail17trampoline_kernelINS0_14default_configENS1_22reduce_config_selectorIiEEZNS1_11reduce_implILb1ES3_N6hipcub16HIPCUB_304000_NS22TransformInputIteratorIiN2at6native8internal21MapNumberOfTrueValuesEPKhlEEPiiNS8_6detail34convert_binary_result_type_wrapperISt4plusIvESG_iEEEE10hipError_tPvRmT1_T2_T3_mT4_P12ihipStream_tbEUlT_E1_NS1_11comp_targetILNS1_3genE4ELNS1_11target_archE910ELNS1_3gpuE8ELNS1_3repE0EEENS1_30default_config_static_selectorELNS0_4arch9wavefront6targetE1EEEvSQ_
	.globl	_ZN7rocprim17ROCPRIM_400000_NS6detail17trampoline_kernelINS0_14default_configENS1_22reduce_config_selectorIiEEZNS1_11reduce_implILb1ES3_N6hipcub16HIPCUB_304000_NS22TransformInputIteratorIiN2at6native8internal21MapNumberOfTrueValuesEPKhlEEPiiNS8_6detail34convert_binary_result_type_wrapperISt4plusIvESG_iEEEE10hipError_tPvRmT1_T2_T3_mT4_P12ihipStream_tbEUlT_E1_NS1_11comp_targetILNS1_3genE4ELNS1_11target_archE910ELNS1_3gpuE8ELNS1_3repE0EEENS1_30default_config_static_selectorELNS0_4arch9wavefront6targetE1EEEvSQ_
	.p2align	8
	.type	_ZN7rocprim17ROCPRIM_400000_NS6detail17trampoline_kernelINS0_14default_configENS1_22reduce_config_selectorIiEEZNS1_11reduce_implILb1ES3_N6hipcub16HIPCUB_304000_NS22TransformInputIteratorIiN2at6native8internal21MapNumberOfTrueValuesEPKhlEEPiiNS8_6detail34convert_binary_result_type_wrapperISt4plusIvESG_iEEEE10hipError_tPvRmT1_T2_T3_mT4_P12ihipStream_tbEUlT_E1_NS1_11comp_targetILNS1_3genE4ELNS1_11target_archE910ELNS1_3gpuE8ELNS1_3repE0EEENS1_30default_config_static_selectorELNS0_4arch9wavefront6targetE1EEEvSQ_,@function
_ZN7rocprim17ROCPRIM_400000_NS6detail17trampoline_kernelINS0_14default_configENS1_22reduce_config_selectorIiEEZNS1_11reduce_implILb1ES3_N6hipcub16HIPCUB_304000_NS22TransformInputIteratorIiN2at6native8internal21MapNumberOfTrueValuesEPKhlEEPiiNS8_6detail34convert_binary_result_type_wrapperISt4plusIvESG_iEEEE10hipError_tPvRmT1_T2_T3_mT4_P12ihipStream_tbEUlT_E1_NS1_11comp_targetILNS1_3genE4ELNS1_11target_archE910ELNS1_3gpuE8ELNS1_3repE0EEENS1_30default_config_static_selectorELNS0_4arch9wavefront6targetE1EEEvSQ_: ; @_ZN7rocprim17ROCPRIM_400000_NS6detail17trampoline_kernelINS0_14default_configENS1_22reduce_config_selectorIiEEZNS1_11reduce_implILb1ES3_N6hipcub16HIPCUB_304000_NS22TransformInputIteratorIiN2at6native8internal21MapNumberOfTrueValuesEPKhlEEPiiNS8_6detail34convert_binary_result_type_wrapperISt4plusIvESG_iEEEE10hipError_tPvRmT1_T2_T3_mT4_P12ihipStream_tbEUlT_E1_NS1_11comp_targetILNS1_3genE4ELNS1_11target_archE910ELNS1_3gpuE8ELNS1_3repE0EEENS1_30default_config_static_selectorELNS0_4arch9wavefront6targetE1EEEvSQ_
; %bb.0:
	s_load_dword s33, s[4:5], 0x4
	s_load_dwordx2 s[40:41], s[4:5], 0x8
	s_load_dwordx4 s[36:39], s[4:5], 0x18
	s_waitcnt lgkmcnt(0)
	s_cmp_lt_i32 s33, 8
	s_cbranch_scc1 .LBB126_11
; %bb.1:
	s_cmp_gt_i32 s33, 15
	s_cbranch_scc0 .LBB126_12
; %bb.2:
	s_cmp_gt_i32 s33, 31
	s_cbranch_scc0 .LBB126_13
; %bb.3:
	s_cmp_eq_u32 s33, 32
	s_mov_b64 s[0:1], 0
	s_cbranch_scc0 .LBB126_14
; %bb.4:
	s_lshl_b32 s10, s6, 12
	s_lshr_b64 s[8:9], s[36:37], 12
	s_add_u32 s2, s40, s10
	s_mov_b32 s7, 0
	s_addc_u32 s3, s41, 0
	s_cmp_lg_u64 s[8:9], s[6:7]
	s_cbranch_scc0 .LBB126_23
; %bb.5:
	global_load_ubyte v1, v0, s[2:3]
	global_load_ubyte v2, v0, s[2:3] offset:256
	global_load_ubyte v3, v0, s[2:3] offset:512
	global_load_ubyte v4, v0, s[2:3] offset:768
	global_load_ubyte v5, v0, s[2:3] offset:1024
	global_load_ubyte v6, v0, s[2:3] offset:1280
	global_load_ubyte v7, v0, s[2:3] offset:1536
	global_load_ubyte v8, v0, s[2:3] offset:1792
	global_load_ubyte v9, v0, s[2:3] offset:2048
	global_load_ubyte v10, v0, s[2:3] offset:2304
	global_load_ubyte v11, v0, s[2:3] offset:2560
	global_load_ubyte v12, v0, s[2:3] offset:2816
	global_load_ubyte v13, v0, s[2:3] offset:3072
	global_load_ubyte v14, v0, s[2:3] offset:3328
	global_load_ubyte v15, v0, s[2:3] offset:3584
	global_load_ubyte v16, v0, s[2:3] offset:3840
	global_load_ubyte v17, v0, s[2:3] offset:128
	global_load_ubyte v18, v0, s[2:3] offset:384
	global_load_ubyte v19, v0, s[2:3] offset:640
	global_load_ubyte v20, v0, s[2:3] offset:896
	global_load_ubyte v21, v0, s[2:3] offset:1152
	global_load_ubyte v22, v0, s[2:3] offset:1408
	global_load_ubyte v23, v0, s[2:3] offset:1664
	global_load_ubyte v24, v0, s[2:3] offset:1920
	global_load_ubyte v25, v0, s[2:3] offset:2176
	global_load_ubyte v26, v0, s[2:3] offset:2432
	global_load_ubyte v27, v0, s[2:3] offset:2688
	global_load_ubyte v28, v0, s[2:3] offset:2944
	global_load_ubyte v29, v0, s[2:3] offset:3200
	global_load_ubyte v30, v0, s[2:3] offset:3456
	global_load_ubyte v31, v0, s[2:3] offset:3712
	global_load_ubyte v32, v0, s[2:3] offset:3968
	s_waitcnt vmcnt(31)
	v_cmp_ne_u16_e32 vcc, 0, v1
	v_cndmask_b32_e64 v1, 0, 1, vcc
	s_waitcnt vmcnt(30)
	v_cmp_ne_u16_e32 vcc, 0, v2
	v_cndmask_b32_e64 v2, 0, 1, vcc
	;; [unrolled: 3-line block ×16, first 2 shown]
	s_waitcnt vmcnt(15)
	v_cmp_ne_u16_e32 vcc, 0, v17
	v_addc_co_u32_e32 v1, vcc, 0, v1, vcc
	s_waitcnt vmcnt(14)
	v_cmp_ne_u16_e32 vcc, 0, v18
	v_addc_co_u32_e32 v1, vcc, v1, v2, vcc
	;; [unrolled: 3-line block ×16, first 2 shown]
	v_mbcnt_lo_u32_b32 v2, -1, 0
	s_nop 0
	v_add_u32_dpp v1, v1, v1 quad_perm:[1,0,3,2] row_mask:0xf bank_mask:0xf bound_ctrl:1
	v_mbcnt_hi_u32_b32 v2, -1, v2
	v_lshlrev_b32_e32 v3, 2, v2
	v_add_u32_dpp v1, v1, v1 quad_perm:[2,3,0,1] row_mask:0xf bank_mask:0xf bound_ctrl:1
	v_or_b32_e32 v4, 0xfc, v3
	v_cmp_eq_u32_e32 vcc, 0, v2
	v_add_u32_dpp v1, v1, v1 row_ror:4 row_mask:0xf bank_mask:0xf bound_ctrl:1
	s_nop 1
	v_add_u32_dpp v1, v1, v1 row_ror:8 row_mask:0xf bank_mask:0xf bound_ctrl:1
	s_nop 1
	v_add_u32_dpp v1, v1, v1 row_bcast:15 row_mask:0xf bank_mask:0xf bound_ctrl:1
	s_nop 1
	v_add_u32_dpp v1, v1, v1 row_bcast:31 row_mask:0xf bank_mask:0xf bound_ctrl:1
	ds_bpermute_b32 v1, v4, v1
	s_and_saveexec_b64 s[8:9], vcc
	s_cbranch_execz .LBB126_7
; %bb.6:
	v_lshrrev_b32_e32 v4, 4, v0
	v_and_b32_e32 v4, 4, v4
	s_waitcnt lgkmcnt(0)
	ds_write_b32 v4, v1 offset:24
.LBB126_7:
	s_or_b64 exec, exec, s[8:9]
	v_cmp_gt_u32_e32 vcc, 64, v0
	s_waitcnt lgkmcnt(0)
	s_barrier
	s_and_saveexec_b64 s[8:9], vcc
	s_cbranch_execz .LBB126_9
; %bb.8:
	v_and_b32_e32 v1, 1, v2
	v_lshlrev_b32_e32 v1, 2, v1
	ds_read_b32 v1, v1 offset:24
	v_or_b32_e32 v2, 4, v3
	s_waitcnt lgkmcnt(0)
	ds_bpermute_b32 v2, v2, v1
	s_waitcnt lgkmcnt(0)
	v_add_u32_e32 v1, v2, v1
.LBB126_9:
	s_or_b64 exec, exec, s[8:9]
.LBB126_10:
	v_cmp_eq_u32_e64 s[2:3], 0, v0
	s_and_b64 vcc, exec, s[0:1]
	s_cbranch_vccnz .LBB126_15
	s_branch .LBB126_93
.LBB126_11:
	s_mov_b64 s[2:3], 0
                                        ; implicit-def: $vgpr1
	s_cbranch_execnz .LBB126_166
	s_branch .LBB126_224
.LBB126_12:
	s_mov_b64 s[2:3], 0
                                        ; implicit-def: $vgpr1
	s_cbranch_execnz .LBB126_134
	s_branch .LBB126_142
.LBB126_13:
	s_mov_b64 s[0:1], -1
.LBB126_14:
	s_mov_b64 s[2:3], 0
                                        ; implicit-def: $vgpr1
	s_and_b64 vcc, exec, s[0:1]
	s_cbranch_vccz .LBB126_93
.LBB126_15:
	s_cmp_eq_u32 s33, 16
	s_cbranch_scc0 .LBB126_22
; %bb.16:
	s_lshl_b32 s2, s6, 11
	s_lshr_b64 s[0:1], s[36:37], 11
	s_add_u32 s34, s40, s2
	s_mov_b32 s7, 0
	s_addc_u32 s35, s41, 0
	s_cmp_lg_u64 s[0:1], s[6:7]
	s_cbranch_scc0 .LBB126_94
; %bb.17:
	global_load_ubyte v1, v0, s[34:35]
	global_load_ubyte v4, v0, s[34:35] offset:256
	global_load_ubyte v5, v0, s[34:35] offset:512
	;; [unrolled: 1-line block ×15, first 2 shown]
	v_mbcnt_lo_u32_b32 v2, -1, 0
	v_mbcnt_hi_u32_b32 v2, -1, v2
	v_lshlrev_b32_e32 v3, 2, v2
	s_waitcnt vmcnt(15)
	v_cmp_ne_u16_e32 vcc, 0, v1
	v_cndmask_b32_e64 v1, 0, 1, vcc
	s_waitcnt vmcnt(14)
	v_cmp_ne_u16_e32 vcc, 0, v4
	v_cndmask_b32_e64 v4, 0, 1, vcc
	;; [unrolled: 3-line block ×8, first 2 shown]
	s_waitcnt vmcnt(7)
	v_cmp_ne_u16_e32 vcc, 0, v11
	v_addc_co_u32_e32 v1, vcc, 0, v1, vcc
	s_waitcnt vmcnt(6)
	v_cmp_ne_u16_e32 vcc, 0, v12
	v_addc_co_u32_e32 v1, vcc, v1, v4, vcc
	;; [unrolled: 3-line block ×8, first 2 shown]
	v_or_b32_e32 v4, 0xfc, v3
	s_nop 0
	v_add_u32_dpp v1, v1, v1 quad_perm:[1,0,3,2] row_mask:0xf bank_mask:0xf bound_ctrl:1
	v_cmp_eq_u32_e32 vcc, 0, v2
	s_nop 0
	v_add_u32_dpp v1, v1, v1 quad_perm:[2,3,0,1] row_mask:0xf bank_mask:0xf bound_ctrl:1
	s_nop 1
	v_add_u32_dpp v1, v1, v1 row_ror:4 row_mask:0xf bank_mask:0xf bound_ctrl:1
	s_nop 1
	v_add_u32_dpp v1, v1, v1 row_ror:8 row_mask:0xf bank_mask:0xf bound_ctrl:1
	s_nop 1
	v_add_u32_dpp v1, v1, v1 row_bcast:15 row_mask:0xf bank_mask:0xf bound_ctrl:1
	s_nop 1
	v_add_u32_dpp v1, v1, v1 row_bcast:31 row_mask:0xf bank_mask:0xf bound_ctrl:1
	ds_bpermute_b32 v1, v4, v1
	s_and_saveexec_b64 s[0:1], vcc
	s_cbranch_execz .LBB126_19
; %bb.18:
	v_lshrrev_b32_e32 v4, 4, v0
	v_and_b32_e32 v4, 4, v4
	s_waitcnt lgkmcnt(0)
	ds_write_b32 v4, v1
.LBB126_19:
	s_or_b64 exec, exec, s[0:1]
	v_cmp_gt_u32_e32 vcc, 64, v0
	s_waitcnt lgkmcnt(0)
	s_barrier
	s_and_saveexec_b64 s[0:1], vcc
	s_cbranch_execz .LBB126_21
; %bb.20:
	v_and_b32_e32 v1, 1, v2
	v_lshlrev_b32_e32 v1, 2, v1
	ds_read_b32 v1, v1
	v_or_b32_e32 v2, 4, v3
	s_waitcnt lgkmcnt(0)
	ds_bpermute_b32 v2, v2, v1
	s_waitcnt lgkmcnt(0)
	v_add_u32_e32 v1, v2, v1
.LBB126_21:
	s_or_b64 exec, exec, s[0:1]
	s_mov_b64 s[0:1], 0
	s_branch .LBB126_95
.LBB126_22:
                                        ; implicit-def: $vgpr1
	s_branch .LBB126_142
.LBB126_23:
                                        ; implicit-def: $vgpr1
	s_cbranch_execz .LBB126_10
; %bb.24:
	s_sub_i32 s10, s36, s10
	v_cmp_gt_u32_e32 vcc, s10, v0
                                        ; implicit-def: $vgpr1
	s_and_saveexec_b64 s[8:9], vcc
	s_cbranch_execz .LBB126_26
; %bb.25:
	global_load_ubyte v1, v0, s[2:3]
	s_waitcnt vmcnt(0)
	v_cmp_ne_u16_e32 vcc, 0, v1
	v_cndmask_b32_e64 v1, 0, 1, vcc
.LBB126_26:
	s_or_b64 exec, exec, s[8:9]
	v_or_b32_e32 v2, 0x80, v0
	v_cmp_gt_u32_e32 vcc, s10, v2
	v_mov_b32_e32 v2, 0
	v_mov_b32_e32 v3, 0
	s_and_saveexec_b64 s[8:9], vcc
	s_cbranch_execz .LBB126_28
; %bb.27:
	global_load_ubyte v3, v0, s[2:3] offset:128
	s_waitcnt vmcnt(0)
	v_cmp_ne_u16_e32 vcc, 0, v3
	v_cndmask_b32_e64 v3, 0, 1, vcc
.LBB126_28:
	s_or_b64 exec, exec, s[8:9]
	v_or_b32_e32 v4, 0x100, v0
	v_cmp_gt_u32_e32 vcc, s10, v4
	s_and_saveexec_b64 s[8:9], vcc
	s_cbranch_execz .LBB126_30
; %bb.29:
	global_load_ubyte v2, v0, s[2:3] offset:256
	s_waitcnt vmcnt(0)
	v_cmp_ne_u16_e32 vcc, 0, v2
	v_cndmask_b32_e64 v2, 0, 1, vcc
.LBB126_30:
	s_or_b64 exec, exec, s[8:9]
	v_or_b32_e32 v4, 0x180, v0
	v_cmp_gt_u32_e32 vcc, s10, v4
	v_mov_b32_e32 v4, 0
	v_mov_b32_e32 v5, 0
	s_and_saveexec_b64 s[8:9], vcc
	s_cbranch_execz .LBB126_32
; %bb.31:
	global_load_ubyte v5, v0, s[2:3] offset:384
	s_waitcnt vmcnt(0)
	v_cmp_ne_u16_e32 vcc, 0, v5
	v_cndmask_b32_e64 v5, 0, 1, vcc
.LBB126_32:
	s_or_b64 exec, exec, s[8:9]
	v_or_b32_e32 v6, 0x200, v0
	v_cmp_gt_u32_e32 vcc, s10, v6
	s_and_saveexec_b64 s[8:9], vcc
	s_cbranch_execz .LBB126_34
; %bb.33:
	global_load_ubyte v4, v0, s[2:3] offset:512
	s_waitcnt vmcnt(0)
	v_cmp_ne_u16_e32 vcc, 0, v4
	v_cndmask_b32_e64 v4, 0, 1, vcc
.LBB126_34:
	;; [unrolled: 24-line block ×15, first 2 shown]
	s_or_b64 exec, exec, s[8:9]
	v_or_b32_e32 v32, 0xf80, v0
	v_cmp_gt_u32_e32 vcc, s10, v32
	v_mov_b32_e32 v32, 0
	s_and_saveexec_b64 s[8:9], vcc
	s_cbranch_execz .LBB126_88
; %bb.87:
	global_load_ubyte v32, v0, s[2:3] offset:3968
	s_waitcnt vmcnt(0)
	v_cmp_ne_u16_e32 vcc, 0, v32
	v_cndmask_b32_e64 v32, 0, 1, vcc
.LBB126_88:
	s_or_b64 exec, exec, s[8:9]
	v_add_u32_e32 v1, v3, v1
	v_add3_u32 v1, v1, v2, v5
	v_add3_u32 v1, v1, v4, v7
	;; [unrolled: 1-line block ×10, first 2 shown]
	v_mbcnt_lo_u32_b32 v2, -1, 0
	v_add3_u32 v1, v1, v22, v25
	v_mbcnt_hi_u32_b32 v2, -1, v2
	v_add3_u32 v1, v1, v24, v27
	v_and_b32_e32 v3, 63, v2
	v_add3_u32 v1, v1, v26, v29
	v_cmp_ne_u32_e32 vcc, 63, v3
	v_add3_u32 v1, v1, v28, v31
	v_addc_co_u32_e32 v4, vcc, 0, v2, vcc
	v_add3_u32 v1, v1, v30, v32
	v_lshlrev_b32_e32 v4, 2, v4
	ds_bpermute_b32 v4, v4, v1
	s_min_u32 s8, s10, 0x80
	v_and_b32_e32 v5, 64, v0
	v_sub_u32_e64 v5, s8, v5 clamp
	v_add_u32_e32 v6, 1, v3
	v_cmp_lt_u32_e32 vcc, v6, v5
	s_waitcnt lgkmcnt(0)
	v_cndmask_b32_e32 v4, 0, v4, vcc
	v_cmp_gt_u32_e32 vcc, 62, v3
	v_add_u32_e32 v1, v4, v1
	v_cndmask_b32_e64 v4, 0, 1, vcc
	v_lshlrev_b32_e32 v4, 1, v4
	v_add_lshl_u32 v4, v4, v2, 2
	ds_bpermute_b32 v4, v4, v1
	v_add_u32_e32 v6, 2, v3
	v_cmp_lt_u32_e32 vcc, v6, v5
	v_add_u32_e32 v6, 4, v3
	s_waitcnt lgkmcnt(0)
	v_cndmask_b32_e32 v4, 0, v4, vcc
	v_cmp_gt_u32_e32 vcc, 60, v3
	v_add_u32_e32 v1, v1, v4
	v_cndmask_b32_e64 v4, 0, 1, vcc
	v_lshlrev_b32_e32 v4, 2, v4
	v_add_lshl_u32 v4, v4, v2, 2
	ds_bpermute_b32 v4, v4, v1
	v_cmp_lt_u32_e32 vcc, v6, v5
	v_add_u32_e32 v6, 8, v3
	s_waitcnt lgkmcnt(0)
	v_cndmask_b32_e32 v4, 0, v4, vcc
	v_cmp_gt_u32_e32 vcc, 56, v3
	v_add_u32_e32 v1, v1, v4
	v_cndmask_b32_e64 v4, 0, 1, vcc
	v_lshlrev_b32_e32 v4, 3, v4
	v_add_lshl_u32 v4, v4, v2, 2
	ds_bpermute_b32 v4, v4, v1
	;; [unrolled: 10-line block ×3, first 2 shown]
	v_cmp_lt_u32_e32 vcc, v6, v5
	s_waitcnt lgkmcnt(0)
	v_cndmask_b32_e32 v4, 0, v4, vcc
	v_cmp_gt_u32_e32 vcc, 32, v3
	v_add_u32_e32 v1, v1, v4
	v_cndmask_b32_e64 v4, 0, 1, vcc
	v_lshlrev_b32_e32 v4, 5, v4
	v_add_lshl_u32 v4, v4, v2, 2
	ds_bpermute_b32 v4, v4, v1
	v_add_u32_e32 v3, 32, v3
	v_cmp_lt_u32_e32 vcc, v3, v5
	s_waitcnt lgkmcnt(0)
	v_cndmask_b32_e32 v3, 0, v4, vcc
	v_add_u32_e32 v1, v1, v3
	v_cmp_eq_u32_e32 vcc, 0, v2
	s_and_saveexec_b64 s[2:3], vcc
	s_cbranch_execz .LBB126_90
; %bb.89:
	v_lshrrev_b32_e32 v3, 4, v0
	v_and_b32_e32 v3, 4, v3
	ds_write_b32 v3, v1 offset:48
.LBB126_90:
	s_or_b64 exec, exec, s[2:3]
	v_cmp_gt_u32_e32 vcc, 2, v0
	s_waitcnt lgkmcnt(0)
	s_barrier
	s_and_saveexec_b64 s[2:3], vcc
	s_cbranch_execz .LBB126_92
; %bb.91:
	v_lshlrev_b32_e32 v1, 2, v2
	ds_read_b32 v3, v1 offset:48
	v_or_b32_e32 v1, 4, v1
	s_add_i32 s8, s8, 63
	v_and_b32_e32 v2, 1, v2
	s_lshr_b32 s8, s8, 6
	s_waitcnt lgkmcnt(0)
	ds_bpermute_b32 v1, v1, v3
	v_add_u32_e32 v2, 1, v2
	v_cmp_gt_u32_e32 vcc, s8, v2
	s_waitcnt lgkmcnt(0)
	v_cndmask_b32_e32 v1, 0, v1, vcc
	v_add_u32_e32 v1, v1, v3
.LBB126_92:
	s_or_b64 exec, exec, s[2:3]
	v_cmp_eq_u32_e64 s[2:3], 0, v0
	s_and_b64 vcc, exec, s[0:1]
	s_cbranch_vccnz .LBB126_15
.LBB126_93:
	s_branch .LBB126_142
.LBB126_94:
	s_mov_b64 s[0:1], -1
                                        ; implicit-def: $vgpr1
.LBB126_95:
	s_and_b64 vcc, exec, s[0:1]
	s_cbranch_vccz .LBB126_133
; %bb.96:
	s_sub_i32 s44, s36, s2
	v_cmp_gt_u32_e32 vcc, s44, v0
                                        ; implicit-def: $vgpr2_vgpr3_vgpr4_vgpr5_vgpr6_vgpr7_vgpr8_vgpr9_vgpr10_vgpr11_vgpr12_vgpr13_vgpr14_vgpr15_vgpr16_vgpr17
	s_and_saveexec_b64 s[0:1], vcc
	s_cbranch_execz .LBB126_98
; %bb.97:
	global_load_ubyte v1, v0, s[34:35]
	s_waitcnt vmcnt(0)
	v_cmp_ne_u16_e32 vcc, 0, v1
	v_cndmask_b32_e64 v2, 0, 1, vcc
.LBB126_98:
	s_or_b64 exec, exec, s[0:1]
	v_or_b32_e32 v1, 0x80, v0
	v_cmp_gt_u32_e32 vcc, s44, v1
	s_and_saveexec_b64 s[2:3], vcc
	s_cbranch_execz .LBB126_100
; %bb.99:
	global_load_ubyte v1, v0, s[34:35] offset:128
	s_waitcnt vmcnt(0)
	v_cmp_ne_u16_e64 s[0:1], 0, v1
	v_cndmask_b32_e64 v3, 0, 1, s[0:1]
.LBB126_100:
	s_or_b64 exec, exec, s[2:3]
	v_or_b32_e32 v1, 0x100, v0
	v_cmp_gt_u32_e64 s[0:1], s44, v1
	s_and_saveexec_b64 s[8:9], s[0:1]
	s_cbranch_execz .LBB126_102
; %bb.101:
	global_load_ubyte v1, v0, s[34:35] offset:256
	s_waitcnt vmcnt(0)
	v_cmp_ne_u16_e64 s[2:3], 0, v1
	v_cndmask_b32_e64 v4, 0, 1, s[2:3]
.LBB126_102:
	s_or_b64 exec, exec, s[8:9]
	v_or_b32_e32 v1, 0x180, v0
	v_cmp_gt_u32_e64 s[2:3], s44, v1
	s_and_saveexec_b64 s[10:11], s[2:3]
	;; [unrolled: 11-line block ×14, first 2 shown]
	s_cbranch_execz .LBB126_128
; %bb.127:
	global_load_ubyte v1, v0, s[34:35] offset:1920
	s_waitcnt vmcnt(0)
	v_cmp_ne_u16_e64 s[34:35], 0, v1
	v_cndmask_b32_e64 v17, 0, 1, s[34:35]
.LBB126_128:
	s_or_b64 exec, exec, s[42:43]
	v_cndmask_b32_e32 v1, 0, v3, vcc
	v_add_u32_e32 v1, v1, v2
	v_cndmask_b32_e64 v2, 0, v4, s[0:1]
	v_cndmask_b32_e64 v3, 0, v5, s[2:3]
	v_add3_u32 v1, v1, v2, v3
	v_cndmask_b32_e64 v2, 0, v6, s[8:9]
	v_cndmask_b32_e64 v3, 0, v7, s[10:11]
	v_add3_u32 v1, v1, v2, v3
	;; [unrolled: 3-line block ×7, first 2 shown]
	v_mbcnt_lo_u32_b32 v2, -1, 0
	v_mbcnt_hi_u32_b32 v2, -1, v2
	v_and_b32_e32 v3, 63, v2
	v_cmp_ne_u32_e32 vcc, 63, v3
	v_addc_co_u32_e32 v4, vcc, 0, v2, vcc
	v_lshlrev_b32_e32 v4, 2, v4
	ds_bpermute_b32 v4, v4, v1
	s_min_u32 s2, s44, 0x80
	v_and_b32_e32 v5, 64, v0
	v_sub_u32_e64 v5, s2, v5 clamp
	v_add_u32_e32 v6, 1, v3
	v_cmp_lt_u32_e32 vcc, v6, v5
	s_waitcnt lgkmcnt(0)
	v_cndmask_b32_e32 v4, 0, v4, vcc
	v_cmp_gt_u32_e32 vcc, 62, v3
	v_add_u32_e32 v1, v1, v4
	v_cndmask_b32_e64 v4, 0, 1, vcc
	v_lshlrev_b32_e32 v4, 1, v4
	v_add_lshl_u32 v4, v4, v2, 2
	ds_bpermute_b32 v4, v4, v1
	v_add_u32_e32 v6, 2, v3
	v_cmp_lt_u32_e32 vcc, v6, v5
	v_add_u32_e32 v6, 4, v3
	s_waitcnt lgkmcnt(0)
	v_cndmask_b32_e32 v4, 0, v4, vcc
	v_cmp_gt_u32_e32 vcc, 60, v3
	v_add_u32_e32 v1, v1, v4
	v_cndmask_b32_e64 v4, 0, 1, vcc
	v_lshlrev_b32_e32 v4, 2, v4
	v_add_lshl_u32 v4, v4, v2, 2
	ds_bpermute_b32 v4, v4, v1
	v_cmp_lt_u32_e32 vcc, v6, v5
	v_add_u32_e32 v6, 8, v3
	s_waitcnt lgkmcnt(0)
	v_cndmask_b32_e32 v4, 0, v4, vcc
	v_cmp_gt_u32_e32 vcc, 56, v3
	v_add_u32_e32 v1, v1, v4
	v_cndmask_b32_e64 v4, 0, 1, vcc
	v_lshlrev_b32_e32 v4, 3, v4
	v_add_lshl_u32 v4, v4, v2, 2
	ds_bpermute_b32 v4, v4, v1
	;; [unrolled: 10-line block ×3, first 2 shown]
	v_cmp_lt_u32_e32 vcc, v6, v5
	s_waitcnt lgkmcnt(0)
	v_cndmask_b32_e32 v4, 0, v4, vcc
	v_cmp_gt_u32_e32 vcc, 32, v3
	v_add_u32_e32 v1, v1, v4
	v_cndmask_b32_e64 v4, 0, 1, vcc
	v_lshlrev_b32_e32 v4, 5, v4
	v_add_lshl_u32 v4, v4, v2, 2
	ds_bpermute_b32 v4, v4, v1
	v_add_u32_e32 v3, 32, v3
	v_cmp_lt_u32_e32 vcc, v3, v5
	s_waitcnt lgkmcnt(0)
	v_cndmask_b32_e32 v3, 0, v4, vcc
	v_add_u32_e32 v1, v1, v3
	v_cmp_eq_u32_e32 vcc, 0, v2
	s_and_saveexec_b64 s[0:1], vcc
	s_cbranch_execz .LBB126_130
; %bb.129:
	v_lshrrev_b32_e32 v3, 4, v0
	v_and_b32_e32 v3, 4, v3
	ds_write_b32 v3, v1 offset:48
.LBB126_130:
	s_or_b64 exec, exec, s[0:1]
	v_cmp_gt_u32_e32 vcc, 2, v0
	s_waitcnt lgkmcnt(0)
	s_barrier
	s_and_saveexec_b64 s[0:1], vcc
	s_cbranch_execz .LBB126_132
; %bb.131:
	v_lshlrev_b32_e32 v1, 2, v2
	ds_read_b32 v3, v1 offset:48
	v_or_b32_e32 v1, 4, v1
	s_add_i32 s2, s2, 63
	v_and_b32_e32 v2, 1, v2
	s_lshr_b32 s2, s2, 6
	s_waitcnt lgkmcnt(0)
	ds_bpermute_b32 v1, v1, v3
	v_add_u32_e32 v2, 1, v2
	v_cmp_gt_u32_e32 vcc, s2, v2
	s_waitcnt lgkmcnt(0)
	v_cndmask_b32_e32 v1, 0, v1, vcc
	v_add_u32_e32 v1, v1, v3
.LBB126_132:
	s_or_b64 exec, exec, s[0:1]
.LBB126_133:
	v_cmp_eq_u32_e64 s[2:3], 0, v0
	s_branch .LBB126_142
.LBB126_134:
	s_cmp_eq_u32 s33, 8
	s_cbranch_scc0 .LBB126_141
; %bb.135:
	s_lshl_b32 s2, s6, 10
	s_lshr_b64 s[0:1], s[36:37], 10
	s_add_u32 s16, s40, s2
	s_mov_b32 s7, 0
	s_addc_u32 s17, s41, 0
	s_cmp_lg_u64 s[0:1], s[6:7]
	s_cbranch_scc0 .LBB126_143
; %bb.136:
	global_load_ubyte v1, v0, s[16:17]
	global_load_ubyte v4, v0, s[16:17] offset:256
	global_load_ubyte v5, v0, s[16:17] offset:512
	;; [unrolled: 1-line block ×7, first 2 shown]
	v_mbcnt_lo_u32_b32 v2, -1, 0
	v_mbcnt_hi_u32_b32 v2, -1, v2
	v_lshlrev_b32_e32 v3, 2, v2
	s_waitcnt vmcnt(7)
	v_cmp_ne_u16_e32 vcc, 0, v1
	v_cndmask_b32_e64 v1, 0, 1, vcc
	s_waitcnt vmcnt(6)
	v_cmp_ne_u16_e32 vcc, 0, v4
	v_cndmask_b32_e64 v4, 0, 1, vcc
	s_waitcnt vmcnt(5)
	v_cmp_ne_u16_e32 vcc, 0, v5
	v_cndmask_b32_e64 v5, 0, 1, vcc
	s_waitcnt vmcnt(4)
	v_cmp_ne_u16_e32 vcc, 0, v6
	v_cndmask_b32_e64 v6, 0, 1, vcc
	s_waitcnt vmcnt(3)
	v_cmp_ne_u16_e32 vcc, 0, v7
	v_addc_co_u32_e32 v1, vcc, 0, v1, vcc
	s_waitcnt vmcnt(2)
	v_cmp_ne_u16_e32 vcc, 0, v8
	v_addc_co_u32_e32 v1, vcc, v1, v4, vcc
	;; [unrolled: 3-line block ×4, first 2 shown]
	v_or_b32_e32 v4, 0xfc, v3
	s_nop 0
	v_add_u32_dpp v1, v1, v1 quad_perm:[1,0,3,2] row_mask:0xf bank_mask:0xf bound_ctrl:1
	v_cmp_eq_u32_e32 vcc, 0, v2
	s_nop 0
	v_add_u32_dpp v1, v1, v1 quad_perm:[2,3,0,1] row_mask:0xf bank_mask:0xf bound_ctrl:1
	s_nop 1
	v_add_u32_dpp v1, v1, v1 row_ror:4 row_mask:0xf bank_mask:0xf bound_ctrl:1
	s_nop 1
	v_add_u32_dpp v1, v1, v1 row_ror:8 row_mask:0xf bank_mask:0xf bound_ctrl:1
	s_nop 1
	v_add_u32_dpp v1, v1, v1 row_bcast:15 row_mask:0xf bank_mask:0xf bound_ctrl:1
	s_nop 1
	v_add_u32_dpp v1, v1, v1 row_bcast:31 row_mask:0xf bank_mask:0xf bound_ctrl:1
	ds_bpermute_b32 v1, v4, v1
	s_and_saveexec_b64 s[0:1], vcc
	s_cbranch_execz .LBB126_138
; %bb.137:
	v_lshrrev_b32_e32 v4, 4, v0
	v_and_b32_e32 v4, 4, v4
	s_waitcnt lgkmcnt(0)
	ds_write_b32 v4, v1 offset:40
.LBB126_138:
	s_or_b64 exec, exec, s[0:1]
	v_cmp_gt_u32_e32 vcc, 64, v0
	s_waitcnt lgkmcnt(0)
	s_barrier
	s_and_saveexec_b64 s[0:1], vcc
	s_cbranch_execz .LBB126_140
; %bb.139:
	v_and_b32_e32 v1, 1, v2
	v_lshlrev_b32_e32 v1, 2, v1
	ds_read_b32 v1, v1 offset:40
	v_or_b32_e32 v2, 4, v3
	s_waitcnt lgkmcnt(0)
	ds_bpermute_b32 v2, v2, v1
	s_waitcnt lgkmcnt(0)
	v_add_u32_e32 v1, v2, v1
.LBB126_140:
	s_or_b64 exec, exec, s[0:1]
	s_branch .LBB126_165
.LBB126_141:
                                        ; implicit-def: $vgpr1
.LBB126_142:
	s_branch .LBB126_224
.LBB126_143:
                                        ; implicit-def: $vgpr1
	s_cbranch_execz .LBB126_165
; %bb.144:
	s_sub_i32 s20, s36, s2
	v_cmp_gt_u32_e32 vcc, s20, v0
                                        ; implicit-def: $vgpr2_vgpr3_vgpr4_vgpr5_vgpr6_vgpr7_vgpr8_vgpr9
	s_and_saveexec_b64 s[0:1], vcc
	s_cbranch_execz .LBB126_146
; %bb.145:
	global_load_ubyte v1, v0, s[16:17]
	s_waitcnt vmcnt(0)
	v_cmp_ne_u16_e32 vcc, 0, v1
	v_cndmask_b32_e64 v2, 0, 1, vcc
.LBB126_146:
	s_or_b64 exec, exec, s[0:1]
	v_or_b32_e32 v1, 0x80, v0
	v_cmp_gt_u32_e32 vcc, s20, v1
	s_and_saveexec_b64 s[2:3], vcc
	s_cbranch_execz .LBB126_148
; %bb.147:
	global_load_ubyte v1, v0, s[16:17] offset:128
	s_waitcnt vmcnt(0)
	v_cmp_ne_u16_e64 s[0:1], 0, v1
	v_cndmask_b32_e64 v3, 0, 1, s[0:1]
.LBB126_148:
	s_or_b64 exec, exec, s[2:3]
	v_or_b32_e32 v1, 0x100, v0
	v_cmp_gt_u32_e64 s[0:1], s20, v1
	s_and_saveexec_b64 s[8:9], s[0:1]
	s_cbranch_execz .LBB126_150
; %bb.149:
	global_load_ubyte v1, v0, s[16:17] offset:256
	s_waitcnt vmcnt(0)
	v_cmp_ne_u16_e64 s[2:3], 0, v1
	v_cndmask_b32_e64 v4, 0, 1, s[2:3]
.LBB126_150:
	s_or_b64 exec, exec, s[8:9]
	v_or_b32_e32 v1, 0x180, v0
	v_cmp_gt_u32_e64 s[2:3], s20, v1
	s_and_saveexec_b64 s[10:11], s[2:3]
	;; [unrolled: 11-line block ×6, first 2 shown]
	s_cbranch_execz .LBB126_160
; %bb.159:
	global_load_ubyte v1, v0, s[16:17] offset:896
	s_waitcnt vmcnt(0)
	v_cmp_ne_u16_e64 s[16:17], 0, v1
	v_cndmask_b32_e64 v9, 0, 1, s[16:17]
.LBB126_160:
	s_or_b64 exec, exec, s[18:19]
	v_cndmask_b32_e32 v1, 0, v3, vcc
	v_add_u32_e32 v1, v1, v2
	v_cndmask_b32_e64 v2, 0, v4, s[0:1]
	v_cndmask_b32_e64 v3, 0, v5, s[2:3]
	v_add3_u32 v1, v1, v2, v3
	v_cndmask_b32_e64 v2, 0, v6, s[8:9]
	v_cndmask_b32_e64 v3, 0, v7, s[10:11]
	v_add3_u32 v1, v1, v2, v3
	;; [unrolled: 3-line block ×3, first 2 shown]
	v_mbcnt_lo_u32_b32 v2, -1, 0
	v_mbcnt_hi_u32_b32 v2, -1, v2
	v_and_b32_e32 v3, 63, v2
	v_cmp_ne_u32_e32 vcc, 63, v3
	v_addc_co_u32_e32 v4, vcc, 0, v2, vcc
	v_lshlrev_b32_e32 v4, 2, v4
	ds_bpermute_b32 v4, v4, v1
	s_min_u32 s2, s20, 0x80
	v_and_b32_e32 v5, 64, v0
	v_sub_u32_e64 v5, s2, v5 clamp
	v_add_u32_e32 v6, 1, v3
	v_cmp_lt_u32_e32 vcc, v6, v5
	s_waitcnt lgkmcnt(0)
	v_cndmask_b32_e32 v4, 0, v4, vcc
	v_cmp_gt_u32_e32 vcc, 62, v3
	v_add_u32_e32 v1, v1, v4
	v_cndmask_b32_e64 v4, 0, 1, vcc
	v_lshlrev_b32_e32 v4, 1, v4
	v_add_lshl_u32 v4, v4, v2, 2
	ds_bpermute_b32 v4, v4, v1
	v_add_u32_e32 v6, 2, v3
	v_cmp_lt_u32_e32 vcc, v6, v5
	v_add_u32_e32 v6, 4, v3
	s_waitcnt lgkmcnt(0)
	v_cndmask_b32_e32 v4, 0, v4, vcc
	v_cmp_gt_u32_e32 vcc, 60, v3
	v_add_u32_e32 v1, v1, v4
	v_cndmask_b32_e64 v4, 0, 1, vcc
	v_lshlrev_b32_e32 v4, 2, v4
	v_add_lshl_u32 v4, v4, v2, 2
	ds_bpermute_b32 v4, v4, v1
	v_cmp_lt_u32_e32 vcc, v6, v5
	v_add_u32_e32 v6, 8, v3
	s_waitcnt lgkmcnt(0)
	v_cndmask_b32_e32 v4, 0, v4, vcc
	v_cmp_gt_u32_e32 vcc, 56, v3
	v_add_u32_e32 v1, v1, v4
	v_cndmask_b32_e64 v4, 0, 1, vcc
	v_lshlrev_b32_e32 v4, 3, v4
	v_add_lshl_u32 v4, v4, v2, 2
	ds_bpermute_b32 v4, v4, v1
	;; [unrolled: 10-line block ×3, first 2 shown]
	v_cmp_lt_u32_e32 vcc, v6, v5
	s_waitcnt lgkmcnt(0)
	v_cndmask_b32_e32 v4, 0, v4, vcc
	v_cmp_gt_u32_e32 vcc, 32, v3
	v_add_u32_e32 v1, v1, v4
	v_cndmask_b32_e64 v4, 0, 1, vcc
	v_lshlrev_b32_e32 v4, 5, v4
	v_add_lshl_u32 v4, v4, v2, 2
	ds_bpermute_b32 v4, v4, v1
	v_add_u32_e32 v3, 32, v3
	v_cmp_lt_u32_e32 vcc, v3, v5
	s_waitcnt lgkmcnt(0)
	v_cndmask_b32_e32 v3, 0, v4, vcc
	v_add_u32_e32 v1, v1, v3
	v_cmp_eq_u32_e32 vcc, 0, v2
	s_and_saveexec_b64 s[0:1], vcc
	s_cbranch_execz .LBB126_162
; %bb.161:
	v_lshrrev_b32_e32 v3, 4, v0
	v_and_b32_e32 v3, 4, v3
	ds_write_b32 v3, v1 offset:48
.LBB126_162:
	s_or_b64 exec, exec, s[0:1]
	v_cmp_gt_u32_e32 vcc, 2, v0
	s_waitcnt lgkmcnt(0)
	s_barrier
	s_and_saveexec_b64 s[0:1], vcc
	s_cbranch_execz .LBB126_164
; %bb.163:
	v_lshlrev_b32_e32 v1, 2, v2
	ds_read_b32 v3, v1 offset:48
	v_or_b32_e32 v1, 4, v1
	s_add_i32 s2, s2, 63
	v_and_b32_e32 v2, 1, v2
	s_lshr_b32 s2, s2, 6
	s_waitcnt lgkmcnt(0)
	ds_bpermute_b32 v1, v1, v3
	v_add_u32_e32 v2, 1, v2
	v_cmp_gt_u32_e32 vcc, s2, v2
	s_waitcnt lgkmcnt(0)
	v_cndmask_b32_e32 v1, 0, v1, vcc
	v_add_u32_e32 v1, v1, v3
.LBB126_164:
	s_or_b64 exec, exec, s[0:1]
.LBB126_165:
	v_cmp_eq_u32_e64 s[2:3], 0, v0
	s_branch .LBB126_224
.LBB126_166:
	s_cmp_gt_i32 s33, 1
	s_cbranch_scc0 .LBB126_175
; %bb.167:
	s_cmp_gt_i32 s33, 3
	s_cbranch_scc0 .LBB126_176
; %bb.168:
	s_cmp_eq_u32 s33, 4
	s_cbranch_scc0 .LBB126_177
; %bb.169:
	s_lshl_b32 s2, s6, 9
	s_lshr_b64 s[0:1], s[36:37], 9
	s_add_u32 s8, s40, s2
	s_mov_b32 s7, 0
	s_addc_u32 s9, s41, 0
	s_cmp_lg_u64 s[0:1], s[6:7]
	s_cbranch_scc0 .LBB126_179
; %bb.170:
	global_load_ubyte v1, v0, s[8:9]
	global_load_ubyte v4, v0, s[8:9] offset:256
	global_load_ubyte v5, v0, s[8:9] offset:128
	global_load_ubyte v6, v0, s[8:9] offset:384
	v_mbcnt_lo_u32_b32 v2, -1, 0
	v_mbcnt_hi_u32_b32 v2, -1, v2
	v_lshlrev_b32_e32 v3, 2, v2
	s_waitcnt vmcnt(3)
	v_cmp_ne_u16_e32 vcc, 0, v1
	v_cndmask_b32_e64 v1, 0, 1, vcc
	s_waitcnt vmcnt(2)
	v_cmp_ne_u16_e32 vcc, 0, v4
	v_cndmask_b32_e64 v4, 0, 1, vcc
	s_waitcnt vmcnt(1)
	v_cmp_ne_u16_e32 vcc, 0, v5
	v_addc_co_u32_e32 v1, vcc, 0, v1, vcc
	s_waitcnt vmcnt(0)
	v_cmp_ne_u16_e32 vcc, 0, v6
	v_addc_co_u32_e32 v1, vcc, v1, v4, vcc
	v_or_b32_e32 v4, 0xfc, v3
	s_nop 0
	v_add_u32_dpp v1, v1, v1 quad_perm:[1,0,3,2] row_mask:0xf bank_mask:0xf bound_ctrl:1
	v_cmp_eq_u32_e32 vcc, 0, v2
	s_nop 0
	v_add_u32_dpp v1, v1, v1 quad_perm:[2,3,0,1] row_mask:0xf bank_mask:0xf bound_ctrl:1
	s_nop 1
	v_add_u32_dpp v1, v1, v1 row_ror:4 row_mask:0xf bank_mask:0xf bound_ctrl:1
	s_nop 1
	v_add_u32_dpp v1, v1, v1 row_ror:8 row_mask:0xf bank_mask:0xf bound_ctrl:1
	s_nop 1
	v_add_u32_dpp v1, v1, v1 row_bcast:15 row_mask:0xf bank_mask:0xf bound_ctrl:1
	s_nop 1
	v_add_u32_dpp v1, v1, v1 row_bcast:31 row_mask:0xf bank_mask:0xf bound_ctrl:1
	ds_bpermute_b32 v1, v4, v1
	s_and_saveexec_b64 s[0:1], vcc
	s_cbranch_execz .LBB126_172
; %bb.171:
	v_lshrrev_b32_e32 v4, 4, v0
	v_and_b32_e32 v4, 4, v4
	s_waitcnt lgkmcnt(0)
	ds_write_b32 v4, v1 offset:32
.LBB126_172:
	s_or_b64 exec, exec, s[0:1]
	v_cmp_gt_u32_e32 vcc, 64, v0
	s_waitcnt lgkmcnt(0)
	s_barrier
	s_and_saveexec_b64 s[0:1], vcc
	s_cbranch_execz .LBB126_174
; %bb.173:
	v_and_b32_e32 v1, 1, v2
	v_lshlrev_b32_e32 v1, 2, v1
	ds_read_b32 v1, v1 offset:32
	v_or_b32_e32 v2, 4, v3
	s_waitcnt lgkmcnt(0)
	ds_bpermute_b32 v2, v2, v1
	s_waitcnt lgkmcnt(0)
	v_add_u32_e32 v1, v2, v1
.LBB126_174:
	s_or_b64 exec, exec, s[0:1]
	s_mov_b64 s[0:1], 0
	s_branch .LBB126_180
.LBB126_175:
                                        ; implicit-def: $vgpr1
	s_cbranch_execnz .LBB126_215
	s_branch .LBB126_224
.LBB126_176:
                                        ; implicit-def: $vgpr1
	s_cbranch_execz .LBB126_178
	s_branch .LBB126_195
.LBB126_177:
                                        ; implicit-def: $vgpr1
.LBB126_178:
	s_branch .LBB126_224
.LBB126_179:
	s_mov_b64 s[0:1], -1
                                        ; implicit-def: $vgpr1
.LBB126_180:
	s_and_b64 vcc, exec, s[0:1]
	s_cbranch_vccz .LBB126_194
; %bb.181:
	s_sub_i32 s12, s36, s2
	v_cmp_gt_u32_e32 vcc, s12, v0
                                        ; implicit-def: $vgpr2_vgpr3_vgpr4_vgpr5
	s_and_saveexec_b64 s[0:1], vcc
	s_cbranch_execz .LBB126_183
; %bb.182:
	global_load_ubyte v1, v0, s[8:9]
	s_waitcnt vmcnt(0)
	v_cmp_ne_u16_e32 vcc, 0, v1
	v_cndmask_b32_e64 v2, 0, 1, vcc
.LBB126_183:
	s_or_b64 exec, exec, s[0:1]
	v_or_b32_e32 v1, 0x80, v0
	v_cmp_gt_u32_e32 vcc, s12, v1
	s_and_saveexec_b64 s[2:3], vcc
	s_cbranch_execz .LBB126_185
; %bb.184:
	global_load_ubyte v1, v0, s[8:9] offset:128
	s_waitcnt vmcnt(0)
	v_cmp_ne_u16_e64 s[0:1], 0, v1
	v_cndmask_b32_e64 v3, 0, 1, s[0:1]
.LBB126_185:
	s_or_b64 exec, exec, s[2:3]
	v_or_b32_e32 v1, 0x100, v0
	v_cmp_gt_u32_e64 s[0:1], s12, v1
	s_and_saveexec_b64 s[10:11], s[0:1]
	s_cbranch_execz .LBB126_187
; %bb.186:
	global_load_ubyte v1, v0, s[8:9] offset:256
	s_waitcnt vmcnt(0)
	v_cmp_ne_u16_e64 s[2:3], 0, v1
	v_cndmask_b32_e64 v4, 0, 1, s[2:3]
.LBB126_187:
	s_or_b64 exec, exec, s[10:11]
	v_or_b32_e32 v1, 0x180, v0
	v_cmp_gt_u32_e64 s[2:3], s12, v1
	s_and_saveexec_b64 s[10:11], s[2:3]
	s_cbranch_execz .LBB126_189
; %bb.188:
	global_load_ubyte v1, v0, s[8:9] offset:384
	s_waitcnt vmcnt(0)
	v_cmp_ne_u16_e64 s[8:9], 0, v1
	v_cndmask_b32_e64 v5, 0, 1, s[8:9]
.LBB126_189:
	s_or_b64 exec, exec, s[10:11]
	v_cndmask_b32_e32 v1, 0, v3, vcc
	v_add_u32_e32 v1, v1, v2
	v_cndmask_b32_e64 v2, 0, v4, s[0:1]
	v_cndmask_b32_e64 v3, 0, v5, s[2:3]
	v_add3_u32 v1, v1, v2, v3
	v_mbcnt_lo_u32_b32 v2, -1, 0
	v_mbcnt_hi_u32_b32 v2, -1, v2
	v_and_b32_e32 v3, 63, v2
	v_cmp_ne_u32_e32 vcc, 63, v3
	v_addc_co_u32_e32 v4, vcc, 0, v2, vcc
	v_lshlrev_b32_e32 v4, 2, v4
	ds_bpermute_b32 v4, v4, v1
	s_min_u32 s2, s12, 0x80
	v_and_b32_e32 v5, 64, v0
	v_sub_u32_e64 v5, s2, v5 clamp
	v_add_u32_e32 v6, 1, v3
	v_cmp_lt_u32_e32 vcc, v6, v5
	s_waitcnt lgkmcnt(0)
	v_cndmask_b32_e32 v4, 0, v4, vcc
	v_cmp_gt_u32_e32 vcc, 62, v3
	v_add_u32_e32 v1, v4, v1
	v_cndmask_b32_e64 v4, 0, 1, vcc
	v_lshlrev_b32_e32 v4, 1, v4
	v_add_lshl_u32 v4, v4, v2, 2
	ds_bpermute_b32 v4, v4, v1
	v_add_u32_e32 v6, 2, v3
	v_cmp_lt_u32_e32 vcc, v6, v5
	v_add_u32_e32 v6, 4, v3
	s_waitcnt lgkmcnt(0)
	v_cndmask_b32_e32 v4, 0, v4, vcc
	v_cmp_gt_u32_e32 vcc, 60, v3
	v_add_u32_e32 v1, v1, v4
	v_cndmask_b32_e64 v4, 0, 1, vcc
	v_lshlrev_b32_e32 v4, 2, v4
	v_add_lshl_u32 v4, v4, v2, 2
	ds_bpermute_b32 v4, v4, v1
	v_cmp_lt_u32_e32 vcc, v6, v5
	v_add_u32_e32 v6, 8, v3
	s_waitcnt lgkmcnt(0)
	v_cndmask_b32_e32 v4, 0, v4, vcc
	v_cmp_gt_u32_e32 vcc, 56, v3
	v_add_u32_e32 v1, v1, v4
	v_cndmask_b32_e64 v4, 0, 1, vcc
	v_lshlrev_b32_e32 v4, 3, v4
	v_add_lshl_u32 v4, v4, v2, 2
	ds_bpermute_b32 v4, v4, v1
	;; [unrolled: 10-line block ×3, first 2 shown]
	v_cmp_lt_u32_e32 vcc, v6, v5
	s_waitcnt lgkmcnt(0)
	v_cndmask_b32_e32 v4, 0, v4, vcc
	v_cmp_gt_u32_e32 vcc, 32, v3
	v_add_u32_e32 v1, v1, v4
	v_cndmask_b32_e64 v4, 0, 1, vcc
	v_lshlrev_b32_e32 v4, 5, v4
	v_add_lshl_u32 v4, v4, v2, 2
	ds_bpermute_b32 v4, v4, v1
	v_add_u32_e32 v3, 32, v3
	v_cmp_lt_u32_e32 vcc, v3, v5
	s_waitcnt lgkmcnt(0)
	v_cndmask_b32_e32 v3, 0, v4, vcc
	v_add_u32_e32 v1, v1, v3
	v_cmp_eq_u32_e32 vcc, 0, v2
	s_and_saveexec_b64 s[0:1], vcc
	s_cbranch_execz .LBB126_191
; %bb.190:
	v_lshrrev_b32_e32 v3, 4, v0
	v_and_b32_e32 v3, 4, v3
	ds_write_b32 v3, v1 offset:48
.LBB126_191:
	s_or_b64 exec, exec, s[0:1]
	v_cmp_gt_u32_e32 vcc, 2, v0
	s_waitcnt lgkmcnt(0)
	s_barrier
	s_and_saveexec_b64 s[0:1], vcc
	s_cbranch_execz .LBB126_193
; %bb.192:
	v_lshlrev_b32_e32 v1, 2, v2
	ds_read_b32 v3, v1 offset:48
	v_or_b32_e32 v1, 4, v1
	s_add_i32 s2, s2, 63
	v_and_b32_e32 v2, 1, v2
	s_lshr_b32 s2, s2, 6
	s_waitcnt lgkmcnt(0)
	ds_bpermute_b32 v1, v1, v3
	v_add_u32_e32 v2, 1, v2
	v_cmp_gt_u32_e32 vcc, s2, v2
	s_waitcnt lgkmcnt(0)
	v_cndmask_b32_e32 v1, 0, v1, vcc
	v_add_u32_e32 v1, v1, v3
.LBB126_193:
	s_or_b64 exec, exec, s[0:1]
.LBB126_194:
	v_cmp_eq_u32_e64 s[2:3], 0, v0
	s_branch .LBB126_178
.LBB126_195:
	s_cmp_eq_u32 s33, 2
	s_cbranch_scc0 .LBB126_202
; %bb.196:
	s_lshl_b32 s8, s6, 8
	s_lshr_b64 s[0:1], s[36:37], 8
	s_add_u32 s2, s40, s8
	s_mov_b32 s7, 0
	s_addc_u32 s3, s41, 0
	s_cmp_lg_u64 s[0:1], s[6:7]
	s_cbranch_scc0 .LBB126_203
; %bb.197:
	global_load_ubyte v1, v0, s[2:3]
	global_load_ubyte v4, v0, s[2:3] offset:128
	v_mbcnt_lo_u32_b32 v2, -1, 0
	v_mbcnt_hi_u32_b32 v2, -1, v2
	v_lshlrev_b32_e32 v3, 2, v2
	s_waitcnt vmcnt(1)
	v_cmp_ne_u16_e32 vcc, 0, v1
	v_cndmask_b32_e64 v1, 0, 1, vcc
	s_waitcnt vmcnt(0)
	v_cmp_ne_u16_e32 vcc, 0, v4
	v_addc_co_u32_e64 v4, s[0:1], 0, v1, vcc
	s_nop 1
	v_mov_b32_dpp v4, v4 quad_perm:[1,0,3,2] row_mask:0xf bank_mask:0xf bound_ctrl:1
	v_addc_co_u32_e32 v1, vcc, v4, v1, vcc
	v_or_b32_e32 v4, 0xfc, v3
	s_nop 0
	v_add_u32_dpp v1, v1, v1 quad_perm:[2,3,0,1] row_mask:0xf bank_mask:0xf bound_ctrl:1
	v_cmp_eq_u32_e32 vcc, 0, v2
	s_nop 0
	v_add_u32_dpp v1, v1, v1 row_ror:4 row_mask:0xf bank_mask:0xf bound_ctrl:1
	s_nop 1
	v_add_u32_dpp v1, v1, v1 row_ror:8 row_mask:0xf bank_mask:0xf bound_ctrl:1
	s_nop 1
	v_add_u32_dpp v1, v1, v1 row_bcast:15 row_mask:0xf bank_mask:0xf bound_ctrl:1
	s_nop 1
	v_add_u32_dpp v1, v1, v1 row_bcast:31 row_mask:0xf bank_mask:0xf bound_ctrl:1
	ds_bpermute_b32 v1, v4, v1
	s_and_saveexec_b64 s[0:1], vcc
	s_cbranch_execz .LBB126_199
; %bb.198:
	v_lshrrev_b32_e32 v4, 4, v0
	v_and_b32_e32 v4, 4, v4
	s_waitcnt lgkmcnt(0)
	ds_write_b32 v4, v1 offset:16
.LBB126_199:
	s_or_b64 exec, exec, s[0:1]
	v_cmp_gt_u32_e32 vcc, 64, v0
	s_waitcnt lgkmcnt(0)
	s_barrier
	s_and_saveexec_b64 s[0:1], vcc
	s_cbranch_execz .LBB126_201
; %bb.200:
	v_and_b32_e32 v1, 1, v2
	v_lshlrev_b32_e32 v1, 2, v1
	ds_read_b32 v1, v1 offset:16
	v_or_b32_e32 v2, 4, v3
	s_waitcnt lgkmcnt(0)
	ds_bpermute_b32 v2, v2, v1
	s_waitcnt lgkmcnt(0)
	v_add_u32_e32 v1, v2, v1
.LBB126_201:
	s_or_b64 exec, exec, s[0:1]
	s_mov_b64 s[0:1], 0
	s_branch .LBB126_204
.LBB126_202:
                                        ; implicit-def: $vgpr1
	s_branch .LBB126_224
.LBB126_203:
	s_mov_b64 s[0:1], -1
                                        ; implicit-def: $vgpr1
.LBB126_204:
	s_and_b64 vcc, exec, s[0:1]
	s_cbranch_vccz .LBB126_214
; %bb.205:
	s_sub_i32 s10, s36, s8
	v_cmp_gt_u32_e32 vcc, s10, v0
                                        ; implicit-def: $vgpr2_vgpr3
	s_and_saveexec_b64 s[0:1], vcc
	s_cbranch_execz .LBB126_207
; %bb.206:
	global_load_ubyte v1, v0, s[2:3]
	s_waitcnt vmcnt(0)
	v_cmp_ne_u16_e32 vcc, 0, v1
	v_cndmask_b32_e64 v2, 0, 1, vcc
.LBB126_207:
	s_or_b64 exec, exec, s[0:1]
	v_or_b32_e32 v1, 0x80, v0
	v_cmp_gt_u32_e32 vcc, s10, v1
	s_and_saveexec_b64 s[8:9], vcc
	s_cbranch_execz .LBB126_209
; %bb.208:
	global_load_ubyte v1, v0, s[2:3] offset:128
	s_waitcnt vmcnt(0)
	v_cmp_ne_u16_e64 s[0:1], 0, v1
	v_cndmask_b32_e64 v3, 0, 1, s[0:1]
.LBB126_209:
	s_or_b64 exec, exec, s[8:9]
	v_cndmask_b32_e32 v1, 0, v3, vcc
	v_add_u32_e32 v1, v1, v2
	v_mbcnt_lo_u32_b32 v2, -1, 0
	v_mbcnt_hi_u32_b32 v2, -1, v2
	v_and_b32_e32 v3, 63, v2
	v_cmp_ne_u32_e32 vcc, 63, v3
	v_addc_co_u32_e32 v4, vcc, 0, v2, vcc
	v_lshlrev_b32_e32 v4, 2, v4
	ds_bpermute_b32 v4, v4, v1
	s_min_u32 s2, s10, 0x80
	v_and_b32_e32 v5, 64, v0
	v_sub_u32_e64 v5, s2, v5 clamp
	v_add_u32_e32 v6, 1, v3
	v_cmp_lt_u32_e32 vcc, v6, v5
	s_waitcnt lgkmcnt(0)
	v_cndmask_b32_e32 v4, 0, v4, vcc
	v_cmp_gt_u32_e32 vcc, 62, v3
	v_add_u32_e32 v1, v4, v1
	v_cndmask_b32_e64 v4, 0, 1, vcc
	v_lshlrev_b32_e32 v4, 1, v4
	v_add_lshl_u32 v4, v4, v2, 2
	ds_bpermute_b32 v4, v4, v1
	v_add_u32_e32 v6, 2, v3
	v_cmp_lt_u32_e32 vcc, v6, v5
	v_add_u32_e32 v6, 4, v3
	s_waitcnt lgkmcnt(0)
	v_cndmask_b32_e32 v4, 0, v4, vcc
	v_cmp_gt_u32_e32 vcc, 60, v3
	v_add_u32_e32 v1, v1, v4
	v_cndmask_b32_e64 v4, 0, 1, vcc
	v_lshlrev_b32_e32 v4, 2, v4
	v_add_lshl_u32 v4, v4, v2, 2
	ds_bpermute_b32 v4, v4, v1
	v_cmp_lt_u32_e32 vcc, v6, v5
	v_add_u32_e32 v6, 8, v3
	s_waitcnt lgkmcnt(0)
	v_cndmask_b32_e32 v4, 0, v4, vcc
	v_cmp_gt_u32_e32 vcc, 56, v3
	v_add_u32_e32 v1, v1, v4
	v_cndmask_b32_e64 v4, 0, 1, vcc
	v_lshlrev_b32_e32 v4, 3, v4
	v_add_lshl_u32 v4, v4, v2, 2
	ds_bpermute_b32 v4, v4, v1
	v_cmp_lt_u32_e32 vcc, v6, v5
	v_add_u32_e32 v6, 16, v3
	s_waitcnt lgkmcnt(0)
	v_cndmask_b32_e32 v4, 0, v4, vcc
	v_cmp_gt_u32_e32 vcc, 48, v3
	v_add_u32_e32 v1, v1, v4
	v_cndmask_b32_e64 v4, 0, 1, vcc
	v_lshlrev_b32_e32 v4, 4, v4
	v_add_lshl_u32 v4, v4, v2, 2
	ds_bpermute_b32 v4, v4, v1
	v_cmp_lt_u32_e32 vcc, v6, v5
	s_waitcnt lgkmcnt(0)
	v_cndmask_b32_e32 v4, 0, v4, vcc
	v_cmp_gt_u32_e32 vcc, 32, v3
	v_add_u32_e32 v1, v1, v4
	v_cndmask_b32_e64 v4, 0, 1, vcc
	v_lshlrev_b32_e32 v4, 5, v4
	v_add_lshl_u32 v4, v4, v2, 2
	ds_bpermute_b32 v4, v4, v1
	v_add_u32_e32 v3, 32, v3
	v_cmp_lt_u32_e32 vcc, v3, v5
	s_waitcnt lgkmcnt(0)
	v_cndmask_b32_e32 v3, 0, v4, vcc
	v_add_u32_e32 v1, v1, v3
	v_cmp_eq_u32_e32 vcc, 0, v2
	s_and_saveexec_b64 s[0:1], vcc
	s_cbranch_execz .LBB126_211
; %bb.210:
	v_lshrrev_b32_e32 v3, 4, v0
	v_and_b32_e32 v3, 4, v3
	ds_write_b32 v3, v1 offset:48
.LBB126_211:
	s_or_b64 exec, exec, s[0:1]
	v_cmp_gt_u32_e32 vcc, 2, v0
	s_waitcnt lgkmcnt(0)
	s_barrier
	s_and_saveexec_b64 s[0:1], vcc
	s_cbranch_execz .LBB126_213
; %bb.212:
	v_lshlrev_b32_e32 v1, 2, v2
	ds_read_b32 v3, v1 offset:48
	v_or_b32_e32 v1, 4, v1
	s_add_i32 s2, s2, 63
	v_and_b32_e32 v2, 1, v2
	s_lshr_b32 s2, s2, 6
	s_waitcnt lgkmcnt(0)
	ds_bpermute_b32 v1, v1, v3
	v_add_u32_e32 v2, 1, v2
	v_cmp_gt_u32_e32 vcc, s2, v2
	s_waitcnt lgkmcnt(0)
	v_cndmask_b32_e32 v1, 0, v1, vcc
	v_add_u32_e32 v1, v1, v3
.LBB126_213:
	s_or_b64 exec, exec, s[0:1]
.LBB126_214:
	v_cmp_eq_u32_e64 s[2:3], 0, v0
	s_branch .LBB126_224
.LBB126_215:
	s_cmp_eq_u32 s33, 1
	s_cbranch_scc0 .LBB126_223
; %bb.216:
	s_lshl_b32 s2, s6, 7
	s_mov_b32 s7, 0
	s_lshr_b64 s[0:1], s[36:37], 7
	s_cmp_lg_u64 s[0:1], s[6:7]
	v_mbcnt_lo_u32_b32 v2, -1, 0
	s_cbranch_scc0 .LBB126_227
; %bb.217:
	s_add_u32 s0, s40, s2
	s_addc_u32 s1, s41, 0
	global_load_ubyte v1, v0, s[0:1]
	v_mbcnt_hi_u32_b32 v3, -1, v2
	v_lshlrev_b32_e32 v4, 2, v3
	s_waitcnt vmcnt(0)
	v_cmp_ne_u16_e32 vcc, 0, v1
	v_cndmask_b32_e64 v1, 0, 1, vcc
	s_nop 1
	v_mov_b32_dpp v1, v1 quad_perm:[1,0,3,2] row_mask:0xf bank_mask:0xf bound_ctrl:1
	v_addc_co_u32_e64 v5, s[0:1], 0, v1, vcc
	s_nop 1
	v_mov_b32_dpp v5, v5 quad_perm:[2,3,0,1] row_mask:0xf bank_mask:0xf bound_ctrl:1
	v_addc_co_u32_e32 v1, vcc, v5, v1, vcc
	v_or_b32_e32 v5, 0xfc, v4
	s_nop 0
	v_add_u32_dpp v1, v1, v1 row_ror:4 row_mask:0xf bank_mask:0xf bound_ctrl:1
	v_cmp_eq_u32_e32 vcc, 0, v3
	s_nop 0
	v_add_u32_dpp v1, v1, v1 row_ror:8 row_mask:0xf bank_mask:0xf bound_ctrl:1
	s_nop 1
	v_add_u32_dpp v1, v1, v1 row_bcast:15 row_mask:0xf bank_mask:0xf bound_ctrl:1
	s_nop 1
	v_add_u32_dpp v1, v1, v1 row_bcast:31 row_mask:0xf bank_mask:0xf bound_ctrl:1
	ds_bpermute_b32 v1, v5, v1
	s_and_saveexec_b64 s[0:1], vcc
	s_cbranch_execz .LBB126_219
; %bb.218:
	v_lshrrev_b32_e32 v5, 4, v0
	v_and_b32_e32 v5, 4, v5
	s_waitcnt lgkmcnt(0)
	ds_write_b32 v5, v1 offset:8
.LBB126_219:
	s_or_b64 exec, exec, s[0:1]
	v_cmp_gt_u32_e32 vcc, 64, v0
	s_waitcnt lgkmcnt(0)
	s_barrier
	s_and_saveexec_b64 s[0:1], vcc
	s_cbranch_execz .LBB126_221
; %bb.220:
	v_and_b32_e32 v1, 1, v3
	v_lshlrev_b32_e32 v1, 2, v1
	ds_read_b32 v1, v1 offset:8
	v_or_b32_e32 v3, 4, v4
	s_waitcnt lgkmcnt(0)
	ds_bpermute_b32 v3, v3, v1
	s_waitcnt lgkmcnt(0)
	v_add_u32_e32 v1, v3, v1
.LBB126_221:
	s_or_b64 exec, exec, s[0:1]
.LBB126_222:
	v_cmp_eq_u32_e64 s[2:3], 0, v0
	s_and_saveexec_b64 s[0:1], s[2:3]
	s_cbranch_execnz .LBB126_225
	s_branch .LBB126_226
.LBB126_223:
                                        ; implicit-def: $vgpr1
                                        ; implicit-def: $sgpr6_sgpr7
.LBB126_224:
	s_and_saveexec_b64 s[0:1], s[2:3]
	s_cbranch_execz .LBB126_226
.LBB126_225:
	s_lshl_b64 s[0:1], s[6:7], 2
	s_load_dword s2, s[4:5], 0x28
	s_add_u32 s0, s38, s0
	s_addc_u32 s1, s39, s1
	s_cmp_lg_u64 s[36:37], 0
	s_cselect_b64 vcc, -1, 0
	v_cndmask_b32_e32 v1, 0, v1, vcc
	v_mov_b32_e32 v0, 0
	s_waitcnt lgkmcnt(0)
	v_add_u32_e32 v1, s2, v1
	global_store_dword v0, v1, s[0:1]
.LBB126_226:
	s_endpgm
.LBB126_227:
                                        ; implicit-def: $vgpr1
	s_cbranch_execz .LBB126_222
; %bb.228:
	s_sub_i32 s3, s36, s2
	v_cmp_gt_u32_e32 vcc, s3, v0
                                        ; implicit-def: $vgpr1
	s_and_saveexec_b64 s[0:1], vcc
	s_cbranch_execz .LBB126_230
; %bb.229:
	s_add_u32 s8, s40, s2
	s_addc_u32 s9, s41, 0
	global_load_ubyte v1, v0, s[8:9]
	s_waitcnt vmcnt(0)
	v_cmp_ne_u16_e32 vcc, 0, v1
	v_cndmask_b32_e64 v1, 0, 1, vcc
.LBB126_230:
	s_or_b64 exec, exec, s[0:1]
	v_mbcnt_hi_u32_b32 v2, -1, v2
	v_and_b32_e32 v3, 63, v2
	v_cmp_ne_u32_e32 vcc, 63, v3
	v_addc_co_u32_e32 v4, vcc, 0, v2, vcc
	v_lshlrev_b32_e32 v4, 2, v4
	ds_bpermute_b32 v4, v4, v1
	s_min_u32 s2, s3, 0x80
	v_and_b32_e32 v5, 64, v0
	v_sub_u32_e64 v5, s2, v5 clamp
	v_add_u32_e32 v6, 1, v3
	v_cmp_lt_u32_e32 vcc, v6, v5
	s_waitcnt lgkmcnt(0)
	v_cndmask_b32_e32 v4, 0, v4, vcc
	v_cmp_gt_u32_e32 vcc, 62, v3
	v_add_u32_e32 v1, v4, v1
	v_cndmask_b32_e64 v4, 0, 1, vcc
	v_lshlrev_b32_e32 v4, 1, v4
	v_add_lshl_u32 v4, v4, v2, 2
	ds_bpermute_b32 v4, v4, v1
	v_add_u32_e32 v6, 2, v3
	v_cmp_lt_u32_e32 vcc, v6, v5
	v_add_u32_e32 v6, 4, v3
	s_waitcnt lgkmcnt(0)
	v_cndmask_b32_e32 v4, 0, v4, vcc
	v_cmp_gt_u32_e32 vcc, 60, v3
	v_add_u32_e32 v1, v1, v4
	v_cndmask_b32_e64 v4, 0, 1, vcc
	v_lshlrev_b32_e32 v4, 2, v4
	v_add_lshl_u32 v4, v4, v2, 2
	ds_bpermute_b32 v4, v4, v1
	v_cmp_lt_u32_e32 vcc, v6, v5
	v_add_u32_e32 v6, 8, v3
	s_waitcnt lgkmcnt(0)
	v_cndmask_b32_e32 v4, 0, v4, vcc
	v_cmp_gt_u32_e32 vcc, 56, v3
	v_add_u32_e32 v1, v1, v4
	v_cndmask_b32_e64 v4, 0, 1, vcc
	v_lshlrev_b32_e32 v4, 3, v4
	v_add_lshl_u32 v4, v4, v2, 2
	ds_bpermute_b32 v4, v4, v1
	;; [unrolled: 10-line block ×3, first 2 shown]
	v_cmp_lt_u32_e32 vcc, v6, v5
	s_waitcnt lgkmcnt(0)
	v_cndmask_b32_e32 v4, 0, v4, vcc
	v_cmp_gt_u32_e32 vcc, 32, v3
	v_add_u32_e32 v1, v1, v4
	v_cndmask_b32_e64 v4, 0, 1, vcc
	v_lshlrev_b32_e32 v4, 5, v4
	v_add_lshl_u32 v4, v4, v2, 2
	ds_bpermute_b32 v4, v4, v1
	v_add_u32_e32 v3, 32, v3
	v_cmp_lt_u32_e32 vcc, v3, v5
	s_waitcnt lgkmcnt(0)
	v_cndmask_b32_e32 v3, 0, v4, vcc
	v_add_u32_e32 v1, v1, v3
	v_cmp_eq_u32_e32 vcc, 0, v2
	s_and_saveexec_b64 s[0:1], vcc
	s_cbranch_execz .LBB126_232
; %bb.231:
	v_lshrrev_b32_e32 v3, 4, v0
	v_and_b32_e32 v3, 4, v3
	ds_write_b32 v3, v1 offset:48
.LBB126_232:
	s_or_b64 exec, exec, s[0:1]
	v_cmp_gt_u32_e32 vcc, 2, v0
	s_waitcnt lgkmcnt(0)
	s_barrier
	s_and_saveexec_b64 s[0:1], vcc
	s_cbranch_execz .LBB126_234
; %bb.233:
	v_lshlrev_b32_e32 v1, 2, v2
	ds_read_b32 v3, v1 offset:48
	v_or_b32_e32 v1, 4, v1
	s_add_i32 s2, s2, 63
	v_and_b32_e32 v2, 1, v2
	s_lshr_b32 s2, s2, 6
	s_waitcnt lgkmcnt(0)
	ds_bpermute_b32 v1, v1, v3
	v_add_u32_e32 v2, 1, v2
	v_cmp_gt_u32_e32 vcc, s2, v2
	s_waitcnt lgkmcnt(0)
	v_cndmask_b32_e32 v1, 0, v1, vcc
	v_add_u32_e32 v1, v1, v3
.LBB126_234:
	s_or_b64 exec, exec, s[0:1]
	v_cmp_eq_u32_e64 s[2:3], 0, v0
	s_and_saveexec_b64 s[0:1], s[2:3]
	s_cbranch_execnz .LBB126_225
	s_branch .LBB126_226
	.section	.rodata,"a",@progbits
	.p2align	6, 0x0
	.amdhsa_kernel _ZN7rocprim17ROCPRIM_400000_NS6detail17trampoline_kernelINS0_14default_configENS1_22reduce_config_selectorIiEEZNS1_11reduce_implILb1ES3_N6hipcub16HIPCUB_304000_NS22TransformInputIteratorIiN2at6native8internal21MapNumberOfTrueValuesEPKhlEEPiiNS8_6detail34convert_binary_result_type_wrapperISt4plusIvESG_iEEEE10hipError_tPvRmT1_T2_T3_mT4_P12ihipStream_tbEUlT_E1_NS1_11comp_targetILNS1_3genE4ELNS1_11target_archE910ELNS1_3gpuE8ELNS1_3repE0EEENS1_30default_config_static_selectorELNS0_4arch9wavefront6targetE1EEEvSQ_
		.amdhsa_group_segment_fixed_size 56
		.amdhsa_private_segment_fixed_size 0
		.amdhsa_kernarg_size 48
		.amdhsa_user_sgpr_count 6
		.amdhsa_user_sgpr_private_segment_buffer 1
		.amdhsa_user_sgpr_dispatch_ptr 0
		.amdhsa_user_sgpr_queue_ptr 0
		.amdhsa_user_sgpr_kernarg_segment_ptr 1
		.amdhsa_user_sgpr_dispatch_id 0
		.amdhsa_user_sgpr_flat_scratch_init 0
		.amdhsa_user_sgpr_kernarg_preload_length 0
		.amdhsa_user_sgpr_kernarg_preload_offset 0
		.amdhsa_user_sgpr_private_segment_size 0
		.amdhsa_uses_dynamic_stack 0
		.amdhsa_system_sgpr_private_segment_wavefront_offset 0
		.amdhsa_system_sgpr_workgroup_id_x 1
		.amdhsa_system_sgpr_workgroup_id_y 0
		.amdhsa_system_sgpr_workgroup_id_z 0
		.amdhsa_system_sgpr_workgroup_info 0
		.amdhsa_system_vgpr_workitem_id 0
		.amdhsa_next_free_vgpr 33
		.amdhsa_next_free_sgpr 45
		.amdhsa_accum_offset 36
		.amdhsa_reserve_vcc 1
		.amdhsa_reserve_flat_scratch 0
		.amdhsa_float_round_mode_32 0
		.amdhsa_float_round_mode_16_64 0
		.amdhsa_float_denorm_mode_32 3
		.amdhsa_float_denorm_mode_16_64 3
		.amdhsa_dx10_clamp 1
		.amdhsa_ieee_mode 1
		.amdhsa_fp16_overflow 0
		.amdhsa_tg_split 0
		.amdhsa_exception_fp_ieee_invalid_op 0
		.amdhsa_exception_fp_denorm_src 0
		.amdhsa_exception_fp_ieee_div_zero 0
		.amdhsa_exception_fp_ieee_overflow 0
		.amdhsa_exception_fp_ieee_underflow 0
		.amdhsa_exception_fp_ieee_inexact 0
		.amdhsa_exception_int_div_zero 0
	.end_amdhsa_kernel
	.section	.text._ZN7rocprim17ROCPRIM_400000_NS6detail17trampoline_kernelINS0_14default_configENS1_22reduce_config_selectorIiEEZNS1_11reduce_implILb1ES3_N6hipcub16HIPCUB_304000_NS22TransformInputIteratorIiN2at6native8internal21MapNumberOfTrueValuesEPKhlEEPiiNS8_6detail34convert_binary_result_type_wrapperISt4plusIvESG_iEEEE10hipError_tPvRmT1_T2_T3_mT4_P12ihipStream_tbEUlT_E1_NS1_11comp_targetILNS1_3genE4ELNS1_11target_archE910ELNS1_3gpuE8ELNS1_3repE0EEENS1_30default_config_static_selectorELNS0_4arch9wavefront6targetE1EEEvSQ_,"axG",@progbits,_ZN7rocprim17ROCPRIM_400000_NS6detail17trampoline_kernelINS0_14default_configENS1_22reduce_config_selectorIiEEZNS1_11reduce_implILb1ES3_N6hipcub16HIPCUB_304000_NS22TransformInputIteratorIiN2at6native8internal21MapNumberOfTrueValuesEPKhlEEPiiNS8_6detail34convert_binary_result_type_wrapperISt4plusIvESG_iEEEE10hipError_tPvRmT1_T2_T3_mT4_P12ihipStream_tbEUlT_E1_NS1_11comp_targetILNS1_3genE4ELNS1_11target_archE910ELNS1_3gpuE8ELNS1_3repE0EEENS1_30default_config_static_selectorELNS0_4arch9wavefront6targetE1EEEvSQ_,comdat
.Lfunc_end126:
	.size	_ZN7rocprim17ROCPRIM_400000_NS6detail17trampoline_kernelINS0_14default_configENS1_22reduce_config_selectorIiEEZNS1_11reduce_implILb1ES3_N6hipcub16HIPCUB_304000_NS22TransformInputIteratorIiN2at6native8internal21MapNumberOfTrueValuesEPKhlEEPiiNS8_6detail34convert_binary_result_type_wrapperISt4plusIvESG_iEEEE10hipError_tPvRmT1_T2_T3_mT4_P12ihipStream_tbEUlT_E1_NS1_11comp_targetILNS1_3genE4ELNS1_11target_archE910ELNS1_3gpuE8ELNS1_3repE0EEENS1_30default_config_static_selectorELNS0_4arch9wavefront6targetE1EEEvSQ_, .Lfunc_end126-_ZN7rocprim17ROCPRIM_400000_NS6detail17trampoline_kernelINS0_14default_configENS1_22reduce_config_selectorIiEEZNS1_11reduce_implILb1ES3_N6hipcub16HIPCUB_304000_NS22TransformInputIteratorIiN2at6native8internal21MapNumberOfTrueValuesEPKhlEEPiiNS8_6detail34convert_binary_result_type_wrapperISt4plusIvESG_iEEEE10hipError_tPvRmT1_T2_T3_mT4_P12ihipStream_tbEUlT_E1_NS1_11comp_targetILNS1_3genE4ELNS1_11target_archE910ELNS1_3gpuE8ELNS1_3repE0EEENS1_30default_config_static_selectorELNS0_4arch9wavefront6targetE1EEEvSQ_
                                        ; -- End function
	.section	.AMDGPU.csdata,"",@progbits
; Kernel info:
; codeLenInByte = 9748
; NumSgprs: 49
; NumVgprs: 33
; NumAgprs: 0
; TotalNumVgprs: 33
; ScratchSize: 0
; MemoryBound: 0
; FloatMode: 240
; IeeeMode: 1
; LDSByteSize: 56 bytes/workgroup (compile time only)
; SGPRBlocks: 6
; VGPRBlocks: 4
; NumSGPRsForWavesPerEU: 49
; NumVGPRsForWavesPerEU: 33
; AccumOffset: 36
; Occupancy: 8
; WaveLimiterHint : 1
; COMPUTE_PGM_RSRC2:SCRATCH_EN: 0
; COMPUTE_PGM_RSRC2:USER_SGPR: 6
; COMPUTE_PGM_RSRC2:TRAP_HANDLER: 0
; COMPUTE_PGM_RSRC2:TGID_X_EN: 1
; COMPUTE_PGM_RSRC2:TGID_Y_EN: 0
; COMPUTE_PGM_RSRC2:TGID_Z_EN: 0
; COMPUTE_PGM_RSRC2:TIDIG_COMP_CNT: 0
; COMPUTE_PGM_RSRC3_GFX90A:ACCUM_OFFSET: 8
; COMPUTE_PGM_RSRC3_GFX90A:TG_SPLIT: 0
	.section	.text._ZN7rocprim17ROCPRIM_400000_NS6detail17trampoline_kernelINS0_14default_configENS1_22reduce_config_selectorIiEEZNS1_11reduce_implILb1ES3_N6hipcub16HIPCUB_304000_NS22TransformInputIteratorIiN2at6native8internal21MapNumberOfTrueValuesEPKhlEEPiiNS8_6detail34convert_binary_result_type_wrapperISt4plusIvESG_iEEEE10hipError_tPvRmT1_T2_T3_mT4_P12ihipStream_tbEUlT_E1_NS1_11comp_targetILNS1_3genE3ELNS1_11target_archE908ELNS1_3gpuE7ELNS1_3repE0EEENS1_30default_config_static_selectorELNS0_4arch9wavefront6targetE1EEEvSQ_,"axG",@progbits,_ZN7rocprim17ROCPRIM_400000_NS6detail17trampoline_kernelINS0_14default_configENS1_22reduce_config_selectorIiEEZNS1_11reduce_implILb1ES3_N6hipcub16HIPCUB_304000_NS22TransformInputIteratorIiN2at6native8internal21MapNumberOfTrueValuesEPKhlEEPiiNS8_6detail34convert_binary_result_type_wrapperISt4plusIvESG_iEEEE10hipError_tPvRmT1_T2_T3_mT4_P12ihipStream_tbEUlT_E1_NS1_11comp_targetILNS1_3genE3ELNS1_11target_archE908ELNS1_3gpuE7ELNS1_3repE0EEENS1_30default_config_static_selectorELNS0_4arch9wavefront6targetE1EEEvSQ_,comdat
	.protected	_ZN7rocprim17ROCPRIM_400000_NS6detail17trampoline_kernelINS0_14default_configENS1_22reduce_config_selectorIiEEZNS1_11reduce_implILb1ES3_N6hipcub16HIPCUB_304000_NS22TransformInputIteratorIiN2at6native8internal21MapNumberOfTrueValuesEPKhlEEPiiNS8_6detail34convert_binary_result_type_wrapperISt4plusIvESG_iEEEE10hipError_tPvRmT1_T2_T3_mT4_P12ihipStream_tbEUlT_E1_NS1_11comp_targetILNS1_3genE3ELNS1_11target_archE908ELNS1_3gpuE7ELNS1_3repE0EEENS1_30default_config_static_selectorELNS0_4arch9wavefront6targetE1EEEvSQ_ ; -- Begin function _ZN7rocprim17ROCPRIM_400000_NS6detail17trampoline_kernelINS0_14default_configENS1_22reduce_config_selectorIiEEZNS1_11reduce_implILb1ES3_N6hipcub16HIPCUB_304000_NS22TransformInputIteratorIiN2at6native8internal21MapNumberOfTrueValuesEPKhlEEPiiNS8_6detail34convert_binary_result_type_wrapperISt4plusIvESG_iEEEE10hipError_tPvRmT1_T2_T3_mT4_P12ihipStream_tbEUlT_E1_NS1_11comp_targetILNS1_3genE3ELNS1_11target_archE908ELNS1_3gpuE7ELNS1_3repE0EEENS1_30default_config_static_selectorELNS0_4arch9wavefront6targetE1EEEvSQ_
	.globl	_ZN7rocprim17ROCPRIM_400000_NS6detail17trampoline_kernelINS0_14default_configENS1_22reduce_config_selectorIiEEZNS1_11reduce_implILb1ES3_N6hipcub16HIPCUB_304000_NS22TransformInputIteratorIiN2at6native8internal21MapNumberOfTrueValuesEPKhlEEPiiNS8_6detail34convert_binary_result_type_wrapperISt4plusIvESG_iEEEE10hipError_tPvRmT1_T2_T3_mT4_P12ihipStream_tbEUlT_E1_NS1_11comp_targetILNS1_3genE3ELNS1_11target_archE908ELNS1_3gpuE7ELNS1_3repE0EEENS1_30default_config_static_selectorELNS0_4arch9wavefront6targetE1EEEvSQ_
	.p2align	8
	.type	_ZN7rocprim17ROCPRIM_400000_NS6detail17trampoline_kernelINS0_14default_configENS1_22reduce_config_selectorIiEEZNS1_11reduce_implILb1ES3_N6hipcub16HIPCUB_304000_NS22TransformInputIteratorIiN2at6native8internal21MapNumberOfTrueValuesEPKhlEEPiiNS8_6detail34convert_binary_result_type_wrapperISt4plusIvESG_iEEEE10hipError_tPvRmT1_T2_T3_mT4_P12ihipStream_tbEUlT_E1_NS1_11comp_targetILNS1_3genE3ELNS1_11target_archE908ELNS1_3gpuE7ELNS1_3repE0EEENS1_30default_config_static_selectorELNS0_4arch9wavefront6targetE1EEEvSQ_,@function
_ZN7rocprim17ROCPRIM_400000_NS6detail17trampoline_kernelINS0_14default_configENS1_22reduce_config_selectorIiEEZNS1_11reduce_implILb1ES3_N6hipcub16HIPCUB_304000_NS22TransformInputIteratorIiN2at6native8internal21MapNumberOfTrueValuesEPKhlEEPiiNS8_6detail34convert_binary_result_type_wrapperISt4plusIvESG_iEEEE10hipError_tPvRmT1_T2_T3_mT4_P12ihipStream_tbEUlT_E1_NS1_11comp_targetILNS1_3genE3ELNS1_11target_archE908ELNS1_3gpuE7ELNS1_3repE0EEENS1_30default_config_static_selectorELNS0_4arch9wavefront6targetE1EEEvSQ_: ; @_ZN7rocprim17ROCPRIM_400000_NS6detail17trampoline_kernelINS0_14default_configENS1_22reduce_config_selectorIiEEZNS1_11reduce_implILb1ES3_N6hipcub16HIPCUB_304000_NS22TransformInputIteratorIiN2at6native8internal21MapNumberOfTrueValuesEPKhlEEPiiNS8_6detail34convert_binary_result_type_wrapperISt4plusIvESG_iEEEE10hipError_tPvRmT1_T2_T3_mT4_P12ihipStream_tbEUlT_E1_NS1_11comp_targetILNS1_3genE3ELNS1_11target_archE908ELNS1_3gpuE7ELNS1_3repE0EEENS1_30default_config_static_selectorELNS0_4arch9wavefront6targetE1EEEvSQ_
; %bb.0:
	.section	.rodata,"a",@progbits
	.p2align	6, 0x0
	.amdhsa_kernel _ZN7rocprim17ROCPRIM_400000_NS6detail17trampoline_kernelINS0_14default_configENS1_22reduce_config_selectorIiEEZNS1_11reduce_implILb1ES3_N6hipcub16HIPCUB_304000_NS22TransformInputIteratorIiN2at6native8internal21MapNumberOfTrueValuesEPKhlEEPiiNS8_6detail34convert_binary_result_type_wrapperISt4plusIvESG_iEEEE10hipError_tPvRmT1_T2_T3_mT4_P12ihipStream_tbEUlT_E1_NS1_11comp_targetILNS1_3genE3ELNS1_11target_archE908ELNS1_3gpuE7ELNS1_3repE0EEENS1_30default_config_static_selectorELNS0_4arch9wavefront6targetE1EEEvSQ_
		.amdhsa_group_segment_fixed_size 0
		.amdhsa_private_segment_fixed_size 0
		.amdhsa_kernarg_size 48
		.amdhsa_user_sgpr_count 6
		.amdhsa_user_sgpr_private_segment_buffer 1
		.amdhsa_user_sgpr_dispatch_ptr 0
		.amdhsa_user_sgpr_queue_ptr 0
		.amdhsa_user_sgpr_kernarg_segment_ptr 1
		.amdhsa_user_sgpr_dispatch_id 0
		.amdhsa_user_sgpr_flat_scratch_init 0
		.amdhsa_user_sgpr_kernarg_preload_length 0
		.amdhsa_user_sgpr_kernarg_preload_offset 0
		.amdhsa_user_sgpr_private_segment_size 0
		.amdhsa_uses_dynamic_stack 0
		.amdhsa_system_sgpr_private_segment_wavefront_offset 0
		.amdhsa_system_sgpr_workgroup_id_x 1
		.amdhsa_system_sgpr_workgroup_id_y 0
		.amdhsa_system_sgpr_workgroup_id_z 0
		.amdhsa_system_sgpr_workgroup_info 0
		.amdhsa_system_vgpr_workitem_id 0
		.amdhsa_next_free_vgpr 1
		.amdhsa_next_free_sgpr 0
		.amdhsa_accum_offset 4
		.amdhsa_reserve_vcc 0
		.amdhsa_reserve_flat_scratch 0
		.amdhsa_float_round_mode_32 0
		.amdhsa_float_round_mode_16_64 0
		.amdhsa_float_denorm_mode_32 3
		.amdhsa_float_denorm_mode_16_64 3
		.amdhsa_dx10_clamp 1
		.amdhsa_ieee_mode 1
		.amdhsa_fp16_overflow 0
		.amdhsa_tg_split 0
		.amdhsa_exception_fp_ieee_invalid_op 0
		.amdhsa_exception_fp_denorm_src 0
		.amdhsa_exception_fp_ieee_div_zero 0
		.amdhsa_exception_fp_ieee_overflow 0
		.amdhsa_exception_fp_ieee_underflow 0
		.amdhsa_exception_fp_ieee_inexact 0
		.amdhsa_exception_int_div_zero 0
	.end_amdhsa_kernel
	.section	.text._ZN7rocprim17ROCPRIM_400000_NS6detail17trampoline_kernelINS0_14default_configENS1_22reduce_config_selectorIiEEZNS1_11reduce_implILb1ES3_N6hipcub16HIPCUB_304000_NS22TransformInputIteratorIiN2at6native8internal21MapNumberOfTrueValuesEPKhlEEPiiNS8_6detail34convert_binary_result_type_wrapperISt4plusIvESG_iEEEE10hipError_tPvRmT1_T2_T3_mT4_P12ihipStream_tbEUlT_E1_NS1_11comp_targetILNS1_3genE3ELNS1_11target_archE908ELNS1_3gpuE7ELNS1_3repE0EEENS1_30default_config_static_selectorELNS0_4arch9wavefront6targetE1EEEvSQ_,"axG",@progbits,_ZN7rocprim17ROCPRIM_400000_NS6detail17trampoline_kernelINS0_14default_configENS1_22reduce_config_selectorIiEEZNS1_11reduce_implILb1ES3_N6hipcub16HIPCUB_304000_NS22TransformInputIteratorIiN2at6native8internal21MapNumberOfTrueValuesEPKhlEEPiiNS8_6detail34convert_binary_result_type_wrapperISt4plusIvESG_iEEEE10hipError_tPvRmT1_T2_T3_mT4_P12ihipStream_tbEUlT_E1_NS1_11comp_targetILNS1_3genE3ELNS1_11target_archE908ELNS1_3gpuE7ELNS1_3repE0EEENS1_30default_config_static_selectorELNS0_4arch9wavefront6targetE1EEEvSQ_,comdat
.Lfunc_end127:
	.size	_ZN7rocprim17ROCPRIM_400000_NS6detail17trampoline_kernelINS0_14default_configENS1_22reduce_config_selectorIiEEZNS1_11reduce_implILb1ES3_N6hipcub16HIPCUB_304000_NS22TransformInputIteratorIiN2at6native8internal21MapNumberOfTrueValuesEPKhlEEPiiNS8_6detail34convert_binary_result_type_wrapperISt4plusIvESG_iEEEE10hipError_tPvRmT1_T2_T3_mT4_P12ihipStream_tbEUlT_E1_NS1_11comp_targetILNS1_3genE3ELNS1_11target_archE908ELNS1_3gpuE7ELNS1_3repE0EEENS1_30default_config_static_selectorELNS0_4arch9wavefront6targetE1EEEvSQ_, .Lfunc_end127-_ZN7rocprim17ROCPRIM_400000_NS6detail17trampoline_kernelINS0_14default_configENS1_22reduce_config_selectorIiEEZNS1_11reduce_implILb1ES3_N6hipcub16HIPCUB_304000_NS22TransformInputIteratorIiN2at6native8internal21MapNumberOfTrueValuesEPKhlEEPiiNS8_6detail34convert_binary_result_type_wrapperISt4plusIvESG_iEEEE10hipError_tPvRmT1_T2_T3_mT4_P12ihipStream_tbEUlT_E1_NS1_11comp_targetILNS1_3genE3ELNS1_11target_archE908ELNS1_3gpuE7ELNS1_3repE0EEENS1_30default_config_static_selectorELNS0_4arch9wavefront6targetE1EEEvSQ_
                                        ; -- End function
	.section	.AMDGPU.csdata,"",@progbits
; Kernel info:
; codeLenInByte = 0
; NumSgprs: 4
; NumVgprs: 0
; NumAgprs: 0
; TotalNumVgprs: 0
; ScratchSize: 0
; MemoryBound: 0
; FloatMode: 240
; IeeeMode: 1
; LDSByteSize: 0 bytes/workgroup (compile time only)
; SGPRBlocks: 0
; VGPRBlocks: 0
; NumSGPRsForWavesPerEU: 4
; NumVGPRsForWavesPerEU: 1
; AccumOffset: 4
; Occupancy: 8
; WaveLimiterHint : 0
; COMPUTE_PGM_RSRC2:SCRATCH_EN: 0
; COMPUTE_PGM_RSRC2:USER_SGPR: 6
; COMPUTE_PGM_RSRC2:TRAP_HANDLER: 0
; COMPUTE_PGM_RSRC2:TGID_X_EN: 1
; COMPUTE_PGM_RSRC2:TGID_Y_EN: 0
; COMPUTE_PGM_RSRC2:TGID_Z_EN: 0
; COMPUTE_PGM_RSRC2:TIDIG_COMP_CNT: 0
; COMPUTE_PGM_RSRC3_GFX90A:ACCUM_OFFSET: 0
; COMPUTE_PGM_RSRC3_GFX90A:TG_SPLIT: 0
	.section	.text._ZN7rocprim17ROCPRIM_400000_NS6detail17trampoline_kernelINS0_14default_configENS1_22reduce_config_selectorIiEEZNS1_11reduce_implILb1ES3_N6hipcub16HIPCUB_304000_NS22TransformInputIteratorIiN2at6native8internal21MapNumberOfTrueValuesEPKhlEEPiiNS8_6detail34convert_binary_result_type_wrapperISt4plusIvESG_iEEEE10hipError_tPvRmT1_T2_T3_mT4_P12ihipStream_tbEUlT_E1_NS1_11comp_targetILNS1_3genE2ELNS1_11target_archE906ELNS1_3gpuE6ELNS1_3repE0EEENS1_30default_config_static_selectorELNS0_4arch9wavefront6targetE1EEEvSQ_,"axG",@progbits,_ZN7rocprim17ROCPRIM_400000_NS6detail17trampoline_kernelINS0_14default_configENS1_22reduce_config_selectorIiEEZNS1_11reduce_implILb1ES3_N6hipcub16HIPCUB_304000_NS22TransformInputIteratorIiN2at6native8internal21MapNumberOfTrueValuesEPKhlEEPiiNS8_6detail34convert_binary_result_type_wrapperISt4plusIvESG_iEEEE10hipError_tPvRmT1_T2_T3_mT4_P12ihipStream_tbEUlT_E1_NS1_11comp_targetILNS1_3genE2ELNS1_11target_archE906ELNS1_3gpuE6ELNS1_3repE0EEENS1_30default_config_static_selectorELNS0_4arch9wavefront6targetE1EEEvSQ_,comdat
	.protected	_ZN7rocprim17ROCPRIM_400000_NS6detail17trampoline_kernelINS0_14default_configENS1_22reduce_config_selectorIiEEZNS1_11reduce_implILb1ES3_N6hipcub16HIPCUB_304000_NS22TransformInputIteratorIiN2at6native8internal21MapNumberOfTrueValuesEPKhlEEPiiNS8_6detail34convert_binary_result_type_wrapperISt4plusIvESG_iEEEE10hipError_tPvRmT1_T2_T3_mT4_P12ihipStream_tbEUlT_E1_NS1_11comp_targetILNS1_3genE2ELNS1_11target_archE906ELNS1_3gpuE6ELNS1_3repE0EEENS1_30default_config_static_selectorELNS0_4arch9wavefront6targetE1EEEvSQ_ ; -- Begin function _ZN7rocprim17ROCPRIM_400000_NS6detail17trampoline_kernelINS0_14default_configENS1_22reduce_config_selectorIiEEZNS1_11reduce_implILb1ES3_N6hipcub16HIPCUB_304000_NS22TransformInputIteratorIiN2at6native8internal21MapNumberOfTrueValuesEPKhlEEPiiNS8_6detail34convert_binary_result_type_wrapperISt4plusIvESG_iEEEE10hipError_tPvRmT1_T2_T3_mT4_P12ihipStream_tbEUlT_E1_NS1_11comp_targetILNS1_3genE2ELNS1_11target_archE906ELNS1_3gpuE6ELNS1_3repE0EEENS1_30default_config_static_selectorELNS0_4arch9wavefront6targetE1EEEvSQ_
	.globl	_ZN7rocprim17ROCPRIM_400000_NS6detail17trampoline_kernelINS0_14default_configENS1_22reduce_config_selectorIiEEZNS1_11reduce_implILb1ES3_N6hipcub16HIPCUB_304000_NS22TransformInputIteratorIiN2at6native8internal21MapNumberOfTrueValuesEPKhlEEPiiNS8_6detail34convert_binary_result_type_wrapperISt4plusIvESG_iEEEE10hipError_tPvRmT1_T2_T3_mT4_P12ihipStream_tbEUlT_E1_NS1_11comp_targetILNS1_3genE2ELNS1_11target_archE906ELNS1_3gpuE6ELNS1_3repE0EEENS1_30default_config_static_selectorELNS0_4arch9wavefront6targetE1EEEvSQ_
	.p2align	8
	.type	_ZN7rocprim17ROCPRIM_400000_NS6detail17trampoline_kernelINS0_14default_configENS1_22reduce_config_selectorIiEEZNS1_11reduce_implILb1ES3_N6hipcub16HIPCUB_304000_NS22TransformInputIteratorIiN2at6native8internal21MapNumberOfTrueValuesEPKhlEEPiiNS8_6detail34convert_binary_result_type_wrapperISt4plusIvESG_iEEEE10hipError_tPvRmT1_T2_T3_mT4_P12ihipStream_tbEUlT_E1_NS1_11comp_targetILNS1_3genE2ELNS1_11target_archE906ELNS1_3gpuE6ELNS1_3repE0EEENS1_30default_config_static_selectorELNS0_4arch9wavefront6targetE1EEEvSQ_,@function
_ZN7rocprim17ROCPRIM_400000_NS6detail17trampoline_kernelINS0_14default_configENS1_22reduce_config_selectorIiEEZNS1_11reduce_implILb1ES3_N6hipcub16HIPCUB_304000_NS22TransformInputIteratorIiN2at6native8internal21MapNumberOfTrueValuesEPKhlEEPiiNS8_6detail34convert_binary_result_type_wrapperISt4plusIvESG_iEEEE10hipError_tPvRmT1_T2_T3_mT4_P12ihipStream_tbEUlT_E1_NS1_11comp_targetILNS1_3genE2ELNS1_11target_archE906ELNS1_3gpuE6ELNS1_3repE0EEENS1_30default_config_static_selectorELNS0_4arch9wavefront6targetE1EEEvSQ_: ; @_ZN7rocprim17ROCPRIM_400000_NS6detail17trampoline_kernelINS0_14default_configENS1_22reduce_config_selectorIiEEZNS1_11reduce_implILb1ES3_N6hipcub16HIPCUB_304000_NS22TransformInputIteratorIiN2at6native8internal21MapNumberOfTrueValuesEPKhlEEPiiNS8_6detail34convert_binary_result_type_wrapperISt4plusIvESG_iEEEE10hipError_tPvRmT1_T2_T3_mT4_P12ihipStream_tbEUlT_E1_NS1_11comp_targetILNS1_3genE2ELNS1_11target_archE906ELNS1_3gpuE6ELNS1_3repE0EEENS1_30default_config_static_selectorELNS0_4arch9wavefront6targetE1EEEvSQ_
; %bb.0:
	.section	.rodata,"a",@progbits
	.p2align	6, 0x0
	.amdhsa_kernel _ZN7rocprim17ROCPRIM_400000_NS6detail17trampoline_kernelINS0_14default_configENS1_22reduce_config_selectorIiEEZNS1_11reduce_implILb1ES3_N6hipcub16HIPCUB_304000_NS22TransformInputIteratorIiN2at6native8internal21MapNumberOfTrueValuesEPKhlEEPiiNS8_6detail34convert_binary_result_type_wrapperISt4plusIvESG_iEEEE10hipError_tPvRmT1_T2_T3_mT4_P12ihipStream_tbEUlT_E1_NS1_11comp_targetILNS1_3genE2ELNS1_11target_archE906ELNS1_3gpuE6ELNS1_3repE0EEENS1_30default_config_static_selectorELNS0_4arch9wavefront6targetE1EEEvSQ_
		.amdhsa_group_segment_fixed_size 0
		.amdhsa_private_segment_fixed_size 0
		.amdhsa_kernarg_size 48
		.amdhsa_user_sgpr_count 6
		.amdhsa_user_sgpr_private_segment_buffer 1
		.amdhsa_user_sgpr_dispatch_ptr 0
		.amdhsa_user_sgpr_queue_ptr 0
		.amdhsa_user_sgpr_kernarg_segment_ptr 1
		.amdhsa_user_sgpr_dispatch_id 0
		.amdhsa_user_sgpr_flat_scratch_init 0
		.amdhsa_user_sgpr_kernarg_preload_length 0
		.amdhsa_user_sgpr_kernarg_preload_offset 0
		.amdhsa_user_sgpr_private_segment_size 0
		.amdhsa_uses_dynamic_stack 0
		.amdhsa_system_sgpr_private_segment_wavefront_offset 0
		.amdhsa_system_sgpr_workgroup_id_x 1
		.amdhsa_system_sgpr_workgroup_id_y 0
		.amdhsa_system_sgpr_workgroup_id_z 0
		.amdhsa_system_sgpr_workgroup_info 0
		.amdhsa_system_vgpr_workitem_id 0
		.amdhsa_next_free_vgpr 1
		.amdhsa_next_free_sgpr 0
		.amdhsa_accum_offset 4
		.amdhsa_reserve_vcc 0
		.amdhsa_reserve_flat_scratch 0
		.amdhsa_float_round_mode_32 0
		.amdhsa_float_round_mode_16_64 0
		.amdhsa_float_denorm_mode_32 3
		.amdhsa_float_denorm_mode_16_64 3
		.amdhsa_dx10_clamp 1
		.amdhsa_ieee_mode 1
		.amdhsa_fp16_overflow 0
		.amdhsa_tg_split 0
		.amdhsa_exception_fp_ieee_invalid_op 0
		.amdhsa_exception_fp_denorm_src 0
		.amdhsa_exception_fp_ieee_div_zero 0
		.amdhsa_exception_fp_ieee_overflow 0
		.amdhsa_exception_fp_ieee_underflow 0
		.amdhsa_exception_fp_ieee_inexact 0
		.amdhsa_exception_int_div_zero 0
	.end_amdhsa_kernel
	.section	.text._ZN7rocprim17ROCPRIM_400000_NS6detail17trampoline_kernelINS0_14default_configENS1_22reduce_config_selectorIiEEZNS1_11reduce_implILb1ES3_N6hipcub16HIPCUB_304000_NS22TransformInputIteratorIiN2at6native8internal21MapNumberOfTrueValuesEPKhlEEPiiNS8_6detail34convert_binary_result_type_wrapperISt4plusIvESG_iEEEE10hipError_tPvRmT1_T2_T3_mT4_P12ihipStream_tbEUlT_E1_NS1_11comp_targetILNS1_3genE2ELNS1_11target_archE906ELNS1_3gpuE6ELNS1_3repE0EEENS1_30default_config_static_selectorELNS0_4arch9wavefront6targetE1EEEvSQ_,"axG",@progbits,_ZN7rocprim17ROCPRIM_400000_NS6detail17trampoline_kernelINS0_14default_configENS1_22reduce_config_selectorIiEEZNS1_11reduce_implILb1ES3_N6hipcub16HIPCUB_304000_NS22TransformInputIteratorIiN2at6native8internal21MapNumberOfTrueValuesEPKhlEEPiiNS8_6detail34convert_binary_result_type_wrapperISt4plusIvESG_iEEEE10hipError_tPvRmT1_T2_T3_mT4_P12ihipStream_tbEUlT_E1_NS1_11comp_targetILNS1_3genE2ELNS1_11target_archE906ELNS1_3gpuE6ELNS1_3repE0EEENS1_30default_config_static_selectorELNS0_4arch9wavefront6targetE1EEEvSQ_,comdat
.Lfunc_end128:
	.size	_ZN7rocprim17ROCPRIM_400000_NS6detail17trampoline_kernelINS0_14default_configENS1_22reduce_config_selectorIiEEZNS1_11reduce_implILb1ES3_N6hipcub16HIPCUB_304000_NS22TransformInputIteratorIiN2at6native8internal21MapNumberOfTrueValuesEPKhlEEPiiNS8_6detail34convert_binary_result_type_wrapperISt4plusIvESG_iEEEE10hipError_tPvRmT1_T2_T3_mT4_P12ihipStream_tbEUlT_E1_NS1_11comp_targetILNS1_3genE2ELNS1_11target_archE906ELNS1_3gpuE6ELNS1_3repE0EEENS1_30default_config_static_selectorELNS0_4arch9wavefront6targetE1EEEvSQ_, .Lfunc_end128-_ZN7rocprim17ROCPRIM_400000_NS6detail17trampoline_kernelINS0_14default_configENS1_22reduce_config_selectorIiEEZNS1_11reduce_implILb1ES3_N6hipcub16HIPCUB_304000_NS22TransformInputIteratorIiN2at6native8internal21MapNumberOfTrueValuesEPKhlEEPiiNS8_6detail34convert_binary_result_type_wrapperISt4plusIvESG_iEEEE10hipError_tPvRmT1_T2_T3_mT4_P12ihipStream_tbEUlT_E1_NS1_11comp_targetILNS1_3genE2ELNS1_11target_archE906ELNS1_3gpuE6ELNS1_3repE0EEENS1_30default_config_static_selectorELNS0_4arch9wavefront6targetE1EEEvSQ_
                                        ; -- End function
	.section	.AMDGPU.csdata,"",@progbits
; Kernel info:
; codeLenInByte = 0
; NumSgprs: 4
; NumVgprs: 0
; NumAgprs: 0
; TotalNumVgprs: 0
; ScratchSize: 0
; MemoryBound: 0
; FloatMode: 240
; IeeeMode: 1
; LDSByteSize: 0 bytes/workgroup (compile time only)
; SGPRBlocks: 0
; VGPRBlocks: 0
; NumSGPRsForWavesPerEU: 4
; NumVGPRsForWavesPerEU: 1
; AccumOffset: 4
; Occupancy: 8
; WaveLimiterHint : 0
; COMPUTE_PGM_RSRC2:SCRATCH_EN: 0
; COMPUTE_PGM_RSRC2:USER_SGPR: 6
; COMPUTE_PGM_RSRC2:TRAP_HANDLER: 0
; COMPUTE_PGM_RSRC2:TGID_X_EN: 1
; COMPUTE_PGM_RSRC2:TGID_Y_EN: 0
; COMPUTE_PGM_RSRC2:TGID_Z_EN: 0
; COMPUTE_PGM_RSRC2:TIDIG_COMP_CNT: 0
; COMPUTE_PGM_RSRC3_GFX90A:ACCUM_OFFSET: 0
; COMPUTE_PGM_RSRC3_GFX90A:TG_SPLIT: 0
	.section	.text._ZN7rocprim17ROCPRIM_400000_NS6detail17trampoline_kernelINS0_14default_configENS1_22reduce_config_selectorIiEEZNS1_11reduce_implILb1ES3_N6hipcub16HIPCUB_304000_NS22TransformInputIteratorIiN2at6native8internal21MapNumberOfTrueValuesEPKhlEEPiiNS8_6detail34convert_binary_result_type_wrapperISt4plusIvESG_iEEEE10hipError_tPvRmT1_T2_T3_mT4_P12ihipStream_tbEUlT_E1_NS1_11comp_targetILNS1_3genE10ELNS1_11target_archE1201ELNS1_3gpuE5ELNS1_3repE0EEENS1_30default_config_static_selectorELNS0_4arch9wavefront6targetE1EEEvSQ_,"axG",@progbits,_ZN7rocprim17ROCPRIM_400000_NS6detail17trampoline_kernelINS0_14default_configENS1_22reduce_config_selectorIiEEZNS1_11reduce_implILb1ES3_N6hipcub16HIPCUB_304000_NS22TransformInputIteratorIiN2at6native8internal21MapNumberOfTrueValuesEPKhlEEPiiNS8_6detail34convert_binary_result_type_wrapperISt4plusIvESG_iEEEE10hipError_tPvRmT1_T2_T3_mT4_P12ihipStream_tbEUlT_E1_NS1_11comp_targetILNS1_3genE10ELNS1_11target_archE1201ELNS1_3gpuE5ELNS1_3repE0EEENS1_30default_config_static_selectorELNS0_4arch9wavefront6targetE1EEEvSQ_,comdat
	.protected	_ZN7rocprim17ROCPRIM_400000_NS6detail17trampoline_kernelINS0_14default_configENS1_22reduce_config_selectorIiEEZNS1_11reduce_implILb1ES3_N6hipcub16HIPCUB_304000_NS22TransformInputIteratorIiN2at6native8internal21MapNumberOfTrueValuesEPKhlEEPiiNS8_6detail34convert_binary_result_type_wrapperISt4plusIvESG_iEEEE10hipError_tPvRmT1_T2_T3_mT4_P12ihipStream_tbEUlT_E1_NS1_11comp_targetILNS1_3genE10ELNS1_11target_archE1201ELNS1_3gpuE5ELNS1_3repE0EEENS1_30default_config_static_selectorELNS0_4arch9wavefront6targetE1EEEvSQ_ ; -- Begin function _ZN7rocprim17ROCPRIM_400000_NS6detail17trampoline_kernelINS0_14default_configENS1_22reduce_config_selectorIiEEZNS1_11reduce_implILb1ES3_N6hipcub16HIPCUB_304000_NS22TransformInputIteratorIiN2at6native8internal21MapNumberOfTrueValuesEPKhlEEPiiNS8_6detail34convert_binary_result_type_wrapperISt4plusIvESG_iEEEE10hipError_tPvRmT1_T2_T3_mT4_P12ihipStream_tbEUlT_E1_NS1_11comp_targetILNS1_3genE10ELNS1_11target_archE1201ELNS1_3gpuE5ELNS1_3repE0EEENS1_30default_config_static_selectorELNS0_4arch9wavefront6targetE1EEEvSQ_
	.globl	_ZN7rocprim17ROCPRIM_400000_NS6detail17trampoline_kernelINS0_14default_configENS1_22reduce_config_selectorIiEEZNS1_11reduce_implILb1ES3_N6hipcub16HIPCUB_304000_NS22TransformInputIteratorIiN2at6native8internal21MapNumberOfTrueValuesEPKhlEEPiiNS8_6detail34convert_binary_result_type_wrapperISt4plusIvESG_iEEEE10hipError_tPvRmT1_T2_T3_mT4_P12ihipStream_tbEUlT_E1_NS1_11comp_targetILNS1_3genE10ELNS1_11target_archE1201ELNS1_3gpuE5ELNS1_3repE0EEENS1_30default_config_static_selectorELNS0_4arch9wavefront6targetE1EEEvSQ_
	.p2align	8
	.type	_ZN7rocprim17ROCPRIM_400000_NS6detail17trampoline_kernelINS0_14default_configENS1_22reduce_config_selectorIiEEZNS1_11reduce_implILb1ES3_N6hipcub16HIPCUB_304000_NS22TransformInputIteratorIiN2at6native8internal21MapNumberOfTrueValuesEPKhlEEPiiNS8_6detail34convert_binary_result_type_wrapperISt4plusIvESG_iEEEE10hipError_tPvRmT1_T2_T3_mT4_P12ihipStream_tbEUlT_E1_NS1_11comp_targetILNS1_3genE10ELNS1_11target_archE1201ELNS1_3gpuE5ELNS1_3repE0EEENS1_30default_config_static_selectorELNS0_4arch9wavefront6targetE1EEEvSQ_,@function
_ZN7rocprim17ROCPRIM_400000_NS6detail17trampoline_kernelINS0_14default_configENS1_22reduce_config_selectorIiEEZNS1_11reduce_implILb1ES3_N6hipcub16HIPCUB_304000_NS22TransformInputIteratorIiN2at6native8internal21MapNumberOfTrueValuesEPKhlEEPiiNS8_6detail34convert_binary_result_type_wrapperISt4plusIvESG_iEEEE10hipError_tPvRmT1_T2_T3_mT4_P12ihipStream_tbEUlT_E1_NS1_11comp_targetILNS1_3genE10ELNS1_11target_archE1201ELNS1_3gpuE5ELNS1_3repE0EEENS1_30default_config_static_selectorELNS0_4arch9wavefront6targetE1EEEvSQ_: ; @_ZN7rocprim17ROCPRIM_400000_NS6detail17trampoline_kernelINS0_14default_configENS1_22reduce_config_selectorIiEEZNS1_11reduce_implILb1ES3_N6hipcub16HIPCUB_304000_NS22TransformInputIteratorIiN2at6native8internal21MapNumberOfTrueValuesEPKhlEEPiiNS8_6detail34convert_binary_result_type_wrapperISt4plusIvESG_iEEEE10hipError_tPvRmT1_T2_T3_mT4_P12ihipStream_tbEUlT_E1_NS1_11comp_targetILNS1_3genE10ELNS1_11target_archE1201ELNS1_3gpuE5ELNS1_3repE0EEENS1_30default_config_static_selectorELNS0_4arch9wavefront6targetE1EEEvSQ_
; %bb.0:
	.section	.rodata,"a",@progbits
	.p2align	6, 0x0
	.amdhsa_kernel _ZN7rocprim17ROCPRIM_400000_NS6detail17trampoline_kernelINS0_14default_configENS1_22reduce_config_selectorIiEEZNS1_11reduce_implILb1ES3_N6hipcub16HIPCUB_304000_NS22TransformInputIteratorIiN2at6native8internal21MapNumberOfTrueValuesEPKhlEEPiiNS8_6detail34convert_binary_result_type_wrapperISt4plusIvESG_iEEEE10hipError_tPvRmT1_T2_T3_mT4_P12ihipStream_tbEUlT_E1_NS1_11comp_targetILNS1_3genE10ELNS1_11target_archE1201ELNS1_3gpuE5ELNS1_3repE0EEENS1_30default_config_static_selectorELNS0_4arch9wavefront6targetE1EEEvSQ_
		.amdhsa_group_segment_fixed_size 0
		.amdhsa_private_segment_fixed_size 0
		.amdhsa_kernarg_size 48
		.amdhsa_user_sgpr_count 6
		.amdhsa_user_sgpr_private_segment_buffer 1
		.amdhsa_user_sgpr_dispatch_ptr 0
		.amdhsa_user_sgpr_queue_ptr 0
		.amdhsa_user_sgpr_kernarg_segment_ptr 1
		.amdhsa_user_sgpr_dispatch_id 0
		.amdhsa_user_sgpr_flat_scratch_init 0
		.amdhsa_user_sgpr_kernarg_preload_length 0
		.amdhsa_user_sgpr_kernarg_preload_offset 0
		.amdhsa_user_sgpr_private_segment_size 0
		.amdhsa_uses_dynamic_stack 0
		.amdhsa_system_sgpr_private_segment_wavefront_offset 0
		.amdhsa_system_sgpr_workgroup_id_x 1
		.amdhsa_system_sgpr_workgroup_id_y 0
		.amdhsa_system_sgpr_workgroup_id_z 0
		.amdhsa_system_sgpr_workgroup_info 0
		.amdhsa_system_vgpr_workitem_id 0
		.amdhsa_next_free_vgpr 1
		.amdhsa_next_free_sgpr 0
		.amdhsa_accum_offset 4
		.amdhsa_reserve_vcc 0
		.amdhsa_reserve_flat_scratch 0
		.amdhsa_float_round_mode_32 0
		.amdhsa_float_round_mode_16_64 0
		.amdhsa_float_denorm_mode_32 3
		.amdhsa_float_denorm_mode_16_64 3
		.amdhsa_dx10_clamp 1
		.amdhsa_ieee_mode 1
		.amdhsa_fp16_overflow 0
		.amdhsa_tg_split 0
		.amdhsa_exception_fp_ieee_invalid_op 0
		.amdhsa_exception_fp_denorm_src 0
		.amdhsa_exception_fp_ieee_div_zero 0
		.amdhsa_exception_fp_ieee_overflow 0
		.amdhsa_exception_fp_ieee_underflow 0
		.amdhsa_exception_fp_ieee_inexact 0
		.amdhsa_exception_int_div_zero 0
	.end_amdhsa_kernel
	.section	.text._ZN7rocprim17ROCPRIM_400000_NS6detail17trampoline_kernelINS0_14default_configENS1_22reduce_config_selectorIiEEZNS1_11reduce_implILb1ES3_N6hipcub16HIPCUB_304000_NS22TransformInputIteratorIiN2at6native8internal21MapNumberOfTrueValuesEPKhlEEPiiNS8_6detail34convert_binary_result_type_wrapperISt4plusIvESG_iEEEE10hipError_tPvRmT1_T2_T3_mT4_P12ihipStream_tbEUlT_E1_NS1_11comp_targetILNS1_3genE10ELNS1_11target_archE1201ELNS1_3gpuE5ELNS1_3repE0EEENS1_30default_config_static_selectorELNS0_4arch9wavefront6targetE1EEEvSQ_,"axG",@progbits,_ZN7rocprim17ROCPRIM_400000_NS6detail17trampoline_kernelINS0_14default_configENS1_22reduce_config_selectorIiEEZNS1_11reduce_implILb1ES3_N6hipcub16HIPCUB_304000_NS22TransformInputIteratorIiN2at6native8internal21MapNumberOfTrueValuesEPKhlEEPiiNS8_6detail34convert_binary_result_type_wrapperISt4plusIvESG_iEEEE10hipError_tPvRmT1_T2_T3_mT4_P12ihipStream_tbEUlT_E1_NS1_11comp_targetILNS1_3genE10ELNS1_11target_archE1201ELNS1_3gpuE5ELNS1_3repE0EEENS1_30default_config_static_selectorELNS0_4arch9wavefront6targetE1EEEvSQ_,comdat
.Lfunc_end129:
	.size	_ZN7rocprim17ROCPRIM_400000_NS6detail17trampoline_kernelINS0_14default_configENS1_22reduce_config_selectorIiEEZNS1_11reduce_implILb1ES3_N6hipcub16HIPCUB_304000_NS22TransformInputIteratorIiN2at6native8internal21MapNumberOfTrueValuesEPKhlEEPiiNS8_6detail34convert_binary_result_type_wrapperISt4plusIvESG_iEEEE10hipError_tPvRmT1_T2_T3_mT4_P12ihipStream_tbEUlT_E1_NS1_11comp_targetILNS1_3genE10ELNS1_11target_archE1201ELNS1_3gpuE5ELNS1_3repE0EEENS1_30default_config_static_selectorELNS0_4arch9wavefront6targetE1EEEvSQ_, .Lfunc_end129-_ZN7rocprim17ROCPRIM_400000_NS6detail17trampoline_kernelINS0_14default_configENS1_22reduce_config_selectorIiEEZNS1_11reduce_implILb1ES3_N6hipcub16HIPCUB_304000_NS22TransformInputIteratorIiN2at6native8internal21MapNumberOfTrueValuesEPKhlEEPiiNS8_6detail34convert_binary_result_type_wrapperISt4plusIvESG_iEEEE10hipError_tPvRmT1_T2_T3_mT4_P12ihipStream_tbEUlT_E1_NS1_11comp_targetILNS1_3genE10ELNS1_11target_archE1201ELNS1_3gpuE5ELNS1_3repE0EEENS1_30default_config_static_selectorELNS0_4arch9wavefront6targetE1EEEvSQ_
                                        ; -- End function
	.section	.AMDGPU.csdata,"",@progbits
; Kernel info:
; codeLenInByte = 0
; NumSgprs: 4
; NumVgprs: 0
; NumAgprs: 0
; TotalNumVgprs: 0
; ScratchSize: 0
; MemoryBound: 0
; FloatMode: 240
; IeeeMode: 1
; LDSByteSize: 0 bytes/workgroup (compile time only)
; SGPRBlocks: 0
; VGPRBlocks: 0
; NumSGPRsForWavesPerEU: 4
; NumVGPRsForWavesPerEU: 1
; AccumOffset: 4
; Occupancy: 8
; WaveLimiterHint : 0
; COMPUTE_PGM_RSRC2:SCRATCH_EN: 0
; COMPUTE_PGM_RSRC2:USER_SGPR: 6
; COMPUTE_PGM_RSRC2:TRAP_HANDLER: 0
; COMPUTE_PGM_RSRC2:TGID_X_EN: 1
; COMPUTE_PGM_RSRC2:TGID_Y_EN: 0
; COMPUTE_PGM_RSRC2:TGID_Z_EN: 0
; COMPUTE_PGM_RSRC2:TIDIG_COMP_CNT: 0
; COMPUTE_PGM_RSRC3_GFX90A:ACCUM_OFFSET: 0
; COMPUTE_PGM_RSRC3_GFX90A:TG_SPLIT: 0
	.section	.text._ZN7rocprim17ROCPRIM_400000_NS6detail17trampoline_kernelINS0_14default_configENS1_22reduce_config_selectorIiEEZNS1_11reduce_implILb1ES3_N6hipcub16HIPCUB_304000_NS22TransformInputIteratorIiN2at6native8internal21MapNumberOfTrueValuesEPKhlEEPiiNS8_6detail34convert_binary_result_type_wrapperISt4plusIvESG_iEEEE10hipError_tPvRmT1_T2_T3_mT4_P12ihipStream_tbEUlT_E1_NS1_11comp_targetILNS1_3genE10ELNS1_11target_archE1200ELNS1_3gpuE4ELNS1_3repE0EEENS1_30default_config_static_selectorELNS0_4arch9wavefront6targetE1EEEvSQ_,"axG",@progbits,_ZN7rocprim17ROCPRIM_400000_NS6detail17trampoline_kernelINS0_14default_configENS1_22reduce_config_selectorIiEEZNS1_11reduce_implILb1ES3_N6hipcub16HIPCUB_304000_NS22TransformInputIteratorIiN2at6native8internal21MapNumberOfTrueValuesEPKhlEEPiiNS8_6detail34convert_binary_result_type_wrapperISt4plusIvESG_iEEEE10hipError_tPvRmT1_T2_T3_mT4_P12ihipStream_tbEUlT_E1_NS1_11comp_targetILNS1_3genE10ELNS1_11target_archE1200ELNS1_3gpuE4ELNS1_3repE0EEENS1_30default_config_static_selectorELNS0_4arch9wavefront6targetE1EEEvSQ_,comdat
	.protected	_ZN7rocprim17ROCPRIM_400000_NS6detail17trampoline_kernelINS0_14default_configENS1_22reduce_config_selectorIiEEZNS1_11reduce_implILb1ES3_N6hipcub16HIPCUB_304000_NS22TransformInputIteratorIiN2at6native8internal21MapNumberOfTrueValuesEPKhlEEPiiNS8_6detail34convert_binary_result_type_wrapperISt4plusIvESG_iEEEE10hipError_tPvRmT1_T2_T3_mT4_P12ihipStream_tbEUlT_E1_NS1_11comp_targetILNS1_3genE10ELNS1_11target_archE1200ELNS1_3gpuE4ELNS1_3repE0EEENS1_30default_config_static_selectorELNS0_4arch9wavefront6targetE1EEEvSQ_ ; -- Begin function _ZN7rocprim17ROCPRIM_400000_NS6detail17trampoline_kernelINS0_14default_configENS1_22reduce_config_selectorIiEEZNS1_11reduce_implILb1ES3_N6hipcub16HIPCUB_304000_NS22TransformInputIteratorIiN2at6native8internal21MapNumberOfTrueValuesEPKhlEEPiiNS8_6detail34convert_binary_result_type_wrapperISt4plusIvESG_iEEEE10hipError_tPvRmT1_T2_T3_mT4_P12ihipStream_tbEUlT_E1_NS1_11comp_targetILNS1_3genE10ELNS1_11target_archE1200ELNS1_3gpuE4ELNS1_3repE0EEENS1_30default_config_static_selectorELNS0_4arch9wavefront6targetE1EEEvSQ_
	.globl	_ZN7rocprim17ROCPRIM_400000_NS6detail17trampoline_kernelINS0_14default_configENS1_22reduce_config_selectorIiEEZNS1_11reduce_implILb1ES3_N6hipcub16HIPCUB_304000_NS22TransformInputIteratorIiN2at6native8internal21MapNumberOfTrueValuesEPKhlEEPiiNS8_6detail34convert_binary_result_type_wrapperISt4plusIvESG_iEEEE10hipError_tPvRmT1_T2_T3_mT4_P12ihipStream_tbEUlT_E1_NS1_11comp_targetILNS1_3genE10ELNS1_11target_archE1200ELNS1_3gpuE4ELNS1_3repE0EEENS1_30default_config_static_selectorELNS0_4arch9wavefront6targetE1EEEvSQ_
	.p2align	8
	.type	_ZN7rocprim17ROCPRIM_400000_NS6detail17trampoline_kernelINS0_14default_configENS1_22reduce_config_selectorIiEEZNS1_11reduce_implILb1ES3_N6hipcub16HIPCUB_304000_NS22TransformInputIteratorIiN2at6native8internal21MapNumberOfTrueValuesEPKhlEEPiiNS8_6detail34convert_binary_result_type_wrapperISt4plusIvESG_iEEEE10hipError_tPvRmT1_T2_T3_mT4_P12ihipStream_tbEUlT_E1_NS1_11comp_targetILNS1_3genE10ELNS1_11target_archE1200ELNS1_3gpuE4ELNS1_3repE0EEENS1_30default_config_static_selectorELNS0_4arch9wavefront6targetE1EEEvSQ_,@function
_ZN7rocprim17ROCPRIM_400000_NS6detail17trampoline_kernelINS0_14default_configENS1_22reduce_config_selectorIiEEZNS1_11reduce_implILb1ES3_N6hipcub16HIPCUB_304000_NS22TransformInputIteratorIiN2at6native8internal21MapNumberOfTrueValuesEPKhlEEPiiNS8_6detail34convert_binary_result_type_wrapperISt4plusIvESG_iEEEE10hipError_tPvRmT1_T2_T3_mT4_P12ihipStream_tbEUlT_E1_NS1_11comp_targetILNS1_3genE10ELNS1_11target_archE1200ELNS1_3gpuE4ELNS1_3repE0EEENS1_30default_config_static_selectorELNS0_4arch9wavefront6targetE1EEEvSQ_: ; @_ZN7rocprim17ROCPRIM_400000_NS6detail17trampoline_kernelINS0_14default_configENS1_22reduce_config_selectorIiEEZNS1_11reduce_implILb1ES3_N6hipcub16HIPCUB_304000_NS22TransformInputIteratorIiN2at6native8internal21MapNumberOfTrueValuesEPKhlEEPiiNS8_6detail34convert_binary_result_type_wrapperISt4plusIvESG_iEEEE10hipError_tPvRmT1_T2_T3_mT4_P12ihipStream_tbEUlT_E1_NS1_11comp_targetILNS1_3genE10ELNS1_11target_archE1200ELNS1_3gpuE4ELNS1_3repE0EEENS1_30default_config_static_selectorELNS0_4arch9wavefront6targetE1EEEvSQ_
; %bb.0:
	.section	.rodata,"a",@progbits
	.p2align	6, 0x0
	.amdhsa_kernel _ZN7rocprim17ROCPRIM_400000_NS6detail17trampoline_kernelINS0_14default_configENS1_22reduce_config_selectorIiEEZNS1_11reduce_implILb1ES3_N6hipcub16HIPCUB_304000_NS22TransformInputIteratorIiN2at6native8internal21MapNumberOfTrueValuesEPKhlEEPiiNS8_6detail34convert_binary_result_type_wrapperISt4plusIvESG_iEEEE10hipError_tPvRmT1_T2_T3_mT4_P12ihipStream_tbEUlT_E1_NS1_11comp_targetILNS1_3genE10ELNS1_11target_archE1200ELNS1_3gpuE4ELNS1_3repE0EEENS1_30default_config_static_selectorELNS0_4arch9wavefront6targetE1EEEvSQ_
		.amdhsa_group_segment_fixed_size 0
		.amdhsa_private_segment_fixed_size 0
		.amdhsa_kernarg_size 48
		.amdhsa_user_sgpr_count 6
		.amdhsa_user_sgpr_private_segment_buffer 1
		.amdhsa_user_sgpr_dispatch_ptr 0
		.amdhsa_user_sgpr_queue_ptr 0
		.amdhsa_user_sgpr_kernarg_segment_ptr 1
		.amdhsa_user_sgpr_dispatch_id 0
		.amdhsa_user_sgpr_flat_scratch_init 0
		.amdhsa_user_sgpr_kernarg_preload_length 0
		.amdhsa_user_sgpr_kernarg_preload_offset 0
		.amdhsa_user_sgpr_private_segment_size 0
		.amdhsa_uses_dynamic_stack 0
		.amdhsa_system_sgpr_private_segment_wavefront_offset 0
		.amdhsa_system_sgpr_workgroup_id_x 1
		.amdhsa_system_sgpr_workgroup_id_y 0
		.amdhsa_system_sgpr_workgroup_id_z 0
		.amdhsa_system_sgpr_workgroup_info 0
		.amdhsa_system_vgpr_workitem_id 0
		.amdhsa_next_free_vgpr 1
		.amdhsa_next_free_sgpr 0
		.amdhsa_accum_offset 4
		.amdhsa_reserve_vcc 0
		.amdhsa_reserve_flat_scratch 0
		.amdhsa_float_round_mode_32 0
		.amdhsa_float_round_mode_16_64 0
		.amdhsa_float_denorm_mode_32 3
		.amdhsa_float_denorm_mode_16_64 3
		.amdhsa_dx10_clamp 1
		.amdhsa_ieee_mode 1
		.amdhsa_fp16_overflow 0
		.amdhsa_tg_split 0
		.amdhsa_exception_fp_ieee_invalid_op 0
		.amdhsa_exception_fp_denorm_src 0
		.amdhsa_exception_fp_ieee_div_zero 0
		.amdhsa_exception_fp_ieee_overflow 0
		.amdhsa_exception_fp_ieee_underflow 0
		.amdhsa_exception_fp_ieee_inexact 0
		.amdhsa_exception_int_div_zero 0
	.end_amdhsa_kernel
	.section	.text._ZN7rocprim17ROCPRIM_400000_NS6detail17trampoline_kernelINS0_14default_configENS1_22reduce_config_selectorIiEEZNS1_11reduce_implILb1ES3_N6hipcub16HIPCUB_304000_NS22TransformInputIteratorIiN2at6native8internal21MapNumberOfTrueValuesEPKhlEEPiiNS8_6detail34convert_binary_result_type_wrapperISt4plusIvESG_iEEEE10hipError_tPvRmT1_T2_T3_mT4_P12ihipStream_tbEUlT_E1_NS1_11comp_targetILNS1_3genE10ELNS1_11target_archE1200ELNS1_3gpuE4ELNS1_3repE0EEENS1_30default_config_static_selectorELNS0_4arch9wavefront6targetE1EEEvSQ_,"axG",@progbits,_ZN7rocprim17ROCPRIM_400000_NS6detail17trampoline_kernelINS0_14default_configENS1_22reduce_config_selectorIiEEZNS1_11reduce_implILb1ES3_N6hipcub16HIPCUB_304000_NS22TransformInputIteratorIiN2at6native8internal21MapNumberOfTrueValuesEPKhlEEPiiNS8_6detail34convert_binary_result_type_wrapperISt4plusIvESG_iEEEE10hipError_tPvRmT1_T2_T3_mT4_P12ihipStream_tbEUlT_E1_NS1_11comp_targetILNS1_3genE10ELNS1_11target_archE1200ELNS1_3gpuE4ELNS1_3repE0EEENS1_30default_config_static_selectorELNS0_4arch9wavefront6targetE1EEEvSQ_,comdat
.Lfunc_end130:
	.size	_ZN7rocprim17ROCPRIM_400000_NS6detail17trampoline_kernelINS0_14default_configENS1_22reduce_config_selectorIiEEZNS1_11reduce_implILb1ES3_N6hipcub16HIPCUB_304000_NS22TransformInputIteratorIiN2at6native8internal21MapNumberOfTrueValuesEPKhlEEPiiNS8_6detail34convert_binary_result_type_wrapperISt4plusIvESG_iEEEE10hipError_tPvRmT1_T2_T3_mT4_P12ihipStream_tbEUlT_E1_NS1_11comp_targetILNS1_3genE10ELNS1_11target_archE1200ELNS1_3gpuE4ELNS1_3repE0EEENS1_30default_config_static_selectorELNS0_4arch9wavefront6targetE1EEEvSQ_, .Lfunc_end130-_ZN7rocprim17ROCPRIM_400000_NS6detail17trampoline_kernelINS0_14default_configENS1_22reduce_config_selectorIiEEZNS1_11reduce_implILb1ES3_N6hipcub16HIPCUB_304000_NS22TransformInputIteratorIiN2at6native8internal21MapNumberOfTrueValuesEPKhlEEPiiNS8_6detail34convert_binary_result_type_wrapperISt4plusIvESG_iEEEE10hipError_tPvRmT1_T2_T3_mT4_P12ihipStream_tbEUlT_E1_NS1_11comp_targetILNS1_3genE10ELNS1_11target_archE1200ELNS1_3gpuE4ELNS1_3repE0EEENS1_30default_config_static_selectorELNS0_4arch9wavefront6targetE1EEEvSQ_
                                        ; -- End function
	.section	.AMDGPU.csdata,"",@progbits
; Kernel info:
; codeLenInByte = 0
; NumSgprs: 4
; NumVgprs: 0
; NumAgprs: 0
; TotalNumVgprs: 0
; ScratchSize: 0
; MemoryBound: 0
; FloatMode: 240
; IeeeMode: 1
; LDSByteSize: 0 bytes/workgroup (compile time only)
; SGPRBlocks: 0
; VGPRBlocks: 0
; NumSGPRsForWavesPerEU: 4
; NumVGPRsForWavesPerEU: 1
; AccumOffset: 4
; Occupancy: 8
; WaveLimiterHint : 0
; COMPUTE_PGM_RSRC2:SCRATCH_EN: 0
; COMPUTE_PGM_RSRC2:USER_SGPR: 6
; COMPUTE_PGM_RSRC2:TRAP_HANDLER: 0
; COMPUTE_PGM_RSRC2:TGID_X_EN: 1
; COMPUTE_PGM_RSRC2:TGID_Y_EN: 0
; COMPUTE_PGM_RSRC2:TGID_Z_EN: 0
; COMPUTE_PGM_RSRC2:TIDIG_COMP_CNT: 0
; COMPUTE_PGM_RSRC3_GFX90A:ACCUM_OFFSET: 0
; COMPUTE_PGM_RSRC3_GFX90A:TG_SPLIT: 0
	.section	.text._ZN7rocprim17ROCPRIM_400000_NS6detail17trampoline_kernelINS0_14default_configENS1_22reduce_config_selectorIiEEZNS1_11reduce_implILb1ES3_N6hipcub16HIPCUB_304000_NS22TransformInputIteratorIiN2at6native8internal21MapNumberOfTrueValuesEPKhlEEPiiNS8_6detail34convert_binary_result_type_wrapperISt4plusIvESG_iEEEE10hipError_tPvRmT1_T2_T3_mT4_P12ihipStream_tbEUlT_E1_NS1_11comp_targetILNS1_3genE9ELNS1_11target_archE1100ELNS1_3gpuE3ELNS1_3repE0EEENS1_30default_config_static_selectorELNS0_4arch9wavefront6targetE1EEEvSQ_,"axG",@progbits,_ZN7rocprim17ROCPRIM_400000_NS6detail17trampoline_kernelINS0_14default_configENS1_22reduce_config_selectorIiEEZNS1_11reduce_implILb1ES3_N6hipcub16HIPCUB_304000_NS22TransformInputIteratorIiN2at6native8internal21MapNumberOfTrueValuesEPKhlEEPiiNS8_6detail34convert_binary_result_type_wrapperISt4plusIvESG_iEEEE10hipError_tPvRmT1_T2_T3_mT4_P12ihipStream_tbEUlT_E1_NS1_11comp_targetILNS1_3genE9ELNS1_11target_archE1100ELNS1_3gpuE3ELNS1_3repE0EEENS1_30default_config_static_selectorELNS0_4arch9wavefront6targetE1EEEvSQ_,comdat
	.protected	_ZN7rocprim17ROCPRIM_400000_NS6detail17trampoline_kernelINS0_14default_configENS1_22reduce_config_selectorIiEEZNS1_11reduce_implILb1ES3_N6hipcub16HIPCUB_304000_NS22TransformInputIteratorIiN2at6native8internal21MapNumberOfTrueValuesEPKhlEEPiiNS8_6detail34convert_binary_result_type_wrapperISt4plusIvESG_iEEEE10hipError_tPvRmT1_T2_T3_mT4_P12ihipStream_tbEUlT_E1_NS1_11comp_targetILNS1_3genE9ELNS1_11target_archE1100ELNS1_3gpuE3ELNS1_3repE0EEENS1_30default_config_static_selectorELNS0_4arch9wavefront6targetE1EEEvSQ_ ; -- Begin function _ZN7rocprim17ROCPRIM_400000_NS6detail17trampoline_kernelINS0_14default_configENS1_22reduce_config_selectorIiEEZNS1_11reduce_implILb1ES3_N6hipcub16HIPCUB_304000_NS22TransformInputIteratorIiN2at6native8internal21MapNumberOfTrueValuesEPKhlEEPiiNS8_6detail34convert_binary_result_type_wrapperISt4plusIvESG_iEEEE10hipError_tPvRmT1_T2_T3_mT4_P12ihipStream_tbEUlT_E1_NS1_11comp_targetILNS1_3genE9ELNS1_11target_archE1100ELNS1_3gpuE3ELNS1_3repE0EEENS1_30default_config_static_selectorELNS0_4arch9wavefront6targetE1EEEvSQ_
	.globl	_ZN7rocprim17ROCPRIM_400000_NS6detail17trampoline_kernelINS0_14default_configENS1_22reduce_config_selectorIiEEZNS1_11reduce_implILb1ES3_N6hipcub16HIPCUB_304000_NS22TransformInputIteratorIiN2at6native8internal21MapNumberOfTrueValuesEPKhlEEPiiNS8_6detail34convert_binary_result_type_wrapperISt4plusIvESG_iEEEE10hipError_tPvRmT1_T2_T3_mT4_P12ihipStream_tbEUlT_E1_NS1_11comp_targetILNS1_3genE9ELNS1_11target_archE1100ELNS1_3gpuE3ELNS1_3repE0EEENS1_30default_config_static_selectorELNS0_4arch9wavefront6targetE1EEEvSQ_
	.p2align	8
	.type	_ZN7rocprim17ROCPRIM_400000_NS6detail17trampoline_kernelINS0_14default_configENS1_22reduce_config_selectorIiEEZNS1_11reduce_implILb1ES3_N6hipcub16HIPCUB_304000_NS22TransformInputIteratorIiN2at6native8internal21MapNumberOfTrueValuesEPKhlEEPiiNS8_6detail34convert_binary_result_type_wrapperISt4plusIvESG_iEEEE10hipError_tPvRmT1_T2_T3_mT4_P12ihipStream_tbEUlT_E1_NS1_11comp_targetILNS1_3genE9ELNS1_11target_archE1100ELNS1_3gpuE3ELNS1_3repE0EEENS1_30default_config_static_selectorELNS0_4arch9wavefront6targetE1EEEvSQ_,@function
_ZN7rocprim17ROCPRIM_400000_NS6detail17trampoline_kernelINS0_14default_configENS1_22reduce_config_selectorIiEEZNS1_11reduce_implILb1ES3_N6hipcub16HIPCUB_304000_NS22TransformInputIteratorIiN2at6native8internal21MapNumberOfTrueValuesEPKhlEEPiiNS8_6detail34convert_binary_result_type_wrapperISt4plusIvESG_iEEEE10hipError_tPvRmT1_T2_T3_mT4_P12ihipStream_tbEUlT_E1_NS1_11comp_targetILNS1_3genE9ELNS1_11target_archE1100ELNS1_3gpuE3ELNS1_3repE0EEENS1_30default_config_static_selectorELNS0_4arch9wavefront6targetE1EEEvSQ_: ; @_ZN7rocprim17ROCPRIM_400000_NS6detail17trampoline_kernelINS0_14default_configENS1_22reduce_config_selectorIiEEZNS1_11reduce_implILb1ES3_N6hipcub16HIPCUB_304000_NS22TransformInputIteratorIiN2at6native8internal21MapNumberOfTrueValuesEPKhlEEPiiNS8_6detail34convert_binary_result_type_wrapperISt4plusIvESG_iEEEE10hipError_tPvRmT1_T2_T3_mT4_P12ihipStream_tbEUlT_E1_NS1_11comp_targetILNS1_3genE9ELNS1_11target_archE1100ELNS1_3gpuE3ELNS1_3repE0EEENS1_30default_config_static_selectorELNS0_4arch9wavefront6targetE1EEEvSQ_
; %bb.0:
	.section	.rodata,"a",@progbits
	.p2align	6, 0x0
	.amdhsa_kernel _ZN7rocprim17ROCPRIM_400000_NS6detail17trampoline_kernelINS0_14default_configENS1_22reduce_config_selectorIiEEZNS1_11reduce_implILb1ES3_N6hipcub16HIPCUB_304000_NS22TransformInputIteratorIiN2at6native8internal21MapNumberOfTrueValuesEPKhlEEPiiNS8_6detail34convert_binary_result_type_wrapperISt4plusIvESG_iEEEE10hipError_tPvRmT1_T2_T3_mT4_P12ihipStream_tbEUlT_E1_NS1_11comp_targetILNS1_3genE9ELNS1_11target_archE1100ELNS1_3gpuE3ELNS1_3repE0EEENS1_30default_config_static_selectorELNS0_4arch9wavefront6targetE1EEEvSQ_
		.amdhsa_group_segment_fixed_size 0
		.amdhsa_private_segment_fixed_size 0
		.amdhsa_kernarg_size 48
		.amdhsa_user_sgpr_count 6
		.amdhsa_user_sgpr_private_segment_buffer 1
		.amdhsa_user_sgpr_dispatch_ptr 0
		.amdhsa_user_sgpr_queue_ptr 0
		.amdhsa_user_sgpr_kernarg_segment_ptr 1
		.amdhsa_user_sgpr_dispatch_id 0
		.amdhsa_user_sgpr_flat_scratch_init 0
		.amdhsa_user_sgpr_kernarg_preload_length 0
		.amdhsa_user_sgpr_kernarg_preload_offset 0
		.amdhsa_user_sgpr_private_segment_size 0
		.amdhsa_uses_dynamic_stack 0
		.amdhsa_system_sgpr_private_segment_wavefront_offset 0
		.amdhsa_system_sgpr_workgroup_id_x 1
		.amdhsa_system_sgpr_workgroup_id_y 0
		.amdhsa_system_sgpr_workgroup_id_z 0
		.amdhsa_system_sgpr_workgroup_info 0
		.amdhsa_system_vgpr_workitem_id 0
		.amdhsa_next_free_vgpr 1
		.amdhsa_next_free_sgpr 0
		.amdhsa_accum_offset 4
		.amdhsa_reserve_vcc 0
		.amdhsa_reserve_flat_scratch 0
		.amdhsa_float_round_mode_32 0
		.amdhsa_float_round_mode_16_64 0
		.amdhsa_float_denorm_mode_32 3
		.amdhsa_float_denorm_mode_16_64 3
		.amdhsa_dx10_clamp 1
		.amdhsa_ieee_mode 1
		.amdhsa_fp16_overflow 0
		.amdhsa_tg_split 0
		.amdhsa_exception_fp_ieee_invalid_op 0
		.amdhsa_exception_fp_denorm_src 0
		.amdhsa_exception_fp_ieee_div_zero 0
		.amdhsa_exception_fp_ieee_overflow 0
		.amdhsa_exception_fp_ieee_underflow 0
		.amdhsa_exception_fp_ieee_inexact 0
		.amdhsa_exception_int_div_zero 0
	.end_amdhsa_kernel
	.section	.text._ZN7rocprim17ROCPRIM_400000_NS6detail17trampoline_kernelINS0_14default_configENS1_22reduce_config_selectorIiEEZNS1_11reduce_implILb1ES3_N6hipcub16HIPCUB_304000_NS22TransformInputIteratorIiN2at6native8internal21MapNumberOfTrueValuesEPKhlEEPiiNS8_6detail34convert_binary_result_type_wrapperISt4plusIvESG_iEEEE10hipError_tPvRmT1_T2_T3_mT4_P12ihipStream_tbEUlT_E1_NS1_11comp_targetILNS1_3genE9ELNS1_11target_archE1100ELNS1_3gpuE3ELNS1_3repE0EEENS1_30default_config_static_selectorELNS0_4arch9wavefront6targetE1EEEvSQ_,"axG",@progbits,_ZN7rocprim17ROCPRIM_400000_NS6detail17trampoline_kernelINS0_14default_configENS1_22reduce_config_selectorIiEEZNS1_11reduce_implILb1ES3_N6hipcub16HIPCUB_304000_NS22TransformInputIteratorIiN2at6native8internal21MapNumberOfTrueValuesEPKhlEEPiiNS8_6detail34convert_binary_result_type_wrapperISt4plusIvESG_iEEEE10hipError_tPvRmT1_T2_T3_mT4_P12ihipStream_tbEUlT_E1_NS1_11comp_targetILNS1_3genE9ELNS1_11target_archE1100ELNS1_3gpuE3ELNS1_3repE0EEENS1_30default_config_static_selectorELNS0_4arch9wavefront6targetE1EEEvSQ_,comdat
.Lfunc_end131:
	.size	_ZN7rocprim17ROCPRIM_400000_NS6detail17trampoline_kernelINS0_14default_configENS1_22reduce_config_selectorIiEEZNS1_11reduce_implILb1ES3_N6hipcub16HIPCUB_304000_NS22TransformInputIteratorIiN2at6native8internal21MapNumberOfTrueValuesEPKhlEEPiiNS8_6detail34convert_binary_result_type_wrapperISt4plusIvESG_iEEEE10hipError_tPvRmT1_T2_T3_mT4_P12ihipStream_tbEUlT_E1_NS1_11comp_targetILNS1_3genE9ELNS1_11target_archE1100ELNS1_3gpuE3ELNS1_3repE0EEENS1_30default_config_static_selectorELNS0_4arch9wavefront6targetE1EEEvSQ_, .Lfunc_end131-_ZN7rocprim17ROCPRIM_400000_NS6detail17trampoline_kernelINS0_14default_configENS1_22reduce_config_selectorIiEEZNS1_11reduce_implILb1ES3_N6hipcub16HIPCUB_304000_NS22TransformInputIteratorIiN2at6native8internal21MapNumberOfTrueValuesEPKhlEEPiiNS8_6detail34convert_binary_result_type_wrapperISt4plusIvESG_iEEEE10hipError_tPvRmT1_T2_T3_mT4_P12ihipStream_tbEUlT_E1_NS1_11comp_targetILNS1_3genE9ELNS1_11target_archE1100ELNS1_3gpuE3ELNS1_3repE0EEENS1_30default_config_static_selectorELNS0_4arch9wavefront6targetE1EEEvSQ_
                                        ; -- End function
	.section	.AMDGPU.csdata,"",@progbits
; Kernel info:
; codeLenInByte = 0
; NumSgprs: 4
; NumVgprs: 0
; NumAgprs: 0
; TotalNumVgprs: 0
; ScratchSize: 0
; MemoryBound: 0
; FloatMode: 240
; IeeeMode: 1
; LDSByteSize: 0 bytes/workgroup (compile time only)
; SGPRBlocks: 0
; VGPRBlocks: 0
; NumSGPRsForWavesPerEU: 4
; NumVGPRsForWavesPerEU: 1
; AccumOffset: 4
; Occupancy: 8
; WaveLimiterHint : 0
; COMPUTE_PGM_RSRC2:SCRATCH_EN: 0
; COMPUTE_PGM_RSRC2:USER_SGPR: 6
; COMPUTE_PGM_RSRC2:TRAP_HANDLER: 0
; COMPUTE_PGM_RSRC2:TGID_X_EN: 1
; COMPUTE_PGM_RSRC2:TGID_Y_EN: 0
; COMPUTE_PGM_RSRC2:TGID_Z_EN: 0
; COMPUTE_PGM_RSRC2:TIDIG_COMP_CNT: 0
; COMPUTE_PGM_RSRC3_GFX90A:ACCUM_OFFSET: 0
; COMPUTE_PGM_RSRC3_GFX90A:TG_SPLIT: 0
	.section	.text._ZN7rocprim17ROCPRIM_400000_NS6detail17trampoline_kernelINS0_14default_configENS1_22reduce_config_selectorIiEEZNS1_11reduce_implILb1ES3_N6hipcub16HIPCUB_304000_NS22TransformInputIteratorIiN2at6native8internal21MapNumberOfTrueValuesEPKhlEEPiiNS8_6detail34convert_binary_result_type_wrapperISt4plusIvESG_iEEEE10hipError_tPvRmT1_T2_T3_mT4_P12ihipStream_tbEUlT_E1_NS1_11comp_targetILNS1_3genE8ELNS1_11target_archE1030ELNS1_3gpuE2ELNS1_3repE0EEENS1_30default_config_static_selectorELNS0_4arch9wavefront6targetE1EEEvSQ_,"axG",@progbits,_ZN7rocprim17ROCPRIM_400000_NS6detail17trampoline_kernelINS0_14default_configENS1_22reduce_config_selectorIiEEZNS1_11reduce_implILb1ES3_N6hipcub16HIPCUB_304000_NS22TransformInputIteratorIiN2at6native8internal21MapNumberOfTrueValuesEPKhlEEPiiNS8_6detail34convert_binary_result_type_wrapperISt4plusIvESG_iEEEE10hipError_tPvRmT1_T2_T3_mT4_P12ihipStream_tbEUlT_E1_NS1_11comp_targetILNS1_3genE8ELNS1_11target_archE1030ELNS1_3gpuE2ELNS1_3repE0EEENS1_30default_config_static_selectorELNS0_4arch9wavefront6targetE1EEEvSQ_,comdat
	.protected	_ZN7rocprim17ROCPRIM_400000_NS6detail17trampoline_kernelINS0_14default_configENS1_22reduce_config_selectorIiEEZNS1_11reduce_implILb1ES3_N6hipcub16HIPCUB_304000_NS22TransformInputIteratorIiN2at6native8internal21MapNumberOfTrueValuesEPKhlEEPiiNS8_6detail34convert_binary_result_type_wrapperISt4plusIvESG_iEEEE10hipError_tPvRmT1_T2_T3_mT4_P12ihipStream_tbEUlT_E1_NS1_11comp_targetILNS1_3genE8ELNS1_11target_archE1030ELNS1_3gpuE2ELNS1_3repE0EEENS1_30default_config_static_selectorELNS0_4arch9wavefront6targetE1EEEvSQ_ ; -- Begin function _ZN7rocprim17ROCPRIM_400000_NS6detail17trampoline_kernelINS0_14default_configENS1_22reduce_config_selectorIiEEZNS1_11reduce_implILb1ES3_N6hipcub16HIPCUB_304000_NS22TransformInputIteratorIiN2at6native8internal21MapNumberOfTrueValuesEPKhlEEPiiNS8_6detail34convert_binary_result_type_wrapperISt4plusIvESG_iEEEE10hipError_tPvRmT1_T2_T3_mT4_P12ihipStream_tbEUlT_E1_NS1_11comp_targetILNS1_3genE8ELNS1_11target_archE1030ELNS1_3gpuE2ELNS1_3repE0EEENS1_30default_config_static_selectorELNS0_4arch9wavefront6targetE1EEEvSQ_
	.globl	_ZN7rocprim17ROCPRIM_400000_NS6detail17trampoline_kernelINS0_14default_configENS1_22reduce_config_selectorIiEEZNS1_11reduce_implILb1ES3_N6hipcub16HIPCUB_304000_NS22TransformInputIteratorIiN2at6native8internal21MapNumberOfTrueValuesEPKhlEEPiiNS8_6detail34convert_binary_result_type_wrapperISt4plusIvESG_iEEEE10hipError_tPvRmT1_T2_T3_mT4_P12ihipStream_tbEUlT_E1_NS1_11comp_targetILNS1_3genE8ELNS1_11target_archE1030ELNS1_3gpuE2ELNS1_3repE0EEENS1_30default_config_static_selectorELNS0_4arch9wavefront6targetE1EEEvSQ_
	.p2align	8
	.type	_ZN7rocprim17ROCPRIM_400000_NS6detail17trampoline_kernelINS0_14default_configENS1_22reduce_config_selectorIiEEZNS1_11reduce_implILb1ES3_N6hipcub16HIPCUB_304000_NS22TransformInputIteratorIiN2at6native8internal21MapNumberOfTrueValuesEPKhlEEPiiNS8_6detail34convert_binary_result_type_wrapperISt4plusIvESG_iEEEE10hipError_tPvRmT1_T2_T3_mT4_P12ihipStream_tbEUlT_E1_NS1_11comp_targetILNS1_3genE8ELNS1_11target_archE1030ELNS1_3gpuE2ELNS1_3repE0EEENS1_30default_config_static_selectorELNS0_4arch9wavefront6targetE1EEEvSQ_,@function
_ZN7rocprim17ROCPRIM_400000_NS6detail17trampoline_kernelINS0_14default_configENS1_22reduce_config_selectorIiEEZNS1_11reduce_implILb1ES3_N6hipcub16HIPCUB_304000_NS22TransformInputIteratorIiN2at6native8internal21MapNumberOfTrueValuesEPKhlEEPiiNS8_6detail34convert_binary_result_type_wrapperISt4plusIvESG_iEEEE10hipError_tPvRmT1_T2_T3_mT4_P12ihipStream_tbEUlT_E1_NS1_11comp_targetILNS1_3genE8ELNS1_11target_archE1030ELNS1_3gpuE2ELNS1_3repE0EEENS1_30default_config_static_selectorELNS0_4arch9wavefront6targetE1EEEvSQ_: ; @_ZN7rocprim17ROCPRIM_400000_NS6detail17trampoline_kernelINS0_14default_configENS1_22reduce_config_selectorIiEEZNS1_11reduce_implILb1ES3_N6hipcub16HIPCUB_304000_NS22TransformInputIteratorIiN2at6native8internal21MapNumberOfTrueValuesEPKhlEEPiiNS8_6detail34convert_binary_result_type_wrapperISt4plusIvESG_iEEEE10hipError_tPvRmT1_T2_T3_mT4_P12ihipStream_tbEUlT_E1_NS1_11comp_targetILNS1_3genE8ELNS1_11target_archE1030ELNS1_3gpuE2ELNS1_3repE0EEENS1_30default_config_static_selectorELNS0_4arch9wavefront6targetE1EEEvSQ_
; %bb.0:
	.section	.rodata,"a",@progbits
	.p2align	6, 0x0
	.amdhsa_kernel _ZN7rocprim17ROCPRIM_400000_NS6detail17trampoline_kernelINS0_14default_configENS1_22reduce_config_selectorIiEEZNS1_11reduce_implILb1ES3_N6hipcub16HIPCUB_304000_NS22TransformInputIteratorIiN2at6native8internal21MapNumberOfTrueValuesEPKhlEEPiiNS8_6detail34convert_binary_result_type_wrapperISt4plusIvESG_iEEEE10hipError_tPvRmT1_T2_T3_mT4_P12ihipStream_tbEUlT_E1_NS1_11comp_targetILNS1_3genE8ELNS1_11target_archE1030ELNS1_3gpuE2ELNS1_3repE0EEENS1_30default_config_static_selectorELNS0_4arch9wavefront6targetE1EEEvSQ_
		.amdhsa_group_segment_fixed_size 0
		.amdhsa_private_segment_fixed_size 0
		.amdhsa_kernarg_size 48
		.amdhsa_user_sgpr_count 6
		.amdhsa_user_sgpr_private_segment_buffer 1
		.amdhsa_user_sgpr_dispatch_ptr 0
		.amdhsa_user_sgpr_queue_ptr 0
		.amdhsa_user_sgpr_kernarg_segment_ptr 1
		.amdhsa_user_sgpr_dispatch_id 0
		.amdhsa_user_sgpr_flat_scratch_init 0
		.amdhsa_user_sgpr_kernarg_preload_length 0
		.amdhsa_user_sgpr_kernarg_preload_offset 0
		.amdhsa_user_sgpr_private_segment_size 0
		.amdhsa_uses_dynamic_stack 0
		.amdhsa_system_sgpr_private_segment_wavefront_offset 0
		.amdhsa_system_sgpr_workgroup_id_x 1
		.amdhsa_system_sgpr_workgroup_id_y 0
		.amdhsa_system_sgpr_workgroup_id_z 0
		.amdhsa_system_sgpr_workgroup_info 0
		.amdhsa_system_vgpr_workitem_id 0
		.amdhsa_next_free_vgpr 1
		.amdhsa_next_free_sgpr 0
		.amdhsa_accum_offset 4
		.amdhsa_reserve_vcc 0
		.amdhsa_reserve_flat_scratch 0
		.amdhsa_float_round_mode_32 0
		.amdhsa_float_round_mode_16_64 0
		.amdhsa_float_denorm_mode_32 3
		.amdhsa_float_denorm_mode_16_64 3
		.amdhsa_dx10_clamp 1
		.amdhsa_ieee_mode 1
		.amdhsa_fp16_overflow 0
		.amdhsa_tg_split 0
		.amdhsa_exception_fp_ieee_invalid_op 0
		.amdhsa_exception_fp_denorm_src 0
		.amdhsa_exception_fp_ieee_div_zero 0
		.amdhsa_exception_fp_ieee_overflow 0
		.amdhsa_exception_fp_ieee_underflow 0
		.amdhsa_exception_fp_ieee_inexact 0
		.amdhsa_exception_int_div_zero 0
	.end_amdhsa_kernel
	.section	.text._ZN7rocprim17ROCPRIM_400000_NS6detail17trampoline_kernelINS0_14default_configENS1_22reduce_config_selectorIiEEZNS1_11reduce_implILb1ES3_N6hipcub16HIPCUB_304000_NS22TransformInputIteratorIiN2at6native8internal21MapNumberOfTrueValuesEPKhlEEPiiNS8_6detail34convert_binary_result_type_wrapperISt4plusIvESG_iEEEE10hipError_tPvRmT1_T2_T3_mT4_P12ihipStream_tbEUlT_E1_NS1_11comp_targetILNS1_3genE8ELNS1_11target_archE1030ELNS1_3gpuE2ELNS1_3repE0EEENS1_30default_config_static_selectorELNS0_4arch9wavefront6targetE1EEEvSQ_,"axG",@progbits,_ZN7rocprim17ROCPRIM_400000_NS6detail17trampoline_kernelINS0_14default_configENS1_22reduce_config_selectorIiEEZNS1_11reduce_implILb1ES3_N6hipcub16HIPCUB_304000_NS22TransformInputIteratorIiN2at6native8internal21MapNumberOfTrueValuesEPKhlEEPiiNS8_6detail34convert_binary_result_type_wrapperISt4plusIvESG_iEEEE10hipError_tPvRmT1_T2_T3_mT4_P12ihipStream_tbEUlT_E1_NS1_11comp_targetILNS1_3genE8ELNS1_11target_archE1030ELNS1_3gpuE2ELNS1_3repE0EEENS1_30default_config_static_selectorELNS0_4arch9wavefront6targetE1EEEvSQ_,comdat
.Lfunc_end132:
	.size	_ZN7rocprim17ROCPRIM_400000_NS6detail17trampoline_kernelINS0_14default_configENS1_22reduce_config_selectorIiEEZNS1_11reduce_implILb1ES3_N6hipcub16HIPCUB_304000_NS22TransformInputIteratorIiN2at6native8internal21MapNumberOfTrueValuesEPKhlEEPiiNS8_6detail34convert_binary_result_type_wrapperISt4plusIvESG_iEEEE10hipError_tPvRmT1_T2_T3_mT4_P12ihipStream_tbEUlT_E1_NS1_11comp_targetILNS1_3genE8ELNS1_11target_archE1030ELNS1_3gpuE2ELNS1_3repE0EEENS1_30default_config_static_selectorELNS0_4arch9wavefront6targetE1EEEvSQ_, .Lfunc_end132-_ZN7rocprim17ROCPRIM_400000_NS6detail17trampoline_kernelINS0_14default_configENS1_22reduce_config_selectorIiEEZNS1_11reduce_implILb1ES3_N6hipcub16HIPCUB_304000_NS22TransformInputIteratorIiN2at6native8internal21MapNumberOfTrueValuesEPKhlEEPiiNS8_6detail34convert_binary_result_type_wrapperISt4plusIvESG_iEEEE10hipError_tPvRmT1_T2_T3_mT4_P12ihipStream_tbEUlT_E1_NS1_11comp_targetILNS1_3genE8ELNS1_11target_archE1030ELNS1_3gpuE2ELNS1_3repE0EEENS1_30default_config_static_selectorELNS0_4arch9wavefront6targetE1EEEvSQ_
                                        ; -- End function
	.section	.AMDGPU.csdata,"",@progbits
; Kernel info:
; codeLenInByte = 0
; NumSgprs: 4
; NumVgprs: 0
; NumAgprs: 0
; TotalNumVgprs: 0
; ScratchSize: 0
; MemoryBound: 0
; FloatMode: 240
; IeeeMode: 1
; LDSByteSize: 0 bytes/workgroup (compile time only)
; SGPRBlocks: 0
; VGPRBlocks: 0
; NumSGPRsForWavesPerEU: 4
; NumVGPRsForWavesPerEU: 1
; AccumOffset: 4
; Occupancy: 8
; WaveLimiterHint : 0
; COMPUTE_PGM_RSRC2:SCRATCH_EN: 0
; COMPUTE_PGM_RSRC2:USER_SGPR: 6
; COMPUTE_PGM_RSRC2:TRAP_HANDLER: 0
; COMPUTE_PGM_RSRC2:TGID_X_EN: 1
; COMPUTE_PGM_RSRC2:TGID_Y_EN: 0
; COMPUTE_PGM_RSRC2:TGID_Z_EN: 0
; COMPUTE_PGM_RSRC2:TIDIG_COMP_CNT: 0
; COMPUTE_PGM_RSRC3_GFX90A:ACCUM_OFFSET: 0
; COMPUTE_PGM_RSRC3_GFX90A:TG_SPLIT: 0
	.section	.text._ZN2at6native8internal12_GLOBAL__N_126adjacent_difference_kernelIPKhEEvlT_Pi,"axG",@progbits,_ZN2at6native8internal12_GLOBAL__N_126adjacent_difference_kernelIPKhEEvlT_Pi,comdat
	.globl	_ZN2at6native8internal12_GLOBAL__N_126adjacent_difference_kernelIPKhEEvlT_Pi ; -- Begin function _ZN2at6native8internal12_GLOBAL__N_126adjacent_difference_kernelIPKhEEvlT_Pi
	.p2align	8
	.type	_ZN2at6native8internal12_GLOBAL__N_126adjacent_difference_kernelIPKhEEvlT_Pi,@function
_ZN2at6native8internal12_GLOBAL__N_126adjacent_difference_kernelIPKhEEvlT_Pi: ; @_ZN2at6native8internal12_GLOBAL__N_126adjacent_difference_kernelIPKhEEvlT_Pi
; %bb.0:
	s_load_dword s7, s[4:5], 0x24
	s_load_dwordx4 s[0:3], s[4:5], 0x0
	s_add_u32 s10, s4, 24
	s_addc_u32 s11, s5, 0
	v_mov_b32_e32 v1, 0
	s_waitcnt lgkmcnt(0)
	s_and_b32 s7, s7, 0xffff
	v_mov_b32_e32 v2, s6
	v_mad_u64_u32 v[4:5], s[8:9], s7, v2, v[0:1]
	v_cmp_gt_i64_e32 vcc, s[0:1], v[4:5]
	s_and_saveexec_b64 s[8:9], vcc
	s_cbranch_execz .LBB133_5
; %bb.1:
	s_load_dword s12, s[10:11], 0x0
	s_load_dwordx2 s[8:9], s[4:5], 0x10
	s_mul_hi_u32 s13, s7, s6
	s_mul_i32 s10, s7, s6
	s_mov_b32 s6, 0
	s_waitcnt lgkmcnt(0)
	s_mul_i32 s11, s12, s7
	v_mov_b32_e32 v2, v1
	v_mov_b32_e32 v3, v4
	s_mov_b64 s[4:5], 0
	v_mov_b32_e32 v4, s9
	v_mov_b32_e32 v5, s6
	;; [unrolled: 1-line block ×4, first 2 shown]
	s_branch .LBB133_3
.LBB133_2:                              ;   in Loop: Header=BB133_3 Depth=1
	s_or_b64 exec, exec, s[6:7]
	v_ashrrev_i64 v[10:11], 30, v[2:3]
	v_add_co_u32_e32 v10, vcc, s8, v10
	v_addc_co_u32_e32 v11, vcc, v4, v11, vcc
	v_add_co_u32_e32 v0, vcc, s11, v0
	v_addc_co_u32_e32 v1, vcc, v1, v5, vcc
	global_store_dword v[10:11], v8, off
	v_add_co_u32_e32 v8, vcc, s10, v0
	v_addc_co_u32_e32 v9, vcc, v6, v1, vcc
	v_cmp_le_i64_e32 vcc, s[0:1], v[8:9]
	s_or_b64 s[4:5], vcc, s[4:5]
	v_add_co_u32_e32 v2, vcc, 0, v2
	v_addc_co_u32_e32 v3, vcc, v3, v7, vcc
	s_andn2_b64 exec, exec, s[4:5]
	s_cbranch_execz .LBB133_5
.LBB133_3:                              ; =>This Inner Loop Header: Depth=1
	v_add_u32_e32 v8, s10, v0
	v_cmp_lt_i32_e32 vcc, 0, v8
	v_mov_b32_e32 v8, 0
	s_and_saveexec_b64 s[6:7], vcc
	s_cbranch_execz .LBB133_2
; %bb.4:                                ;   in Loop: Header=BB133_3 Depth=1
	v_add_u32_e32 v10, s10, v0
	v_and_b32_e32 v8, 0x7fffffff, v10
	v_mov_b32_e32 v9, s3
	v_add_co_u32_e32 v8, vcc, s2, v8
	v_addc_co_u32_e32 v9, vcc, 0, v9, vcc
	v_add_u32_e32 v10, -1, v10
	global_load_ubyte v11, v[8:9], off
	global_load_ubyte v12, v10, s[2:3]
	s_waitcnt vmcnt(0)
	v_cmp_ne_u16_e32 vcc, v11, v12
	v_cndmask_b32_e64 v8, 0, 1, vcc
	s_branch .LBB133_2
.LBB133_5:
	s_endpgm
	.section	.rodata,"a",@progbits
	.p2align	6, 0x0
	.amdhsa_kernel _ZN2at6native8internal12_GLOBAL__N_126adjacent_difference_kernelIPKhEEvlT_Pi
		.amdhsa_group_segment_fixed_size 0
		.amdhsa_private_segment_fixed_size 0
		.amdhsa_kernarg_size 280
		.amdhsa_user_sgpr_count 6
		.amdhsa_user_sgpr_private_segment_buffer 1
		.amdhsa_user_sgpr_dispatch_ptr 0
		.amdhsa_user_sgpr_queue_ptr 0
		.amdhsa_user_sgpr_kernarg_segment_ptr 1
		.amdhsa_user_sgpr_dispatch_id 0
		.amdhsa_user_sgpr_flat_scratch_init 0
		.amdhsa_user_sgpr_kernarg_preload_length 0
		.amdhsa_user_sgpr_kernarg_preload_offset 0
		.amdhsa_user_sgpr_private_segment_size 0
		.amdhsa_uses_dynamic_stack 0
		.amdhsa_system_sgpr_private_segment_wavefront_offset 0
		.amdhsa_system_sgpr_workgroup_id_x 1
		.amdhsa_system_sgpr_workgroup_id_y 0
		.amdhsa_system_sgpr_workgroup_id_z 0
		.amdhsa_system_sgpr_workgroup_info 0
		.amdhsa_system_vgpr_workitem_id 0
		.amdhsa_next_free_vgpr 13
		.amdhsa_next_free_sgpr 14
		.amdhsa_accum_offset 16
		.amdhsa_reserve_vcc 1
		.amdhsa_reserve_flat_scratch 0
		.amdhsa_float_round_mode_32 0
		.amdhsa_float_round_mode_16_64 0
		.amdhsa_float_denorm_mode_32 3
		.amdhsa_float_denorm_mode_16_64 3
		.amdhsa_dx10_clamp 1
		.amdhsa_ieee_mode 1
		.amdhsa_fp16_overflow 0
		.amdhsa_tg_split 0
		.amdhsa_exception_fp_ieee_invalid_op 0
		.amdhsa_exception_fp_denorm_src 0
		.amdhsa_exception_fp_ieee_div_zero 0
		.amdhsa_exception_fp_ieee_overflow 0
		.amdhsa_exception_fp_ieee_underflow 0
		.amdhsa_exception_fp_ieee_inexact 0
		.amdhsa_exception_int_div_zero 0
	.end_amdhsa_kernel
	.section	.text._ZN2at6native8internal12_GLOBAL__N_126adjacent_difference_kernelIPKhEEvlT_Pi,"axG",@progbits,_ZN2at6native8internal12_GLOBAL__N_126adjacent_difference_kernelIPKhEEvlT_Pi,comdat
.Lfunc_end133:
	.size	_ZN2at6native8internal12_GLOBAL__N_126adjacent_difference_kernelIPKhEEvlT_Pi, .Lfunc_end133-_ZN2at6native8internal12_GLOBAL__N_126adjacent_difference_kernelIPKhEEvlT_Pi
                                        ; -- End function
	.section	.AMDGPU.csdata,"",@progbits
; Kernel info:
; codeLenInByte = 288
; NumSgprs: 18
; NumVgprs: 13
; NumAgprs: 0
; TotalNumVgprs: 13
; ScratchSize: 0
; MemoryBound: 0
; FloatMode: 240
; IeeeMode: 1
; LDSByteSize: 0 bytes/workgroup (compile time only)
; SGPRBlocks: 2
; VGPRBlocks: 1
; NumSGPRsForWavesPerEU: 18
; NumVGPRsForWavesPerEU: 13
; AccumOffset: 16
; Occupancy: 8
; WaveLimiterHint : 0
; COMPUTE_PGM_RSRC2:SCRATCH_EN: 0
; COMPUTE_PGM_RSRC2:USER_SGPR: 6
; COMPUTE_PGM_RSRC2:TRAP_HANDLER: 0
; COMPUTE_PGM_RSRC2:TGID_X_EN: 1
; COMPUTE_PGM_RSRC2:TGID_Y_EN: 0
; COMPUTE_PGM_RSRC2:TGID_Z_EN: 0
; COMPUTE_PGM_RSRC2:TIDIG_COMP_CNT: 0
; COMPUTE_PGM_RSRC3_GFX90A:ACCUM_OFFSET: 3
; COMPUTE_PGM_RSRC3_GFX90A:TG_SPLIT: 0
	.section	.text._ZN7rocprim17ROCPRIM_400000_NS6detail17trampoline_kernelINS0_14default_configENS1_25partition_config_selectorILNS1_17partition_subalgoE8EhNS0_10empty_typeEbEEZZNS1_14partition_implILS5_8ELb0ES3_jPKhPS6_PKS6_NS0_5tupleIJPhS6_EEENSE_IJSB_SB_EEENS0_18inequality_wrapperIN6hipcub16HIPCUB_304000_NS8EqualityEEEPlJS6_EEE10hipError_tPvRmT3_T4_T5_T6_T7_T9_mT8_P12ihipStream_tbDpT10_ENKUlT_T0_E_clISt17integral_constantIbLb0EES17_EEDaS12_S13_EUlS12_E_NS1_11comp_targetILNS1_3genE0ELNS1_11target_archE4294967295ELNS1_3gpuE0ELNS1_3repE0EEENS1_30default_config_static_selectorELNS0_4arch9wavefront6targetE1EEEvT1_,"axG",@progbits,_ZN7rocprim17ROCPRIM_400000_NS6detail17trampoline_kernelINS0_14default_configENS1_25partition_config_selectorILNS1_17partition_subalgoE8EhNS0_10empty_typeEbEEZZNS1_14partition_implILS5_8ELb0ES3_jPKhPS6_PKS6_NS0_5tupleIJPhS6_EEENSE_IJSB_SB_EEENS0_18inequality_wrapperIN6hipcub16HIPCUB_304000_NS8EqualityEEEPlJS6_EEE10hipError_tPvRmT3_T4_T5_T6_T7_T9_mT8_P12ihipStream_tbDpT10_ENKUlT_T0_E_clISt17integral_constantIbLb0EES17_EEDaS12_S13_EUlS12_E_NS1_11comp_targetILNS1_3genE0ELNS1_11target_archE4294967295ELNS1_3gpuE0ELNS1_3repE0EEENS1_30default_config_static_selectorELNS0_4arch9wavefront6targetE1EEEvT1_,comdat
	.protected	_ZN7rocprim17ROCPRIM_400000_NS6detail17trampoline_kernelINS0_14default_configENS1_25partition_config_selectorILNS1_17partition_subalgoE8EhNS0_10empty_typeEbEEZZNS1_14partition_implILS5_8ELb0ES3_jPKhPS6_PKS6_NS0_5tupleIJPhS6_EEENSE_IJSB_SB_EEENS0_18inequality_wrapperIN6hipcub16HIPCUB_304000_NS8EqualityEEEPlJS6_EEE10hipError_tPvRmT3_T4_T5_T6_T7_T9_mT8_P12ihipStream_tbDpT10_ENKUlT_T0_E_clISt17integral_constantIbLb0EES17_EEDaS12_S13_EUlS12_E_NS1_11comp_targetILNS1_3genE0ELNS1_11target_archE4294967295ELNS1_3gpuE0ELNS1_3repE0EEENS1_30default_config_static_selectorELNS0_4arch9wavefront6targetE1EEEvT1_ ; -- Begin function _ZN7rocprim17ROCPRIM_400000_NS6detail17trampoline_kernelINS0_14default_configENS1_25partition_config_selectorILNS1_17partition_subalgoE8EhNS0_10empty_typeEbEEZZNS1_14partition_implILS5_8ELb0ES3_jPKhPS6_PKS6_NS0_5tupleIJPhS6_EEENSE_IJSB_SB_EEENS0_18inequality_wrapperIN6hipcub16HIPCUB_304000_NS8EqualityEEEPlJS6_EEE10hipError_tPvRmT3_T4_T5_T6_T7_T9_mT8_P12ihipStream_tbDpT10_ENKUlT_T0_E_clISt17integral_constantIbLb0EES17_EEDaS12_S13_EUlS12_E_NS1_11comp_targetILNS1_3genE0ELNS1_11target_archE4294967295ELNS1_3gpuE0ELNS1_3repE0EEENS1_30default_config_static_selectorELNS0_4arch9wavefront6targetE1EEEvT1_
	.globl	_ZN7rocprim17ROCPRIM_400000_NS6detail17trampoline_kernelINS0_14default_configENS1_25partition_config_selectorILNS1_17partition_subalgoE8EhNS0_10empty_typeEbEEZZNS1_14partition_implILS5_8ELb0ES3_jPKhPS6_PKS6_NS0_5tupleIJPhS6_EEENSE_IJSB_SB_EEENS0_18inequality_wrapperIN6hipcub16HIPCUB_304000_NS8EqualityEEEPlJS6_EEE10hipError_tPvRmT3_T4_T5_T6_T7_T9_mT8_P12ihipStream_tbDpT10_ENKUlT_T0_E_clISt17integral_constantIbLb0EES17_EEDaS12_S13_EUlS12_E_NS1_11comp_targetILNS1_3genE0ELNS1_11target_archE4294967295ELNS1_3gpuE0ELNS1_3repE0EEENS1_30default_config_static_selectorELNS0_4arch9wavefront6targetE1EEEvT1_
	.p2align	8
	.type	_ZN7rocprim17ROCPRIM_400000_NS6detail17trampoline_kernelINS0_14default_configENS1_25partition_config_selectorILNS1_17partition_subalgoE8EhNS0_10empty_typeEbEEZZNS1_14partition_implILS5_8ELb0ES3_jPKhPS6_PKS6_NS0_5tupleIJPhS6_EEENSE_IJSB_SB_EEENS0_18inequality_wrapperIN6hipcub16HIPCUB_304000_NS8EqualityEEEPlJS6_EEE10hipError_tPvRmT3_T4_T5_T6_T7_T9_mT8_P12ihipStream_tbDpT10_ENKUlT_T0_E_clISt17integral_constantIbLb0EES17_EEDaS12_S13_EUlS12_E_NS1_11comp_targetILNS1_3genE0ELNS1_11target_archE4294967295ELNS1_3gpuE0ELNS1_3repE0EEENS1_30default_config_static_selectorELNS0_4arch9wavefront6targetE1EEEvT1_,@function
_ZN7rocprim17ROCPRIM_400000_NS6detail17trampoline_kernelINS0_14default_configENS1_25partition_config_selectorILNS1_17partition_subalgoE8EhNS0_10empty_typeEbEEZZNS1_14partition_implILS5_8ELb0ES3_jPKhPS6_PKS6_NS0_5tupleIJPhS6_EEENSE_IJSB_SB_EEENS0_18inequality_wrapperIN6hipcub16HIPCUB_304000_NS8EqualityEEEPlJS6_EEE10hipError_tPvRmT3_T4_T5_T6_T7_T9_mT8_P12ihipStream_tbDpT10_ENKUlT_T0_E_clISt17integral_constantIbLb0EES17_EEDaS12_S13_EUlS12_E_NS1_11comp_targetILNS1_3genE0ELNS1_11target_archE4294967295ELNS1_3gpuE0ELNS1_3repE0EEENS1_30default_config_static_selectorELNS0_4arch9wavefront6targetE1EEEvT1_: ; @_ZN7rocprim17ROCPRIM_400000_NS6detail17trampoline_kernelINS0_14default_configENS1_25partition_config_selectorILNS1_17partition_subalgoE8EhNS0_10empty_typeEbEEZZNS1_14partition_implILS5_8ELb0ES3_jPKhPS6_PKS6_NS0_5tupleIJPhS6_EEENSE_IJSB_SB_EEENS0_18inequality_wrapperIN6hipcub16HIPCUB_304000_NS8EqualityEEEPlJS6_EEE10hipError_tPvRmT3_T4_T5_T6_T7_T9_mT8_P12ihipStream_tbDpT10_ENKUlT_T0_E_clISt17integral_constantIbLb0EES17_EEDaS12_S13_EUlS12_E_NS1_11comp_targetILNS1_3genE0ELNS1_11target_archE4294967295ELNS1_3gpuE0ELNS1_3repE0EEENS1_30default_config_static_selectorELNS0_4arch9wavefront6targetE1EEEvT1_
; %bb.0:
	.section	.rodata,"a",@progbits
	.p2align	6, 0x0
	.amdhsa_kernel _ZN7rocprim17ROCPRIM_400000_NS6detail17trampoline_kernelINS0_14default_configENS1_25partition_config_selectorILNS1_17partition_subalgoE8EhNS0_10empty_typeEbEEZZNS1_14partition_implILS5_8ELb0ES3_jPKhPS6_PKS6_NS0_5tupleIJPhS6_EEENSE_IJSB_SB_EEENS0_18inequality_wrapperIN6hipcub16HIPCUB_304000_NS8EqualityEEEPlJS6_EEE10hipError_tPvRmT3_T4_T5_T6_T7_T9_mT8_P12ihipStream_tbDpT10_ENKUlT_T0_E_clISt17integral_constantIbLb0EES17_EEDaS12_S13_EUlS12_E_NS1_11comp_targetILNS1_3genE0ELNS1_11target_archE4294967295ELNS1_3gpuE0ELNS1_3repE0EEENS1_30default_config_static_selectorELNS0_4arch9wavefront6targetE1EEEvT1_
		.amdhsa_group_segment_fixed_size 0
		.amdhsa_private_segment_fixed_size 0
		.amdhsa_kernarg_size 112
		.amdhsa_user_sgpr_count 6
		.amdhsa_user_sgpr_private_segment_buffer 1
		.amdhsa_user_sgpr_dispatch_ptr 0
		.amdhsa_user_sgpr_queue_ptr 0
		.amdhsa_user_sgpr_kernarg_segment_ptr 1
		.amdhsa_user_sgpr_dispatch_id 0
		.amdhsa_user_sgpr_flat_scratch_init 0
		.amdhsa_user_sgpr_kernarg_preload_length 0
		.amdhsa_user_sgpr_kernarg_preload_offset 0
		.amdhsa_user_sgpr_private_segment_size 0
		.amdhsa_uses_dynamic_stack 0
		.amdhsa_system_sgpr_private_segment_wavefront_offset 0
		.amdhsa_system_sgpr_workgroup_id_x 1
		.amdhsa_system_sgpr_workgroup_id_y 0
		.amdhsa_system_sgpr_workgroup_id_z 0
		.amdhsa_system_sgpr_workgroup_info 0
		.amdhsa_system_vgpr_workitem_id 0
		.amdhsa_next_free_vgpr 1
		.amdhsa_next_free_sgpr 0
		.amdhsa_accum_offset 4
		.amdhsa_reserve_vcc 0
		.amdhsa_reserve_flat_scratch 0
		.amdhsa_float_round_mode_32 0
		.amdhsa_float_round_mode_16_64 0
		.amdhsa_float_denorm_mode_32 3
		.amdhsa_float_denorm_mode_16_64 3
		.amdhsa_dx10_clamp 1
		.amdhsa_ieee_mode 1
		.amdhsa_fp16_overflow 0
		.amdhsa_tg_split 0
		.amdhsa_exception_fp_ieee_invalid_op 0
		.amdhsa_exception_fp_denorm_src 0
		.amdhsa_exception_fp_ieee_div_zero 0
		.amdhsa_exception_fp_ieee_overflow 0
		.amdhsa_exception_fp_ieee_underflow 0
		.amdhsa_exception_fp_ieee_inexact 0
		.amdhsa_exception_int_div_zero 0
	.end_amdhsa_kernel
	.section	.text._ZN7rocprim17ROCPRIM_400000_NS6detail17trampoline_kernelINS0_14default_configENS1_25partition_config_selectorILNS1_17partition_subalgoE8EhNS0_10empty_typeEbEEZZNS1_14partition_implILS5_8ELb0ES3_jPKhPS6_PKS6_NS0_5tupleIJPhS6_EEENSE_IJSB_SB_EEENS0_18inequality_wrapperIN6hipcub16HIPCUB_304000_NS8EqualityEEEPlJS6_EEE10hipError_tPvRmT3_T4_T5_T6_T7_T9_mT8_P12ihipStream_tbDpT10_ENKUlT_T0_E_clISt17integral_constantIbLb0EES17_EEDaS12_S13_EUlS12_E_NS1_11comp_targetILNS1_3genE0ELNS1_11target_archE4294967295ELNS1_3gpuE0ELNS1_3repE0EEENS1_30default_config_static_selectorELNS0_4arch9wavefront6targetE1EEEvT1_,"axG",@progbits,_ZN7rocprim17ROCPRIM_400000_NS6detail17trampoline_kernelINS0_14default_configENS1_25partition_config_selectorILNS1_17partition_subalgoE8EhNS0_10empty_typeEbEEZZNS1_14partition_implILS5_8ELb0ES3_jPKhPS6_PKS6_NS0_5tupleIJPhS6_EEENSE_IJSB_SB_EEENS0_18inequality_wrapperIN6hipcub16HIPCUB_304000_NS8EqualityEEEPlJS6_EEE10hipError_tPvRmT3_T4_T5_T6_T7_T9_mT8_P12ihipStream_tbDpT10_ENKUlT_T0_E_clISt17integral_constantIbLb0EES17_EEDaS12_S13_EUlS12_E_NS1_11comp_targetILNS1_3genE0ELNS1_11target_archE4294967295ELNS1_3gpuE0ELNS1_3repE0EEENS1_30default_config_static_selectorELNS0_4arch9wavefront6targetE1EEEvT1_,comdat
.Lfunc_end134:
	.size	_ZN7rocprim17ROCPRIM_400000_NS6detail17trampoline_kernelINS0_14default_configENS1_25partition_config_selectorILNS1_17partition_subalgoE8EhNS0_10empty_typeEbEEZZNS1_14partition_implILS5_8ELb0ES3_jPKhPS6_PKS6_NS0_5tupleIJPhS6_EEENSE_IJSB_SB_EEENS0_18inequality_wrapperIN6hipcub16HIPCUB_304000_NS8EqualityEEEPlJS6_EEE10hipError_tPvRmT3_T4_T5_T6_T7_T9_mT8_P12ihipStream_tbDpT10_ENKUlT_T0_E_clISt17integral_constantIbLb0EES17_EEDaS12_S13_EUlS12_E_NS1_11comp_targetILNS1_3genE0ELNS1_11target_archE4294967295ELNS1_3gpuE0ELNS1_3repE0EEENS1_30default_config_static_selectorELNS0_4arch9wavefront6targetE1EEEvT1_, .Lfunc_end134-_ZN7rocprim17ROCPRIM_400000_NS6detail17trampoline_kernelINS0_14default_configENS1_25partition_config_selectorILNS1_17partition_subalgoE8EhNS0_10empty_typeEbEEZZNS1_14partition_implILS5_8ELb0ES3_jPKhPS6_PKS6_NS0_5tupleIJPhS6_EEENSE_IJSB_SB_EEENS0_18inequality_wrapperIN6hipcub16HIPCUB_304000_NS8EqualityEEEPlJS6_EEE10hipError_tPvRmT3_T4_T5_T6_T7_T9_mT8_P12ihipStream_tbDpT10_ENKUlT_T0_E_clISt17integral_constantIbLb0EES17_EEDaS12_S13_EUlS12_E_NS1_11comp_targetILNS1_3genE0ELNS1_11target_archE4294967295ELNS1_3gpuE0ELNS1_3repE0EEENS1_30default_config_static_selectorELNS0_4arch9wavefront6targetE1EEEvT1_
                                        ; -- End function
	.section	.AMDGPU.csdata,"",@progbits
; Kernel info:
; codeLenInByte = 0
; NumSgprs: 4
; NumVgprs: 0
; NumAgprs: 0
; TotalNumVgprs: 0
; ScratchSize: 0
; MemoryBound: 0
; FloatMode: 240
; IeeeMode: 1
; LDSByteSize: 0 bytes/workgroup (compile time only)
; SGPRBlocks: 0
; VGPRBlocks: 0
; NumSGPRsForWavesPerEU: 4
; NumVGPRsForWavesPerEU: 1
; AccumOffset: 4
; Occupancy: 8
; WaveLimiterHint : 0
; COMPUTE_PGM_RSRC2:SCRATCH_EN: 0
; COMPUTE_PGM_RSRC2:USER_SGPR: 6
; COMPUTE_PGM_RSRC2:TRAP_HANDLER: 0
; COMPUTE_PGM_RSRC2:TGID_X_EN: 1
; COMPUTE_PGM_RSRC2:TGID_Y_EN: 0
; COMPUTE_PGM_RSRC2:TGID_Z_EN: 0
; COMPUTE_PGM_RSRC2:TIDIG_COMP_CNT: 0
; COMPUTE_PGM_RSRC3_GFX90A:ACCUM_OFFSET: 0
; COMPUTE_PGM_RSRC3_GFX90A:TG_SPLIT: 0
	.section	.text._ZN7rocprim17ROCPRIM_400000_NS6detail17trampoline_kernelINS0_14default_configENS1_25partition_config_selectorILNS1_17partition_subalgoE8EhNS0_10empty_typeEbEEZZNS1_14partition_implILS5_8ELb0ES3_jPKhPS6_PKS6_NS0_5tupleIJPhS6_EEENSE_IJSB_SB_EEENS0_18inequality_wrapperIN6hipcub16HIPCUB_304000_NS8EqualityEEEPlJS6_EEE10hipError_tPvRmT3_T4_T5_T6_T7_T9_mT8_P12ihipStream_tbDpT10_ENKUlT_T0_E_clISt17integral_constantIbLb0EES17_EEDaS12_S13_EUlS12_E_NS1_11comp_targetILNS1_3genE5ELNS1_11target_archE942ELNS1_3gpuE9ELNS1_3repE0EEENS1_30default_config_static_selectorELNS0_4arch9wavefront6targetE1EEEvT1_,"axG",@progbits,_ZN7rocprim17ROCPRIM_400000_NS6detail17trampoline_kernelINS0_14default_configENS1_25partition_config_selectorILNS1_17partition_subalgoE8EhNS0_10empty_typeEbEEZZNS1_14partition_implILS5_8ELb0ES3_jPKhPS6_PKS6_NS0_5tupleIJPhS6_EEENSE_IJSB_SB_EEENS0_18inequality_wrapperIN6hipcub16HIPCUB_304000_NS8EqualityEEEPlJS6_EEE10hipError_tPvRmT3_T4_T5_T6_T7_T9_mT8_P12ihipStream_tbDpT10_ENKUlT_T0_E_clISt17integral_constantIbLb0EES17_EEDaS12_S13_EUlS12_E_NS1_11comp_targetILNS1_3genE5ELNS1_11target_archE942ELNS1_3gpuE9ELNS1_3repE0EEENS1_30default_config_static_selectorELNS0_4arch9wavefront6targetE1EEEvT1_,comdat
	.protected	_ZN7rocprim17ROCPRIM_400000_NS6detail17trampoline_kernelINS0_14default_configENS1_25partition_config_selectorILNS1_17partition_subalgoE8EhNS0_10empty_typeEbEEZZNS1_14partition_implILS5_8ELb0ES3_jPKhPS6_PKS6_NS0_5tupleIJPhS6_EEENSE_IJSB_SB_EEENS0_18inequality_wrapperIN6hipcub16HIPCUB_304000_NS8EqualityEEEPlJS6_EEE10hipError_tPvRmT3_T4_T5_T6_T7_T9_mT8_P12ihipStream_tbDpT10_ENKUlT_T0_E_clISt17integral_constantIbLb0EES17_EEDaS12_S13_EUlS12_E_NS1_11comp_targetILNS1_3genE5ELNS1_11target_archE942ELNS1_3gpuE9ELNS1_3repE0EEENS1_30default_config_static_selectorELNS0_4arch9wavefront6targetE1EEEvT1_ ; -- Begin function _ZN7rocprim17ROCPRIM_400000_NS6detail17trampoline_kernelINS0_14default_configENS1_25partition_config_selectorILNS1_17partition_subalgoE8EhNS0_10empty_typeEbEEZZNS1_14partition_implILS5_8ELb0ES3_jPKhPS6_PKS6_NS0_5tupleIJPhS6_EEENSE_IJSB_SB_EEENS0_18inequality_wrapperIN6hipcub16HIPCUB_304000_NS8EqualityEEEPlJS6_EEE10hipError_tPvRmT3_T4_T5_T6_T7_T9_mT8_P12ihipStream_tbDpT10_ENKUlT_T0_E_clISt17integral_constantIbLb0EES17_EEDaS12_S13_EUlS12_E_NS1_11comp_targetILNS1_3genE5ELNS1_11target_archE942ELNS1_3gpuE9ELNS1_3repE0EEENS1_30default_config_static_selectorELNS0_4arch9wavefront6targetE1EEEvT1_
	.globl	_ZN7rocprim17ROCPRIM_400000_NS6detail17trampoline_kernelINS0_14default_configENS1_25partition_config_selectorILNS1_17partition_subalgoE8EhNS0_10empty_typeEbEEZZNS1_14partition_implILS5_8ELb0ES3_jPKhPS6_PKS6_NS0_5tupleIJPhS6_EEENSE_IJSB_SB_EEENS0_18inequality_wrapperIN6hipcub16HIPCUB_304000_NS8EqualityEEEPlJS6_EEE10hipError_tPvRmT3_T4_T5_T6_T7_T9_mT8_P12ihipStream_tbDpT10_ENKUlT_T0_E_clISt17integral_constantIbLb0EES17_EEDaS12_S13_EUlS12_E_NS1_11comp_targetILNS1_3genE5ELNS1_11target_archE942ELNS1_3gpuE9ELNS1_3repE0EEENS1_30default_config_static_selectorELNS0_4arch9wavefront6targetE1EEEvT1_
	.p2align	8
	.type	_ZN7rocprim17ROCPRIM_400000_NS6detail17trampoline_kernelINS0_14default_configENS1_25partition_config_selectorILNS1_17partition_subalgoE8EhNS0_10empty_typeEbEEZZNS1_14partition_implILS5_8ELb0ES3_jPKhPS6_PKS6_NS0_5tupleIJPhS6_EEENSE_IJSB_SB_EEENS0_18inequality_wrapperIN6hipcub16HIPCUB_304000_NS8EqualityEEEPlJS6_EEE10hipError_tPvRmT3_T4_T5_T6_T7_T9_mT8_P12ihipStream_tbDpT10_ENKUlT_T0_E_clISt17integral_constantIbLb0EES17_EEDaS12_S13_EUlS12_E_NS1_11comp_targetILNS1_3genE5ELNS1_11target_archE942ELNS1_3gpuE9ELNS1_3repE0EEENS1_30default_config_static_selectorELNS0_4arch9wavefront6targetE1EEEvT1_,@function
_ZN7rocprim17ROCPRIM_400000_NS6detail17trampoline_kernelINS0_14default_configENS1_25partition_config_selectorILNS1_17partition_subalgoE8EhNS0_10empty_typeEbEEZZNS1_14partition_implILS5_8ELb0ES3_jPKhPS6_PKS6_NS0_5tupleIJPhS6_EEENSE_IJSB_SB_EEENS0_18inequality_wrapperIN6hipcub16HIPCUB_304000_NS8EqualityEEEPlJS6_EEE10hipError_tPvRmT3_T4_T5_T6_T7_T9_mT8_P12ihipStream_tbDpT10_ENKUlT_T0_E_clISt17integral_constantIbLb0EES17_EEDaS12_S13_EUlS12_E_NS1_11comp_targetILNS1_3genE5ELNS1_11target_archE942ELNS1_3gpuE9ELNS1_3repE0EEENS1_30default_config_static_selectorELNS0_4arch9wavefront6targetE1EEEvT1_: ; @_ZN7rocprim17ROCPRIM_400000_NS6detail17trampoline_kernelINS0_14default_configENS1_25partition_config_selectorILNS1_17partition_subalgoE8EhNS0_10empty_typeEbEEZZNS1_14partition_implILS5_8ELb0ES3_jPKhPS6_PKS6_NS0_5tupleIJPhS6_EEENSE_IJSB_SB_EEENS0_18inequality_wrapperIN6hipcub16HIPCUB_304000_NS8EqualityEEEPlJS6_EEE10hipError_tPvRmT3_T4_T5_T6_T7_T9_mT8_P12ihipStream_tbDpT10_ENKUlT_T0_E_clISt17integral_constantIbLb0EES17_EEDaS12_S13_EUlS12_E_NS1_11comp_targetILNS1_3genE5ELNS1_11target_archE942ELNS1_3gpuE9ELNS1_3repE0EEENS1_30default_config_static_selectorELNS0_4arch9wavefront6targetE1EEEvT1_
; %bb.0:
	.section	.rodata,"a",@progbits
	.p2align	6, 0x0
	.amdhsa_kernel _ZN7rocprim17ROCPRIM_400000_NS6detail17trampoline_kernelINS0_14default_configENS1_25partition_config_selectorILNS1_17partition_subalgoE8EhNS0_10empty_typeEbEEZZNS1_14partition_implILS5_8ELb0ES3_jPKhPS6_PKS6_NS0_5tupleIJPhS6_EEENSE_IJSB_SB_EEENS0_18inequality_wrapperIN6hipcub16HIPCUB_304000_NS8EqualityEEEPlJS6_EEE10hipError_tPvRmT3_T4_T5_T6_T7_T9_mT8_P12ihipStream_tbDpT10_ENKUlT_T0_E_clISt17integral_constantIbLb0EES17_EEDaS12_S13_EUlS12_E_NS1_11comp_targetILNS1_3genE5ELNS1_11target_archE942ELNS1_3gpuE9ELNS1_3repE0EEENS1_30default_config_static_selectorELNS0_4arch9wavefront6targetE1EEEvT1_
		.amdhsa_group_segment_fixed_size 0
		.amdhsa_private_segment_fixed_size 0
		.amdhsa_kernarg_size 112
		.amdhsa_user_sgpr_count 6
		.amdhsa_user_sgpr_private_segment_buffer 1
		.amdhsa_user_sgpr_dispatch_ptr 0
		.amdhsa_user_sgpr_queue_ptr 0
		.amdhsa_user_sgpr_kernarg_segment_ptr 1
		.amdhsa_user_sgpr_dispatch_id 0
		.amdhsa_user_sgpr_flat_scratch_init 0
		.amdhsa_user_sgpr_kernarg_preload_length 0
		.amdhsa_user_sgpr_kernarg_preload_offset 0
		.amdhsa_user_sgpr_private_segment_size 0
		.amdhsa_uses_dynamic_stack 0
		.amdhsa_system_sgpr_private_segment_wavefront_offset 0
		.amdhsa_system_sgpr_workgroup_id_x 1
		.amdhsa_system_sgpr_workgroup_id_y 0
		.amdhsa_system_sgpr_workgroup_id_z 0
		.amdhsa_system_sgpr_workgroup_info 0
		.amdhsa_system_vgpr_workitem_id 0
		.amdhsa_next_free_vgpr 1
		.amdhsa_next_free_sgpr 0
		.amdhsa_accum_offset 4
		.amdhsa_reserve_vcc 0
		.amdhsa_reserve_flat_scratch 0
		.amdhsa_float_round_mode_32 0
		.amdhsa_float_round_mode_16_64 0
		.amdhsa_float_denorm_mode_32 3
		.amdhsa_float_denorm_mode_16_64 3
		.amdhsa_dx10_clamp 1
		.amdhsa_ieee_mode 1
		.amdhsa_fp16_overflow 0
		.amdhsa_tg_split 0
		.amdhsa_exception_fp_ieee_invalid_op 0
		.amdhsa_exception_fp_denorm_src 0
		.amdhsa_exception_fp_ieee_div_zero 0
		.amdhsa_exception_fp_ieee_overflow 0
		.amdhsa_exception_fp_ieee_underflow 0
		.amdhsa_exception_fp_ieee_inexact 0
		.amdhsa_exception_int_div_zero 0
	.end_amdhsa_kernel
	.section	.text._ZN7rocprim17ROCPRIM_400000_NS6detail17trampoline_kernelINS0_14default_configENS1_25partition_config_selectorILNS1_17partition_subalgoE8EhNS0_10empty_typeEbEEZZNS1_14partition_implILS5_8ELb0ES3_jPKhPS6_PKS6_NS0_5tupleIJPhS6_EEENSE_IJSB_SB_EEENS0_18inequality_wrapperIN6hipcub16HIPCUB_304000_NS8EqualityEEEPlJS6_EEE10hipError_tPvRmT3_T4_T5_T6_T7_T9_mT8_P12ihipStream_tbDpT10_ENKUlT_T0_E_clISt17integral_constantIbLb0EES17_EEDaS12_S13_EUlS12_E_NS1_11comp_targetILNS1_3genE5ELNS1_11target_archE942ELNS1_3gpuE9ELNS1_3repE0EEENS1_30default_config_static_selectorELNS0_4arch9wavefront6targetE1EEEvT1_,"axG",@progbits,_ZN7rocprim17ROCPRIM_400000_NS6detail17trampoline_kernelINS0_14default_configENS1_25partition_config_selectorILNS1_17partition_subalgoE8EhNS0_10empty_typeEbEEZZNS1_14partition_implILS5_8ELb0ES3_jPKhPS6_PKS6_NS0_5tupleIJPhS6_EEENSE_IJSB_SB_EEENS0_18inequality_wrapperIN6hipcub16HIPCUB_304000_NS8EqualityEEEPlJS6_EEE10hipError_tPvRmT3_T4_T5_T6_T7_T9_mT8_P12ihipStream_tbDpT10_ENKUlT_T0_E_clISt17integral_constantIbLb0EES17_EEDaS12_S13_EUlS12_E_NS1_11comp_targetILNS1_3genE5ELNS1_11target_archE942ELNS1_3gpuE9ELNS1_3repE0EEENS1_30default_config_static_selectorELNS0_4arch9wavefront6targetE1EEEvT1_,comdat
.Lfunc_end135:
	.size	_ZN7rocprim17ROCPRIM_400000_NS6detail17trampoline_kernelINS0_14default_configENS1_25partition_config_selectorILNS1_17partition_subalgoE8EhNS0_10empty_typeEbEEZZNS1_14partition_implILS5_8ELb0ES3_jPKhPS6_PKS6_NS0_5tupleIJPhS6_EEENSE_IJSB_SB_EEENS0_18inequality_wrapperIN6hipcub16HIPCUB_304000_NS8EqualityEEEPlJS6_EEE10hipError_tPvRmT3_T4_T5_T6_T7_T9_mT8_P12ihipStream_tbDpT10_ENKUlT_T0_E_clISt17integral_constantIbLb0EES17_EEDaS12_S13_EUlS12_E_NS1_11comp_targetILNS1_3genE5ELNS1_11target_archE942ELNS1_3gpuE9ELNS1_3repE0EEENS1_30default_config_static_selectorELNS0_4arch9wavefront6targetE1EEEvT1_, .Lfunc_end135-_ZN7rocprim17ROCPRIM_400000_NS6detail17trampoline_kernelINS0_14default_configENS1_25partition_config_selectorILNS1_17partition_subalgoE8EhNS0_10empty_typeEbEEZZNS1_14partition_implILS5_8ELb0ES3_jPKhPS6_PKS6_NS0_5tupleIJPhS6_EEENSE_IJSB_SB_EEENS0_18inequality_wrapperIN6hipcub16HIPCUB_304000_NS8EqualityEEEPlJS6_EEE10hipError_tPvRmT3_T4_T5_T6_T7_T9_mT8_P12ihipStream_tbDpT10_ENKUlT_T0_E_clISt17integral_constantIbLb0EES17_EEDaS12_S13_EUlS12_E_NS1_11comp_targetILNS1_3genE5ELNS1_11target_archE942ELNS1_3gpuE9ELNS1_3repE0EEENS1_30default_config_static_selectorELNS0_4arch9wavefront6targetE1EEEvT1_
                                        ; -- End function
	.section	.AMDGPU.csdata,"",@progbits
; Kernel info:
; codeLenInByte = 0
; NumSgprs: 4
; NumVgprs: 0
; NumAgprs: 0
; TotalNumVgprs: 0
; ScratchSize: 0
; MemoryBound: 0
; FloatMode: 240
; IeeeMode: 1
; LDSByteSize: 0 bytes/workgroup (compile time only)
; SGPRBlocks: 0
; VGPRBlocks: 0
; NumSGPRsForWavesPerEU: 4
; NumVGPRsForWavesPerEU: 1
; AccumOffset: 4
; Occupancy: 8
; WaveLimiterHint : 0
; COMPUTE_PGM_RSRC2:SCRATCH_EN: 0
; COMPUTE_PGM_RSRC2:USER_SGPR: 6
; COMPUTE_PGM_RSRC2:TRAP_HANDLER: 0
; COMPUTE_PGM_RSRC2:TGID_X_EN: 1
; COMPUTE_PGM_RSRC2:TGID_Y_EN: 0
; COMPUTE_PGM_RSRC2:TGID_Z_EN: 0
; COMPUTE_PGM_RSRC2:TIDIG_COMP_CNT: 0
; COMPUTE_PGM_RSRC3_GFX90A:ACCUM_OFFSET: 0
; COMPUTE_PGM_RSRC3_GFX90A:TG_SPLIT: 0
	.section	.text._ZN7rocprim17ROCPRIM_400000_NS6detail17trampoline_kernelINS0_14default_configENS1_25partition_config_selectorILNS1_17partition_subalgoE8EhNS0_10empty_typeEbEEZZNS1_14partition_implILS5_8ELb0ES3_jPKhPS6_PKS6_NS0_5tupleIJPhS6_EEENSE_IJSB_SB_EEENS0_18inequality_wrapperIN6hipcub16HIPCUB_304000_NS8EqualityEEEPlJS6_EEE10hipError_tPvRmT3_T4_T5_T6_T7_T9_mT8_P12ihipStream_tbDpT10_ENKUlT_T0_E_clISt17integral_constantIbLb0EES17_EEDaS12_S13_EUlS12_E_NS1_11comp_targetILNS1_3genE4ELNS1_11target_archE910ELNS1_3gpuE8ELNS1_3repE0EEENS1_30default_config_static_selectorELNS0_4arch9wavefront6targetE1EEEvT1_,"axG",@progbits,_ZN7rocprim17ROCPRIM_400000_NS6detail17trampoline_kernelINS0_14default_configENS1_25partition_config_selectorILNS1_17partition_subalgoE8EhNS0_10empty_typeEbEEZZNS1_14partition_implILS5_8ELb0ES3_jPKhPS6_PKS6_NS0_5tupleIJPhS6_EEENSE_IJSB_SB_EEENS0_18inequality_wrapperIN6hipcub16HIPCUB_304000_NS8EqualityEEEPlJS6_EEE10hipError_tPvRmT3_T4_T5_T6_T7_T9_mT8_P12ihipStream_tbDpT10_ENKUlT_T0_E_clISt17integral_constantIbLb0EES17_EEDaS12_S13_EUlS12_E_NS1_11comp_targetILNS1_3genE4ELNS1_11target_archE910ELNS1_3gpuE8ELNS1_3repE0EEENS1_30default_config_static_selectorELNS0_4arch9wavefront6targetE1EEEvT1_,comdat
	.protected	_ZN7rocprim17ROCPRIM_400000_NS6detail17trampoline_kernelINS0_14default_configENS1_25partition_config_selectorILNS1_17partition_subalgoE8EhNS0_10empty_typeEbEEZZNS1_14partition_implILS5_8ELb0ES3_jPKhPS6_PKS6_NS0_5tupleIJPhS6_EEENSE_IJSB_SB_EEENS0_18inequality_wrapperIN6hipcub16HIPCUB_304000_NS8EqualityEEEPlJS6_EEE10hipError_tPvRmT3_T4_T5_T6_T7_T9_mT8_P12ihipStream_tbDpT10_ENKUlT_T0_E_clISt17integral_constantIbLb0EES17_EEDaS12_S13_EUlS12_E_NS1_11comp_targetILNS1_3genE4ELNS1_11target_archE910ELNS1_3gpuE8ELNS1_3repE0EEENS1_30default_config_static_selectorELNS0_4arch9wavefront6targetE1EEEvT1_ ; -- Begin function _ZN7rocprim17ROCPRIM_400000_NS6detail17trampoline_kernelINS0_14default_configENS1_25partition_config_selectorILNS1_17partition_subalgoE8EhNS0_10empty_typeEbEEZZNS1_14partition_implILS5_8ELb0ES3_jPKhPS6_PKS6_NS0_5tupleIJPhS6_EEENSE_IJSB_SB_EEENS0_18inequality_wrapperIN6hipcub16HIPCUB_304000_NS8EqualityEEEPlJS6_EEE10hipError_tPvRmT3_T4_T5_T6_T7_T9_mT8_P12ihipStream_tbDpT10_ENKUlT_T0_E_clISt17integral_constantIbLb0EES17_EEDaS12_S13_EUlS12_E_NS1_11comp_targetILNS1_3genE4ELNS1_11target_archE910ELNS1_3gpuE8ELNS1_3repE0EEENS1_30default_config_static_selectorELNS0_4arch9wavefront6targetE1EEEvT1_
	.globl	_ZN7rocprim17ROCPRIM_400000_NS6detail17trampoline_kernelINS0_14default_configENS1_25partition_config_selectorILNS1_17partition_subalgoE8EhNS0_10empty_typeEbEEZZNS1_14partition_implILS5_8ELb0ES3_jPKhPS6_PKS6_NS0_5tupleIJPhS6_EEENSE_IJSB_SB_EEENS0_18inequality_wrapperIN6hipcub16HIPCUB_304000_NS8EqualityEEEPlJS6_EEE10hipError_tPvRmT3_T4_T5_T6_T7_T9_mT8_P12ihipStream_tbDpT10_ENKUlT_T0_E_clISt17integral_constantIbLb0EES17_EEDaS12_S13_EUlS12_E_NS1_11comp_targetILNS1_3genE4ELNS1_11target_archE910ELNS1_3gpuE8ELNS1_3repE0EEENS1_30default_config_static_selectorELNS0_4arch9wavefront6targetE1EEEvT1_
	.p2align	8
	.type	_ZN7rocprim17ROCPRIM_400000_NS6detail17trampoline_kernelINS0_14default_configENS1_25partition_config_selectorILNS1_17partition_subalgoE8EhNS0_10empty_typeEbEEZZNS1_14partition_implILS5_8ELb0ES3_jPKhPS6_PKS6_NS0_5tupleIJPhS6_EEENSE_IJSB_SB_EEENS0_18inequality_wrapperIN6hipcub16HIPCUB_304000_NS8EqualityEEEPlJS6_EEE10hipError_tPvRmT3_T4_T5_T6_T7_T9_mT8_P12ihipStream_tbDpT10_ENKUlT_T0_E_clISt17integral_constantIbLb0EES17_EEDaS12_S13_EUlS12_E_NS1_11comp_targetILNS1_3genE4ELNS1_11target_archE910ELNS1_3gpuE8ELNS1_3repE0EEENS1_30default_config_static_selectorELNS0_4arch9wavefront6targetE1EEEvT1_,@function
_ZN7rocprim17ROCPRIM_400000_NS6detail17trampoline_kernelINS0_14default_configENS1_25partition_config_selectorILNS1_17partition_subalgoE8EhNS0_10empty_typeEbEEZZNS1_14partition_implILS5_8ELb0ES3_jPKhPS6_PKS6_NS0_5tupleIJPhS6_EEENSE_IJSB_SB_EEENS0_18inequality_wrapperIN6hipcub16HIPCUB_304000_NS8EqualityEEEPlJS6_EEE10hipError_tPvRmT3_T4_T5_T6_T7_T9_mT8_P12ihipStream_tbDpT10_ENKUlT_T0_E_clISt17integral_constantIbLb0EES17_EEDaS12_S13_EUlS12_E_NS1_11comp_targetILNS1_3genE4ELNS1_11target_archE910ELNS1_3gpuE8ELNS1_3repE0EEENS1_30default_config_static_selectorELNS0_4arch9wavefront6targetE1EEEvT1_: ; @_ZN7rocprim17ROCPRIM_400000_NS6detail17trampoline_kernelINS0_14default_configENS1_25partition_config_selectorILNS1_17partition_subalgoE8EhNS0_10empty_typeEbEEZZNS1_14partition_implILS5_8ELb0ES3_jPKhPS6_PKS6_NS0_5tupleIJPhS6_EEENSE_IJSB_SB_EEENS0_18inequality_wrapperIN6hipcub16HIPCUB_304000_NS8EqualityEEEPlJS6_EEE10hipError_tPvRmT3_T4_T5_T6_T7_T9_mT8_P12ihipStream_tbDpT10_ENKUlT_T0_E_clISt17integral_constantIbLb0EES17_EEDaS12_S13_EUlS12_E_NS1_11comp_targetILNS1_3genE4ELNS1_11target_archE910ELNS1_3gpuE8ELNS1_3repE0EEENS1_30default_config_static_selectorELNS0_4arch9wavefront6targetE1EEEvT1_
; %bb.0:
	s_load_dwordx2 s[8:9], s[4:5], 0x50
	s_load_dwordx4 s[0:3], s[4:5], 0x8
	s_load_dwordx4 s[20:23], s[4:5], 0x40
	s_load_dword s10, s[4:5], 0x68
	v_mov_b32_e32 v1, v0
	s_waitcnt lgkmcnt(0)
	v_mov_b32_e32 v3, s9
	s_add_u32 s9, s0, s2
	s_addc_u32 s14, s1, s3
	s_add_i32 s11, s10, -1
	s_lshl_b32 s0, s11, 12
	s_lshl_b32 s15, s6, 12
	s_add_i32 s7, s2, s0
	s_lshl_b32 s0, s10, 12
	s_add_u32 s0, s2, s0
	s_addc_u32 s1, s3, 0
	v_mov_b32_e32 v2, s8
	s_cmp_eq_u32 s6, s11
	s_load_dwordx2 s[22:23], s[22:23], 0x0
	v_cmp_ge_u64_e32 vcc, s[0:1], v[2:3]
	s_cselect_b64 s[24:25], -1, 0
	s_and_b64 s[12:13], s[24:25], vcc
	s_xor_b64 s[26:27], s[12:13], -1
	s_add_u32 s0, s9, s15
	s_mov_b64 s[10:11], -1
	s_addc_u32 s1, s14, 0
	s_and_b64 vcc, exec, s[26:27]
	s_cbranch_vccz .LBB136_2
; %bb.1:
	global_load_ubyte v2, v0, s[0:1]
	global_load_ubyte v3, v0, s[0:1] offset:128
	global_load_ubyte v4, v0, s[0:1] offset:256
	;; [unrolled: 1-line block ×31, first 2 shown]
	s_mov_b64 s[10:11], 0
	s_waitcnt vmcnt(31)
	ds_write_b8 v0, v2
	s_waitcnt vmcnt(30)
	ds_write_b8 v0, v3 offset:132
	s_waitcnt vmcnt(29)
	ds_write_b8 v0, v4 offset:264
	;; [unrolled: 2-line block ×31, first 2 shown]
	s_waitcnt lgkmcnt(0)
	s_barrier
.LBB136_2:
	s_andn2_b64 vcc, exec, s[10:11]
	s_sub_i32 s7, s8, s7
	s_cbranch_vccnz .LBB136_68
; %bb.3:
	v_cmp_gt_u32_e32 vcc, s7, v0
                                        ; implicit-def: $vgpr2
	s_and_saveexec_b64 s[8:9], vcc
	s_cbranch_execz .LBB136_5
; %bb.4:
	global_load_ubyte v2, v0, s[0:1]
.LBB136_5:
	s_or_b64 exec, exec, s[8:9]
	v_or_b32_e32 v3, 0x80, v0
	v_cmp_gt_u32_e32 vcc, s7, v3
                                        ; implicit-def: $vgpr4
	s_and_saveexec_b64 s[8:9], vcc
	s_cbranch_execz .LBB136_7
; %bb.6:
	global_load_ubyte v4, v0, s[0:1] offset:128
.LBB136_7:
	s_or_b64 exec, exec, s[8:9]
	v_or_b32_e32 v5, 0x100, v0
	v_cmp_gt_u32_e32 vcc, s7, v5
                                        ; implicit-def: $vgpr6
	s_and_saveexec_b64 s[8:9], vcc
	s_cbranch_execz .LBB136_9
; %bb.8:
	global_load_ubyte v6, v0, s[0:1] offset:256
.LBB136_9:
	s_or_b64 exec, exec, s[8:9]
	v_or_b32_e32 v7, 0x180, v0
	v_cmp_gt_u32_e32 vcc, s7, v7
                                        ; implicit-def: $vgpr8
	s_and_saveexec_b64 s[8:9], vcc
	s_cbranch_execz .LBB136_11
; %bb.10:
	global_load_ubyte v8, v0, s[0:1] offset:384
.LBB136_11:
	s_or_b64 exec, exec, s[8:9]
	v_or_b32_e32 v9, 0x200, v0
	v_cmp_gt_u32_e32 vcc, s7, v9
                                        ; implicit-def: $vgpr10
	s_and_saveexec_b64 s[8:9], vcc
	s_cbranch_execz .LBB136_13
; %bb.12:
	global_load_ubyte v10, v0, s[0:1] offset:512
.LBB136_13:
	s_or_b64 exec, exec, s[8:9]
	v_or_b32_e32 v11, 0x280, v0
	v_cmp_gt_u32_e32 vcc, s7, v11
                                        ; implicit-def: $vgpr12
	s_and_saveexec_b64 s[8:9], vcc
	s_cbranch_execz .LBB136_15
; %bb.14:
	global_load_ubyte v12, v0, s[0:1] offset:640
.LBB136_15:
	s_or_b64 exec, exec, s[8:9]
	v_or_b32_e32 v13, 0x300, v0
	v_cmp_gt_u32_e32 vcc, s7, v13
                                        ; implicit-def: $vgpr14
	s_and_saveexec_b64 s[8:9], vcc
	s_cbranch_execz .LBB136_17
; %bb.16:
	global_load_ubyte v14, v0, s[0:1] offset:768
.LBB136_17:
	s_or_b64 exec, exec, s[8:9]
	v_or_b32_e32 v15, 0x380, v0
	v_cmp_gt_u32_e32 vcc, s7, v15
                                        ; implicit-def: $vgpr16
	s_and_saveexec_b64 s[8:9], vcc
	s_cbranch_execz .LBB136_19
; %bb.18:
	global_load_ubyte v16, v0, s[0:1] offset:896
.LBB136_19:
	s_or_b64 exec, exec, s[8:9]
	v_or_b32_e32 v17, 0x400, v0
	v_cmp_gt_u32_e32 vcc, s7, v17
                                        ; implicit-def: $vgpr18
	s_and_saveexec_b64 s[8:9], vcc
	s_cbranch_execz .LBB136_21
; %bb.20:
	global_load_ubyte v18, v0, s[0:1] offset:1024
.LBB136_21:
	s_or_b64 exec, exec, s[8:9]
	v_or_b32_e32 v19, 0x480, v0
	v_cmp_gt_u32_e32 vcc, s7, v19
                                        ; implicit-def: $vgpr20
	s_and_saveexec_b64 s[8:9], vcc
	s_cbranch_execz .LBB136_23
; %bb.22:
	global_load_ubyte v20, v0, s[0:1] offset:1152
.LBB136_23:
	s_or_b64 exec, exec, s[8:9]
	v_or_b32_e32 v21, 0x500, v0
	v_cmp_gt_u32_e32 vcc, s7, v21
                                        ; implicit-def: $vgpr22
	s_and_saveexec_b64 s[8:9], vcc
	s_cbranch_execz .LBB136_25
; %bb.24:
	global_load_ubyte v22, v0, s[0:1] offset:1280
.LBB136_25:
	s_or_b64 exec, exec, s[8:9]
	v_or_b32_e32 v23, 0x580, v0
	v_cmp_gt_u32_e32 vcc, s7, v23
                                        ; implicit-def: $vgpr24
	s_and_saveexec_b64 s[8:9], vcc
	s_cbranch_execz .LBB136_27
; %bb.26:
	global_load_ubyte v24, v0, s[0:1] offset:1408
.LBB136_27:
	s_or_b64 exec, exec, s[8:9]
	v_or_b32_e32 v25, 0x600, v0
	v_cmp_gt_u32_e32 vcc, s7, v25
                                        ; implicit-def: $vgpr26
	s_and_saveexec_b64 s[8:9], vcc
	s_cbranch_execz .LBB136_29
; %bb.28:
	global_load_ubyte v26, v0, s[0:1] offset:1536
.LBB136_29:
	s_or_b64 exec, exec, s[8:9]
	v_or_b32_e32 v27, 0x680, v0
	v_cmp_gt_u32_e32 vcc, s7, v27
                                        ; implicit-def: $vgpr28
	s_and_saveexec_b64 s[8:9], vcc
	s_cbranch_execz .LBB136_31
; %bb.30:
	global_load_ubyte v28, v0, s[0:1] offset:1664
.LBB136_31:
	s_or_b64 exec, exec, s[8:9]
	v_or_b32_e32 v29, 0x700, v0
	v_cmp_gt_u32_e32 vcc, s7, v29
                                        ; implicit-def: $vgpr30
	s_and_saveexec_b64 s[8:9], vcc
	s_cbranch_execz .LBB136_33
; %bb.32:
	global_load_ubyte v30, v0, s[0:1] offset:1792
.LBB136_33:
	s_or_b64 exec, exec, s[8:9]
	v_or_b32_e32 v31, 0x780, v0
	v_cmp_gt_u32_e32 vcc, s7, v31
                                        ; implicit-def: $vgpr32
	s_and_saveexec_b64 s[8:9], vcc
	s_cbranch_execz .LBB136_35
; %bb.34:
	global_load_ubyte v32, v0, s[0:1] offset:1920
.LBB136_35:
	s_or_b64 exec, exec, s[8:9]
	v_or_b32_e32 v33, 0x800, v0
	v_cmp_gt_u32_e32 vcc, s7, v33
                                        ; implicit-def: $vgpr34
	s_and_saveexec_b64 s[8:9], vcc
	s_cbranch_execz .LBB136_37
; %bb.36:
	global_load_ubyte v34, v0, s[0:1] offset:2048
.LBB136_37:
	s_or_b64 exec, exec, s[8:9]
	v_or_b32_e32 v35, 0x880, v0
	v_cmp_gt_u32_e32 vcc, s7, v35
                                        ; implicit-def: $vgpr36
	s_and_saveexec_b64 s[8:9], vcc
	s_cbranch_execz .LBB136_39
; %bb.38:
	global_load_ubyte v36, v0, s[0:1] offset:2176
.LBB136_39:
	s_or_b64 exec, exec, s[8:9]
	v_or_b32_e32 v37, 0x900, v0
	v_cmp_gt_u32_e32 vcc, s7, v37
                                        ; implicit-def: $vgpr38
	s_and_saveexec_b64 s[8:9], vcc
	s_cbranch_execz .LBB136_41
; %bb.40:
	global_load_ubyte v38, v0, s[0:1] offset:2304
.LBB136_41:
	s_or_b64 exec, exec, s[8:9]
	v_or_b32_e32 v39, 0x980, v0
	v_cmp_gt_u32_e32 vcc, s7, v39
                                        ; implicit-def: $vgpr40
	s_and_saveexec_b64 s[8:9], vcc
	s_cbranch_execz .LBB136_43
; %bb.42:
	global_load_ubyte v40, v0, s[0:1] offset:2432
.LBB136_43:
	s_or_b64 exec, exec, s[8:9]
	v_or_b32_e32 v41, 0xa00, v0
	v_cmp_gt_u32_e32 vcc, s7, v41
                                        ; implicit-def: $vgpr42
	s_and_saveexec_b64 s[8:9], vcc
	s_cbranch_execz .LBB136_45
; %bb.44:
	global_load_ubyte v42, v0, s[0:1] offset:2560
.LBB136_45:
	s_or_b64 exec, exec, s[8:9]
	v_or_b32_e32 v43, 0xa80, v0
	v_cmp_gt_u32_e32 vcc, s7, v43
                                        ; implicit-def: $vgpr44
	s_and_saveexec_b64 s[8:9], vcc
	s_cbranch_execz .LBB136_47
; %bb.46:
	global_load_ubyte v44, v0, s[0:1] offset:2688
.LBB136_47:
	s_or_b64 exec, exec, s[8:9]
	v_or_b32_e32 v45, 0xb00, v0
	v_cmp_gt_u32_e32 vcc, s7, v45
                                        ; implicit-def: $vgpr46
	s_and_saveexec_b64 s[8:9], vcc
	s_cbranch_execz .LBB136_49
; %bb.48:
	global_load_ubyte v46, v0, s[0:1] offset:2816
.LBB136_49:
	s_or_b64 exec, exec, s[8:9]
	v_or_b32_e32 v47, 0xb80, v0
	v_cmp_gt_u32_e32 vcc, s7, v47
                                        ; implicit-def: $vgpr48
	s_and_saveexec_b64 s[8:9], vcc
	s_cbranch_execz .LBB136_51
; %bb.50:
	global_load_ubyte v48, v0, s[0:1] offset:2944
.LBB136_51:
	s_or_b64 exec, exec, s[8:9]
	v_or_b32_e32 v49, 0xc00, v0
	v_cmp_gt_u32_e32 vcc, s7, v49
                                        ; implicit-def: $vgpr50
	s_and_saveexec_b64 s[8:9], vcc
	s_cbranch_execz .LBB136_53
; %bb.52:
	global_load_ubyte v50, v0, s[0:1] offset:3072
.LBB136_53:
	s_or_b64 exec, exec, s[8:9]
	v_or_b32_e32 v51, 0xc80, v0
	v_cmp_gt_u32_e32 vcc, s7, v51
                                        ; implicit-def: $vgpr52
	s_and_saveexec_b64 s[8:9], vcc
	s_cbranch_execz .LBB136_55
; %bb.54:
	global_load_ubyte v52, v0, s[0:1] offset:3200
.LBB136_55:
	s_or_b64 exec, exec, s[8:9]
	v_or_b32_e32 v53, 0xd00, v0
	v_cmp_gt_u32_e32 vcc, s7, v53
                                        ; implicit-def: $vgpr54
	s_and_saveexec_b64 s[8:9], vcc
	s_cbranch_execz .LBB136_57
; %bb.56:
	global_load_ubyte v54, v0, s[0:1] offset:3328
.LBB136_57:
	s_or_b64 exec, exec, s[8:9]
	v_or_b32_e32 v55, 0xd80, v0
	v_cmp_gt_u32_e32 vcc, s7, v55
                                        ; implicit-def: $vgpr56
	s_and_saveexec_b64 s[8:9], vcc
	s_cbranch_execz .LBB136_59
; %bb.58:
	global_load_ubyte v56, v0, s[0:1] offset:3456
.LBB136_59:
	s_or_b64 exec, exec, s[8:9]
	v_or_b32_e32 v57, 0xe00, v0
	v_cmp_gt_u32_e32 vcc, s7, v57
                                        ; implicit-def: $vgpr58
	s_and_saveexec_b64 s[8:9], vcc
	s_cbranch_execz .LBB136_61
; %bb.60:
	global_load_ubyte v58, v0, s[0:1] offset:3584
.LBB136_61:
	s_or_b64 exec, exec, s[8:9]
	v_or_b32_e32 v59, 0xe80, v0
	v_cmp_gt_u32_e32 vcc, s7, v59
                                        ; implicit-def: $vgpr60
	s_and_saveexec_b64 s[8:9], vcc
	s_cbranch_execz .LBB136_63
; %bb.62:
	global_load_ubyte v60, v0, s[0:1] offset:3712
.LBB136_63:
	s_or_b64 exec, exec, s[8:9]
	v_or_b32_e32 v61, 0xf00, v0
	v_cmp_gt_u32_e32 vcc, s7, v61
                                        ; implicit-def: $vgpr62
	s_and_saveexec_b64 s[8:9], vcc
	s_cbranch_execz .LBB136_65
; %bb.64:
	global_load_ubyte v62, v0, s[0:1] offset:3840
.LBB136_65:
	s_or_b64 exec, exec, s[8:9]
	v_or_b32_e32 v63, 0xf80, v0
	v_cmp_gt_u32_e32 vcc, s7, v63
                                        ; implicit-def: $vgpr64
	s_and_saveexec_b64 s[8:9], vcc
	s_cbranch_execz .LBB136_67
; %bb.66:
	global_load_ubyte v64, v0, s[0:1] offset:3968
.LBB136_67:
	s_or_b64 exec, exec, s[8:9]
	s_waitcnt vmcnt(0)
	ds_write_b8 v0, v2
	v_lshrrev_b32_e32 v2, 5, v3
	v_and_b32_e32 v2, 4, v2
	v_add_u32_e32 v2, v0, v2
	ds_write_b8 v2, v4 offset:128
	v_lshrrev_b32_e32 v2, 5, v5
	v_and_b32_e32 v2, 12, v2
	v_add_u32_e32 v2, v0, v2
	ds_write_b8 v2, v6 offset:256
	;; [unrolled: 4-line block ×31, first 2 shown]
	s_waitcnt lgkmcnt(0)
	s_barrier
.LBB136_68:
	v_lshlrev_b32_e32 v10, 5, v0
	v_and_b32_e32 v2, 0x7c, v0
	v_add_u32_e32 v4, v2, v10
	s_waitcnt lgkmcnt(0)
	ds_read2_b32 v[2:3], v4 offset0:6 offset1:7
	ds_read2_b32 v[8:9], v4 offset1:1
	ds_read2_b32 v[6:7], v4 offset0:2 offset1:3
	ds_read2_b32 v[4:5], v4 offset0:4 offset1:5
	s_cmp_lg_u32 s6, 0
	s_cselect_b64 s[16:17], -1, 0
	s_cmp_lg_u64 s[2:3], 0
	s_cselect_b64 s[2:3], -1, 0
	s_or_b64 s[2:3], s[16:17], s[2:3]
	s_waitcnt lgkmcnt(3)
	v_lshrrev_b32_e32 v25, 8, v2
	v_lshrrev_b32_e32 v24, 16, v2
	v_lshrrev_b32_e32 v23, 24, v2
	v_lshrrev_b32_e32 v22, 8, v3
	v_lshrrev_b32_e32 v21, 16, v3
	v_lshrrev_b32_e32 v20, 24, v3
	s_waitcnt lgkmcnt(2)
	v_lshrrev_b32_e32 v50, 8, v8
	v_lshrrev_b32_e32 v48, 16, v8
	v_lshrrev_b32_e32 v47, 24, v8
	v_lshrrev_b32_e32 v45, 8, v9
	v_lshrrev_b32_e32 v43, 16, v9
	v_lshrrev_b32_e32 v42, 24, v9
	;; [unrolled: 7-line block ×4, first 2 shown]
	s_mov_b64 s[14:15], 0
	s_and_b64 vcc, exec, s[2:3]
	s_barrier
	s_cbranch_vccz .LBB136_73
; %bb.69:
	v_mov_b32_e32 v11, 0
	global_load_ubyte v11, v11, s[0:1] offset:-1
	s_and_b64 vcc, exec, s[26:27]
	ds_write_b8 v0, v20
	s_cbranch_vccz .LBB136_75
; %bb.70:
	v_cmp_ne_u32_e32 vcc, 0, v0
	s_waitcnt vmcnt(0)
	v_mov_b32_e32 v12, v11
	s_waitcnt lgkmcnt(0)
	s_barrier
	s_and_saveexec_b64 s[0:1], vcc
	s_cbranch_execz .LBB136_72
; %bb.71:
	v_add_u32_e32 v12, -1, v0
	ds_read_u8 v12, v12
.LBB136_72:
	s_or_b64 exec, exec, s[0:1]
	v_cmp_ne_u16_sdwa s[0:1], v21, v20 src0_sel:BYTE_0 src1_sel:DWORD
	v_cndmask_b32_e64 v34, 0, 1, s[0:1]
	v_cmp_ne_u16_sdwa s[0:1], v22, v21 src0_sel:BYTE_0 src1_sel:BYTE_0
	v_cndmask_b32_e64 v36, 0, 1, s[0:1]
	v_cmp_ne_u16_sdwa s[0:1], v3, v22 src0_sel:BYTE_0 src1_sel:BYTE_0
	v_cndmask_b32_e64 v39, 0, 1, s[0:1]
	v_cmp_ne_u16_sdwa s[0:1], v23, v3 src0_sel:DWORD src1_sel:BYTE_0
	v_cndmask_b32_e64 v41, 0, 1, s[0:1]
	v_cmp_ne_u16_sdwa s[0:1], v24, v23 src0_sel:BYTE_0 src1_sel:DWORD
	v_cndmask_b32_e64 v44, 0, 1, s[0:1]
	v_cmp_ne_u16_sdwa s[0:1], v25, v24 src0_sel:BYTE_0 src1_sel:BYTE_0
	v_cndmask_b32_e64 v46, 0, 1, s[0:1]
	v_cmp_ne_u16_sdwa s[0:1], v2, v25 src0_sel:BYTE_0 src1_sel:BYTE_0
	v_cndmask_b32_e64 v49, 0, 1, s[0:1]
	v_cmp_ne_u16_sdwa s[0:1], v26, v2 src0_sel:DWORD src1_sel:BYTE_0
	v_cndmask_b32_e64 v51, 0, 1, s[0:1]
	;; [unrolled: 8-line block ×7, first 2 shown]
	v_cmp_ne_u16_sdwa s[0:1], v48, v47 src0_sel:BYTE_0 src1_sel:DWORD
	v_cndmask_b32_e64 v72, 0, 1, s[0:1]
	v_cmp_ne_u16_sdwa s[0:1], v50, v48 src0_sel:BYTE_0 src1_sel:BYTE_0
	v_cndmask_b32_e64 v73, 0, 1, s[0:1]
	v_cmp_ne_u16_sdwa s[0:1], v8, v50 src0_sel:BYTE_0 src1_sel:BYTE_0
	v_cndmask_b32_e64 v74, 0, 1, s[0:1]
	s_waitcnt lgkmcnt(0)
	v_cmp_ne_u16_sdwa s[18:19], v12, v8 src0_sel:BYTE_0 src1_sel:BYTE_0
	s_branch .LBB136_79
.LBB136_73:
                                        ; implicit-def: $sgpr18_sgpr19
                                        ; implicit-def: $vgpr74
                                        ; implicit-def: $vgpr73
                                        ; implicit-def: $vgpr72
                                        ; implicit-def: $vgpr71
                                        ; implicit-def: $vgpr70
                                        ; implicit-def: $vgpr69
                                        ; implicit-def: $vgpr68
                                        ; implicit-def: $vgpr67
                                        ; implicit-def: $vgpr66
                                        ; implicit-def: $vgpr65
                                        ; implicit-def: $vgpr64
                                        ; implicit-def: $vgpr63
                                        ; implicit-def: $vgpr62
                                        ; implicit-def: $vgpr61
                                        ; implicit-def: $vgpr60
                                        ; implicit-def: $vgpr59
                                        ; implicit-def: $vgpr58
                                        ; implicit-def: $vgpr57
                                        ; implicit-def: $vgpr56
                                        ; implicit-def: $vgpr55
                                        ; implicit-def: $vgpr54
                                        ; implicit-def: $vgpr53
                                        ; implicit-def: $vgpr52
                                        ; implicit-def: $vgpr51
                                        ; implicit-def: $vgpr49
                                        ; implicit-def: $vgpr46
                                        ; implicit-def: $vgpr44
                                        ; implicit-def: $vgpr41
                                        ; implicit-def: $vgpr39
                                        ; implicit-def: $vgpr36
                                        ; implicit-def: $vgpr34
	s_branch .LBB136_80
.LBB136_74:
                                        ; implicit-def: $sgpr28
	v_mov_b32_e32 v75, s28
	s_and_saveexec_b64 s[0:1], s[14:15]
	s_cbranch_execnz .LBB136_88
	s_branch .LBB136_89
.LBB136_75:
                                        ; implicit-def: $sgpr18_sgpr19
                                        ; implicit-def: $vgpr74
                                        ; implicit-def: $vgpr73
                                        ; implicit-def: $vgpr72
                                        ; implicit-def: $vgpr71
                                        ; implicit-def: $vgpr70
                                        ; implicit-def: $vgpr69
                                        ; implicit-def: $vgpr68
                                        ; implicit-def: $vgpr67
                                        ; implicit-def: $vgpr66
                                        ; implicit-def: $vgpr65
                                        ; implicit-def: $vgpr64
                                        ; implicit-def: $vgpr63
                                        ; implicit-def: $vgpr62
                                        ; implicit-def: $vgpr61
                                        ; implicit-def: $vgpr60
                                        ; implicit-def: $vgpr59
                                        ; implicit-def: $vgpr58
                                        ; implicit-def: $vgpr57
                                        ; implicit-def: $vgpr56
                                        ; implicit-def: $vgpr55
                                        ; implicit-def: $vgpr54
                                        ; implicit-def: $vgpr53
                                        ; implicit-def: $vgpr52
                                        ; implicit-def: $vgpr51
                                        ; implicit-def: $vgpr49
                                        ; implicit-def: $vgpr46
                                        ; implicit-def: $vgpr44
                                        ; implicit-def: $vgpr41
                                        ; implicit-def: $vgpr39
                                        ; implicit-def: $vgpr36
                                        ; implicit-def: $vgpr34
	s_cbranch_execz .LBB136_79
; %bb.76:
	v_cmp_ne_u32_e32 vcc, 0, v0
	s_waitcnt lgkmcnt(0)
	s_barrier
	s_and_saveexec_b64 s[0:1], vcc
	s_cbranch_execz .LBB136_78
; %bb.77:
	s_waitcnt vmcnt(0)
	v_add_u32_e32 v11, -1, v0
	ds_read_u8 v11, v11
.LBB136_78:
	s_or_b64 exec, exec, s[0:1]
	v_or_b32_e32 v12, 31, v10
	v_cmp_gt_u32_e32 vcc, s7, v12
	v_cmp_ne_u16_sdwa s[0:1], v21, v20 src0_sel:BYTE_0 src1_sel:BYTE_0
	s_and_b64 s[0:1], vcc, s[0:1]
	v_or_b32_e32 v12, 30, v10
	v_cndmask_b32_e64 v34, 0, 1, s[0:1]
	v_cmp_gt_u32_e32 vcc, s7, v12
	v_cmp_ne_u16_sdwa s[0:1], v22, v21 src0_sel:BYTE_0 src1_sel:BYTE_0
	s_and_b64 s[0:1], vcc, s[0:1]
	v_or_b32_e32 v12, 29, v10
	v_cndmask_b32_e64 v36, 0, 1, s[0:1]
	;; [unrolled: 5-line block ×30, first 2 shown]
	v_cmp_gt_u32_e32 vcc, s7, v12
	v_cmp_ne_u16_sdwa s[0:1], v8, v50 src0_sel:BYTE_0 src1_sel:BYTE_0
	s_and_b64 s[0:1], vcc, s[0:1]
	v_cndmask_b32_e64 v74, 0, 1, s[0:1]
	v_cmp_gt_u32_e32 vcc, s7, v10
	s_waitcnt vmcnt(0) lgkmcnt(0)
	v_cmp_ne_u16_sdwa s[0:1], v11, v8 src0_sel:BYTE_0 src1_sel:BYTE_0
	s_and_b64 s[18:19], vcc, s[0:1]
.LBB136_79:
	s_mov_b64 s[14:15], -1
	s_cbranch_execnz .LBB136_74
.LBB136_80:
	s_and_b64 vcc, exec, s[26:27]
	v_cmp_ne_u16_sdwa s[48:49], v22, v21 src0_sel:BYTE_0 src1_sel:BYTE_0
	v_cmp_ne_u16_sdwa s[50:51], v3, v22 src0_sel:BYTE_0 src1_sel:BYTE_0
	;; [unrolled: 1-line block ×16, first 2 shown]
	ds_write_b8 v0, v20
	s_cbranch_vccz .LBB136_84
; %bb.81:
	v_cndmask_b32_e64 v36, 0, 1, s[48:49]
	v_cmp_ne_u16_sdwa s[48:49], v23, v3 src0_sel:DWORD src1_sel:BYTE_0
	v_cndmask_b32_e64 v46, 0, 1, s[44:45]
	v_cmp_ne_u16_sdwa s[44:45], v26, v2 src0_sel:DWORD src1_sel:BYTE_0
	v_cndmask_b32_e64 v53, 0, 1, s[40:41]
	v_cmp_ne_u16_sdwa s[40:41], v29, v5 src0_sel:DWORD src1_sel:BYTE_0
	v_cndmask_b32_e64 v57, 0, 1, s[36:37]
	v_cmp_ne_u16_sdwa s[36:37], v32, v4 src0_sel:DWORD src1_sel:BYTE_0
	v_cndmask_b32_e64 v61, 0, 1, s[30:31]
	v_cmp_ne_u16_sdwa s[30:31], v37, v7 src0_sel:DWORD src1_sel:BYTE_0
	v_cndmask_b32_e64 v65, 0, 1, s[18:19]
	v_cmp_ne_u16_sdwa s[18:19], v42, v6 src0_sel:DWORD src1_sel:BYTE_0
	v_cndmask_b32_e64 v69, 0, 1, s[8:9]
	v_cmp_ne_u16_sdwa s[8:9], v47, v9 src0_sel:DWORD src1_sel:BYTE_0
	v_cmp_ne_u16_sdwa s[52:53], v21, v20 src0_sel:BYTE_0 src1_sel:DWORD
	v_cndmask_b32_e64 v41, 0, 1, s[48:49]
	v_cmp_ne_u16_sdwa s[48:49], v24, v23 src0_sel:BYTE_0 src1_sel:DWORD
	v_cndmask_b32_e64 v51, 0, 1, s[44:45]
	;; [unrolled: 2-line block ×8, first 2 shown]
	v_cndmask_b32_e64 v39, 0, 1, s[50:51]
	v_cndmask_b32_e64 v44, 0, 1, s[48:49]
	;; [unrolled: 1-line block ×16, first 2 shown]
	v_cmp_ne_u32_e32 vcc, 0, v0
	s_waitcnt lgkmcnt(0)
	s_barrier
	s_waitcnt lgkmcnt(0)
                                        ; implicit-def: $sgpr18_sgpr19
	s_and_saveexec_b64 s[0:1], vcc
	s_xor_b64 s[0:1], exec, s[0:1]
	s_cbranch_execz .LBB136_83
; %bb.82:
	s_waitcnt vmcnt(0)
	v_add_u32_e32 v11, -1, v0
	ds_read_u8 v11, v11
	s_or_b64 s[14:15], s[14:15], exec
	s_waitcnt lgkmcnt(0)
	v_cmp_ne_u16_sdwa s[2:3], v11, v8 src0_sel:DWORD src1_sel:BYTE_0
	s_and_b64 s[18:19], s[2:3], exec
.LBB136_83:
	s_or_b64 exec, exec, s[0:1]
	s_mov_b32 s28, 1
	s_branch .LBB136_87
.LBB136_84:
                                        ; implicit-def: $sgpr18_sgpr19
                                        ; implicit-def: $vgpr74
                                        ; implicit-def: $vgpr73
                                        ; implicit-def: $vgpr72
                                        ; implicit-def: $vgpr71
                                        ; implicit-def: $vgpr70
                                        ; implicit-def: $vgpr69
                                        ; implicit-def: $vgpr68
                                        ; implicit-def: $vgpr67
                                        ; implicit-def: $vgpr66
                                        ; implicit-def: $vgpr65
                                        ; implicit-def: $vgpr64
                                        ; implicit-def: $vgpr63
                                        ; implicit-def: $vgpr62
                                        ; implicit-def: $vgpr61
                                        ; implicit-def: $vgpr60
                                        ; implicit-def: $vgpr59
                                        ; implicit-def: $vgpr58
                                        ; implicit-def: $vgpr57
                                        ; implicit-def: $vgpr56
                                        ; implicit-def: $vgpr55
                                        ; implicit-def: $vgpr54
                                        ; implicit-def: $vgpr53
                                        ; implicit-def: $vgpr52
                                        ; implicit-def: $vgpr51
                                        ; implicit-def: $vgpr49
                                        ; implicit-def: $vgpr46
                                        ; implicit-def: $vgpr44
                                        ; implicit-def: $vgpr41
                                        ; implicit-def: $vgpr39
                                        ; implicit-def: $vgpr36
                                        ; implicit-def: $vgpr34
                                        ; implicit-def: $sgpr28
	s_cbranch_execz .LBB136_87
; %bb.85:
	s_waitcnt vmcnt(0)
	v_or_b32_e32 v11, 31, v10
	v_cmp_gt_u32_e32 vcc, s7, v11
	v_cmp_ne_u16_sdwa s[0:1], v21, v20 src0_sel:BYTE_0 src1_sel:BYTE_0
	s_and_b64 s[0:1], vcc, s[0:1]
	v_or_b32_e32 v11, 30, v10
	v_cndmask_b32_e64 v34, 0, 1, s[0:1]
	v_cmp_gt_u32_e32 vcc, s7, v11
	v_cmp_ne_u16_sdwa s[0:1], v22, v21 src0_sel:BYTE_0 src1_sel:BYTE_0
	s_and_b64 s[0:1], vcc, s[0:1]
	v_or_b32_e32 v11, 29, v10
	v_cndmask_b32_e64 v36, 0, 1, s[0:1]
	;; [unrolled: 5-line block ×25, first 2 shown]
	v_cmp_gt_u32_e32 vcc, s7, v11
	v_cmp_ne_u16_sdwa s[0:1], v45, v43 src0_sel:BYTE_0 src1_sel:BYTE_0
	v_or_b32_e32 v11, 5, v10
	s_and_b64 s[0:1], vcc, s[0:1]
	v_cmp_gt_u32_e32 vcc, s7, v11
	v_or_b32_e32 v11, 4, v10
	v_cndmask_b32_e64 v69, 0, 1, s[0:1]
	v_cmp_gt_u32_e64 s[0:1], s7, v11
	v_or_b32_e32 v11, 3, v10
	v_cmp_ne_u16_sdwa s[30:31], v47, v9 src0_sel:BYTE_0 src1_sel:BYTE_0
	v_cmp_gt_u32_e64 s[2:3], s7, v11
	v_or_b32_e32 v11, 2, v10
	v_cmp_ne_u16_sdwa s[34:35], v48, v47 src0_sel:BYTE_0 src1_sel:BYTE_0
	s_and_b64 s[0:1], s[0:1], s[30:31]
	v_cmp_gt_u32_e64 s[8:9], s7, v11
	v_or_b32_e32 v11, 1, v10
	v_cmp_ne_u16_sdwa s[36:37], v50, v48 src0_sel:BYTE_0 src1_sel:BYTE_0
	v_cndmask_b32_e64 v71, 0, 1, s[0:1]
	s_and_b64 s[0:1], s[2:3], s[34:35]
	v_cmp_ne_u16_sdwa s[18:19], v9, v45 src0_sel:BYTE_0 src1_sel:BYTE_0
	v_cmp_gt_u32_e64 s[10:11], s7, v11
	v_cmp_ne_u16_sdwa s[38:39], v8, v50 src0_sel:BYTE_0 src1_sel:BYTE_0
	v_cndmask_b32_e64 v72, 0, 1, s[0:1]
	s_and_b64 s[0:1], s[8:9], s[36:37]
	s_and_b64 s[18:19], vcc, s[18:19]
	v_cndmask_b32_e64 v73, 0, 1, s[0:1]
	s_and_b64 s[0:1], s[10:11], s[38:39]
	v_cndmask_b32_e64 v70, 0, 1, s[18:19]
	s_mov_b32 s28, 1
	v_cmp_ne_u32_e32 vcc, 0, v0
	v_cndmask_b32_e64 v74, 0, 1, s[0:1]
	s_waitcnt lgkmcnt(0)
	s_barrier
	s_waitcnt lgkmcnt(0)
                                        ; implicit-def: $sgpr18_sgpr19
	s_and_saveexec_b64 s[0:1], vcc
	s_cbranch_execz .LBB136_309
; %bb.86:
	v_add_u32_e32 v11, -1, v0
	ds_read_u8 v11, v11
	v_cmp_gt_u32_e32 vcc, s7, v10
	s_or_b64 s[14:15], s[14:15], exec
	s_waitcnt lgkmcnt(0)
	v_and_b32_e32 v11, 0xff, v11
	v_cmp_ne_u16_sdwa s[2:3], v11, v8 src0_sel:DWORD src1_sel:BYTE_0
	s_and_b64 s[2:3], vcc, s[2:3]
	s_and_b64 s[18:19], s[2:3], exec
	s_or_b64 exec, exec, s[0:1]
.LBB136_87:
	v_mov_b32_e32 v75, s28
	s_and_saveexec_b64 s[0:1], s[14:15]
.LBB136_88:
	v_cndmask_b32_e64 v75, 0, 1, s[18:19]
.LBB136_89:
	s_or_b64 exec, exec, s[0:1]
	s_load_dwordx2 s[28:29], s[4:5], 0x60
	s_andn2_b64 vcc, exec, s[12:13]
	s_cbranch_vccnz .LBB136_91
; %bb.90:
	v_cmp_gt_u32_e32 vcc, s7, v10
	s_waitcnt vmcnt(0)
	v_or_b32_e32 v11, 1, v10
	v_cndmask_b32_e32 v75, 0, v75, vcc
	v_cmp_gt_u32_e32 vcc, s7, v11
	v_or_b32_e32 v11, 2, v10
	v_cndmask_b32_e32 v74, 0, v74, vcc
	v_cmp_gt_u32_e32 vcc, s7, v11
	;; [unrolled: 3-line block ×31, first 2 shown]
	v_cndmask_b32_e32 v34, 0, v34, vcc
.LBB136_91:
	v_mbcnt_lo_u32_b32 v10, -1, 0
	v_mbcnt_hi_u32_b32 v86, -1, v10
	v_and_b32_e32 v10, 15, v86
	v_cmp_eq_u32_e64 s[12:13], 0, v10
	v_cmp_lt_u32_e64 s[10:11], 1, v10
	v_cmp_lt_u32_e64 s[8:9], 3, v10
	;; [unrolled: 1-line block ×3, first 2 shown]
	v_and_b32_e32 v10, 16, v86
	v_cmp_eq_u32_e64 s[2:3], 0, v10
	v_or_b32_e32 v10, 63, v0
	v_and_b32_e32 v114, 0xff, v41
	v_and_b32_e32 v115, 0xff, v39
	v_cmp_eq_u32_e64 s[0:1], v10, v0
	v_add_u32_sdwa v10, v36, v34 dst_sel:DWORD dst_unused:UNUSED_PAD src0_sel:BYTE_0 src1_sel:BYTE_0
	v_and_b32_e32 v112, 0xff, v46
	v_and_b32_e32 v113, 0xff, v44
	v_add3_u32 v10, v10, v115, v114
	v_and_b32_e32 v110, 0xff, v51
	v_and_b32_e32 v111, 0xff, v49
	v_add3_u32 v10, v10, v113, v112
	;; [unrolled: 3-line block ×12, first 2 shown]
	v_add3_u32 v10, v10, v77, v76
	v_and_b32_e32 v87, 0xff, v73
	v_and_b32_e32 v88, 0xff, v72
	v_add3_u32 v10, v10, v88, v87
	v_and_b32_e32 v89, 0xff, v75
	v_and_b32_e32 v90, 0xff, v74
	v_add3_u32 v92, v10, v90, v89
	v_cmp_lt_u32_e64 s[14:15], 31, v86
	s_and_b64 vcc, exec, s[16:17]
	v_lshrrev_b32_e32 v91, 6, v0
	s_waitcnt lgkmcnt(0)
	s_barrier
	s_cbranch_vccz .LBB136_118
; %bb.92:
	v_mov_b32_dpp v10, v92 row_shr:1 row_mask:0xf bank_mask:0xf
	v_cndmask_b32_e64 v10, v10, 0, s[12:13]
	v_add_u32_e32 v10, v10, v92
	s_waitcnt vmcnt(0)
	s_nop 0
	v_mov_b32_dpp v11, v10 row_shr:2 row_mask:0xf bank_mask:0xf
	v_cndmask_b32_e64 v11, 0, v11, s[10:11]
	v_add_u32_e32 v10, v10, v11
	s_nop 1
	v_mov_b32_dpp v11, v10 row_shr:4 row_mask:0xf bank_mask:0xf
	v_cndmask_b32_e64 v11, 0, v11, s[8:9]
	v_add_u32_e32 v10, v10, v11
	s_nop 1
	v_mov_b32_dpp v11, v10 row_shr:8 row_mask:0xf bank_mask:0xf
	v_cndmask_b32_e64 v11, 0, v11, s[18:19]
	v_add_u32_e32 v10, v10, v11
	s_nop 1
	v_mov_b32_dpp v11, v10 row_bcast:15 row_mask:0xf bank_mask:0xf
	v_cndmask_b32_e64 v11, v11, 0, s[2:3]
	v_add_u32_e32 v10, v10, v11
	s_nop 1
	v_mov_b32_dpp v11, v10 row_bcast:31 row_mask:0xf bank_mask:0xf
	v_cndmask_b32_e64 v11, 0, v11, s[14:15]
	v_add_u32_e32 v10, v10, v11
	s_and_saveexec_b64 s[16:17], s[0:1]
	s_cbranch_execz .LBB136_94
; %bb.93:
	v_lshlrev_b32_e32 v11, 2, v91
	ds_write_b32 v11, v10
.LBB136_94:
	s_or_b64 exec, exec, s[16:17]
	v_cmp_gt_u32_e32 vcc, 2, v0
	s_waitcnt lgkmcnt(0)
	s_barrier
	s_and_saveexec_b64 s[16:17], vcc
	s_cbranch_execz .LBB136_96
; %bb.95:
	v_lshlrev_b32_e32 v11, 2, v0
	ds_read_b32 v12, v11
	v_bfe_i32 v13, v86, 0, 1
	s_waitcnt lgkmcnt(0)
	v_mov_b32_dpp v14, v12 row_shr:1 row_mask:0xf bank_mask:0xf
	v_and_b32_e32 v13, v13, v14
	v_add_u32_e32 v12, v13, v12
	ds_write_b32 v11, v12
.LBB136_96:
	s_or_b64 exec, exec, s[16:17]
	v_cmp_gt_u32_e32 vcc, 64, v0
	v_cmp_lt_u32_e64 s[16:17], 63, v0
	s_waitcnt lgkmcnt(0)
	s_barrier
	s_waitcnt lgkmcnt(0)
                                        ; implicit-def: $vgpr93
	s_and_saveexec_b64 s[30:31], s[16:17]
	s_cbranch_execz .LBB136_98
; %bb.97:
	v_lshl_add_u32 v11, v91, 2, -4
	ds_read_b32 v93, v11
	s_waitcnt lgkmcnt(0)
	v_add_u32_e32 v10, v93, v10
.LBB136_98:
	s_or_b64 exec, exec, s[30:31]
	v_add_u32_e32 v11, -1, v86
	v_and_b32_e32 v12, 64, v86
	v_cmp_lt_i32_e64 s[16:17], v11, v12
	v_cndmask_b32_e64 v11, v11, v86, s[16:17]
	v_lshlrev_b32_e32 v11, 2, v11
	ds_bpermute_b32 v94, v11, v10
	v_cmp_eq_u32_e64 s[16:17], 0, v86
	s_and_saveexec_b64 s[30:31], vcc
	s_cbranch_execz .LBB136_117
; %bb.99:
	v_mov_b32_e32 v17, 0
	ds_read_b32 v10, v17 offset:4
	s_and_saveexec_b64 s[34:35], s[16:17]
	s_cbranch_execz .LBB136_101
; %bb.100:
	s_add_i32 s36, s6, 64
	s_mov_b32 s37, 0
	s_lshl_b64 s[36:37], s[36:37], 3
	s_add_u32 s36, s28, s36
	v_mov_b32_e32 v11, 1
	s_addc_u32 s37, s29, s37
	s_waitcnt lgkmcnt(0)
	global_store_dwordx2 v17, v[10:11], s[36:37]
.LBB136_101:
	s_or_b64 exec, exec, s[34:35]
	v_xad_u32 v12, v86, -1, s6
	v_add_u32_e32 v16, 64, v12
	v_lshlrev_b64 v[14:15], 3, v[16:17]
	v_mov_b32_e32 v11, s29
	v_add_co_u32_e32 v18, vcc, s28, v14
	v_addc_co_u32_e32 v19, vcc, v11, v15, vcc
	global_load_dwordx2 v[14:15], v[18:19], off glc
	s_waitcnt vmcnt(0)
	v_cmp_eq_u16_sdwa s[36:37], v15, v17 src0_sel:BYTE_0 src1_sel:DWORD
	s_and_saveexec_b64 s[34:35], s[36:37]
	s_cbranch_execz .LBB136_105
; %bb.102:
	s_mov_b64 s[36:37], 0
	v_mov_b32_e32 v11, 0
.LBB136_103:                            ; =>This Inner Loop Header: Depth=1
	global_load_dwordx2 v[14:15], v[18:19], off glc
	s_waitcnt vmcnt(0)
	v_cmp_ne_u16_sdwa s[38:39], v15, v11 src0_sel:BYTE_0 src1_sel:DWORD
	s_or_b64 s[36:37], s[38:39], s[36:37]
	s_andn2_b64 exec, exec, s[36:37]
	s_cbranch_execnz .LBB136_103
; %bb.104:
	s_or_b64 exec, exec, s[36:37]
.LBB136_105:
	s_or_b64 exec, exec, s[34:35]
	v_and_b32_e32 v96, 63, v86
	v_mov_b32_e32 v95, 2
	v_cmp_ne_u32_e32 vcc, 63, v96
	v_cmp_eq_u16_sdwa s[34:35], v15, v95 src0_sel:BYTE_0 src1_sel:DWORD
	v_lshlrev_b64 v[16:17], v86, -1
	v_addc_co_u32_e32 v18, vcc, 0, v86, vcc
	v_and_b32_e32 v11, s35, v17
	v_lshlrev_b32_e32 v97, 2, v18
	v_or_b32_e32 v11, 0x80000000, v11
	ds_bpermute_b32 v18, v97, v14
	v_and_b32_e32 v13, s34, v16
	v_ffbl_b32_e32 v11, v11
	v_add_u32_e32 v11, 32, v11
	v_ffbl_b32_e32 v13, v13
	v_min_u32_e32 v11, v13, v11
	v_cmp_lt_u32_e32 vcc, v96, v11
	s_waitcnt lgkmcnt(0)
	v_cndmask_b32_e32 v13, 0, v18, vcc
	v_cmp_gt_u32_e32 vcc, 62, v96
	v_add_u32_e32 v13, v13, v14
	v_cndmask_b32_e64 v14, 0, 1, vcc
	v_lshlrev_b32_e32 v14, 1, v14
	v_add_lshl_u32 v98, v14, v86, 2
	ds_bpermute_b32 v14, v98, v13
	v_add_u32_e32 v99, 2, v96
	v_cmp_le_u32_e32 vcc, v99, v11
	v_add_u32_e32 v117, 4, v96
	v_add_u32_e32 v119, 8, v96
	s_waitcnt lgkmcnt(0)
	v_cndmask_b32_e32 v14, 0, v14, vcc
	v_cmp_gt_u32_e32 vcc, 60, v96
	v_add_u32_e32 v13, v13, v14
	v_cndmask_b32_e64 v14, 0, 1, vcc
	v_lshlrev_b32_e32 v14, 2, v14
	v_add_lshl_u32 v116, v14, v86, 2
	ds_bpermute_b32 v14, v116, v13
	v_cmp_le_u32_e32 vcc, v117, v11
	v_add_u32_e32 v121, 16, v96
	v_add_u32_e32 v123, 32, v96
	s_waitcnt lgkmcnt(0)
	v_cndmask_b32_e32 v14, 0, v14, vcc
	v_cmp_gt_u32_e32 vcc, 56, v96
	v_add_u32_e32 v13, v13, v14
	v_cndmask_b32_e64 v14, 0, 1, vcc
	v_lshlrev_b32_e32 v14, 3, v14
	v_add_lshl_u32 v118, v14, v86, 2
	ds_bpermute_b32 v14, v118, v13
	v_cmp_le_u32_e32 vcc, v119, v11
	s_waitcnt lgkmcnt(0)
	v_cndmask_b32_e32 v14, 0, v14, vcc
	v_cmp_gt_u32_e32 vcc, 48, v96
	v_add_u32_e32 v13, v13, v14
	v_cndmask_b32_e64 v14, 0, 1, vcc
	v_lshlrev_b32_e32 v14, 4, v14
	v_add_lshl_u32 v120, v14, v86, 2
	ds_bpermute_b32 v14, v120, v13
	v_cmp_le_u32_e32 vcc, v121, v11
	;; [unrolled: 9-line block ×3, first 2 shown]
	s_waitcnt lgkmcnt(0)
	v_cndmask_b32_e32 v11, 0, v14, vcc
	v_add_u32_e32 v14, v13, v11
	v_mov_b32_e32 v13, 0
	s_branch .LBB136_107
.LBB136_106:                            ;   in Loop: Header=BB136_107 Depth=1
	s_or_b64 exec, exec, s[34:35]
	v_cmp_eq_u16_sdwa s[34:35], v15, v95 src0_sel:BYTE_0 src1_sel:DWORD
	v_and_b32_e32 v18, s35, v17
	v_or_b32_e32 v18, 0x80000000, v18
	ds_bpermute_b32 v124, v97, v14
	v_and_b32_e32 v19, s34, v16
	v_ffbl_b32_e32 v18, v18
	v_add_u32_e32 v18, 32, v18
	v_ffbl_b32_e32 v19, v19
	v_min_u32_e32 v18, v19, v18
	v_cmp_lt_u32_e32 vcc, v96, v18
	s_waitcnt lgkmcnt(0)
	v_cndmask_b32_e32 v19, 0, v124, vcc
	v_add_u32_e32 v14, v19, v14
	ds_bpermute_b32 v19, v98, v14
	v_cmp_le_u32_e32 vcc, v99, v18
	v_subrev_u32_e32 v12, 64, v12
	s_waitcnt lgkmcnt(0)
	v_cndmask_b32_e32 v19, 0, v19, vcc
	v_add_u32_e32 v14, v14, v19
	ds_bpermute_b32 v19, v116, v14
	v_cmp_le_u32_e32 vcc, v117, v18
	s_waitcnt lgkmcnt(0)
	v_cndmask_b32_e32 v19, 0, v19, vcc
	v_add_u32_e32 v14, v14, v19
	ds_bpermute_b32 v19, v118, v14
	v_cmp_le_u32_e32 vcc, v119, v18
	;; [unrolled: 5-line block ×4, first 2 shown]
	s_waitcnt lgkmcnt(0)
	v_cndmask_b32_e32 v18, 0, v19, vcc
	v_add3_u32 v14, v18, v11, v14
.LBB136_107:                            ; =>This Loop Header: Depth=1
                                        ;     Child Loop BB136_110 Depth 2
	v_cmp_ne_u16_sdwa s[34:35], v15, v95 src0_sel:BYTE_0 src1_sel:DWORD
	v_cndmask_b32_e64 v11, 0, 1, s[34:35]
	;;#ASMSTART
	;;#ASMEND
	v_cmp_ne_u32_e32 vcc, 0, v11
	s_cmp_lg_u64 vcc, exec
	v_mov_b32_e32 v11, v14
	s_cbranch_scc1 .LBB136_112
; %bb.108:                              ;   in Loop: Header=BB136_107 Depth=1
	v_lshlrev_b64 v[14:15], 3, v[12:13]
	v_mov_b32_e32 v19, s29
	v_add_co_u32_e32 v18, vcc, s28, v14
	v_addc_co_u32_e32 v19, vcc, v19, v15, vcc
	global_load_dwordx2 v[14:15], v[18:19], off glc
	s_waitcnt vmcnt(0)
	v_cmp_eq_u16_sdwa s[36:37], v15, v13 src0_sel:BYTE_0 src1_sel:DWORD
	s_and_saveexec_b64 s[34:35], s[36:37]
	s_cbranch_execz .LBB136_106
; %bb.109:                              ;   in Loop: Header=BB136_107 Depth=1
	s_mov_b64 s[36:37], 0
.LBB136_110:                            ;   Parent Loop BB136_107 Depth=1
                                        ; =>  This Inner Loop Header: Depth=2
	global_load_dwordx2 v[14:15], v[18:19], off glc
	s_waitcnt vmcnt(0)
	v_cmp_ne_u16_sdwa s[38:39], v15, v13 src0_sel:BYTE_0 src1_sel:DWORD
	s_or_b64 s[36:37], s[38:39], s[36:37]
	s_andn2_b64 exec, exec, s[36:37]
	s_cbranch_execnz .LBB136_110
; %bb.111:                              ;   in Loop: Header=BB136_107 Depth=1
	s_or_b64 exec, exec, s[36:37]
	s_branch .LBB136_106
.LBB136_112:                            ;   in Loop: Header=BB136_107 Depth=1
                                        ; implicit-def: $vgpr14
                                        ; implicit-def: $vgpr15
	s_cbranch_execz .LBB136_107
; %bb.113:
	s_and_saveexec_b64 s[34:35], s[16:17]
	s_cbranch_execz .LBB136_115
; %bb.114:
	s_add_i32 s6, s6, 64
	s_mov_b32 s7, 0
	s_lshl_b64 s[6:7], s[6:7], 3
	s_add_u32 s6, s28, s6
	v_add_u32_e32 v12, v11, v10
	v_mov_b32_e32 v13, 2
	s_addc_u32 s7, s29, s7
	v_mov_b32_e32 v14, 0
	global_store_dwordx2 v14, v[12:13], s[6:7]
	ds_write_b64 v14, v[10:11] offset:4224
.LBB136_115:
	s_or_b64 exec, exec, s[34:35]
	v_cmp_eq_u32_e32 vcc, 0, v0
	s_and_b64 exec, exec, vcc
	s_cbranch_execz .LBB136_117
; %bb.116:
	v_mov_b32_e32 v10, 0
	ds_write_b32 v10, v11 offset:4
.LBB136_117:
	s_or_b64 exec, exec, s[30:31]
	v_mov_b32_e32 v11, 0
	s_waitcnt lgkmcnt(0)
	s_barrier
	ds_read_b32 v12, v11 offset:4
	s_waitcnt lgkmcnt(0)
	s_barrier
	ds_read_b64 v[16:17], v11 offset:4224
	v_cndmask_b32_e64 v10, v94, v93, s[16:17]
	v_cmp_ne_u32_e32 vcc, 0, v0
	v_cndmask_b32_e32 v10, 0, v10, vcc
	v_add_u32_e32 v96, v12, v10
	s_load_dwordx2 s[4:5], s[4:5], 0x28
	s_branch .LBB136_128
.LBB136_118:
                                        ; implicit-def: $vgpr17
                                        ; implicit-def: $vgpr96
	s_load_dwordx2 s[4:5], s[4:5], 0x28
	s_cbranch_execz .LBB136_128
; %bb.119:
	v_mov_b32_dpp v10, v92 row_shr:1 row_mask:0xf bank_mask:0xf
	v_cndmask_b32_e64 v10, v10, 0, s[12:13]
	v_add_u32_e32 v10, v10, v92
	s_waitcnt vmcnt(0)
	s_nop 0
	v_mov_b32_dpp v11, v10 row_shr:2 row_mask:0xf bank_mask:0xf
	v_cndmask_b32_e64 v11, 0, v11, s[10:11]
	v_add_u32_e32 v10, v10, v11
	s_nop 1
	v_mov_b32_dpp v11, v10 row_shr:4 row_mask:0xf bank_mask:0xf
	v_cndmask_b32_e64 v11, 0, v11, s[8:9]
	v_add_u32_e32 v10, v10, v11
	;; [unrolled: 4-line block ×3, first 2 shown]
	s_nop 1
	v_mov_b32_dpp v11, v10 row_bcast:15 row_mask:0xf bank_mask:0xf
	v_cndmask_b32_e64 v11, v11, 0, s[2:3]
	v_add_u32_e32 v10, v10, v11
	s_nop 1
	v_mov_b32_dpp v11, v10 row_bcast:31 row_mask:0xf bank_mask:0xf
	v_cndmask_b32_e64 v11, 0, v11, s[14:15]
	v_add_u32_e32 v10, v10, v11
	s_and_saveexec_b64 s[2:3], s[0:1]
	s_cbranch_execz .LBB136_121
; %bb.120:
	v_lshlrev_b32_e32 v11, 2, v91
	ds_write_b32 v11, v10
.LBB136_121:
	s_or_b64 exec, exec, s[2:3]
	v_cmp_gt_u32_e32 vcc, 2, v0
	s_waitcnt lgkmcnt(0)
	s_barrier
	s_and_saveexec_b64 s[0:1], vcc
	s_cbranch_execz .LBB136_123
; %bb.122:
	v_lshlrev_b32_e32 v11, 2, v0
	ds_read_b32 v12, v11
	v_bfe_i32 v13, v86, 0, 1
	s_waitcnt lgkmcnt(0)
	v_mov_b32_dpp v14, v12 row_shr:1 row_mask:0xf bank_mask:0xf
	v_and_b32_e32 v13, v13, v14
	v_add_u32_e32 v12, v13, v12
	ds_write_b32 v11, v12
.LBB136_123:
	s_or_b64 exec, exec, s[0:1]
	v_cmp_lt_u32_e32 vcc, 63, v0
	v_mov_b32_e32 v12, 0
	v_mov_b32_e32 v11, 0
	s_waitcnt lgkmcnt(0)
	s_barrier
	s_and_saveexec_b64 s[0:1], vcc
	s_cbranch_execz .LBB136_125
; %bb.124:
	v_lshl_add_u32 v11, v91, 2, -4
	ds_read_b32 v11, v11
.LBB136_125:
	s_or_b64 exec, exec, s[0:1]
	v_add_u32_e32 v13, -1, v86
	v_and_b32_e32 v14, 64, v86
	v_cmp_lt_i32_e32 vcc, v13, v14
	v_cndmask_b32_e32 v13, v13, v86, vcc
	s_waitcnt lgkmcnt(0)
	v_add_u32_e32 v10, v11, v10
	v_lshlrev_b32_e32 v13, 2, v13
	ds_bpermute_b32 v10, v13, v10
	ds_read_b32 v16, v12 offset:4
	v_cmp_eq_u32_e32 vcc, 0, v0
	s_and_saveexec_b64 s[0:1], vcc
	s_cbranch_execz .LBB136_127
; %bb.126:
	v_mov_b32_e32 v12, 0
	v_mov_b32_e32 v17, 2
	s_waitcnt lgkmcnt(0)
	global_store_dwordx2 v12, v[16:17], s[28:29] offset:512
.LBB136_127:
	s_or_b64 exec, exec, s[0:1]
	v_cmp_eq_u32_e64 s[0:1], 0, v86
	s_waitcnt lgkmcnt(1)
	v_cndmask_b32_e64 v10, v10, v11, s[0:1]
	v_mov_b32_e32 v17, 0
	v_cndmask_b32_e64 v96, v10, 0, vcc
	s_waitcnt lgkmcnt(0)
	s_barrier
.LBB136_128:
	v_add_u32_e32 v99, v96, v89
	v_add_u32_e32 v98, v99, v90
	;; [unrolled: 1-line block ×29, first 2 shown]
	s_movk_i32 s0, 0x81
	s_waitcnt vmcnt(0)
	v_add_u32_e32 v11, v12, v115
	s_waitcnt lgkmcnt(0)
	v_cmp_gt_u32_e32 vcc, s0, v16
	v_add_u32_sdwa v10, v11, v36 dst_sel:DWORD dst_unused:UNUSED_PAD src0_sel:DWORD src1_sel:BYTE_0
	s_mov_b64 s[0:1], -1
	s_cbranch_vccnz .LBB136_132
; %bb.129:
	s_and_b64 vcc, exec, s[0:1]
	s_cbranch_vccnz .LBB136_229
.LBB136_130:
	v_cmp_eq_u32_e32 vcc, 0, v0
	s_and_b64 s[0:1], vcc, s[24:25]
	s_and_saveexec_b64 s[2:3], s[0:1]
	s_cbranch_execnz .LBB136_308
.LBB136_131:
	s_endpgm
.LBB136_132:
	v_add_u32_e32 v100, v17, v16
	v_cmp_lt_u32_e32 vcc, v96, v100
	s_or_b64 s[2:3], s[26:27], vcc
	s_and_saveexec_b64 s[0:1], s[2:3]
	s_cbranch_execz .LBB136_135
; %bb.133:
	v_and_b32_e32 v101, 1, v75
	v_cmp_eq_u32_e32 vcc, 1, v101
	s_and_b64 exec, exec, vcc
	s_cbranch_execz .LBB136_135
; %bb.134:
	s_add_u32 s2, s4, s22
	s_addc_u32 s3, s5, s23
	global_store_byte v96, v8, s[2:3]
.LBB136_135:
	s_or_b64 exec, exec, s[0:1]
	v_cmp_lt_u32_e32 vcc, v99, v100
	s_or_b64 s[2:3], s[26:27], vcc
	s_and_saveexec_b64 s[0:1], s[2:3]
	s_cbranch_execz .LBB136_138
; %bb.136:
	v_and_b32_e32 v101, 1, v74
	v_cmp_eq_u32_e32 vcc, 1, v101
	s_and_b64 exec, exec, vcc
	s_cbranch_execz .LBB136_138
; %bb.137:
	s_add_u32 s2, s4, s22
	s_addc_u32 s3, s5, s23
	global_store_byte v99, v50, s[2:3]
.LBB136_138:
	s_or_b64 exec, exec, s[0:1]
	v_cmp_lt_u32_e32 vcc, v98, v100
	s_or_b64 s[2:3], s[26:27], vcc
	s_and_saveexec_b64 s[0:1], s[2:3]
	s_cbranch_execz .LBB136_141
; %bb.139:
	v_and_b32_e32 v101, 1, v73
	v_cmp_eq_u32_e32 vcc, 1, v101
	s_and_b64 exec, exec, vcc
	s_cbranch_execz .LBB136_141
; %bb.140:
	s_add_u32 s2, s4, s22
	s_addc_u32 s3, s5, s23
	global_store_byte v98, v48, s[2:3]
.LBB136_141:
	s_or_b64 exec, exec, s[0:1]
	v_cmp_lt_u32_e32 vcc, v97, v100
	s_or_b64 s[2:3], s[26:27], vcc
	s_and_saveexec_b64 s[0:1], s[2:3]
	s_cbranch_execz .LBB136_144
; %bb.142:
	v_and_b32_e32 v101, 1, v72
	v_cmp_eq_u32_e32 vcc, 1, v101
	s_and_b64 exec, exec, vcc
	s_cbranch_execz .LBB136_144
; %bb.143:
	s_add_u32 s2, s4, s22
	s_addc_u32 s3, s5, s23
	global_store_byte v97, v47, s[2:3]
.LBB136_144:
	s_or_b64 exec, exec, s[0:1]
	v_cmp_lt_u32_e32 vcc, v95, v100
	s_or_b64 s[2:3], s[26:27], vcc
	s_and_saveexec_b64 s[0:1], s[2:3]
	s_cbranch_execz .LBB136_147
; %bb.145:
	v_and_b32_e32 v101, 1, v71
	v_cmp_eq_u32_e32 vcc, 1, v101
	s_and_b64 exec, exec, vcc
	s_cbranch_execz .LBB136_147
; %bb.146:
	s_add_u32 s2, s4, s22
	s_addc_u32 s3, s5, s23
	global_store_byte v95, v9, s[2:3]
.LBB136_147:
	s_or_b64 exec, exec, s[0:1]
	v_cmp_lt_u32_e32 vcc, v94, v100
	s_or_b64 s[2:3], s[26:27], vcc
	s_and_saveexec_b64 s[0:1], s[2:3]
	s_cbranch_execz .LBB136_150
; %bb.148:
	v_and_b32_e32 v101, 1, v70
	v_cmp_eq_u32_e32 vcc, 1, v101
	s_and_b64 exec, exec, vcc
	s_cbranch_execz .LBB136_150
; %bb.149:
	s_add_u32 s2, s4, s22
	s_addc_u32 s3, s5, s23
	global_store_byte v94, v45, s[2:3]
.LBB136_150:
	s_or_b64 exec, exec, s[0:1]
	v_cmp_lt_u32_e32 vcc, v93, v100
	s_or_b64 s[2:3], s[26:27], vcc
	s_and_saveexec_b64 s[0:1], s[2:3]
	s_cbranch_execz .LBB136_153
; %bb.151:
	v_and_b32_e32 v101, 1, v69
	v_cmp_eq_u32_e32 vcc, 1, v101
	s_and_b64 exec, exec, vcc
	s_cbranch_execz .LBB136_153
; %bb.152:
	s_add_u32 s2, s4, s22
	s_addc_u32 s3, s5, s23
	global_store_byte v93, v43, s[2:3]
.LBB136_153:
	s_or_b64 exec, exec, s[0:1]
	v_cmp_lt_u32_e32 vcc, v92, v100
	s_or_b64 s[2:3], s[26:27], vcc
	s_and_saveexec_b64 s[0:1], s[2:3]
	s_cbranch_execz .LBB136_156
; %bb.154:
	v_and_b32_e32 v101, 1, v68
	v_cmp_eq_u32_e32 vcc, 1, v101
	s_and_b64 exec, exec, vcc
	s_cbranch_execz .LBB136_156
; %bb.155:
	s_add_u32 s2, s4, s22
	s_addc_u32 s3, s5, s23
	global_store_byte v92, v42, s[2:3]
.LBB136_156:
	s_or_b64 exec, exec, s[0:1]
	v_cmp_lt_u32_e32 vcc, v91, v100
	s_or_b64 s[2:3], s[26:27], vcc
	s_and_saveexec_b64 s[0:1], s[2:3]
	s_cbranch_execz .LBB136_159
; %bb.157:
	v_and_b32_e32 v101, 1, v67
	v_cmp_eq_u32_e32 vcc, 1, v101
	s_and_b64 exec, exec, vcc
	s_cbranch_execz .LBB136_159
; %bb.158:
	s_add_u32 s2, s4, s22
	s_addc_u32 s3, s5, s23
	global_store_byte v91, v6, s[2:3]
.LBB136_159:
	s_or_b64 exec, exec, s[0:1]
	v_cmp_lt_u32_e32 vcc, v90, v100
	s_or_b64 s[2:3], s[26:27], vcc
	s_and_saveexec_b64 s[0:1], s[2:3]
	s_cbranch_execz .LBB136_162
; %bb.160:
	v_and_b32_e32 v101, 1, v66
	v_cmp_eq_u32_e32 vcc, 1, v101
	s_and_b64 exec, exec, vcc
	s_cbranch_execz .LBB136_162
; %bb.161:
	s_add_u32 s2, s4, s22
	s_addc_u32 s3, s5, s23
	global_store_byte v90, v40, s[2:3]
.LBB136_162:
	s_or_b64 exec, exec, s[0:1]
	v_cmp_lt_u32_e32 vcc, v89, v100
	s_or_b64 s[2:3], s[26:27], vcc
	s_and_saveexec_b64 s[0:1], s[2:3]
	s_cbranch_execz .LBB136_165
; %bb.163:
	v_and_b32_e32 v101, 1, v65
	v_cmp_eq_u32_e32 vcc, 1, v101
	s_and_b64 exec, exec, vcc
	s_cbranch_execz .LBB136_165
; %bb.164:
	s_add_u32 s2, s4, s22
	s_addc_u32 s3, s5, s23
	global_store_byte v89, v38, s[2:3]
.LBB136_165:
	s_or_b64 exec, exec, s[0:1]
	v_cmp_lt_u32_e32 vcc, v88, v100
	s_or_b64 s[2:3], s[26:27], vcc
	s_and_saveexec_b64 s[0:1], s[2:3]
	s_cbranch_execz .LBB136_168
; %bb.166:
	v_and_b32_e32 v101, 1, v64
	v_cmp_eq_u32_e32 vcc, 1, v101
	s_and_b64 exec, exec, vcc
	s_cbranch_execz .LBB136_168
; %bb.167:
	s_add_u32 s2, s4, s22
	s_addc_u32 s3, s5, s23
	global_store_byte v88, v37, s[2:3]
.LBB136_168:
	s_or_b64 exec, exec, s[0:1]
	v_cmp_lt_u32_e32 vcc, v87, v100
	s_or_b64 s[2:3], s[26:27], vcc
	s_and_saveexec_b64 s[0:1], s[2:3]
	s_cbranch_execz .LBB136_171
; %bb.169:
	v_and_b32_e32 v101, 1, v63
	v_cmp_eq_u32_e32 vcc, 1, v101
	s_and_b64 exec, exec, vcc
	s_cbranch_execz .LBB136_171
; %bb.170:
	s_add_u32 s2, s4, s22
	s_addc_u32 s3, s5, s23
	global_store_byte v87, v7, s[2:3]
.LBB136_171:
	s_or_b64 exec, exec, s[0:1]
	v_cmp_lt_u32_e32 vcc, v86, v100
	s_or_b64 s[2:3], s[26:27], vcc
	s_and_saveexec_b64 s[0:1], s[2:3]
	s_cbranch_execz .LBB136_174
; %bb.172:
	v_and_b32_e32 v101, 1, v62
	v_cmp_eq_u32_e32 vcc, 1, v101
	s_and_b64 exec, exec, vcc
	s_cbranch_execz .LBB136_174
; %bb.173:
	s_add_u32 s2, s4, s22
	s_addc_u32 s3, s5, s23
	global_store_byte v86, v35, s[2:3]
.LBB136_174:
	s_or_b64 exec, exec, s[0:1]
	v_cmp_lt_u32_e32 vcc, v85, v100
	s_or_b64 s[2:3], s[26:27], vcc
	s_and_saveexec_b64 s[0:1], s[2:3]
	s_cbranch_execz .LBB136_177
; %bb.175:
	v_and_b32_e32 v101, 1, v61
	v_cmp_eq_u32_e32 vcc, 1, v101
	s_and_b64 exec, exec, vcc
	s_cbranch_execz .LBB136_177
; %bb.176:
	s_add_u32 s2, s4, s22
	s_addc_u32 s3, s5, s23
	global_store_byte v85, v33, s[2:3]
.LBB136_177:
	s_or_b64 exec, exec, s[0:1]
	v_cmp_lt_u32_e32 vcc, v84, v100
	s_or_b64 s[2:3], s[26:27], vcc
	s_and_saveexec_b64 s[0:1], s[2:3]
	s_cbranch_execz .LBB136_180
; %bb.178:
	v_and_b32_e32 v101, 1, v60
	v_cmp_eq_u32_e32 vcc, 1, v101
	s_and_b64 exec, exec, vcc
	s_cbranch_execz .LBB136_180
; %bb.179:
	s_add_u32 s2, s4, s22
	s_addc_u32 s3, s5, s23
	global_store_byte v84, v32, s[2:3]
.LBB136_180:
	s_or_b64 exec, exec, s[0:1]
	v_cmp_lt_u32_e32 vcc, v83, v100
	s_or_b64 s[2:3], s[26:27], vcc
	s_and_saveexec_b64 s[0:1], s[2:3]
	s_cbranch_execz .LBB136_183
; %bb.181:
	v_and_b32_e32 v101, 1, v59
	v_cmp_eq_u32_e32 vcc, 1, v101
	s_and_b64 exec, exec, vcc
	s_cbranch_execz .LBB136_183
; %bb.182:
	s_add_u32 s2, s4, s22
	s_addc_u32 s3, s5, s23
	global_store_byte v83, v4, s[2:3]
.LBB136_183:
	s_or_b64 exec, exec, s[0:1]
	v_cmp_lt_u32_e32 vcc, v82, v100
	s_or_b64 s[2:3], s[26:27], vcc
	s_and_saveexec_b64 s[0:1], s[2:3]
	s_cbranch_execz .LBB136_186
; %bb.184:
	v_and_b32_e32 v101, 1, v58
	v_cmp_eq_u32_e32 vcc, 1, v101
	s_and_b64 exec, exec, vcc
	s_cbranch_execz .LBB136_186
; %bb.185:
	s_add_u32 s2, s4, s22
	s_addc_u32 s3, s5, s23
	global_store_byte v82, v31, s[2:3]
.LBB136_186:
	s_or_b64 exec, exec, s[0:1]
	v_cmp_lt_u32_e32 vcc, v81, v100
	s_or_b64 s[2:3], s[26:27], vcc
	s_and_saveexec_b64 s[0:1], s[2:3]
	s_cbranch_execz .LBB136_189
; %bb.187:
	v_and_b32_e32 v101, 1, v57
	v_cmp_eq_u32_e32 vcc, 1, v101
	s_and_b64 exec, exec, vcc
	s_cbranch_execz .LBB136_189
; %bb.188:
	s_add_u32 s2, s4, s22
	s_addc_u32 s3, s5, s23
	global_store_byte v81, v30, s[2:3]
.LBB136_189:
	s_or_b64 exec, exec, s[0:1]
	v_cmp_lt_u32_e32 vcc, v80, v100
	s_or_b64 s[2:3], s[26:27], vcc
	s_and_saveexec_b64 s[0:1], s[2:3]
	s_cbranch_execz .LBB136_192
; %bb.190:
	v_and_b32_e32 v101, 1, v56
	v_cmp_eq_u32_e32 vcc, 1, v101
	s_and_b64 exec, exec, vcc
	s_cbranch_execz .LBB136_192
; %bb.191:
	s_add_u32 s2, s4, s22
	s_addc_u32 s3, s5, s23
	global_store_byte v80, v29, s[2:3]
.LBB136_192:
	s_or_b64 exec, exec, s[0:1]
	v_cmp_lt_u32_e32 vcc, v79, v100
	s_or_b64 s[2:3], s[26:27], vcc
	s_and_saveexec_b64 s[0:1], s[2:3]
	s_cbranch_execz .LBB136_195
; %bb.193:
	v_and_b32_e32 v101, 1, v55
	v_cmp_eq_u32_e32 vcc, 1, v101
	s_and_b64 exec, exec, vcc
	s_cbranch_execz .LBB136_195
; %bb.194:
	s_add_u32 s2, s4, s22
	s_addc_u32 s3, s5, s23
	global_store_byte v79, v5, s[2:3]
.LBB136_195:
	s_or_b64 exec, exec, s[0:1]
	v_cmp_lt_u32_e32 vcc, v78, v100
	s_or_b64 s[2:3], s[26:27], vcc
	s_and_saveexec_b64 s[0:1], s[2:3]
	s_cbranch_execz .LBB136_198
; %bb.196:
	v_and_b32_e32 v101, 1, v54
	v_cmp_eq_u32_e32 vcc, 1, v101
	s_and_b64 exec, exec, vcc
	s_cbranch_execz .LBB136_198
; %bb.197:
	s_add_u32 s2, s4, s22
	s_addc_u32 s3, s5, s23
	global_store_byte v78, v28, s[2:3]
.LBB136_198:
	s_or_b64 exec, exec, s[0:1]
	v_cmp_lt_u32_e32 vcc, v77, v100
	s_or_b64 s[2:3], s[26:27], vcc
	s_and_saveexec_b64 s[0:1], s[2:3]
	s_cbranch_execz .LBB136_201
; %bb.199:
	v_and_b32_e32 v101, 1, v53
	v_cmp_eq_u32_e32 vcc, 1, v101
	s_and_b64 exec, exec, vcc
	s_cbranch_execz .LBB136_201
; %bb.200:
	s_add_u32 s2, s4, s22
	s_addc_u32 s3, s5, s23
	global_store_byte v77, v27, s[2:3]
.LBB136_201:
	s_or_b64 exec, exec, s[0:1]
	v_cmp_lt_u32_e32 vcc, v76, v100
	s_or_b64 s[2:3], s[26:27], vcc
	s_and_saveexec_b64 s[0:1], s[2:3]
	s_cbranch_execz .LBB136_204
; %bb.202:
	v_and_b32_e32 v101, 1, v52
	v_cmp_eq_u32_e32 vcc, 1, v101
	s_and_b64 exec, exec, vcc
	s_cbranch_execz .LBB136_204
; %bb.203:
	s_add_u32 s2, s4, s22
	s_addc_u32 s3, s5, s23
	global_store_byte v76, v26, s[2:3]
.LBB136_204:
	s_or_b64 exec, exec, s[0:1]
	v_cmp_lt_u32_e32 vcc, v19, v100
	s_or_b64 s[2:3], s[26:27], vcc
	s_and_saveexec_b64 s[0:1], s[2:3]
	s_cbranch_execz .LBB136_207
; %bb.205:
	v_and_b32_e32 v101, 1, v51
	v_cmp_eq_u32_e32 vcc, 1, v101
	s_and_b64 exec, exec, vcc
	s_cbranch_execz .LBB136_207
; %bb.206:
	s_add_u32 s2, s4, s22
	s_addc_u32 s3, s5, s23
	global_store_byte v19, v2, s[2:3]
.LBB136_207:
	s_or_b64 exec, exec, s[0:1]
	v_cmp_lt_u32_e32 vcc, v18, v100
	s_or_b64 s[2:3], s[26:27], vcc
	s_and_saveexec_b64 s[0:1], s[2:3]
	s_cbranch_execz .LBB136_210
; %bb.208:
	v_and_b32_e32 v101, 1, v49
	v_cmp_eq_u32_e32 vcc, 1, v101
	s_and_b64 exec, exec, vcc
	s_cbranch_execz .LBB136_210
; %bb.209:
	s_add_u32 s2, s4, s22
	s_addc_u32 s3, s5, s23
	global_store_byte v18, v25, s[2:3]
.LBB136_210:
	s_or_b64 exec, exec, s[0:1]
	v_cmp_lt_u32_e32 vcc, v15, v100
	s_or_b64 s[2:3], s[26:27], vcc
	s_and_saveexec_b64 s[0:1], s[2:3]
	s_cbranch_execz .LBB136_213
; %bb.211:
	v_and_b32_e32 v101, 1, v46
	v_cmp_eq_u32_e32 vcc, 1, v101
	s_and_b64 exec, exec, vcc
	s_cbranch_execz .LBB136_213
; %bb.212:
	s_add_u32 s2, s4, s22
	s_addc_u32 s3, s5, s23
	global_store_byte v15, v24, s[2:3]
.LBB136_213:
	s_or_b64 exec, exec, s[0:1]
	v_cmp_lt_u32_e32 vcc, v14, v100
	s_or_b64 s[2:3], s[26:27], vcc
	s_and_saveexec_b64 s[0:1], s[2:3]
	s_cbranch_execz .LBB136_216
; %bb.214:
	v_and_b32_e32 v101, 1, v44
	v_cmp_eq_u32_e32 vcc, 1, v101
	s_and_b64 exec, exec, vcc
	s_cbranch_execz .LBB136_216
; %bb.215:
	s_add_u32 s2, s4, s22
	s_addc_u32 s3, s5, s23
	global_store_byte v14, v23, s[2:3]
.LBB136_216:
	s_or_b64 exec, exec, s[0:1]
	v_cmp_lt_u32_e32 vcc, v13, v100
	s_or_b64 s[2:3], s[26:27], vcc
	s_and_saveexec_b64 s[0:1], s[2:3]
	s_cbranch_execz .LBB136_219
; %bb.217:
	v_and_b32_e32 v101, 1, v41
	v_cmp_eq_u32_e32 vcc, 1, v101
	s_and_b64 exec, exec, vcc
	s_cbranch_execz .LBB136_219
; %bb.218:
	s_add_u32 s2, s4, s22
	s_addc_u32 s3, s5, s23
	global_store_byte v13, v3, s[2:3]
.LBB136_219:
	s_or_b64 exec, exec, s[0:1]
	v_cmp_lt_u32_e32 vcc, v12, v100
	s_or_b64 s[2:3], s[26:27], vcc
	s_and_saveexec_b64 s[0:1], s[2:3]
	s_cbranch_execz .LBB136_222
; %bb.220:
	v_and_b32_e32 v101, 1, v39
	v_cmp_eq_u32_e32 vcc, 1, v101
	s_and_b64 exec, exec, vcc
	s_cbranch_execz .LBB136_222
; %bb.221:
	s_add_u32 s2, s4, s22
	s_addc_u32 s3, s5, s23
	global_store_byte v12, v22, s[2:3]
.LBB136_222:
	s_or_b64 exec, exec, s[0:1]
	v_cmp_lt_u32_e32 vcc, v11, v100
	s_or_b64 s[2:3], s[26:27], vcc
	s_and_saveexec_b64 s[0:1], s[2:3]
	s_cbranch_execz .LBB136_225
; %bb.223:
	v_and_b32_e32 v101, 1, v36
	v_cmp_eq_u32_e32 vcc, 1, v101
	s_and_b64 exec, exec, vcc
	s_cbranch_execz .LBB136_225
; %bb.224:
	s_add_u32 s2, s4, s22
	s_addc_u32 s3, s5, s23
	global_store_byte v11, v21, s[2:3]
.LBB136_225:
	s_or_b64 exec, exec, s[0:1]
	v_cmp_lt_u32_e32 vcc, v10, v100
	s_or_b64 s[2:3], s[26:27], vcc
	s_and_saveexec_b64 s[0:1], s[2:3]
	s_cbranch_execz .LBB136_228
; %bb.226:
	v_and_b32_e32 v100, 1, v34
	v_cmp_eq_u32_e32 vcc, 1, v100
	s_and_b64 exec, exec, vcc
	s_cbranch_execz .LBB136_228
; %bb.227:
	s_add_u32 s2, s4, s22
	s_addc_u32 s3, s5, s23
	global_store_byte v10, v20, s[2:3]
.LBB136_228:
	s_or_b64 exec, exec, s[0:1]
	s_branch .LBB136_130
.LBB136_229:
	v_and_b32_e32 v75, 1, v75
	v_cmp_eq_u32_e32 vcc, 1, v75
	s_and_saveexec_b64 s[0:1], vcc
	s_cbranch_execz .LBB136_231
; %bb.230:
	v_sub_u32_e32 v75, v96, v17
	ds_write_b8 v75, v8
.LBB136_231:
	s_or_b64 exec, exec, s[0:1]
	v_and_b32_e32 v8, 1, v74
	v_cmp_eq_u32_e32 vcc, 1, v8
	s_and_saveexec_b64 s[0:1], vcc
	s_cbranch_execz .LBB136_233
; %bb.232:
	v_sub_u32_e32 v8, v99, v17
	ds_write_b8 v8, v50
.LBB136_233:
	s_or_b64 exec, exec, s[0:1]
	v_and_b32_e32 v8, 1, v73
	v_cmp_eq_u32_e32 vcc, 1, v8
	s_and_saveexec_b64 s[0:1], vcc
	s_cbranch_execz .LBB136_235
; %bb.234:
	v_sub_u32_e32 v8, v98, v17
	ds_write_b8 v8, v48
.LBB136_235:
	s_or_b64 exec, exec, s[0:1]
	v_and_b32_e32 v8, 1, v72
	v_cmp_eq_u32_e32 vcc, 1, v8
	s_and_saveexec_b64 s[0:1], vcc
	s_cbranch_execz .LBB136_237
; %bb.236:
	v_sub_u32_e32 v8, v97, v17
	ds_write_b8 v8, v47
.LBB136_237:
	s_or_b64 exec, exec, s[0:1]
	v_and_b32_e32 v8, 1, v71
	v_cmp_eq_u32_e32 vcc, 1, v8
	s_and_saveexec_b64 s[0:1], vcc
	s_cbranch_execz .LBB136_239
; %bb.238:
	v_sub_u32_e32 v8, v95, v17
	ds_write_b8 v8, v9
.LBB136_239:
	s_or_b64 exec, exec, s[0:1]
	v_and_b32_e32 v8, 1, v70
	v_cmp_eq_u32_e32 vcc, 1, v8
	s_and_saveexec_b64 s[0:1], vcc
	s_cbranch_execz .LBB136_241
; %bb.240:
	v_sub_u32_e32 v8, v94, v17
	ds_write_b8 v8, v45
.LBB136_241:
	s_or_b64 exec, exec, s[0:1]
	v_and_b32_e32 v8, 1, v69
	v_cmp_eq_u32_e32 vcc, 1, v8
	s_and_saveexec_b64 s[0:1], vcc
	s_cbranch_execz .LBB136_243
; %bb.242:
	v_sub_u32_e32 v8, v93, v17
	ds_write_b8 v8, v43
.LBB136_243:
	s_or_b64 exec, exec, s[0:1]
	v_and_b32_e32 v8, 1, v68
	v_cmp_eq_u32_e32 vcc, 1, v8
	s_and_saveexec_b64 s[0:1], vcc
	s_cbranch_execz .LBB136_245
; %bb.244:
	v_sub_u32_e32 v8, v92, v17
	ds_write_b8 v8, v42
.LBB136_245:
	s_or_b64 exec, exec, s[0:1]
	v_and_b32_e32 v8, 1, v67
	v_cmp_eq_u32_e32 vcc, 1, v8
	s_and_saveexec_b64 s[0:1], vcc
	s_cbranch_execz .LBB136_247
; %bb.246:
	v_sub_u32_e32 v8, v91, v17
	ds_write_b8 v8, v6
.LBB136_247:
	s_or_b64 exec, exec, s[0:1]
	v_and_b32_e32 v6, 1, v66
	v_cmp_eq_u32_e32 vcc, 1, v6
	s_and_saveexec_b64 s[0:1], vcc
	s_cbranch_execz .LBB136_249
; %bb.248:
	v_sub_u32_e32 v6, v90, v17
	ds_write_b8 v6, v40
.LBB136_249:
	s_or_b64 exec, exec, s[0:1]
	v_and_b32_e32 v6, 1, v65
	v_cmp_eq_u32_e32 vcc, 1, v6
	s_and_saveexec_b64 s[0:1], vcc
	s_cbranch_execz .LBB136_251
; %bb.250:
	v_sub_u32_e32 v6, v89, v17
	ds_write_b8 v6, v38
.LBB136_251:
	s_or_b64 exec, exec, s[0:1]
	v_and_b32_e32 v6, 1, v64
	v_cmp_eq_u32_e32 vcc, 1, v6
	s_and_saveexec_b64 s[0:1], vcc
	s_cbranch_execz .LBB136_253
; %bb.252:
	v_sub_u32_e32 v6, v88, v17
	ds_write_b8 v6, v37
.LBB136_253:
	s_or_b64 exec, exec, s[0:1]
	v_and_b32_e32 v6, 1, v63
	v_cmp_eq_u32_e32 vcc, 1, v6
	s_and_saveexec_b64 s[0:1], vcc
	s_cbranch_execz .LBB136_255
; %bb.254:
	v_sub_u32_e32 v6, v87, v17
	ds_write_b8 v6, v7
.LBB136_255:
	s_or_b64 exec, exec, s[0:1]
	v_and_b32_e32 v6, 1, v62
	v_cmp_eq_u32_e32 vcc, 1, v6
	s_and_saveexec_b64 s[0:1], vcc
	s_cbranch_execz .LBB136_257
; %bb.256:
	v_sub_u32_e32 v6, v86, v17
	ds_write_b8 v6, v35
.LBB136_257:
	s_or_b64 exec, exec, s[0:1]
	v_and_b32_e32 v6, 1, v61
	v_cmp_eq_u32_e32 vcc, 1, v6
	s_and_saveexec_b64 s[0:1], vcc
	s_cbranch_execz .LBB136_259
; %bb.258:
	v_sub_u32_e32 v6, v85, v17
	ds_write_b8 v6, v33
.LBB136_259:
	s_or_b64 exec, exec, s[0:1]
	v_and_b32_e32 v6, 1, v60
	v_cmp_eq_u32_e32 vcc, 1, v6
	s_and_saveexec_b64 s[0:1], vcc
	s_cbranch_execz .LBB136_261
; %bb.260:
	v_sub_u32_e32 v6, v84, v17
	ds_write_b8 v6, v32
.LBB136_261:
	s_or_b64 exec, exec, s[0:1]
	v_and_b32_e32 v6, 1, v59
	v_cmp_eq_u32_e32 vcc, 1, v6
	s_and_saveexec_b64 s[0:1], vcc
	s_cbranch_execz .LBB136_263
; %bb.262:
	v_sub_u32_e32 v6, v83, v17
	ds_write_b8 v6, v4
.LBB136_263:
	s_or_b64 exec, exec, s[0:1]
	v_and_b32_e32 v4, 1, v58
	v_cmp_eq_u32_e32 vcc, 1, v4
	s_and_saveexec_b64 s[0:1], vcc
	s_cbranch_execz .LBB136_265
; %bb.264:
	v_sub_u32_e32 v4, v82, v17
	ds_write_b8 v4, v31
.LBB136_265:
	s_or_b64 exec, exec, s[0:1]
	v_and_b32_e32 v4, 1, v57
	v_cmp_eq_u32_e32 vcc, 1, v4
	s_and_saveexec_b64 s[0:1], vcc
	s_cbranch_execz .LBB136_267
; %bb.266:
	v_sub_u32_e32 v4, v81, v17
	ds_write_b8 v4, v30
.LBB136_267:
	s_or_b64 exec, exec, s[0:1]
	v_and_b32_e32 v4, 1, v56
	v_cmp_eq_u32_e32 vcc, 1, v4
	s_and_saveexec_b64 s[0:1], vcc
	s_cbranch_execz .LBB136_269
; %bb.268:
	v_sub_u32_e32 v4, v80, v17
	ds_write_b8 v4, v29
.LBB136_269:
	s_or_b64 exec, exec, s[0:1]
	v_and_b32_e32 v4, 1, v55
	v_cmp_eq_u32_e32 vcc, 1, v4
	s_and_saveexec_b64 s[0:1], vcc
	s_cbranch_execz .LBB136_271
; %bb.270:
	v_sub_u32_e32 v4, v79, v17
	ds_write_b8 v4, v5
.LBB136_271:
	s_or_b64 exec, exec, s[0:1]
	v_and_b32_e32 v4, 1, v54
	v_cmp_eq_u32_e32 vcc, 1, v4
	s_and_saveexec_b64 s[0:1], vcc
	s_cbranch_execz .LBB136_273
; %bb.272:
	v_sub_u32_e32 v4, v78, v17
	ds_write_b8 v4, v28
.LBB136_273:
	s_or_b64 exec, exec, s[0:1]
	v_and_b32_e32 v4, 1, v53
	v_cmp_eq_u32_e32 vcc, 1, v4
	s_and_saveexec_b64 s[0:1], vcc
	s_cbranch_execz .LBB136_275
; %bb.274:
	v_sub_u32_e32 v4, v77, v17
	ds_write_b8 v4, v27
.LBB136_275:
	s_or_b64 exec, exec, s[0:1]
	v_and_b32_e32 v4, 1, v52
	v_cmp_eq_u32_e32 vcc, 1, v4
	s_and_saveexec_b64 s[0:1], vcc
	s_cbranch_execz .LBB136_277
; %bb.276:
	v_sub_u32_e32 v4, v76, v17
	ds_write_b8 v4, v26
.LBB136_277:
	s_or_b64 exec, exec, s[0:1]
	v_and_b32_e32 v4, 1, v51
	v_cmp_eq_u32_e32 vcc, 1, v4
	s_and_saveexec_b64 s[0:1], vcc
	s_cbranch_execz .LBB136_279
; %bb.278:
	v_sub_u32_e32 v4, v19, v17
	ds_write_b8 v4, v2
.LBB136_279:
	s_or_b64 exec, exec, s[0:1]
	v_and_b32_e32 v2, 1, v49
	v_cmp_eq_u32_e32 vcc, 1, v2
	s_and_saveexec_b64 s[0:1], vcc
	s_cbranch_execz .LBB136_281
; %bb.280:
	v_sub_u32_e32 v2, v18, v17
	ds_write_b8 v2, v25
.LBB136_281:
	s_or_b64 exec, exec, s[0:1]
	v_and_b32_e32 v2, 1, v46
	v_cmp_eq_u32_e32 vcc, 1, v2
	s_and_saveexec_b64 s[0:1], vcc
	s_cbranch_execz .LBB136_283
; %bb.282:
	v_sub_u32_e32 v2, v15, v17
	ds_write_b8 v2, v24
.LBB136_283:
	s_or_b64 exec, exec, s[0:1]
	v_and_b32_e32 v2, 1, v44
	v_cmp_eq_u32_e32 vcc, 1, v2
	s_and_saveexec_b64 s[0:1], vcc
	s_cbranch_execz .LBB136_285
; %bb.284:
	v_sub_u32_e32 v2, v14, v17
	ds_write_b8 v2, v23
.LBB136_285:
	s_or_b64 exec, exec, s[0:1]
	v_and_b32_e32 v2, 1, v41
	v_cmp_eq_u32_e32 vcc, 1, v2
	s_and_saveexec_b64 s[0:1], vcc
	s_cbranch_execz .LBB136_287
; %bb.286:
	v_sub_u32_e32 v2, v13, v17
	ds_write_b8 v2, v3
.LBB136_287:
	s_or_b64 exec, exec, s[0:1]
	v_and_b32_e32 v2, 1, v39
	v_cmp_eq_u32_e32 vcc, 1, v2
	s_and_saveexec_b64 s[0:1], vcc
	s_cbranch_execz .LBB136_289
; %bb.288:
	v_sub_u32_e32 v2, v12, v17
	ds_write_b8 v2, v22
.LBB136_289:
	s_or_b64 exec, exec, s[0:1]
	v_and_b32_e32 v2, 1, v36
	v_cmp_eq_u32_e32 vcc, 1, v2
	s_and_saveexec_b64 s[0:1], vcc
	s_cbranch_execz .LBB136_291
; %bb.290:
	v_sub_u32_e32 v2, v11, v17
	ds_write_b8 v2, v21
.LBB136_291:
	s_or_b64 exec, exec, s[0:1]
	v_and_b32_e32 v2, 1, v34
	v_cmp_eq_u32_e32 vcc, 1, v2
	s_and_saveexec_b64 s[0:1], vcc
	s_cbranch_execz .LBB136_293
; %bb.292:
	v_sub_u32_e32 v2, v10, v17
	ds_write_b8 v2, v20
.LBB136_293:
	s_or_b64 exec, exec, s[0:1]
	v_cmp_lt_u32_e32 vcc, v0, v16
	s_waitcnt lgkmcnt(0)
	s_barrier
	s_and_saveexec_b64 s[2:3], vcc
	s_cbranch_execz .LBB136_307
; %bb.294:
	v_mov_b32_e32 v2, s5
	v_add_co_u32_e32 v3, vcc, s4, v17
	v_addc_co_u32_e32 v2, vcc, 0, v2, vcc
	v_mov_b32_e32 v4, s23
	v_add_co_u32_e32 v18, vcc, s22, v3
	v_addc_co_u32_e32 v19, vcc, v2, v4, vcc
	v_xad_u32 v2, v0, -1, v16
	s_movk_i32 s0, 0xb80
	v_cmp_gt_u32_e32 vcc, s0, v2
	s_movk_i32 s0, 0xb7f
	v_cmp_lt_u32_e64 s[0:1], s0, v2
	s_and_saveexec_b64 s[4:5], s[0:1]
	s_cbranch_execz .LBB136_304
; %bb.295:
	v_sub_u32_e32 v3, v0, v16
	v_or_b32_e32 v3, 0x7f, v3
	v_cmp_ge_u32_e64 s[0:1], v3, v0
	s_mov_b64 s[8:9], -1
	s_and_saveexec_b64 s[6:7], s[0:1]
	s_cbranch_execz .LBB136_303
; %bb.296:
	v_lshrrev_b32_e32 v20, 7, v2
	v_or_b32_e32 v7, 0x380, v0
	v_or_b32_e32 v6, 0x300, v0
	;; [unrolled: 1-line block ×7, first 2 shown]
	v_add_u32_e32 v21, -7, v20
	v_pk_mov_b32 v[14:15], v[6:7], v[6:7] op_sel:[0,1]
	v_cmp_lt_u32_e64 s[0:1], 7, v21
	v_mov_b32_e32 v22, 0
	v_pk_mov_b32 v[12:13], v[4:5], v[4:5] op_sel:[0,1]
	v_pk_mov_b32 v[10:11], v[2:3], v[2:3] op_sel:[0,1]
	;; [unrolled: 1-line block ×3, first 2 shown]
	s_and_saveexec_b64 s[8:9], s[0:1]
	s_cbranch_execz .LBB136_300
; %bb.297:
	v_lshrrev_b32_e32 v8, 3, v21
	v_add_u32_e32 v8, 1, v8
	v_and_b32_e32 v22, 0x3ffffffe, v8
	v_pk_mov_b32 v[14:15], v[6:7], v[6:7] op_sel:[0,1]
	s_mov_b32 s12, 0
	s_mov_b64 s[10:11], 0
	v_mov_b32_e32 v23, v0
	v_pk_mov_b32 v[12:13], v[4:5], v[4:5] op_sel:[0,1]
	v_pk_mov_b32 v[10:11], v[2:3], v[2:3] op_sel:[0,1]
	v_pk_mov_b32 v[8:9], v[0:1], v[0:1] op_sel:[0,1]
.LBB136_298:                            ; =>This Inner Loop Header: Depth=1
	v_add_co_u32_e64 v2, s[0:1], v18, v8
	v_addc_co_u32_e64 v3, s[0:1], 0, v19, s[0:1]
	v_add_co_u32_e64 v4, s[0:1], v18, v9
	v_addc_co_u32_e64 v5, s[0:1], 0, v19, s[0:1]
	;; [unrolled: 2-line block ×8, first 2 shown]
	v_add_u32_e32 v34, 0x400, v8
	v_add_co_u32_e64 v34, s[0:1], v18, v34
	v_add_u32_e32 v36, 0x400, v9
	v_addc_co_u32_e64 v35, s[0:1], 0, v19, s[0:1]
	v_add_co_u32_e64 v36, s[0:1], v18, v36
	v_add_u32_e32 v38, 0x400, v10
	v_addc_co_u32_e64 v37, s[0:1], 0, v19, s[0:1]
	;; [unrolled: 3-line block ×6, first 2 shown]
	v_add_co_u32_e64 v46, s[0:1], v18, v46
	ds_read_u8 v50, v23
	ds_read_u8 v51, v23 offset:128
	ds_read_u8 v52, v23 offset:256
	;; [unrolled: 1-line block ×7, first 2 shown]
	v_add_u32_e32 v1, 0x400, v15
	ds_read_u8 v58, v23 offset:1024
	ds_read_u8 v59, v23 offset:1152
	;; [unrolled: 1-line block ×8, first 2 shown]
	v_addc_co_u32_e64 v47, s[0:1], 0, v19, s[0:1]
	v_add_co_u32_e64 v48, s[0:1], v18, v1
	v_add_u32_e32 v22, -2, v22
	v_addc_co_u32_e64 v49, s[0:1], 0, v19, s[0:1]
	s_add_i32 s12, s12, 16
	v_cmp_eq_u32_e64 s[0:1], 0, v22
	v_add_u32_e32 v15, 0x800, v15
	v_add_u32_e32 v14, 0x800, v14
	;; [unrolled: 1-line block ×9, first 2 shown]
	v_mov_b32_e32 v1, s12
	s_or_b64 s[10:11], s[0:1], s[10:11]
	s_waitcnt lgkmcnt(14)
	global_store_byte v[2:3], v50, off
	global_store_byte v[4:5], v51, off
	s_waitcnt lgkmcnt(13)
	global_store_byte v[6:7], v52, off
	s_waitcnt lgkmcnt(12)
	;; [unrolled: 2-line block ×14, first 2 shown]
	global_store_byte v[48:49], v65, off
	s_andn2_b64 exec, exec, s[10:11]
	s_cbranch_execnz .LBB136_298
; %bb.299:
	s_or_b64 exec, exec, s[10:11]
	v_lshlrev_b32_e32 v22, 7, v1
.LBB136_300:
	s_or_b64 exec, exec, s[8:9]
	v_and_b32_e32 v1, 8, v21
	v_cmp_eq_u32_e64 s[0:1], 0, v1
	s_and_saveexec_b64 s[8:9], s[0:1]
	s_cbranch_execz .LBB136_302
; %bb.301:
	v_add_co_u32_e64 v2, s[0:1], v18, v8
	v_addc_co_u32_e64 v3, s[0:1], 0, v19, s[0:1]
	v_add_co_u32_e64 v4, s[0:1], v18, v9
	v_addc_co_u32_e64 v5, s[0:1], 0, v19, s[0:1]
	v_add_co_u32_e64 v6, s[0:1], v18, v10
	v_addc_co_u32_e64 v7, s[0:1], 0, v19, s[0:1]
	v_add_co_u32_e64 v8, s[0:1], v18, v11
	v_addc_co_u32_e64 v9, s[0:1], 0, v19, s[0:1]
	v_add_co_u32_e64 v10, s[0:1], v18, v12
	v_or_b32_e32 v1, v0, v22
	v_addc_co_u32_e64 v11, s[0:1], 0, v19, s[0:1]
	ds_read_u8 v21, v1
	ds_read_u8 v24, v1 offset:128
	ds_read_u8 v25, v1 offset:256
	;; [unrolled: 1-line block ×7, first 2 shown]
	v_add_co_u32_e64 v12, s[0:1], v18, v13
	v_addc_co_u32_e64 v13, s[0:1], 0, v19, s[0:1]
	v_add_co_u32_e64 v22, s[0:1], v18, v14
	v_addc_co_u32_e64 v23, s[0:1], 0, v19, s[0:1]
	;; [unrolled: 2-line block ×3, first 2 shown]
	s_waitcnt lgkmcnt(7)
	global_store_byte v[2:3], v21, off
	s_waitcnt lgkmcnt(6)
	global_store_byte v[4:5], v24, off
	;; [unrolled: 2-line block ×8, first 2 shown]
.LBB136_302:
	s_or_b64 exec, exec, s[8:9]
	v_add_u32_e32 v2, 1, v20
	v_and_b32_e32 v3, 0x3fffff8, v2
	v_cmp_ne_u32_e64 s[0:1], v2, v3
	v_lshl_or_b32 v1, v3, 7, v0
	s_orn2_b64 s[8:9], s[0:1], exec
.LBB136_303:
	s_or_b64 exec, exec, s[6:7]
	s_andn2_b64 s[0:1], vcc, exec
	s_and_b64 s[6:7], s[8:9], exec
	s_or_b64 vcc, s[0:1], s[6:7]
.LBB136_304:
	s_or_b64 exec, exec, s[4:5]
	s_and_b64 exec, exec, vcc
	s_cbranch_execz .LBB136_307
; %bb.305:
	s_mov_b64 s[0:1], 0
.LBB136_306:                            ; =>This Inner Loop Header: Depth=1
	ds_read_u8 v2, v1
	v_readfirstlane_b32 s4, v18
	v_readfirstlane_b32 s5, v19
	s_waitcnt lgkmcnt(0)
	s_nop 3
	global_store_byte v1, v2, s[4:5]
	v_add_u32_e32 v1, 0x80, v1
	v_cmp_ge_u32_e32 vcc, v1, v16
	s_or_b64 s[0:1], vcc, s[0:1]
	s_andn2_b64 exec, exec, s[0:1]
	s_cbranch_execnz .LBB136_306
.LBB136_307:
	s_or_b64 exec, exec, s[2:3]
	v_cmp_eq_u32_e32 vcc, 0, v0
	s_and_b64 s[0:1], vcc, s[24:25]
	s_and_saveexec_b64 s[2:3], s[0:1]
	s_cbranch_execz .LBB136_131
.LBB136_308:
	v_mov_b32_e32 v0, s23
	v_add_co_u32_e32 v1, vcc, s22, v16
	v_addc_co_u32_e32 v3, vcc, 0, v0, vcc
	v_add_co_u32_e32 v0, vcc, v1, v17
	v_mov_b32_e32 v2, 0
	v_addc_co_u32_e32 v1, vcc, 0, v3, vcc
	global_store_dwordx2 v2, v[0:1], s[20:21]
	s_endpgm
.LBB136_309:
	s_or_b64 exec, exec, s[0:1]
	v_mov_b32_e32 v75, s28
	s_and_saveexec_b64 s[0:1], s[14:15]
	s_cbranch_execnz .LBB136_88
	s_branch .LBB136_89
	.section	.rodata,"a",@progbits
	.p2align	6, 0x0
	.amdhsa_kernel _ZN7rocprim17ROCPRIM_400000_NS6detail17trampoline_kernelINS0_14default_configENS1_25partition_config_selectorILNS1_17partition_subalgoE8EhNS0_10empty_typeEbEEZZNS1_14partition_implILS5_8ELb0ES3_jPKhPS6_PKS6_NS0_5tupleIJPhS6_EEENSE_IJSB_SB_EEENS0_18inequality_wrapperIN6hipcub16HIPCUB_304000_NS8EqualityEEEPlJS6_EEE10hipError_tPvRmT3_T4_T5_T6_T7_T9_mT8_P12ihipStream_tbDpT10_ENKUlT_T0_E_clISt17integral_constantIbLb0EES17_EEDaS12_S13_EUlS12_E_NS1_11comp_targetILNS1_3genE4ELNS1_11target_archE910ELNS1_3gpuE8ELNS1_3repE0EEENS1_30default_config_static_selectorELNS0_4arch9wavefront6targetE1EEEvT1_
		.amdhsa_group_segment_fixed_size 4232
		.amdhsa_private_segment_fixed_size 0
		.amdhsa_kernarg_size 112
		.amdhsa_user_sgpr_count 6
		.amdhsa_user_sgpr_private_segment_buffer 1
		.amdhsa_user_sgpr_dispatch_ptr 0
		.amdhsa_user_sgpr_queue_ptr 0
		.amdhsa_user_sgpr_kernarg_segment_ptr 1
		.amdhsa_user_sgpr_dispatch_id 0
		.amdhsa_user_sgpr_flat_scratch_init 0
		.amdhsa_user_sgpr_kernarg_preload_length 0
		.amdhsa_user_sgpr_kernarg_preload_offset 0
		.amdhsa_user_sgpr_private_segment_size 0
		.amdhsa_uses_dynamic_stack 0
		.amdhsa_system_sgpr_private_segment_wavefront_offset 0
		.amdhsa_system_sgpr_workgroup_id_x 1
		.amdhsa_system_sgpr_workgroup_id_y 0
		.amdhsa_system_sgpr_workgroup_id_z 0
		.amdhsa_system_sgpr_workgroup_info 0
		.amdhsa_system_vgpr_workitem_id 0
		.amdhsa_next_free_vgpr 125
		.amdhsa_next_free_sgpr 54
		.amdhsa_accum_offset 128
		.amdhsa_reserve_vcc 1
		.amdhsa_reserve_flat_scratch 0
		.amdhsa_float_round_mode_32 0
		.amdhsa_float_round_mode_16_64 0
		.amdhsa_float_denorm_mode_32 3
		.amdhsa_float_denorm_mode_16_64 3
		.amdhsa_dx10_clamp 1
		.amdhsa_ieee_mode 1
		.amdhsa_fp16_overflow 0
		.amdhsa_tg_split 0
		.amdhsa_exception_fp_ieee_invalid_op 0
		.amdhsa_exception_fp_denorm_src 0
		.amdhsa_exception_fp_ieee_div_zero 0
		.amdhsa_exception_fp_ieee_overflow 0
		.amdhsa_exception_fp_ieee_underflow 0
		.amdhsa_exception_fp_ieee_inexact 0
		.amdhsa_exception_int_div_zero 0
	.end_amdhsa_kernel
	.section	.text._ZN7rocprim17ROCPRIM_400000_NS6detail17trampoline_kernelINS0_14default_configENS1_25partition_config_selectorILNS1_17partition_subalgoE8EhNS0_10empty_typeEbEEZZNS1_14partition_implILS5_8ELb0ES3_jPKhPS6_PKS6_NS0_5tupleIJPhS6_EEENSE_IJSB_SB_EEENS0_18inequality_wrapperIN6hipcub16HIPCUB_304000_NS8EqualityEEEPlJS6_EEE10hipError_tPvRmT3_T4_T5_T6_T7_T9_mT8_P12ihipStream_tbDpT10_ENKUlT_T0_E_clISt17integral_constantIbLb0EES17_EEDaS12_S13_EUlS12_E_NS1_11comp_targetILNS1_3genE4ELNS1_11target_archE910ELNS1_3gpuE8ELNS1_3repE0EEENS1_30default_config_static_selectorELNS0_4arch9wavefront6targetE1EEEvT1_,"axG",@progbits,_ZN7rocprim17ROCPRIM_400000_NS6detail17trampoline_kernelINS0_14default_configENS1_25partition_config_selectorILNS1_17partition_subalgoE8EhNS0_10empty_typeEbEEZZNS1_14partition_implILS5_8ELb0ES3_jPKhPS6_PKS6_NS0_5tupleIJPhS6_EEENSE_IJSB_SB_EEENS0_18inequality_wrapperIN6hipcub16HIPCUB_304000_NS8EqualityEEEPlJS6_EEE10hipError_tPvRmT3_T4_T5_T6_T7_T9_mT8_P12ihipStream_tbDpT10_ENKUlT_T0_E_clISt17integral_constantIbLb0EES17_EEDaS12_S13_EUlS12_E_NS1_11comp_targetILNS1_3genE4ELNS1_11target_archE910ELNS1_3gpuE8ELNS1_3repE0EEENS1_30default_config_static_selectorELNS0_4arch9wavefront6targetE1EEEvT1_,comdat
.Lfunc_end136:
	.size	_ZN7rocprim17ROCPRIM_400000_NS6detail17trampoline_kernelINS0_14default_configENS1_25partition_config_selectorILNS1_17partition_subalgoE8EhNS0_10empty_typeEbEEZZNS1_14partition_implILS5_8ELb0ES3_jPKhPS6_PKS6_NS0_5tupleIJPhS6_EEENSE_IJSB_SB_EEENS0_18inequality_wrapperIN6hipcub16HIPCUB_304000_NS8EqualityEEEPlJS6_EEE10hipError_tPvRmT3_T4_T5_T6_T7_T9_mT8_P12ihipStream_tbDpT10_ENKUlT_T0_E_clISt17integral_constantIbLb0EES17_EEDaS12_S13_EUlS12_E_NS1_11comp_targetILNS1_3genE4ELNS1_11target_archE910ELNS1_3gpuE8ELNS1_3repE0EEENS1_30default_config_static_selectorELNS0_4arch9wavefront6targetE1EEEvT1_, .Lfunc_end136-_ZN7rocprim17ROCPRIM_400000_NS6detail17trampoline_kernelINS0_14default_configENS1_25partition_config_selectorILNS1_17partition_subalgoE8EhNS0_10empty_typeEbEEZZNS1_14partition_implILS5_8ELb0ES3_jPKhPS6_PKS6_NS0_5tupleIJPhS6_EEENSE_IJSB_SB_EEENS0_18inequality_wrapperIN6hipcub16HIPCUB_304000_NS8EqualityEEEPlJS6_EEE10hipError_tPvRmT3_T4_T5_T6_T7_T9_mT8_P12ihipStream_tbDpT10_ENKUlT_T0_E_clISt17integral_constantIbLb0EES17_EEDaS12_S13_EUlS12_E_NS1_11comp_targetILNS1_3genE4ELNS1_11target_archE910ELNS1_3gpuE8ELNS1_3repE0EEENS1_30default_config_static_selectorELNS0_4arch9wavefront6targetE1EEEvT1_
                                        ; -- End function
	.section	.AMDGPU.csdata,"",@progbits
; Kernel info:
; codeLenInByte = 12920
; NumSgprs: 58
; NumVgprs: 125
; NumAgprs: 0
; TotalNumVgprs: 125
; ScratchSize: 0
; MemoryBound: 0
; FloatMode: 240
; IeeeMode: 1
; LDSByteSize: 4232 bytes/workgroup (compile time only)
; SGPRBlocks: 7
; VGPRBlocks: 15
; NumSGPRsForWavesPerEU: 58
; NumVGPRsForWavesPerEU: 125
; AccumOffset: 128
; Occupancy: 4
; WaveLimiterHint : 1
; COMPUTE_PGM_RSRC2:SCRATCH_EN: 0
; COMPUTE_PGM_RSRC2:USER_SGPR: 6
; COMPUTE_PGM_RSRC2:TRAP_HANDLER: 0
; COMPUTE_PGM_RSRC2:TGID_X_EN: 1
; COMPUTE_PGM_RSRC2:TGID_Y_EN: 0
; COMPUTE_PGM_RSRC2:TGID_Z_EN: 0
; COMPUTE_PGM_RSRC2:TIDIG_COMP_CNT: 0
; COMPUTE_PGM_RSRC3_GFX90A:ACCUM_OFFSET: 31
; COMPUTE_PGM_RSRC3_GFX90A:TG_SPLIT: 0
	.section	.text._ZN7rocprim17ROCPRIM_400000_NS6detail17trampoline_kernelINS0_14default_configENS1_25partition_config_selectorILNS1_17partition_subalgoE8EhNS0_10empty_typeEbEEZZNS1_14partition_implILS5_8ELb0ES3_jPKhPS6_PKS6_NS0_5tupleIJPhS6_EEENSE_IJSB_SB_EEENS0_18inequality_wrapperIN6hipcub16HIPCUB_304000_NS8EqualityEEEPlJS6_EEE10hipError_tPvRmT3_T4_T5_T6_T7_T9_mT8_P12ihipStream_tbDpT10_ENKUlT_T0_E_clISt17integral_constantIbLb0EES17_EEDaS12_S13_EUlS12_E_NS1_11comp_targetILNS1_3genE3ELNS1_11target_archE908ELNS1_3gpuE7ELNS1_3repE0EEENS1_30default_config_static_selectorELNS0_4arch9wavefront6targetE1EEEvT1_,"axG",@progbits,_ZN7rocprim17ROCPRIM_400000_NS6detail17trampoline_kernelINS0_14default_configENS1_25partition_config_selectorILNS1_17partition_subalgoE8EhNS0_10empty_typeEbEEZZNS1_14partition_implILS5_8ELb0ES3_jPKhPS6_PKS6_NS0_5tupleIJPhS6_EEENSE_IJSB_SB_EEENS0_18inequality_wrapperIN6hipcub16HIPCUB_304000_NS8EqualityEEEPlJS6_EEE10hipError_tPvRmT3_T4_T5_T6_T7_T9_mT8_P12ihipStream_tbDpT10_ENKUlT_T0_E_clISt17integral_constantIbLb0EES17_EEDaS12_S13_EUlS12_E_NS1_11comp_targetILNS1_3genE3ELNS1_11target_archE908ELNS1_3gpuE7ELNS1_3repE0EEENS1_30default_config_static_selectorELNS0_4arch9wavefront6targetE1EEEvT1_,comdat
	.protected	_ZN7rocprim17ROCPRIM_400000_NS6detail17trampoline_kernelINS0_14default_configENS1_25partition_config_selectorILNS1_17partition_subalgoE8EhNS0_10empty_typeEbEEZZNS1_14partition_implILS5_8ELb0ES3_jPKhPS6_PKS6_NS0_5tupleIJPhS6_EEENSE_IJSB_SB_EEENS0_18inequality_wrapperIN6hipcub16HIPCUB_304000_NS8EqualityEEEPlJS6_EEE10hipError_tPvRmT3_T4_T5_T6_T7_T9_mT8_P12ihipStream_tbDpT10_ENKUlT_T0_E_clISt17integral_constantIbLb0EES17_EEDaS12_S13_EUlS12_E_NS1_11comp_targetILNS1_3genE3ELNS1_11target_archE908ELNS1_3gpuE7ELNS1_3repE0EEENS1_30default_config_static_selectorELNS0_4arch9wavefront6targetE1EEEvT1_ ; -- Begin function _ZN7rocprim17ROCPRIM_400000_NS6detail17trampoline_kernelINS0_14default_configENS1_25partition_config_selectorILNS1_17partition_subalgoE8EhNS0_10empty_typeEbEEZZNS1_14partition_implILS5_8ELb0ES3_jPKhPS6_PKS6_NS0_5tupleIJPhS6_EEENSE_IJSB_SB_EEENS0_18inequality_wrapperIN6hipcub16HIPCUB_304000_NS8EqualityEEEPlJS6_EEE10hipError_tPvRmT3_T4_T5_T6_T7_T9_mT8_P12ihipStream_tbDpT10_ENKUlT_T0_E_clISt17integral_constantIbLb0EES17_EEDaS12_S13_EUlS12_E_NS1_11comp_targetILNS1_3genE3ELNS1_11target_archE908ELNS1_3gpuE7ELNS1_3repE0EEENS1_30default_config_static_selectorELNS0_4arch9wavefront6targetE1EEEvT1_
	.globl	_ZN7rocprim17ROCPRIM_400000_NS6detail17trampoline_kernelINS0_14default_configENS1_25partition_config_selectorILNS1_17partition_subalgoE8EhNS0_10empty_typeEbEEZZNS1_14partition_implILS5_8ELb0ES3_jPKhPS6_PKS6_NS0_5tupleIJPhS6_EEENSE_IJSB_SB_EEENS0_18inequality_wrapperIN6hipcub16HIPCUB_304000_NS8EqualityEEEPlJS6_EEE10hipError_tPvRmT3_T4_T5_T6_T7_T9_mT8_P12ihipStream_tbDpT10_ENKUlT_T0_E_clISt17integral_constantIbLb0EES17_EEDaS12_S13_EUlS12_E_NS1_11comp_targetILNS1_3genE3ELNS1_11target_archE908ELNS1_3gpuE7ELNS1_3repE0EEENS1_30default_config_static_selectorELNS0_4arch9wavefront6targetE1EEEvT1_
	.p2align	8
	.type	_ZN7rocprim17ROCPRIM_400000_NS6detail17trampoline_kernelINS0_14default_configENS1_25partition_config_selectorILNS1_17partition_subalgoE8EhNS0_10empty_typeEbEEZZNS1_14partition_implILS5_8ELb0ES3_jPKhPS6_PKS6_NS0_5tupleIJPhS6_EEENSE_IJSB_SB_EEENS0_18inequality_wrapperIN6hipcub16HIPCUB_304000_NS8EqualityEEEPlJS6_EEE10hipError_tPvRmT3_T4_T5_T6_T7_T9_mT8_P12ihipStream_tbDpT10_ENKUlT_T0_E_clISt17integral_constantIbLb0EES17_EEDaS12_S13_EUlS12_E_NS1_11comp_targetILNS1_3genE3ELNS1_11target_archE908ELNS1_3gpuE7ELNS1_3repE0EEENS1_30default_config_static_selectorELNS0_4arch9wavefront6targetE1EEEvT1_,@function
_ZN7rocprim17ROCPRIM_400000_NS6detail17trampoline_kernelINS0_14default_configENS1_25partition_config_selectorILNS1_17partition_subalgoE8EhNS0_10empty_typeEbEEZZNS1_14partition_implILS5_8ELb0ES3_jPKhPS6_PKS6_NS0_5tupleIJPhS6_EEENSE_IJSB_SB_EEENS0_18inequality_wrapperIN6hipcub16HIPCUB_304000_NS8EqualityEEEPlJS6_EEE10hipError_tPvRmT3_T4_T5_T6_T7_T9_mT8_P12ihipStream_tbDpT10_ENKUlT_T0_E_clISt17integral_constantIbLb0EES17_EEDaS12_S13_EUlS12_E_NS1_11comp_targetILNS1_3genE3ELNS1_11target_archE908ELNS1_3gpuE7ELNS1_3repE0EEENS1_30default_config_static_selectorELNS0_4arch9wavefront6targetE1EEEvT1_: ; @_ZN7rocprim17ROCPRIM_400000_NS6detail17trampoline_kernelINS0_14default_configENS1_25partition_config_selectorILNS1_17partition_subalgoE8EhNS0_10empty_typeEbEEZZNS1_14partition_implILS5_8ELb0ES3_jPKhPS6_PKS6_NS0_5tupleIJPhS6_EEENSE_IJSB_SB_EEENS0_18inequality_wrapperIN6hipcub16HIPCUB_304000_NS8EqualityEEEPlJS6_EEE10hipError_tPvRmT3_T4_T5_T6_T7_T9_mT8_P12ihipStream_tbDpT10_ENKUlT_T0_E_clISt17integral_constantIbLb0EES17_EEDaS12_S13_EUlS12_E_NS1_11comp_targetILNS1_3genE3ELNS1_11target_archE908ELNS1_3gpuE7ELNS1_3repE0EEENS1_30default_config_static_selectorELNS0_4arch9wavefront6targetE1EEEvT1_
; %bb.0:
	.section	.rodata,"a",@progbits
	.p2align	6, 0x0
	.amdhsa_kernel _ZN7rocprim17ROCPRIM_400000_NS6detail17trampoline_kernelINS0_14default_configENS1_25partition_config_selectorILNS1_17partition_subalgoE8EhNS0_10empty_typeEbEEZZNS1_14partition_implILS5_8ELb0ES3_jPKhPS6_PKS6_NS0_5tupleIJPhS6_EEENSE_IJSB_SB_EEENS0_18inequality_wrapperIN6hipcub16HIPCUB_304000_NS8EqualityEEEPlJS6_EEE10hipError_tPvRmT3_T4_T5_T6_T7_T9_mT8_P12ihipStream_tbDpT10_ENKUlT_T0_E_clISt17integral_constantIbLb0EES17_EEDaS12_S13_EUlS12_E_NS1_11comp_targetILNS1_3genE3ELNS1_11target_archE908ELNS1_3gpuE7ELNS1_3repE0EEENS1_30default_config_static_selectorELNS0_4arch9wavefront6targetE1EEEvT1_
		.amdhsa_group_segment_fixed_size 0
		.amdhsa_private_segment_fixed_size 0
		.amdhsa_kernarg_size 112
		.amdhsa_user_sgpr_count 6
		.amdhsa_user_sgpr_private_segment_buffer 1
		.amdhsa_user_sgpr_dispatch_ptr 0
		.amdhsa_user_sgpr_queue_ptr 0
		.amdhsa_user_sgpr_kernarg_segment_ptr 1
		.amdhsa_user_sgpr_dispatch_id 0
		.amdhsa_user_sgpr_flat_scratch_init 0
		.amdhsa_user_sgpr_kernarg_preload_length 0
		.amdhsa_user_sgpr_kernarg_preload_offset 0
		.amdhsa_user_sgpr_private_segment_size 0
		.amdhsa_uses_dynamic_stack 0
		.amdhsa_system_sgpr_private_segment_wavefront_offset 0
		.amdhsa_system_sgpr_workgroup_id_x 1
		.amdhsa_system_sgpr_workgroup_id_y 0
		.amdhsa_system_sgpr_workgroup_id_z 0
		.amdhsa_system_sgpr_workgroup_info 0
		.amdhsa_system_vgpr_workitem_id 0
		.amdhsa_next_free_vgpr 1
		.amdhsa_next_free_sgpr 0
		.amdhsa_accum_offset 4
		.amdhsa_reserve_vcc 0
		.amdhsa_reserve_flat_scratch 0
		.amdhsa_float_round_mode_32 0
		.amdhsa_float_round_mode_16_64 0
		.amdhsa_float_denorm_mode_32 3
		.amdhsa_float_denorm_mode_16_64 3
		.amdhsa_dx10_clamp 1
		.amdhsa_ieee_mode 1
		.amdhsa_fp16_overflow 0
		.amdhsa_tg_split 0
		.amdhsa_exception_fp_ieee_invalid_op 0
		.amdhsa_exception_fp_denorm_src 0
		.amdhsa_exception_fp_ieee_div_zero 0
		.amdhsa_exception_fp_ieee_overflow 0
		.amdhsa_exception_fp_ieee_underflow 0
		.amdhsa_exception_fp_ieee_inexact 0
		.amdhsa_exception_int_div_zero 0
	.end_amdhsa_kernel
	.section	.text._ZN7rocprim17ROCPRIM_400000_NS6detail17trampoline_kernelINS0_14default_configENS1_25partition_config_selectorILNS1_17partition_subalgoE8EhNS0_10empty_typeEbEEZZNS1_14partition_implILS5_8ELb0ES3_jPKhPS6_PKS6_NS0_5tupleIJPhS6_EEENSE_IJSB_SB_EEENS0_18inequality_wrapperIN6hipcub16HIPCUB_304000_NS8EqualityEEEPlJS6_EEE10hipError_tPvRmT3_T4_T5_T6_T7_T9_mT8_P12ihipStream_tbDpT10_ENKUlT_T0_E_clISt17integral_constantIbLb0EES17_EEDaS12_S13_EUlS12_E_NS1_11comp_targetILNS1_3genE3ELNS1_11target_archE908ELNS1_3gpuE7ELNS1_3repE0EEENS1_30default_config_static_selectorELNS0_4arch9wavefront6targetE1EEEvT1_,"axG",@progbits,_ZN7rocprim17ROCPRIM_400000_NS6detail17trampoline_kernelINS0_14default_configENS1_25partition_config_selectorILNS1_17partition_subalgoE8EhNS0_10empty_typeEbEEZZNS1_14partition_implILS5_8ELb0ES3_jPKhPS6_PKS6_NS0_5tupleIJPhS6_EEENSE_IJSB_SB_EEENS0_18inequality_wrapperIN6hipcub16HIPCUB_304000_NS8EqualityEEEPlJS6_EEE10hipError_tPvRmT3_T4_T5_T6_T7_T9_mT8_P12ihipStream_tbDpT10_ENKUlT_T0_E_clISt17integral_constantIbLb0EES17_EEDaS12_S13_EUlS12_E_NS1_11comp_targetILNS1_3genE3ELNS1_11target_archE908ELNS1_3gpuE7ELNS1_3repE0EEENS1_30default_config_static_selectorELNS0_4arch9wavefront6targetE1EEEvT1_,comdat
.Lfunc_end137:
	.size	_ZN7rocprim17ROCPRIM_400000_NS6detail17trampoline_kernelINS0_14default_configENS1_25partition_config_selectorILNS1_17partition_subalgoE8EhNS0_10empty_typeEbEEZZNS1_14partition_implILS5_8ELb0ES3_jPKhPS6_PKS6_NS0_5tupleIJPhS6_EEENSE_IJSB_SB_EEENS0_18inequality_wrapperIN6hipcub16HIPCUB_304000_NS8EqualityEEEPlJS6_EEE10hipError_tPvRmT3_T4_T5_T6_T7_T9_mT8_P12ihipStream_tbDpT10_ENKUlT_T0_E_clISt17integral_constantIbLb0EES17_EEDaS12_S13_EUlS12_E_NS1_11comp_targetILNS1_3genE3ELNS1_11target_archE908ELNS1_3gpuE7ELNS1_3repE0EEENS1_30default_config_static_selectorELNS0_4arch9wavefront6targetE1EEEvT1_, .Lfunc_end137-_ZN7rocprim17ROCPRIM_400000_NS6detail17trampoline_kernelINS0_14default_configENS1_25partition_config_selectorILNS1_17partition_subalgoE8EhNS0_10empty_typeEbEEZZNS1_14partition_implILS5_8ELb0ES3_jPKhPS6_PKS6_NS0_5tupleIJPhS6_EEENSE_IJSB_SB_EEENS0_18inequality_wrapperIN6hipcub16HIPCUB_304000_NS8EqualityEEEPlJS6_EEE10hipError_tPvRmT3_T4_T5_T6_T7_T9_mT8_P12ihipStream_tbDpT10_ENKUlT_T0_E_clISt17integral_constantIbLb0EES17_EEDaS12_S13_EUlS12_E_NS1_11comp_targetILNS1_3genE3ELNS1_11target_archE908ELNS1_3gpuE7ELNS1_3repE0EEENS1_30default_config_static_selectorELNS0_4arch9wavefront6targetE1EEEvT1_
                                        ; -- End function
	.section	.AMDGPU.csdata,"",@progbits
; Kernel info:
; codeLenInByte = 0
; NumSgprs: 4
; NumVgprs: 0
; NumAgprs: 0
; TotalNumVgprs: 0
; ScratchSize: 0
; MemoryBound: 0
; FloatMode: 240
; IeeeMode: 1
; LDSByteSize: 0 bytes/workgroup (compile time only)
; SGPRBlocks: 0
; VGPRBlocks: 0
; NumSGPRsForWavesPerEU: 4
; NumVGPRsForWavesPerEU: 1
; AccumOffset: 4
; Occupancy: 8
; WaveLimiterHint : 0
; COMPUTE_PGM_RSRC2:SCRATCH_EN: 0
; COMPUTE_PGM_RSRC2:USER_SGPR: 6
; COMPUTE_PGM_RSRC2:TRAP_HANDLER: 0
; COMPUTE_PGM_RSRC2:TGID_X_EN: 1
; COMPUTE_PGM_RSRC2:TGID_Y_EN: 0
; COMPUTE_PGM_RSRC2:TGID_Z_EN: 0
; COMPUTE_PGM_RSRC2:TIDIG_COMP_CNT: 0
; COMPUTE_PGM_RSRC3_GFX90A:ACCUM_OFFSET: 0
; COMPUTE_PGM_RSRC3_GFX90A:TG_SPLIT: 0
	.section	.text._ZN7rocprim17ROCPRIM_400000_NS6detail17trampoline_kernelINS0_14default_configENS1_25partition_config_selectorILNS1_17partition_subalgoE8EhNS0_10empty_typeEbEEZZNS1_14partition_implILS5_8ELb0ES3_jPKhPS6_PKS6_NS0_5tupleIJPhS6_EEENSE_IJSB_SB_EEENS0_18inequality_wrapperIN6hipcub16HIPCUB_304000_NS8EqualityEEEPlJS6_EEE10hipError_tPvRmT3_T4_T5_T6_T7_T9_mT8_P12ihipStream_tbDpT10_ENKUlT_T0_E_clISt17integral_constantIbLb0EES17_EEDaS12_S13_EUlS12_E_NS1_11comp_targetILNS1_3genE2ELNS1_11target_archE906ELNS1_3gpuE6ELNS1_3repE0EEENS1_30default_config_static_selectorELNS0_4arch9wavefront6targetE1EEEvT1_,"axG",@progbits,_ZN7rocprim17ROCPRIM_400000_NS6detail17trampoline_kernelINS0_14default_configENS1_25partition_config_selectorILNS1_17partition_subalgoE8EhNS0_10empty_typeEbEEZZNS1_14partition_implILS5_8ELb0ES3_jPKhPS6_PKS6_NS0_5tupleIJPhS6_EEENSE_IJSB_SB_EEENS0_18inequality_wrapperIN6hipcub16HIPCUB_304000_NS8EqualityEEEPlJS6_EEE10hipError_tPvRmT3_T4_T5_T6_T7_T9_mT8_P12ihipStream_tbDpT10_ENKUlT_T0_E_clISt17integral_constantIbLb0EES17_EEDaS12_S13_EUlS12_E_NS1_11comp_targetILNS1_3genE2ELNS1_11target_archE906ELNS1_3gpuE6ELNS1_3repE0EEENS1_30default_config_static_selectorELNS0_4arch9wavefront6targetE1EEEvT1_,comdat
	.protected	_ZN7rocprim17ROCPRIM_400000_NS6detail17trampoline_kernelINS0_14default_configENS1_25partition_config_selectorILNS1_17partition_subalgoE8EhNS0_10empty_typeEbEEZZNS1_14partition_implILS5_8ELb0ES3_jPKhPS6_PKS6_NS0_5tupleIJPhS6_EEENSE_IJSB_SB_EEENS0_18inequality_wrapperIN6hipcub16HIPCUB_304000_NS8EqualityEEEPlJS6_EEE10hipError_tPvRmT3_T4_T5_T6_T7_T9_mT8_P12ihipStream_tbDpT10_ENKUlT_T0_E_clISt17integral_constantIbLb0EES17_EEDaS12_S13_EUlS12_E_NS1_11comp_targetILNS1_3genE2ELNS1_11target_archE906ELNS1_3gpuE6ELNS1_3repE0EEENS1_30default_config_static_selectorELNS0_4arch9wavefront6targetE1EEEvT1_ ; -- Begin function _ZN7rocprim17ROCPRIM_400000_NS6detail17trampoline_kernelINS0_14default_configENS1_25partition_config_selectorILNS1_17partition_subalgoE8EhNS0_10empty_typeEbEEZZNS1_14partition_implILS5_8ELb0ES3_jPKhPS6_PKS6_NS0_5tupleIJPhS6_EEENSE_IJSB_SB_EEENS0_18inequality_wrapperIN6hipcub16HIPCUB_304000_NS8EqualityEEEPlJS6_EEE10hipError_tPvRmT3_T4_T5_T6_T7_T9_mT8_P12ihipStream_tbDpT10_ENKUlT_T0_E_clISt17integral_constantIbLb0EES17_EEDaS12_S13_EUlS12_E_NS1_11comp_targetILNS1_3genE2ELNS1_11target_archE906ELNS1_3gpuE6ELNS1_3repE0EEENS1_30default_config_static_selectorELNS0_4arch9wavefront6targetE1EEEvT1_
	.globl	_ZN7rocprim17ROCPRIM_400000_NS6detail17trampoline_kernelINS0_14default_configENS1_25partition_config_selectorILNS1_17partition_subalgoE8EhNS0_10empty_typeEbEEZZNS1_14partition_implILS5_8ELb0ES3_jPKhPS6_PKS6_NS0_5tupleIJPhS6_EEENSE_IJSB_SB_EEENS0_18inequality_wrapperIN6hipcub16HIPCUB_304000_NS8EqualityEEEPlJS6_EEE10hipError_tPvRmT3_T4_T5_T6_T7_T9_mT8_P12ihipStream_tbDpT10_ENKUlT_T0_E_clISt17integral_constantIbLb0EES17_EEDaS12_S13_EUlS12_E_NS1_11comp_targetILNS1_3genE2ELNS1_11target_archE906ELNS1_3gpuE6ELNS1_3repE0EEENS1_30default_config_static_selectorELNS0_4arch9wavefront6targetE1EEEvT1_
	.p2align	8
	.type	_ZN7rocprim17ROCPRIM_400000_NS6detail17trampoline_kernelINS0_14default_configENS1_25partition_config_selectorILNS1_17partition_subalgoE8EhNS0_10empty_typeEbEEZZNS1_14partition_implILS5_8ELb0ES3_jPKhPS6_PKS6_NS0_5tupleIJPhS6_EEENSE_IJSB_SB_EEENS0_18inequality_wrapperIN6hipcub16HIPCUB_304000_NS8EqualityEEEPlJS6_EEE10hipError_tPvRmT3_T4_T5_T6_T7_T9_mT8_P12ihipStream_tbDpT10_ENKUlT_T0_E_clISt17integral_constantIbLb0EES17_EEDaS12_S13_EUlS12_E_NS1_11comp_targetILNS1_3genE2ELNS1_11target_archE906ELNS1_3gpuE6ELNS1_3repE0EEENS1_30default_config_static_selectorELNS0_4arch9wavefront6targetE1EEEvT1_,@function
_ZN7rocprim17ROCPRIM_400000_NS6detail17trampoline_kernelINS0_14default_configENS1_25partition_config_selectorILNS1_17partition_subalgoE8EhNS0_10empty_typeEbEEZZNS1_14partition_implILS5_8ELb0ES3_jPKhPS6_PKS6_NS0_5tupleIJPhS6_EEENSE_IJSB_SB_EEENS0_18inequality_wrapperIN6hipcub16HIPCUB_304000_NS8EqualityEEEPlJS6_EEE10hipError_tPvRmT3_T4_T5_T6_T7_T9_mT8_P12ihipStream_tbDpT10_ENKUlT_T0_E_clISt17integral_constantIbLb0EES17_EEDaS12_S13_EUlS12_E_NS1_11comp_targetILNS1_3genE2ELNS1_11target_archE906ELNS1_3gpuE6ELNS1_3repE0EEENS1_30default_config_static_selectorELNS0_4arch9wavefront6targetE1EEEvT1_: ; @_ZN7rocprim17ROCPRIM_400000_NS6detail17trampoline_kernelINS0_14default_configENS1_25partition_config_selectorILNS1_17partition_subalgoE8EhNS0_10empty_typeEbEEZZNS1_14partition_implILS5_8ELb0ES3_jPKhPS6_PKS6_NS0_5tupleIJPhS6_EEENSE_IJSB_SB_EEENS0_18inequality_wrapperIN6hipcub16HIPCUB_304000_NS8EqualityEEEPlJS6_EEE10hipError_tPvRmT3_T4_T5_T6_T7_T9_mT8_P12ihipStream_tbDpT10_ENKUlT_T0_E_clISt17integral_constantIbLb0EES17_EEDaS12_S13_EUlS12_E_NS1_11comp_targetILNS1_3genE2ELNS1_11target_archE906ELNS1_3gpuE6ELNS1_3repE0EEENS1_30default_config_static_selectorELNS0_4arch9wavefront6targetE1EEEvT1_
; %bb.0:
	.section	.rodata,"a",@progbits
	.p2align	6, 0x0
	.amdhsa_kernel _ZN7rocprim17ROCPRIM_400000_NS6detail17trampoline_kernelINS0_14default_configENS1_25partition_config_selectorILNS1_17partition_subalgoE8EhNS0_10empty_typeEbEEZZNS1_14partition_implILS5_8ELb0ES3_jPKhPS6_PKS6_NS0_5tupleIJPhS6_EEENSE_IJSB_SB_EEENS0_18inequality_wrapperIN6hipcub16HIPCUB_304000_NS8EqualityEEEPlJS6_EEE10hipError_tPvRmT3_T4_T5_T6_T7_T9_mT8_P12ihipStream_tbDpT10_ENKUlT_T0_E_clISt17integral_constantIbLb0EES17_EEDaS12_S13_EUlS12_E_NS1_11comp_targetILNS1_3genE2ELNS1_11target_archE906ELNS1_3gpuE6ELNS1_3repE0EEENS1_30default_config_static_selectorELNS0_4arch9wavefront6targetE1EEEvT1_
		.amdhsa_group_segment_fixed_size 0
		.amdhsa_private_segment_fixed_size 0
		.amdhsa_kernarg_size 112
		.amdhsa_user_sgpr_count 6
		.amdhsa_user_sgpr_private_segment_buffer 1
		.amdhsa_user_sgpr_dispatch_ptr 0
		.amdhsa_user_sgpr_queue_ptr 0
		.amdhsa_user_sgpr_kernarg_segment_ptr 1
		.amdhsa_user_sgpr_dispatch_id 0
		.amdhsa_user_sgpr_flat_scratch_init 0
		.amdhsa_user_sgpr_kernarg_preload_length 0
		.amdhsa_user_sgpr_kernarg_preload_offset 0
		.amdhsa_user_sgpr_private_segment_size 0
		.amdhsa_uses_dynamic_stack 0
		.amdhsa_system_sgpr_private_segment_wavefront_offset 0
		.amdhsa_system_sgpr_workgroup_id_x 1
		.amdhsa_system_sgpr_workgroup_id_y 0
		.amdhsa_system_sgpr_workgroup_id_z 0
		.amdhsa_system_sgpr_workgroup_info 0
		.amdhsa_system_vgpr_workitem_id 0
		.amdhsa_next_free_vgpr 1
		.amdhsa_next_free_sgpr 0
		.amdhsa_accum_offset 4
		.amdhsa_reserve_vcc 0
		.amdhsa_reserve_flat_scratch 0
		.amdhsa_float_round_mode_32 0
		.amdhsa_float_round_mode_16_64 0
		.amdhsa_float_denorm_mode_32 3
		.amdhsa_float_denorm_mode_16_64 3
		.amdhsa_dx10_clamp 1
		.amdhsa_ieee_mode 1
		.amdhsa_fp16_overflow 0
		.amdhsa_tg_split 0
		.amdhsa_exception_fp_ieee_invalid_op 0
		.amdhsa_exception_fp_denorm_src 0
		.amdhsa_exception_fp_ieee_div_zero 0
		.amdhsa_exception_fp_ieee_overflow 0
		.amdhsa_exception_fp_ieee_underflow 0
		.amdhsa_exception_fp_ieee_inexact 0
		.amdhsa_exception_int_div_zero 0
	.end_amdhsa_kernel
	.section	.text._ZN7rocprim17ROCPRIM_400000_NS6detail17trampoline_kernelINS0_14default_configENS1_25partition_config_selectorILNS1_17partition_subalgoE8EhNS0_10empty_typeEbEEZZNS1_14partition_implILS5_8ELb0ES3_jPKhPS6_PKS6_NS0_5tupleIJPhS6_EEENSE_IJSB_SB_EEENS0_18inequality_wrapperIN6hipcub16HIPCUB_304000_NS8EqualityEEEPlJS6_EEE10hipError_tPvRmT3_T4_T5_T6_T7_T9_mT8_P12ihipStream_tbDpT10_ENKUlT_T0_E_clISt17integral_constantIbLb0EES17_EEDaS12_S13_EUlS12_E_NS1_11comp_targetILNS1_3genE2ELNS1_11target_archE906ELNS1_3gpuE6ELNS1_3repE0EEENS1_30default_config_static_selectorELNS0_4arch9wavefront6targetE1EEEvT1_,"axG",@progbits,_ZN7rocprim17ROCPRIM_400000_NS6detail17trampoline_kernelINS0_14default_configENS1_25partition_config_selectorILNS1_17partition_subalgoE8EhNS0_10empty_typeEbEEZZNS1_14partition_implILS5_8ELb0ES3_jPKhPS6_PKS6_NS0_5tupleIJPhS6_EEENSE_IJSB_SB_EEENS0_18inequality_wrapperIN6hipcub16HIPCUB_304000_NS8EqualityEEEPlJS6_EEE10hipError_tPvRmT3_T4_T5_T6_T7_T9_mT8_P12ihipStream_tbDpT10_ENKUlT_T0_E_clISt17integral_constantIbLb0EES17_EEDaS12_S13_EUlS12_E_NS1_11comp_targetILNS1_3genE2ELNS1_11target_archE906ELNS1_3gpuE6ELNS1_3repE0EEENS1_30default_config_static_selectorELNS0_4arch9wavefront6targetE1EEEvT1_,comdat
.Lfunc_end138:
	.size	_ZN7rocprim17ROCPRIM_400000_NS6detail17trampoline_kernelINS0_14default_configENS1_25partition_config_selectorILNS1_17partition_subalgoE8EhNS0_10empty_typeEbEEZZNS1_14partition_implILS5_8ELb0ES3_jPKhPS6_PKS6_NS0_5tupleIJPhS6_EEENSE_IJSB_SB_EEENS0_18inequality_wrapperIN6hipcub16HIPCUB_304000_NS8EqualityEEEPlJS6_EEE10hipError_tPvRmT3_T4_T5_T6_T7_T9_mT8_P12ihipStream_tbDpT10_ENKUlT_T0_E_clISt17integral_constantIbLb0EES17_EEDaS12_S13_EUlS12_E_NS1_11comp_targetILNS1_3genE2ELNS1_11target_archE906ELNS1_3gpuE6ELNS1_3repE0EEENS1_30default_config_static_selectorELNS0_4arch9wavefront6targetE1EEEvT1_, .Lfunc_end138-_ZN7rocprim17ROCPRIM_400000_NS6detail17trampoline_kernelINS0_14default_configENS1_25partition_config_selectorILNS1_17partition_subalgoE8EhNS0_10empty_typeEbEEZZNS1_14partition_implILS5_8ELb0ES3_jPKhPS6_PKS6_NS0_5tupleIJPhS6_EEENSE_IJSB_SB_EEENS0_18inequality_wrapperIN6hipcub16HIPCUB_304000_NS8EqualityEEEPlJS6_EEE10hipError_tPvRmT3_T4_T5_T6_T7_T9_mT8_P12ihipStream_tbDpT10_ENKUlT_T0_E_clISt17integral_constantIbLb0EES17_EEDaS12_S13_EUlS12_E_NS1_11comp_targetILNS1_3genE2ELNS1_11target_archE906ELNS1_3gpuE6ELNS1_3repE0EEENS1_30default_config_static_selectorELNS0_4arch9wavefront6targetE1EEEvT1_
                                        ; -- End function
	.section	.AMDGPU.csdata,"",@progbits
; Kernel info:
; codeLenInByte = 0
; NumSgprs: 4
; NumVgprs: 0
; NumAgprs: 0
; TotalNumVgprs: 0
; ScratchSize: 0
; MemoryBound: 0
; FloatMode: 240
; IeeeMode: 1
; LDSByteSize: 0 bytes/workgroup (compile time only)
; SGPRBlocks: 0
; VGPRBlocks: 0
; NumSGPRsForWavesPerEU: 4
; NumVGPRsForWavesPerEU: 1
; AccumOffset: 4
; Occupancy: 8
; WaveLimiterHint : 0
; COMPUTE_PGM_RSRC2:SCRATCH_EN: 0
; COMPUTE_PGM_RSRC2:USER_SGPR: 6
; COMPUTE_PGM_RSRC2:TRAP_HANDLER: 0
; COMPUTE_PGM_RSRC2:TGID_X_EN: 1
; COMPUTE_PGM_RSRC2:TGID_Y_EN: 0
; COMPUTE_PGM_RSRC2:TGID_Z_EN: 0
; COMPUTE_PGM_RSRC2:TIDIG_COMP_CNT: 0
; COMPUTE_PGM_RSRC3_GFX90A:ACCUM_OFFSET: 0
; COMPUTE_PGM_RSRC3_GFX90A:TG_SPLIT: 0
	.section	.text._ZN7rocprim17ROCPRIM_400000_NS6detail17trampoline_kernelINS0_14default_configENS1_25partition_config_selectorILNS1_17partition_subalgoE8EhNS0_10empty_typeEbEEZZNS1_14partition_implILS5_8ELb0ES3_jPKhPS6_PKS6_NS0_5tupleIJPhS6_EEENSE_IJSB_SB_EEENS0_18inequality_wrapperIN6hipcub16HIPCUB_304000_NS8EqualityEEEPlJS6_EEE10hipError_tPvRmT3_T4_T5_T6_T7_T9_mT8_P12ihipStream_tbDpT10_ENKUlT_T0_E_clISt17integral_constantIbLb0EES17_EEDaS12_S13_EUlS12_E_NS1_11comp_targetILNS1_3genE10ELNS1_11target_archE1200ELNS1_3gpuE4ELNS1_3repE0EEENS1_30default_config_static_selectorELNS0_4arch9wavefront6targetE1EEEvT1_,"axG",@progbits,_ZN7rocprim17ROCPRIM_400000_NS6detail17trampoline_kernelINS0_14default_configENS1_25partition_config_selectorILNS1_17partition_subalgoE8EhNS0_10empty_typeEbEEZZNS1_14partition_implILS5_8ELb0ES3_jPKhPS6_PKS6_NS0_5tupleIJPhS6_EEENSE_IJSB_SB_EEENS0_18inequality_wrapperIN6hipcub16HIPCUB_304000_NS8EqualityEEEPlJS6_EEE10hipError_tPvRmT3_T4_T5_T6_T7_T9_mT8_P12ihipStream_tbDpT10_ENKUlT_T0_E_clISt17integral_constantIbLb0EES17_EEDaS12_S13_EUlS12_E_NS1_11comp_targetILNS1_3genE10ELNS1_11target_archE1200ELNS1_3gpuE4ELNS1_3repE0EEENS1_30default_config_static_selectorELNS0_4arch9wavefront6targetE1EEEvT1_,comdat
	.protected	_ZN7rocprim17ROCPRIM_400000_NS6detail17trampoline_kernelINS0_14default_configENS1_25partition_config_selectorILNS1_17partition_subalgoE8EhNS0_10empty_typeEbEEZZNS1_14partition_implILS5_8ELb0ES3_jPKhPS6_PKS6_NS0_5tupleIJPhS6_EEENSE_IJSB_SB_EEENS0_18inequality_wrapperIN6hipcub16HIPCUB_304000_NS8EqualityEEEPlJS6_EEE10hipError_tPvRmT3_T4_T5_T6_T7_T9_mT8_P12ihipStream_tbDpT10_ENKUlT_T0_E_clISt17integral_constantIbLb0EES17_EEDaS12_S13_EUlS12_E_NS1_11comp_targetILNS1_3genE10ELNS1_11target_archE1200ELNS1_3gpuE4ELNS1_3repE0EEENS1_30default_config_static_selectorELNS0_4arch9wavefront6targetE1EEEvT1_ ; -- Begin function _ZN7rocprim17ROCPRIM_400000_NS6detail17trampoline_kernelINS0_14default_configENS1_25partition_config_selectorILNS1_17partition_subalgoE8EhNS0_10empty_typeEbEEZZNS1_14partition_implILS5_8ELb0ES3_jPKhPS6_PKS6_NS0_5tupleIJPhS6_EEENSE_IJSB_SB_EEENS0_18inequality_wrapperIN6hipcub16HIPCUB_304000_NS8EqualityEEEPlJS6_EEE10hipError_tPvRmT3_T4_T5_T6_T7_T9_mT8_P12ihipStream_tbDpT10_ENKUlT_T0_E_clISt17integral_constantIbLb0EES17_EEDaS12_S13_EUlS12_E_NS1_11comp_targetILNS1_3genE10ELNS1_11target_archE1200ELNS1_3gpuE4ELNS1_3repE0EEENS1_30default_config_static_selectorELNS0_4arch9wavefront6targetE1EEEvT1_
	.globl	_ZN7rocprim17ROCPRIM_400000_NS6detail17trampoline_kernelINS0_14default_configENS1_25partition_config_selectorILNS1_17partition_subalgoE8EhNS0_10empty_typeEbEEZZNS1_14partition_implILS5_8ELb0ES3_jPKhPS6_PKS6_NS0_5tupleIJPhS6_EEENSE_IJSB_SB_EEENS0_18inequality_wrapperIN6hipcub16HIPCUB_304000_NS8EqualityEEEPlJS6_EEE10hipError_tPvRmT3_T4_T5_T6_T7_T9_mT8_P12ihipStream_tbDpT10_ENKUlT_T0_E_clISt17integral_constantIbLb0EES17_EEDaS12_S13_EUlS12_E_NS1_11comp_targetILNS1_3genE10ELNS1_11target_archE1200ELNS1_3gpuE4ELNS1_3repE0EEENS1_30default_config_static_selectorELNS0_4arch9wavefront6targetE1EEEvT1_
	.p2align	8
	.type	_ZN7rocprim17ROCPRIM_400000_NS6detail17trampoline_kernelINS0_14default_configENS1_25partition_config_selectorILNS1_17partition_subalgoE8EhNS0_10empty_typeEbEEZZNS1_14partition_implILS5_8ELb0ES3_jPKhPS6_PKS6_NS0_5tupleIJPhS6_EEENSE_IJSB_SB_EEENS0_18inequality_wrapperIN6hipcub16HIPCUB_304000_NS8EqualityEEEPlJS6_EEE10hipError_tPvRmT3_T4_T5_T6_T7_T9_mT8_P12ihipStream_tbDpT10_ENKUlT_T0_E_clISt17integral_constantIbLb0EES17_EEDaS12_S13_EUlS12_E_NS1_11comp_targetILNS1_3genE10ELNS1_11target_archE1200ELNS1_3gpuE4ELNS1_3repE0EEENS1_30default_config_static_selectorELNS0_4arch9wavefront6targetE1EEEvT1_,@function
_ZN7rocprim17ROCPRIM_400000_NS6detail17trampoline_kernelINS0_14default_configENS1_25partition_config_selectorILNS1_17partition_subalgoE8EhNS0_10empty_typeEbEEZZNS1_14partition_implILS5_8ELb0ES3_jPKhPS6_PKS6_NS0_5tupleIJPhS6_EEENSE_IJSB_SB_EEENS0_18inequality_wrapperIN6hipcub16HIPCUB_304000_NS8EqualityEEEPlJS6_EEE10hipError_tPvRmT3_T4_T5_T6_T7_T9_mT8_P12ihipStream_tbDpT10_ENKUlT_T0_E_clISt17integral_constantIbLb0EES17_EEDaS12_S13_EUlS12_E_NS1_11comp_targetILNS1_3genE10ELNS1_11target_archE1200ELNS1_3gpuE4ELNS1_3repE0EEENS1_30default_config_static_selectorELNS0_4arch9wavefront6targetE1EEEvT1_: ; @_ZN7rocprim17ROCPRIM_400000_NS6detail17trampoline_kernelINS0_14default_configENS1_25partition_config_selectorILNS1_17partition_subalgoE8EhNS0_10empty_typeEbEEZZNS1_14partition_implILS5_8ELb0ES3_jPKhPS6_PKS6_NS0_5tupleIJPhS6_EEENSE_IJSB_SB_EEENS0_18inequality_wrapperIN6hipcub16HIPCUB_304000_NS8EqualityEEEPlJS6_EEE10hipError_tPvRmT3_T4_T5_T6_T7_T9_mT8_P12ihipStream_tbDpT10_ENKUlT_T0_E_clISt17integral_constantIbLb0EES17_EEDaS12_S13_EUlS12_E_NS1_11comp_targetILNS1_3genE10ELNS1_11target_archE1200ELNS1_3gpuE4ELNS1_3repE0EEENS1_30default_config_static_selectorELNS0_4arch9wavefront6targetE1EEEvT1_
; %bb.0:
	.section	.rodata,"a",@progbits
	.p2align	6, 0x0
	.amdhsa_kernel _ZN7rocprim17ROCPRIM_400000_NS6detail17trampoline_kernelINS0_14default_configENS1_25partition_config_selectorILNS1_17partition_subalgoE8EhNS0_10empty_typeEbEEZZNS1_14partition_implILS5_8ELb0ES3_jPKhPS6_PKS6_NS0_5tupleIJPhS6_EEENSE_IJSB_SB_EEENS0_18inequality_wrapperIN6hipcub16HIPCUB_304000_NS8EqualityEEEPlJS6_EEE10hipError_tPvRmT3_T4_T5_T6_T7_T9_mT8_P12ihipStream_tbDpT10_ENKUlT_T0_E_clISt17integral_constantIbLb0EES17_EEDaS12_S13_EUlS12_E_NS1_11comp_targetILNS1_3genE10ELNS1_11target_archE1200ELNS1_3gpuE4ELNS1_3repE0EEENS1_30default_config_static_selectorELNS0_4arch9wavefront6targetE1EEEvT1_
		.amdhsa_group_segment_fixed_size 0
		.amdhsa_private_segment_fixed_size 0
		.amdhsa_kernarg_size 112
		.amdhsa_user_sgpr_count 6
		.amdhsa_user_sgpr_private_segment_buffer 1
		.amdhsa_user_sgpr_dispatch_ptr 0
		.amdhsa_user_sgpr_queue_ptr 0
		.amdhsa_user_sgpr_kernarg_segment_ptr 1
		.amdhsa_user_sgpr_dispatch_id 0
		.amdhsa_user_sgpr_flat_scratch_init 0
		.amdhsa_user_sgpr_kernarg_preload_length 0
		.amdhsa_user_sgpr_kernarg_preload_offset 0
		.amdhsa_user_sgpr_private_segment_size 0
		.amdhsa_uses_dynamic_stack 0
		.amdhsa_system_sgpr_private_segment_wavefront_offset 0
		.amdhsa_system_sgpr_workgroup_id_x 1
		.amdhsa_system_sgpr_workgroup_id_y 0
		.amdhsa_system_sgpr_workgroup_id_z 0
		.amdhsa_system_sgpr_workgroup_info 0
		.amdhsa_system_vgpr_workitem_id 0
		.amdhsa_next_free_vgpr 1
		.amdhsa_next_free_sgpr 0
		.amdhsa_accum_offset 4
		.amdhsa_reserve_vcc 0
		.amdhsa_reserve_flat_scratch 0
		.amdhsa_float_round_mode_32 0
		.amdhsa_float_round_mode_16_64 0
		.amdhsa_float_denorm_mode_32 3
		.amdhsa_float_denorm_mode_16_64 3
		.amdhsa_dx10_clamp 1
		.amdhsa_ieee_mode 1
		.amdhsa_fp16_overflow 0
		.amdhsa_tg_split 0
		.amdhsa_exception_fp_ieee_invalid_op 0
		.amdhsa_exception_fp_denorm_src 0
		.amdhsa_exception_fp_ieee_div_zero 0
		.amdhsa_exception_fp_ieee_overflow 0
		.amdhsa_exception_fp_ieee_underflow 0
		.amdhsa_exception_fp_ieee_inexact 0
		.amdhsa_exception_int_div_zero 0
	.end_amdhsa_kernel
	.section	.text._ZN7rocprim17ROCPRIM_400000_NS6detail17trampoline_kernelINS0_14default_configENS1_25partition_config_selectorILNS1_17partition_subalgoE8EhNS0_10empty_typeEbEEZZNS1_14partition_implILS5_8ELb0ES3_jPKhPS6_PKS6_NS0_5tupleIJPhS6_EEENSE_IJSB_SB_EEENS0_18inequality_wrapperIN6hipcub16HIPCUB_304000_NS8EqualityEEEPlJS6_EEE10hipError_tPvRmT3_T4_T5_T6_T7_T9_mT8_P12ihipStream_tbDpT10_ENKUlT_T0_E_clISt17integral_constantIbLb0EES17_EEDaS12_S13_EUlS12_E_NS1_11comp_targetILNS1_3genE10ELNS1_11target_archE1200ELNS1_3gpuE4ELNS1_3repE0EEENS1_30default_config_static_selectorELNS0_4arch9wavefront6targetE1EEEvT1_,"axG",@progbits,_ZN7rocprim17ROCPRIM_400000_NS6detail17trampoline_kernelINS0_14default_configENS1_25partition_config_selectorILNS1_17partition_subalgoE8EhNS0_10empty_typeEbEEZZNS1_14partition_implILS5_8ELb0ES3_jPKhPS6_PKS6_NS0_5tupleIJPhS6_EEENSE_IJSB_SB_EEENS0_18inequality_wrapperIN6hipcub16HIPCUB_304000_NS8EqualityEEEPlJS6_EEE10hipError_tPvRmT3_T4_T5_T6_T7_T9_mT8_P12ihipStream_tbDpT10_ENKUlT_T0_E_clISt17integral_constantIbLb0EES17_EEDaS12_S13_EUlS12_E_NS1_11comp_targetILNS1_3genE10ELNS1_11target_archE1200ELNS1_3gpuE4ELNS1_3repE0EEENS1_30default_config_static_selectorELNS0_4arch9wavefront6targetE1EEEvT1_,comdat
.Lfunc_end139:
	.size	_ZN7rocprim17ROCPRIM_400000_NS6detail17trampoline_kernelINS0_14default_configENS1_25partition_config_selectorILNS1_17partition_subalgoE8EhNS0_10empty_typeEbEEZZNS1_14partition_implILS5_8ELb0ES3_jPKhPS6_PKS6_NS0_5tupleIJPhS6_EEENSE_IJSB_SB_EEENS0_18inequality_wrapperIN6hipcub16HIPCUB_304000_NS8EqualityEEEPlJS6_EEE10hipError_tPvRmT3_T4_T5_T6_T7_T9_mT8_P12ihipStream_tbDpT10_ENKUlT_T0_E_clISt17integral_constantIbLb0EES17_EEDaS12_S13_EUlS12_E_NS1_11comp_targetILNS1_3genE10ELNS1_11target_archE1200ELNS1_3gpuE4ELNS1_3repE0EEENS1_30default_config_static_selectorELNS0_4arch9wavefront6targetE1EEEvT1_, .Lfunc_end139-_ZN7rocprim17ROCPRIM_400000_NS6detail17trampoline_kernelINS0_14default_configENS1_25partition_config_selectorILNS1_17partition_subalgoE8EhNS0_10empty_typeEbEEZZNS1_14partition_implILS5_8ELb0ES3_jPKhPS6_PKS6_NS0_5tupleIJPhS6_EEENSE_IJSB_SB_EEENS0_18inequality_wrapperIN6hipcub16HIPCUB_304000_NS8EqualityEEEPlJS6_EEE10hipError_tPvRmT3_T4_T5_T6_T7_T9_mT8_P12ihipStream_tbDpT10_ENKUlT_T0_E_clISt17integral_constantIbLb0EES17_EEDaS12_S13_EUlS12_E_NS1_11comp_targetILNS1_3genE10ELNS1_11target_archE1200ELNS1_3gpuE4ELNS1_3repE0EEENS1_30default_config_static_selectorELNS0_4arch9wavefront6targetE1EEEvT1_
                                        ; -- End function
	.section	.AMDGPU.csdata,"",@progbits
; Kernel info:
; codeLenInByte = 0
; NumSgprs: 4
; NumVgprs: 0
; NumAgprs: 0
; TotalNumVgprs: 0
; ScratchSize: 0
; MemoryBound: 0
; FloatMode: 240
; IeeeMode: 1
; LDSByteSize: 0 bytes/workgroup (compile time only)
; SGPRBlocks: 0
; VGPRBlocks: 0
; NumSGPRsForWavesPerEU: 4
; NumVGPRsForWavesPerEU: 1
; AccumOffset: 4
; Occupancy: 8
; WaveLimiterHint : 0
; COMPUTE_PGM_RSRC2:SCRATCH_EN: 0
; COMPUTE_PGM_RSRC2:USER_SGPR: 6
; COMPUTE_PGM_RSRC2:TRAP_HANDLER: 0
; COMPUTE_PGM_RSRC2:TGID_X_EN: 1
; COMPUTE_PGM_RSRC2:TGID_Y_EN: 0
; COMPUTE_PGM_RSRC2:TGID_Z_EN: 0
; COMPUTE_PGM_RSRC2:TIDIG_COMP_CNT: 0
; COMPUTE_PGM_RSRC3_GFX90A:ACCUM_OFFSET: 0
; COMPUTE_PGM_RSRC3_GFX90A:TG_SPLIT: 0
	.section	.text._ZN7rocprim17ROCPRIM_400000_NS6detail17trampoline_kernelINS0_14default_configENS1_25partition_config_selectorILNS1_17partition_subalgoE8EhNS0_10empty_typeEbEEZZNS1_14partition_implILS5_8ELb0ES3_jPKhPS6_PKS6_NS0_5tupleIJPhS6_EEENSE_IJSB_SB_EEENS0_18inequality_wrapperIN6hipcub16HIPCUB_304000_NS8EqualityEEEPlJS6_EEE10hipError_tPvRmT3_T4_T5_T6_T7_T9_mT8_P12ihipStream_tbDpT10_ENKUlT_T0_E_clISt17integral_constantIbLb0EES17_EEDaS12_S13_EUlS12_E_NS1_11comp_targetILNS1_3genE9ELNS1_11target_archE1100ELNS1_3gpuE3ELNS1_3repE0EEENS1_30default_config_static_selectorELNS0_4arch9wavefront6targetE1EEEvT1_,"axG",@progbits,_ZN7rocprim17ROCPRIM_400000_NS6detail17trampoline_kernelINS0_14default_configENS1_25partition_config_selectorILNS1_17partition_subalgoE8EhNS0_10empty_typeEbEEZZNS1_14partition_implILS5_8ELb0ES3_jPKhPS6_PKS6_NS0_5tupleIJPhS6_EEENSE_IJSB_SB_EEENS0_18inequality_wrapperIN6hipcub16HIPCUB_304000_NS8EqualityEEEPlJS6_EEE10hipError_tPvRmT3_T4_T5_T6_T7_T9_mT8_P12ihipStream_tbDpT10_ENKUlT_T0_E_clISt17integral_constantIbLb0EES17_EEDaS12_S13_EUlS12_E_NS1_11comp_targetILNS1_3genE9ELNS1_11target_archE1100ELNS1_3gpuE3ELNS1_3repE0EEENS1_30default_config_static_selectorELNS0_4arch9wavefront6targetE1EEEvT1_,comdat
	.protected	_ZN7rocprim17ROCPRIM_400000_NS6detail17trampoline_kernelINS0_14default_configENS1_25partition_config_selectorILNS1_17partition_subalgoE8EhNS0_10empty_typeEbEEZZNS1_14partition_implILS5_8ELb0ES3_jPKhPS6_PKS6_NS0_5tupleIJPhS6_EEENSE_IJSB_SB_EEENS0_18inequality_wrapperIN6hipcub16HIPCUB_304000_NS8EqualityEEEPlJS6_EEE10hipError_tPvRmT3_T4_T5_T6_T7_T9_mT8_P12ihipStream_tbDpT10_ENKUlT_T0_E_clISt17integral_constantIbLb0EES17_EEDaS12_S13_EUlS12_E_NS1_11comp_targetILNS1_3genE9ELNS1_11target_archE1100ELNS1_3gpuE3ELNS1_3repE0EEENS1_30default_config_static_selectorELNS0_4arch9wavefront6targetE1EEEvT1_ ; -- Begin function _ZN7rocprim17ROCPRIM_400000_NS6detail17trampoline_kernelINS0_14default_configENS1_25partition_config_selectorILNS1_17partition_subalgoE8EhNS0_10empty_typeEbEEZZNS1_14partition_implILS5_8ELb0ES3_jPKhPS6_PKS6_NS0_5tupleIJPhS6_EEENSE_IJSB_SB_EEENS0_18inequality_wrapperIN6hipcub16HIPCUB_304000_NS8EqualityEEEPlJS6_EEE10hipError_tPvRmT3_T4_T5_T6_T7_T9_mT8_P12ihipStream_tbDpT10_ENKUlT_T0_E_clISt17integral_constantIbLb0EES17_EEDaS12_S13_EUlS12_E_NS1_11comp_targetILNS1_3genE9ELNS1_11target_archE1100ELNS1_3gpuE3ELNS1_3repE0EEENS1_30default_config_static_selectorELNS0_4arch9wavefront6targetE1EEEvT1_
	.globl	_ZN7rocprim17ROCPRIM_400000_NS6detail17trampoline_kernelINS0_14default_configENS1_25partition_config_selectorILNS1_17partition_subalgoE8EhNS0_10empty_typeEbEEZZNS1_14partition_implILS5_8ELb0ES3_jPKhPS6_PKS6_NS0_5tupleIJPhS6_EEENSE_IJSB_SB_EEENS0_18inequality_wrapperIN6hipcub16HIPCUB_304000_NS8EqualityEEEPlJS6_EEE10hipError_tPvRmT3_T4_T5_T6_T7_T9_mT8_P12ihipStream_tbDpT10_ENKUlT_T0_E_clISt17integral_constantIbLb0EES17_EEDaS12_S13_EUlS12_E_NS1_11comp_targetILNS1_3genE9ELNS1_11target_archE1100ELNS1_3gpuE3ELNS1_3repE0EEENS1_30default_config_static_selectorELNS0_4arch9wavefront6targetE1EEEvT1_
	.p2align	8
	.type	_ZN7rocprim17ROCPRIM_400000_NS6detail17trampoline_kernelINS0_14default_configENS1_25partition_config_selectorILNS1_17partition_subalgoE8EhNS0_10empty_typeEbEEZZNS1_14partition_implILS5_8ELb0ES3_jPKhPS6_PKS6_NS0_5tupleIJPhS6_EEENSE_IJSB_SB_EEENS0_18inequality_wrapperIN6hipcub16HIPCUB_304000_NS8EqualityEEEPlJS6_EEE10hipError_tPvRmT3_T4_T5_T6_T7_T9_mT8_P12ihipStream_tbDpT10_ENKUlT_T0_E_clISt17integral_constantIbLb0EES17_EEDaS12_S13_EUlS12_E_NS1_11comp_targetILNS1_3genE9ELNS1_11target_archE1100ELNS1_3gpuE3ELNS1_3repE0EEENS1_30default_config_static_selectorELNS0_4arch9wavefront6targetE1EEEvT1_,@function
_ZN7rocprim17ROCPRIM_400000_NS6detail17trampoline_kernelINS0_14default_configENS1_25partition_config_selectorILNS1_17partition_subalgoE8EhNS0_10empty_typeEbEEZZNS1_14partition_implILS5_8ELb0ES3_jPKhPS6_PKS6_NS0_5tupleIJPhS6_EEENSE_IJSB_SB_EEENS0_18inequality_wrapperIN6hipcub16HIPCUB_304000_NS8EqualityEEEPlJS6_EEE10hipError_tPvRmT3_T4_T5_T6_T7_T9_mT8_P12ihipStream_tbDpT10_ENKUlT_T0_E_clISt17integral_constantIbLb0EES17_EEDaS12_S13_EUlS12_E_NS1_11comp_targetILNS1_3genE9ELNS1_11target_archE1100ELNS1_3gpuE3ELNS1_3repE0EEENS1_30default_config_static_selectorELNS0_4arch9wavefront6targetE1EEEvT1_: ; @_ZN7rocprim17ROCPRIM_400000_NS6detail17trampoline_kernelINS0_14default_configENS1_25partition_config_selectorILNS1_17partition_subalgoE8EhNS0_10empty_typeEbEEZZNS1_14partition_implILS5_8ELb0ES3_jPKhPS6_PKS6_NS0_5tupleIJPhS6_EEENSE_IJSB_SB_EEENS0_18inequality_wrapperIN6hipcub16HIPCUB_304000_NS8EqualityEEEPlJS6_EEE10hipError_tPvRmT3_T4_T5_T6_T7_T9_mT8_P12ihipStream_tbDpT10_ENKUlT_T0_E_clISt17integral_constantIbLb0EES17_EEDaS12_S13_EUlS12_E_NS1_11comp_targetILNS1_3genE9ELNS1_11target_archE1100ELNS1_3gpuE3ELNS1_3repE0EEENS1_30default_config_static_selectorELNS0_4arch9wavefront6targetE1EEEvT1_
; %bb.0:
	.section	.rodata,"a",@progbits
	.p2align	6, 0x0
	.amdhsa_kernel _ZN7rocprim17ROCPRIM_400000_NS6detail17trampoline_kernelINS0_14default_configENS1_25partition_config_selectorILNS1_17partition_subalgoE8EhNS0_10empty_typeEbEEZZNS1_14partition_implILS5_8ELb0ES3_jPKhPS6_PKS6_NS0_5tupleIJPhS6_EEENSE_IJSB_SB_EEENS0_18inequality_wrapperIN6hipcub16HIPCUB_304000_NS8EqualityEEEPlJS6_EEE10hipError_tPvRmT3_T4_T5_T6_T7_T9_mT8_P12ihipStream_tbDpT10_ENKUlT_T0_E_clISt17integral_constantIbLb0EES17_EEDaS12_S13_EUlS12_E_NS1_11comp_targetILNS1_3genE9ELNS1_11target_archE1100ELNS1_3gpuE3ELNS1_3repE0EEENS1_30default_config_static_selectorELNS0_4arch9wavefront6targetE1EEEvT1_
		.amdhsa_group_segment_fixed_size 0
		.amdhsa_private_segment_fixed_size 0
		.amdhsa_kernarg_size 112
		.amdhsa_user_sgpr_count 6
		.amdhsa_user_sgpr_private_segment_buffer 1
		.amdhsa_user_sgpr_dispatch_ptr 0
		.amdhsa_user_sgpr_queue_ptr 0
		.amdhsa_user_sgpr_kernarg_segment_ptr 1
		.amdhsa_user_sgpr_dispatch_id 0
		.amdhsa_user_sgpr_flat_scratch_init 0
		.amdhsa_user_sgpr_kernarg_preload_length 0
		.amdhsa_user_sgpr_kernarg_preload_offset 0
		.amdhsa_user_sgpr_private_segment_size 0
		.amdhsa_uses_dynamic_stack 0
		.amdhsa_system_sgpr_private_segment_wavefront_offset 0
		.amdhsa_system_sgpr_workgroup_id_x 1
		.amdhsa_system_sgpr_workgroup_id_y 0
		.amdhsa_system_sgpr_workgroup_id_z 0
		.amdhsa_system_sgpr_workgroup_info 0
		.amdhsa_system_vgpr_workitem_id 0
		.amdhsa_next_free_vgpr 1
		.amdhsa_next_free_sgpr 0
		.amdhsa_accum_offset 4
		.amdhsa_reserve_vcc 0
		.amdhsa_reserve_flat_scratch 0
		.amdhsa_float_round_mode_32 0
		.amdhsa_float_round_mode_16_64 0
		.amdhsa_float_denorm_mode_32 3
		.amdhsa_float_denorm_mode_16_64 3
		.amdhsa_dx10_clamp 1
		.amdhsa_ieee_mode 1
		.amdhsa_fp16_overflow 0
		.amdhsa_tg_split 0
		.amdhsa_exception_fp_ieee_invalid_op 0
		.amdhsa_exception_fp_denorm_src 0
		.amdhsa_exception_fp_ieee_div_zero 0
		.amdhsa_exception_fp_ieee_overflow 0
		.amdhsa_exception_fp_ieee_underflow 0
		.amdhsa_exception_fp_ieee_inexact 0
		.amdhsa_exception_int_div_zero 0
	.end_amdhsa_kernel
	.section	.text._ZN7rocprim17ROCPRIM_400000_NS6detail17trampoline_kernelINS0_14default_configENS1_25partition_config_selectorILNS1_17partition_subalgoE8EhNS0_10empty_typeEbEEZZNS1_14partition_implILS5_8ELb0ES3_jPKhPS6_PKS6_NS0_5tupleIJPhS6_EEENSE_IJSB_SB_EEENS0_18inequality_wrapperIN6hipcub16HIPCUB_304000_NS8EqualityEEEPlJS6_EEE10hipError_tPvRmT3_T4_T5_T6_T7_T9_mT8_P12ihipStream_tbDpT10_ENKUlT_T0_E_clISt17integral_constantIbLb0EES17_EEDaS12_S13_EUlS12_E_NS1_11comp_targetILNS1_3genE9ELNS1_11target_archE1100ELNS1_3gpuE3ELNS1_3repE0EEENS1_30default_config_static_selectorELNS0_4arch9wavefront6targetE1EEEvT1_,"axG",@progbits,_ZN7rocprim17ROCPRIM_400000_NS6detail17trampoline_kernelINS0_14default_configENS1_25partition_config_selectorILNS1_17partition_subalgoE8EhNS0_10empty_typeEbEEZZNS1_14partition_implILS5_8ELb0ES3_jPKhPS6_PKS6_NS0_5tupleIJPhS6_EEENSE_IJSB_SB_EEENS0_18inequality_wrapperIN6hipcub16HIPCUB_304000_NS8EqualityEEEPlJS6_EEE10hipError_tPvRmT3_T4_T5_T6_T7_T9_mT8_P12ihipStream_tbDpT10_ENKUlT_T0_E_clISt17integral_constantIbLb0EES17_EEDaS12_S13_EUlS12_E_NS1_11comp_targetILNS1_3genE9ELNS1_11target_archE1100ELNS1_3gpuE3ELNS1_3repE0EEENS1_30default_config_static_selectorELNS0_4arch9wavefront6targetE1EEEvT1_,comdat
.Lfunc_end140:
	.size	_ZN7rocprim17ROCPRIM_400000_NS6detail17trampoline_kernelINS0_14default_configENS1_25partition_config_selectorILNS1_17partition_subalgoE8EhNS0_10empty_typeEbEEZZNS1_14partition_implILS5_8ELb0ES3_jPKhPS6_PKS6_NS0_5tupleIJPhS6_EEENSE_IJSB_SB_EEENS0_18inequality_wrapperIN6hipcub16HIPCUB_304000_NS8EqualityEEEPlJS6_EEE10hipError_tPvRmT3_T4_T5_T6_T7_T9_mT8_P12ihipStream_tbDpT10_ENKUlT_T0_E_clISt17integral_constantIbLb0EES17_EEDaS12_S13_EUlS12_E_NS1_11comp_targetILNS1_3genE9ELNS1_11target_archE1100ELNS1_3gpuE3ELNS1_3repE0EEENS1_30default_config_static_selectorELNS0_4arch9wavefront6targetE1EEEvT1_, .Lfunc_end140-_ZN7rocprim17ROCPRIM_400000_NS6detail17trampoline_kernelINS0_14default_configENS1_25partition_config_selectorILNS1_17partition_subalgoE8EhNS0_10empty_typeEbEEZZNS1_14partition_implILS5_8ELb0ES3_jPKhPS6_PKS6_NS0_5tupleIJPhS6_EEENSE_IJSB_SB_EEENS0_18inequality_wrapperIN6hipcub16HIPCUB_304000_NS8EqualityEEEPlJS6_EEE10hipError_tPvRmT3_T4_T5_T6_T7_T9_mT8_P12ihipStream_tbDpT10_ENKUlT_T0_E_clISt17integral_constantIbLb0EES17_EEDaS12_S13_EUlS12_E_NS1_11comp_targetILNS1_3genE9ELNS1_11target_archE1100ELNS1_3gpuE3ELNS1_3repE0EEENS1_30default_config_static_selectorELNS0_4arch9wavefront6targetE1EEEvT1_
                                        ; -- End function
	.section	.AMDGPU.csdata,"",@progbits
; Kernel info:
; codeLenInByte = 0
; NumSgprs: 4
; NumVgprs: 0
; NumAgprs: 0
; TotalNumVgprs: 0
; ScratchSize: 0
; MemoryBound: 0
; FloatMode: 240
; IeeeMode: 1
; LDSByteSize: 0 bytes/workgroup (compile time only)
; SGPRBlocks: 0
; VGPRBlocks: 0
; NumSGPRsForWavesPerEU: 4
; NumVGPRsForWavesPerEU: 1
; AccumOffset: 4
; Occupancy: 8
; WaveLimiterHint : 0
; COMPUTE_PGM_RSRC2:SCRATCH_EN: 0
; COMPUTE_PGM_RSRC2:USER_SGPR: 6
; COMPUTE_PGM_RSRC2:TRAP_HANDLER: 0
; COMPUTE_PGM_RSRC2:TGID_X_EN: 1
; COMPUTE_PGM_RSRC2:TGID_Y_EN: 0
; COMPUTE_PGM_RSRC2:TGID_Z_EN: 0
; COMPUTE_PGM_RSRC2:TIDIG_COMP_CNT: 0
; COMPUTE_PGM_RSRC3_GFX90A:ACCUM_OFFSET: 0
; COMPUTE_PGM_RSRC3_GFX90A:TG_SPLIT: 0
	.section	.text._ZN7rocprim17ROCPRIM_400000_NS6detail17trampoline_kernelINS0_14default_configENS1_25partition_config_selectorILNS1_17partition_subalgoE8EhNS0_10empty_typeEbEEZZNS1_14partition_implILS5_8ELb0ES3_jPKhPS6_PKS6_NS0_5tupleIJPhS6_EEENSE_IJSB_SB_EEENS0_18inequality_wrapperIN6hipcub16HIPCUB_304000_NS8EqualityEEEPlJS6_EEE10hipError_tPvRmT3_T4_T5_T6_T7_T9_mT8_P12ihipStream_tbDpT10_ENKUlT_T0_E_clISt17integral_constantIbLb0EES17_EEDaS12_S13_EUlS12_E_NS1_11comp_targetILNS1_3genE8ELNS1_11target_archE1030ELNS1_3gpuE2ELNS1_3repE0EEENS1_30default_config_static_selectorELNS0_4arch9wavefront6targetE1EEEvT1_,"axG",@progbits,_ZN7rocprim17ROCPRIM_400000_NS6detail17trampoline_kernelINS0_14default_configENS1_25partition_config_selectorILNS1_17partition_subalgoE8EhNS0_10empty_typeEbEEZZNS1_14partition_implILS5_8ELb0ES3_jPKhPS6_PKS6_NS0_5tupleIJPhS6_EEENSE_IJSB_SB_EEENS0_18inequality_wrapperIN6hipcub16HIPCUB_304000_NS8EqualityEEEPlJS6_EEE10hipError_tPvRmT3_T4_T5_T6_T7_T9_mT8_P12ihipStream_tbDpT10_ENKUlT_T0_E_clISt17integral_constantIbLb0EES17_EEDaS12_S13_EUlS12_E_NS1_11comp_targetILNS1_3genE8ELNS1_11target_archE1030ELNS1_3gpuE2ELNS1_3repE0EEENS1_30default_config_static_selectorELNS0_4arch9wavefront6targetE1EEEvT1_,comdat
	.protected	_ZN7rocprim17ROCPRIM_400000_NS6detail17trampoline_kernelINS0_14default_configENS1_25partition_config_selectorILNS1_17partition_subalgoE8EhNS0_10empty_typeEbEEZZNS1_14partition_implILS5_8ELb0ES3_jPKhPS6_PKS6_NS0_5tupleIJPhS6_EEENSE_IJSB_SB_EEENS0_18inequality_wrapperIN6hipcub16HIPCUB_304000_NS8EqualityEEEPlJS6_EEE10hipError_tPvRmT3_T4_T5_T6_T7_T9_mT8_P12ihipStream_tbDpT10_ENKUlT_T0_E_clISt17integral_constantIbLb0EES17_EEDaS12_S13_EUlS12_E_NS1_11comp_targetILNS1_3genE8ELNS1_11target_archE1030ELNS1_3gpuE2ELNS1_3repE0EEENS1_30default_config_static_selectorELNS0_4arch9wavefront6targetE1EEEvT1_ ; -- Begin function _ZN7rocprim17ROCPRIM_400000_NS6detail17trampoline_kernelINS0_14default_configENS1_25partition_config_selectorILNS1_17partition_subalgoE8EhNS0_10empty_typeEbEEZZNS1_14partition_implILS5_8ELb0ES3_jPKhPS6_PKS6_NS0_5tupleIJPhS6_EEENSE_IJSB_SB_EEENS0_18inequality_wrapperIN6hipcub16HIPCUB_304000_NS8EqualityEEEPlJS6_EEE10hipError_tPvRmT3_T4_T5_T6_T7_T9_mT8_P12ihipStream_tbDpT10_ENKUlT_T0_E_clISt17integral_constantIbLb0EES17_EEDaS12_S13_EUlS12_E_NS1_11comp_targetILNS1_3genE8ELNS1_11target_archE1030ELNS1_3gpuE2ELNS1_3repE0EEENS1_30default_config_static_selectorELNS0_4arch9wavefront6targetE1EEEvT1_
	.globl	_ZN7rocprim17ROCPRIM_400000_NS6detail17trampoline_kernelINS0_14default_configENS1_25partition_config_selectorILNS1_17partition_subalgoE8EhNS0_10empty_typeEbEEZZNS1_14partition_implILS5_8ELb0ES3_jPKhPS6_PKS6_NS0_5tupleIJPhS6_EEENSE_IJSB_SB_EEENS0_18inequality_wrapperIN6hipcub16HIPCUB_304000_NS8EqualityEEEPlJS6_EEE10hipError_tPvRmT3_T4_T5_T6_T7_T9_mT8_P12ihipStream_tbDpT10_ENKUlT_T0_E_clISt17integral_constantIbLb0EES17_EEDaS12_S13_EUlS12_E_NS1_11comp_targetILNS1_3genE8ELNS1_11target_archE1030ELNS1_3gpuE2ELNS1_3repE0EEENS1_30default_config_static_selectorELNS0_4arch9wavefront6targetE1EEEvT1_
	.p2align	8
	.type	_ZN7rocprim17ROCPRIM_400000_NS6detail17trampoline_kernelINS0_14default_configENS1_25partition_config_selectorILNS1_17partition_subalgoE8EhNS0_10empty_typeEbEEZZNS1_14partition_implILS5_8ELb0ES3_jPKhPS6_PKS6_NS0_5tupleIJPhS6_EEENSE_IJSB_SB_EEENS0_18inequality_wrapperIN6hipcub16HIPCUB_304000_NS8EqualityEEEPlJS6_EEE10hipError_tPvRmT3_T4_T5_T6_T7_T9_mT8_P12ihipStream_tbDpT10_ENKUlT_T0_E_clISt17integral_constantIbLb0EES17_EEDaS12_S13_EUlS12_E_NS1_11comp_targetILNS1_3genE8ELNS1_11target_archE1030ELNS1_3gpuE2ELNS1_3repE0EEENS1_30default_config_static_selectorELNS0_4arch9wavefront6targetE1EEEvT1_,@function
_ZN7rocprim17ROCPRIM_400000_NS6detail17trampoline_kernelINS0_14default_configENS1_25partition_config_selectorILNS1_17partition_subalgoE8EhNS0_10empty_typeEbEEZZNS1_14partition_implILS5_8ELb0ES3_jPKhPS6_PKS6_NS0_5tupleIJPhS6_EEENSE_IJSB_SB_EEENS0_18inequality_wrapperIN6hipcub16HIPCUB_304000_NS8EqualityEEEPlJS6_EEE10hipError_tPvRmT3_T4_T5_T6_T7_T9_mT8_P12ihipStream_tbDpT10_ENKUlT_T0_E_clISt17integral_constantIbLb0EES17_EEDaS12_S13_EUlS12_E_NS1_11comp_targetILNS1_3genE8ELNS1_11target_archE1030ELNS1_3gpuE2ELNS1_3repE0EEENS1_30default_config_static_selectorELNS0_4arch9wavefront6targetE1EEEvT1_: ; @_ZN7rocprim17ROCPRIM_400000_NS6detail17trampoline_kernelINS0_14default_configENS1_25partition_config_selectorILNS1_17partition_subalgoE8EhNS0_10empty_typeEbEEZZNS1_14partition_implILS5_8ELb0ES3_jPKhPS6_PKS6_NS0_5tupleIJPhS6_EEENSE_IJSB_SB_EEENS0_18inequality_wrapperIN6hipcub16HIPCUB_304000_NS8EqualityEEEPlJS6_EEE10hipError_tPvRmT3_T4_T5_T6_T7_T9_mT8_P12ihipStream_tbDpT10_ENKUlT_T0_E_clISt17integral_constantIbLb0EES17_EEDaS12_S13_EUlS12_E_NS1_11comp_targetILNS1_3genE8ELNS1_11target_archE1030ELNS1_3gpuE2ELNS1_3repE0EEENS1_30default_config_static_selectorELNS0_4arch9wavefront6targetE1EEEvT1_
; %bb.0:
	.section	.rodata,"a",@progbits
	.p2align	6, 0x0
	.amdhsa_kernel _ZN7rocprim17ROCPRIM_400000_NS6detail17trampoline_kernelINS0_14default_configENS1_25partition_config_selectorILNS1_17partition_subalgoE8EhNS0_10empty_typeEbEEZZNS1_14partition_implILS5_8ELb0ES3_jPKhPS6_PKS6_NS0_5tupleIJPhS6_EEENSE_IJSB_SB_EEENS0_18inequality_wrapperIN6hipcub16HIPCUB_304000_NS8EqualityEEEPlJS6_EEE10hipError_tPvRmT3_T4_T5_T6_T7_T9_mT8_P12ihipStream_tbDpT10_ENKUlT_T0_E_clISt17integral_constantIbLb0EES17_EEDaS12_S13_EUlS12_E_NS1_11comp_targetILNS1_3genE8ELNS1_11target_archE1030ELNS1_3gpuE2ELNS1_3repE0EEENS1_30default_config_static_selectorELNS0_4arch9wavefront6targetE1EEEvT1_
		.amdhsa_group_segment_fixed_size 0
		.amdhsa_private_segment_fixed_size 0
		.amdhsa_kernarg_size 112
		.amdhsa_user_sgpr_count 6
		.amdhsa_user_sgpr_private_segment_buffer 1
		.amdhsa_user_sgpr_dispatch_ptr 0
		.amdhsa_user_sgpr_queue_ptr 0
		.amdhsa_user_sgpr_kernarg_segment_ptr 1
		.amdhsa_user_sgpr_dispatch_id 0
		.amdhsa_user_sgpr_flat_scratch_init 0
		.amdhsa_user_sgpr_kernarg_preload_length 0
		.amdhsa_user_sgpr_kernarg_preload_offset 0
		.amdhsa_user_sgpr_private_segment_size 0
		.amdhsa_uses_dynamic_stack 0
		.amdhsa_system_sgpr_private_segment_wavefront_offset 0
		.amdhsa_system_sgpr_workgroup_id_x 1
		.amdhsa_system_sgpr_workgroup_id_y 0
		.amdhsa_system_sgpr_workgroup_id_z 0
		.amdhsa_system_sgpr_workgroup_info 0
		.amdhsa_system_vgpr_workitem_id 0
		.amdhsa_next_free_vgpr 1
		.amdhsa_next_free_sgpr 0
		.amdhsa_accum_offset 4
		.amdhsa_reserve_vcc 0
		.amdhsa_reserve_flat_scratch 0
		.amdhsa_float_round_mode_32 0
		.amdhsa_float_round_mode_16_64 0
		.amdhsa_float_denorm_mode_32 3
		.amdhsa_float_denorm_mode_16_64 3
		.amdhsa_dx10_clamp 1
		.amdhsa_ieee_mode 1
		.amdhsa_fp16_overflow 0
		.amdhsa_tg_split 0
		.amdhsa_exception_fp_ieee_invalid_op 0
		.amdhsa_exception_fp_denorm_src 0
		.amdhsa_exception_fp_ieee_div_zero 0
		.amdhsa_exception_fp_ieee_overflow 0
		.amdhsa_exception_fp_ieee_underflow 0
		.amdhsa_exception_fp_ieee_inexact 0
		.amdhsa_exception_int_div_zero 0
	.end_amdhsa_kernel
	.section	.text._ZN7rocprim17ROCPRIM_400000_NS6detail17trampoline_kernelINS0_14default_configENS1_25partition_config_selectorILNS1_17partition_subalgoE8EhNS0_10empty_typeEbEEZZNS1_14partition_implILS5_8ELb0ES3_jPKhPS6_PKS6_NS0_5tupleIJPhS6_EEENSE_IJSB_SB_EEENS0_18inequality_wrapperIN6hipcub16HIPCUB_304000_NS8EqualityEEEPlJS6_EEE10hipError_tPvRmT3_T4_T5_T6_T7_T9_mT8_P12ihipStream_tbDpT10_ENKUlT_T0_E_clISt17integral_constantIbLb0EES17_EEDaS12_S13_EUlS12_E_NS1_11comp_targetILNS1_3genE8ELNS1_11target_archE1030ELNS1_3gpuE2ELNS1_3repE0EEENS1_30default_config_static_selectorELNS0_4arch9wavefront6targetE1EEEvT1_,"axG",@progbits,_ZN7rocprim17ROCPRIM_400000_NS6detail17trampoline_kernelINS0_14default_configENS1_25partition_config_selectorILNS1_17partition_subalgoE8EhNS0_10empty_typeEbEEZZNS1_14partition_implILS5_8ELb0ES3_jPKhPS6_PKS6_NS0_5tupleIJPhS6_EEENSE_IJSB_SB_EEENS0_18inequality_wrapperIN6hipcub16HIPCUB_304000_NS8EqualityEEEPlJS6_EEE10hipError_tPvRmT3_T4_T5_T6_T7_T9_mT8_P12ihipStream_tbDpT10_ENKUlT_T0_E_clISt17integral_constantIbLb0EES17_EEDaS12_S13_EUlS12_E_NS1_11comp_targetILNS1_3genE8ELNS1_11target_archE1030ELNS1_3gpuE2ELNS1_3repE0EEENS1_30default_config_static_selectorELNS0_4arch9wavefront6targetE1EEEvT1_,comdat
.Lfunc_end141:
	.size	_ZN7rocprim17ROCPRIM_400000_NS6detail17trampoline_kernelINS0_14default_configENS1_25partition_config_selectorILNS1_17partition_subalgoE8EhNS0_10empty_typeEbEEZZNS1_14partition_implILS5_8ELb0ES3_jPKhPS6_PKS6_NS0_5tupleIJPhS6_EEENSE_IJSB_SB_EEENS0_18inequality_wrapperIN6hipcub16HIPCUB_304000_NS8EqualityEEEPlJS6_EEE10hipError_tPvRmT3_T4_T5_T6_T7_T9_mT8_P12ihipStream_tbDpT10_ENKUlT_T0_E_clISt17integral_constantIbLb0EES17_EEDaS12_S13_EUlS12_E_NS1_11comp_targetILNS1_3genE8ELNS1_11target_archE1030ELNS1_3gpuE2ELNS1_3repE0EEENS1_30default_config_static_selectorELNS0_4arch9wavefront6targetE1EEEvT1_, .Lfunc_end141-_ZN7rocprim17ROCPRIM_400000_NS6detail17trampoline_kernelINS0_14default_configENS1_25partition_config_selectorILNS1_17partition_subalgoE8EhNS0_10empty_typeEbEEZZNS1_14partition_implILS5_8ELb0ES3_jPKhPS6_PKS6_NS0_5tupleIJPhS6_EEENSE_IJSB_SB_EEENS0_18inequality_wrapperIN6hipcub16HIPCUB_304000_NS8EqualityEEEPlJS6_EEE10hipError_tPvRmT3_T4_T5_T6_T7_T9_mT8_P12ihipStream_tbDpT10_ENKUlT_T0_E_clISt17integral_constantIbLb0EES17_EEDaS12_S13_EUlS12_E_NS1_11comp_targetILNS1_3genE8ELNS1_11target_archE1030ELNS1_3gpuE2ELNS1_3repE0EEENS1_30default_config_static_selectorELNS0_4arch9wavefront6targetE1EEEvT1_
                                        ; -- End function
	.section	.AMDGPU.csdata,"",@progbits
; Kernel info:
; codeLenInByte = 0
; NumSgprs: 4
; NumVgprs: 0
; NumAgprs: 0
; TotalNumVgprs: 0
; ScratchSize: 0
; MemoryBound: 0
; FloatMode: 240
; IeeeMode: 1
; LDSByteSize: 0 bytes/workgroup (compile time only)
; SGPRBlocks: 0
; VGPRBlocks: 0
; NumSGPRsForWavesPerEU: 4
; NumVGPRsForWavesPerEU: 1
; AccumOffset: 4
; Occupancy: 8
; WaveLimiterHint : 0
; COMPUTE_PGM_RSRC2:SCRATCH_EN: 0
; COMPUTE_PGM_RSRC2:USER_SGPR: 6
; COMPUTE_PGM_RSRC2:TRAP_HANDLER: 0
; COMPUTE_PGM_RSRC2:TGID_X_EN: 1
; COMPUTE_PGM_RSRC2:TGID_Y_EN: 0
; COMPUTE_PGM_RSRC2:TGID_Z_EN: 0
; COMPUTE_PGM_RSRC2:TIDIG_COMP_CNT: 0
; COMPUTE_PGM_RSRC3_GFX90A:ACCUM_OFFSET: 0
; COMPUTE_PGM_RSRC3_GFX90A:TG_SPLIT: 0
	.section	.text._ZN7rocprim17ROCPRIM_400000_NS6detail17trampoline_kernelINS0_14default_configENS1_25partition_config_selectorILNS1_17partition_subalgoE8EhNS0_10empty_typeEbEEZZNS1_14partition_implILS5_8ELb0ES3_jPKhPS6_PKS6_NS0_5tupleIJPhS6_EEENSE_IJSB_SB_EEENS0_18inequality_wrapperIN6hipcub16HIPCUB_304000_NS8EqualityEEEPlJS6_EEE10hipError_tPvRmT3_T4_T5_T6_T7_T9_mT8_P12ihipStream_tbDpT10_ENKUlT_T0_E_clISt17integral_constantIbLb1EES17_EEDaS12_S13_EUlS12_E_NS1_11comp_targetILNS1_3genE0ELNS1_11target_archE4294967295ELNS1_3gpuE0ELNS1_3repE0EEENS1_30default_config_static_selectorELNS0_4arch9wavefront6targetE1EEEvT1_,"axG",@progbits,_ZN7rocprim17ROCPRIM_400000_NS6detail17trampoline_kernelINS0_14default_configENS1_25partition_config_selectorILNS1_17partition_subalgoE8EhNS0_10empty_typeEbEEZZNS1_14partition_implILS5_8ELb0ES3_jPKhPS6_PKS6_NS0_5tupleIJPhS6_EEENSE_IJSB_SB_EEENS0_18inequality_wrapperIN6hipcub16HIPCUB_304000_NS8EqualityEEEPlJS6_EEE10hipError_tPvRmT3_T4_T5_T6_T7_T9_mT8_P12ihipStream_tbDpT10_ENKUlT_T0_E_clISt17integral_constantIbLb1EES17_EEDaS12_S13_EUlS12_E_NS1_11comp_targetILNS1_3genE0ELNS1_11target_archE4294967295ELNS1_3gpuE0ELNS1_3repE0EEENS1_30default_config_static_selectorELNS0_4arch9wavefront6targetE1EEEvT1_,comdat
	.protected	_ZN7rocprim17ROCPRIM_400000_NS6detail17trampoline_kernelINS0_14default_configENS1_25partition_config_selectorILNS1_17partition_subalgoE8EhNS0_10empty_typeEbEEZZNS1_14partition_implILS5_8ELb0ES3_jPKhPS6_PKS6_NS0_5tupleIJPhS6_EEENSE_IJSB_SB_EEENS0_18inequality_wrapperIN6hipcub16HIPCUB_304000_NS8EqualityEEEPlJS6_EEE10hipError_tPvRmT3_T4_T5_T6_T7_T9_mT8_P12ihipStream_tbDpT10_ENKUlT_T0_E_clISt17integral_constantIbLb1EES17_EEDaS12_S13_EUlS12_E_NS1_11comp_targetILNS1_3genE0ELNS1_11target_archE4294967295ELNS1_3gpuE0ELNS1_3repE0EEENS1_30default_config_static_selectorELNS0_4arch9wavefront6targetE1EEEvT1_ ; -- Begin function _ZN7rocprim17ROCPRIM_400000_NS6detail17trampoline_kernelINS0_14default_configENS1_25partition_config_selectorILNS1_17partition_subalgoE8EhNS0_10empty_typeEbEEZZNS1_14partition_implILS5_8ELb0ES3_jPKhPS6_PKS6_NS0_5tupleIJPhS6_EEENSE_IJSB_SB_EEENS0_18inequality_wrapperIN6hipcub16HIPCUB_304000_NS8EqualityEEEPlJS6_EEE10hipError_tPvRmT3_T4_T5_T6_T7_T9_mT8_P12ihipStream_tbDpT10_ENKUlT_T0_E_clISt17integral_constantIbLb1EES17_EEDaS12_S13_EUlS12_E_NS1_11comp_targetILNS1_3genE0ELNS1_11target_archE4294967295ELNS1_3gpuE0ELNS1_3repE0EEENS1_30default_config_static_selectorELNS0_4arch9wavefront6targetE1EEEvT1_
	.globl	_ZN7rocprim17ROCPRIM_400000_NS6detail17trampoline_kernelINS0_14default_configENS1_25partition_config_selectorILNS1_17partition_subalgoE8EhNS0_10empty_typeEbEEZZNS1_14partition_implILS5_8ELb0ES3_jPKhPS6_PKS6_NS0_5tupleIJPhS6_EEENSE_IJSB_SB_EEENS0_18inequality_wrapperIN6hipcub16HIPCUB_304000_NS8EqualityEEEPlJS6_EEE10hipError_tPvRmT3_T4_T5_T6_T7_T9_mT8_P12ihipStream_tbDpT10_ENKUlT_T0_E_clISt17integral_constantIbLb1EES17_EEDaS12_S13_EUlS12_E_NS1_11comp_targetILNS1_3genE0ELNS1_11target_archE4294967295ELNS1_3gpuE0ELNS1_3repE0EEENS1_30default_config_static_selectorELNS0_4arch9wavefront6targetE1EEEvT1_
	.p2align	8
	.type	_ZN7rocprim17ROCPRIM_400000_NS6detail17trampoline_kernelINS0_14default_configENS1_25partition_config_selectorILNS1_17partition_subalgoE8EhNS0_10empty_typeEbEEZZNS1_14partition_implILS5_8ELb0ES3_jPKhPS6_PKS6_NS0_5tupleIJPhS6_EEENSE_IJSB_SB_EEENS0_18inequality_wrapperIN6hipcub16HIPCUB_304000_NS8EqualityEEEPlJS6_EEE10hipError_tPvRmT3_T4_T5_T6_T7_T9_mT8_P12ihipStream_tbDpT10_ENKUlT_T0_E_clISt17integral_constantIbLb1EES17_EEDaS12_S13_EUlS12_E_NS1_11comp_targetILNS1_3genE0ELNS1_11target_archE4294967295ELNS1_3gpuE0ELNS1_3repE0EEENS1_30default_config_static_selectorELNS0_4arch9wavefront6targetE1EEEvT1_,@function
_ZN7rocprim17ROCPRIM_400000_NS6detail17trampoline_kernelINS0_14default_configENS1_25partition_config_selectorILNS1_17partition_subalgoE8EhNS0_10empty_typeEbEEZZNS1_14partition_implILS5_8ELb0ES3_jPKhPS6_PKS6_NS0_5tupleIJPhS6_EEENSE_IJSB_SB_EEENS0_18inequality_wrapperIN6hipcub16HIPCUB_304000_NS8EqualityEEEPlJS6_EEE10hipError_tPvRmT3_T4_T5_T6_T7_T9_mT8_P12ihipStream_tbDpT10_ENKUlT_T0_E_clISt17integral_constantIbLb1EES17_EEDaS12_S13_EUlS12_E_NS1_11comp_targetILNS1_3genE0ELNS1_11target_archE4294967295ELNS1_3gpuE0ELNS1_3repE0EEENS1_30default_config_static_selectorELNS0_4arch9wavefront6targetE1EEEvT1_: ; @_ZN7rocprim17ROCPRIM_400000_NS6detail17trampoline_kernelINS0_14default_configENS1_25partition_config_selectorILNS1_17partition_subalgoE8EhNS0_10empty_typeEbEEZZNS1_14partition_implILS5_8ELb0ES3_jPKhPS6_PKS6_NS0_5tupleIJPhS6_EEENSE_IJSB_SB_EEENS0_18inequality_wrapperIN6hipcub16HIPCUB_304000_NS8EqualityEEEPlJS6_EEE10hipError_tPvRmT3_T4_T5_T6_T7_T9_mT8_P12ihipStream_tbDpT10_ENKUlT_T0_E_clISt17integral_constantIbLb1EES17_EEDaS12_S13_EUlS12_E_NS1_11comp_targetILNS1_3genE0ELNS1_11target_archE4294967295ELNS1_3gpuE0ELNS1_3repE0EEENS1_30default_config_static_selectorELNS0_4arch9wavefront6targetE1EEEvT1_
; %bb.0:
	.section	.rodata,"a",@progbits
	.p2align	6, 0x0
	.amdhsa_kernel _ZN7rocprim17ROCPRIM_400000_NS6detail17trampoline_kernelINS0_14default_configENS1_25partition_config_selectorILNS1_17partition_subalgoE8EhNS0_10empty_typeEbEEZZNS1_14partition_implILS5_8ELb0ES3_jPKhPS6_PKS6_NS0_5tupleIJPhS6_EEENSE_IJSB_SB_EEENS0_18inequality_wrapperIN6hipcub16HIPCUB_304000_NS8EqualityEEEPlJS6_EEE10hipError_tPvRmT3_T4_T5_T6_T7_T9_mT8_P12ihipStream_tbDpT10_ENKUlT_T0_E_clISt17integral_constantIbLb1EES17_EEDaS12_S13_EUlS12_E_NS1_11comp_targetILNS1_3genE0ELNS1_11target_archE4294967295ELNS1_3gpuE0ELNS1_3repE0EEENS1_30default_config_static_selectorELNS0_4arch9wavefront6targetE1EEEvT1_
		.amdhsa_group_segment_fixed_size 0
		.amdhsa_private_segment_fixed_size 0
		.amdhsa_kernarg_size 128
		.amdhsa_user_sgpr_count 6
		.amdhsa_user_sgpr_private_segment_buffer 1
		.amdhsa_user_sgpr_dispatch_ptr 0
		.amdhsa_user_sgpr_queue_ptr 0
		.amdhsa_user_sgpr_kernarg_segment_ptr 1
		.amdhsa_user_sgpr_dispatch_id 0
		.amdhsa_user_sgpr_flat_scratch_init 0
		.amdhsa_user_sgpr_kernarg_preload_length 0
		.amdhsa_user_sgpr_kernarg_preload_offset 0
		.amdhsa_user_sgpr_private_segment_size 0
		.amdhsa_uses_dynamic_stack 0
		.amdhsa_system_sgpr_private_segment_wavefront_offset 0
		.amdhsa_system_sgpr_workgroup_id_x 1
		.amdhsa_system_sgpr_workgroup_id_y 0
		.amdhsa_system_sgpr_workgroup_id_z 0
		.amdhsa_system_sgpr_workgroup_info 0
		.amdhsa_system_vgpr_workitem_id 0
		.amdhsa_next_free_vgpr 1
		.amdhsa_next_free_sgpr 0
		.amdhsa_accum_offset 4
		.amdhsa_reserve_vcc 0
		.amdhsa_reserve_flat_scratch 0
		.amdhsa_float_round_mode_32 0
		.amdhsa_float_round_mode_16_64 0
		.amdhsa_float_denorm_mode_32 3
		.amdhsa_float_denorm_mode_16_64 3
		.amdhsa_dx10_clamp 1
		.amdhsa_ieee_mode 1
		.amdhsa_fp16_overflow 0
		.amdhsa_tg_split 0
		.amdhsa_exception_fp_ieee_invalid_op 0
		.amdhsa_exception_fp_denorm_src 0
		.amdhsa_exception_fp_ieee_div_zero 0
		.amdhsa_exception_fp_ieee_overflow 0
		.amdhsa_exception_fp_ieee_underflow 0
		.amdhsa_exception_fp_ieee_inexact 0
		.amdhsa_exception_int_div_zero 0
	.end_amdhsa_kernel
	.section	.text._ZN7rocprim17ROCPRIM_400000_NS6detail17trampoline_kernelINS0_14default_configENS1_25partition_config_selectorILNS1_17partition_subalgoE8EhNS0_10empty_typeEbEEZZNS1_14partition_implILS5_8ELb0ES3_jPKhPS6_PKS6_NS0_5tupleIJPhS6_EEENSE_IJSB_SB_EEENS0_18inequality_wrapperIN6hipcub16HIPCUB_304000_NS8EqualityEEEPlJS6_EEE10hipError_tPvRmT3_T4_T5_T6_T7_T9_mT8_P12ihipStream_tbDpT10_ENKUlT_T0_E_clISt17integral_constantIbLb1EES17_EEDaS12_S13_EUlS12_E_NS1_11comp_targetILNS1_3genE0ELNS1_11target_archE4294967295ELNS1_3gpuE0ELNS1_3repE0EEENS1_30default_config_static_selectorELNS0_4arch9wavefront6targetE1EEEvT1_,"axG",@progbits,_ZN7rocprim17ROCPRIM_400000_NS6detail17trampoline_kernelINS0_14default_configENS1_25partition_config_selectorILNS1_17partition_subalgoE8EhNS0_10empty_typeEbEEZZNS1_14partition_implILS5_8ELb0ES3_jPKhPS6_PKS6_NS0_5tupleIJPhS6_EEENSE_IJSB_SB_EEENS0_18inequality_wrapperIN6hipcub16HIPCUB_304000_NS8EqualityEEEPlJS6_EEE10hipError_tPvRmT3_T4_T5_T6_T7_T9_mT8_P12ihipStream_tbDpT10_ENKUlT_T0_E_clISt17integral_constantIbLb1EES17_EEDaS12_S13_EUlS12_E_NS1_11comp_targetILNS1_3genE0ELNS1_11target_archE4294967295ELNS1_3gpuE0ELNS1_3repE0EEENS1_30default_config_static_selectorELNS0_4arch9wavefront6targetE1EEEvT1_,comdat
.Lfunc_end142:
	.size	_ZN7rocprim17ROCPRIM_400000_NS6detail17trampoline_kernelINS0_14default_configENS1_25partition_config_selectorILNS1_17partition_subalgoE8EhNS0_10empty_typeEbEEZZNS1_14partition_implILS5_8ELb0ES3_jPKhPS6_PKS6_NS0_5tupleIJPhS6_EEENSE_IJSB_SB_EEENS0_18inequality_wrapperIN6hipcub16HIPCUB_304000_NS8EqualityEEEPlJS6_EEE10hipError_tPvRmT3_T4_T5_T6_T7_T9_mT8_P12ihipStream_tbDpT10_ENKUlT_T0_E_clISt17integral_constantIbLb1EES17_EEDaS12_S13_EUlS12_E_NS1_11comp_targetILNS1_3genE0ELNS1_11target_archE4294967295ELNS1_3gpuE0ELNS1_3repE0EEENS1_30default_config_static_selectorELNS0_4arch9wavefront6targetE1EEEvT1_, .Lfunc_end142-_ZN7rocprim17ROCPRIM_400000_NS6detail17trampoline_kernelINS0_14default_configENS1_25partition_config_selectorILNS1_17partition_subalgoE8EhNS0_10empty_typeEbEEZZNS1_14partition_implILS5_8ELb0ES3_jPKhPS6_PKS6_NS0_5tupleIJPhS6_EEENSE_IJSB_SB_EEENS0_18inequality_wrapperIN6hipcub16HIPCUB_304000_NS8EqualityEEEPlJS6_EEE10hipError_tPvRmT3_T4_T5_T6_T7_T9_mT8_P12ihipStream_tbDpT10_ENKUlT_T0_E_clISt17integral_constantIbLb1EES17_EEDaS12_S13_EUlS12_E_NS1_11comp_targetILNS1_3genE0ELNS1_11target_archE4294967295ELNS1_3gpuE0ELNS1_3repE0EEENS1_30default_config_static_selectorELNS0_4arch9wavefront6targetE1EEEvT1_
                                        ; -- End function
	.section	.AMDGPU.csdata,"",@progbits
; Kernel info:
; codeLenInByte = 0
; NumSgprs: 4
; NumVgprs: 0
; NumAgprs: 0
; TotalNumVgprs: 0
; ScratchSize: 0
; MemoryBound: 0
; FloatMode: 240
; IeeeMode: 1
; LDSByteSize: 0 bytes/workgroup (compile time only)
; SGPRBlocks: 0
; VGPRBlocks: 0
; NumSGPRsForWavesPerEU: 4
; NumVGPRsForWavesPerEU: 1
; AccumOffset: 4
; Occupancy: 8
; WaveLimiterHint : 0
; COMPUTE_PGM_RSRC2:SCRATCH_EN: 0
; COMPUTE_PGM_RSRC2:USER_SGPR: 6
; COMPUTE_PGM_RSRC2:TRAP_HANDLER: 0
; COMPUTE_PGM_RSRC2:TGID_X_EN: 1
; COMPUTE_PGM_RSRC2:TGID_Y_EN: 0
; COMPUTE_PGM_RSRC2:TGID_Z_EN: 0
; COMPUTE_PGM_RSRC2:TIDIG_COMP_CNT: 0
; COMPUTE_PGM_RSRC3_GFX90A:ACCUM_OFFSET: 0
; COMPUTE_PGM_RSRC3_GFX90A:TG_SPLIT: 0
	.section	.text._ZN7rocprim17ROCPRIM_400000_NS6detail17trampoline_kernelINS0_14default_configENS1_25partition_config_selectorILNS1_17partition_subalgoE8EhNS0_10empty_typeEbEEZZNS1_14partition_implILS5_8ELb0ES3_jPKhPS6_PKS6_NS0_5tupleIJPhS6_EEENSE_IJSB_SB_EEENS0_18inequality_wrapperIN6hipcub16HIPCUB_304000_NS8EqualityEEEPlJS6_EEE10hipError_tPvRmT3_T4_T5_T6_T7_T9_mT8_P12ihipStream_tbDpT10_ENKUlT_T0_E_clISt17integral_constantIbLb1EES17_EEDaS12_S13_EUlS12_E_NS1_11comp_targetILNS1_3genE5ELNS1_11target_archE942ELNS1_3gpuE9ELNS1_3repE0EEENS1_30default_config_static_selectorELNS0_4arch9wavefront6targetE1EEEvT1_,"axG",@progbits,_ZN7rocprim17ROCPRIM_400000_NS6detail17trampoline_kernelINS0_14default_configENS1_25partition_config_selectorILNS1_17partition_subalgoE8EhNS0_10empty_typeEbEEZZNS1_14partition_implILS5_8ELb0ES3_jPKhPS6_PKS6_NS0_5tupleIJPhS6_EEENSE_IJSB_SB_EEENS0_18inequality_wrapperIN6hipcub16HIPCUB_304000_NS8EqualityEEEPlJS6_EEE10hipError_tPvRmT3_T4_T5_T6_T7_T9_mT8_P12ihipStream_tbDpT10_ENKUlT_T0_E_clISt17integral_constantIbLb1EES17_EEDaS12_S13_EUlS12_E_NS1_11comp_targetILNS1_3genE5ELNS1_11target_archE942ELNS1_3gpuE9ELNS1_3repE0EEENS1_30default_config_static_selectorELNS0_4arch9wavefront6targetE1EEEvT1_,comdat
	.protected	_ZN7rocprim17ROCPRIM_400000_NS6detail17trampoline_kernelINS0_14default_configENS1_25partition_config_selectorILNS1_17partition_subalgoE8EhNS0_10empty_typeEbEEZZNS1_14partition_implILS5_8ELb0ES3_jPKhPS6_PKS6_NS0_5tupleIJPhS6_EEENSE_IJSB_SB_EEENS0_18inequality_wrapperIN6hipcub16HIPCUB_304000_NS8EqualityEEEPlJS6_EEE10hipError_tPvRmT3_T4_T5_T6_T7_T9_mT8_P12ihipStream_tbDpT10_ENKUlT_T0_E_clISt17integral_constantIbLb1EES17_EEDaS12_S13_EUlS12_E_NS1_11comp_targetILNS1_3genE5ELNS1_11target_archE942ELNS1_3gpuE9ELNS1_3repE0EEENS1_30default_config_static_selectorELNS0_4arch9wavefront6targetE1EEEvT1_ ; -- Begin function _ZN7rocprim17ROCPRIM_400000_NS6detail17trampoline_kernelINS0_14default_configENS1_25partition_config_selectorILNS1_17partition_subalgoE8EhNS0_10empty_typeEbEEZZNS1_14partition_implILS5_8ELb0ES3_jPKhPS6_PKS6_NS0_5tupleIJPhS6_EEENSE_IJSB_SB_EEENS0_18inequality_wrapperIN6hipcub16HIPCUB_304000_NS8EqualityEEEPlJS6_EEE10hipError_tPvRmT3_T4_T5_T6_T7_T9_mT8_P12ihipStream_tbDpT10_ENKUlT_T0_E_clISt17integral_constantIbLb1EES17_EEDaS12_S13_EUlS12_E_NS1_11comp_targetILNS1_3genE5ELNS1_11target_archE942ELNS1_3gpuE9ELNS1_3repE0EEENS1_30default_config_static_selectorELNS0_4arch9wavefront6targetE1EEEvT1_
	.globl	_ZN7rocprim17ROCPRIM_400000_NS6detail17trampoline_kernelINS0_14default_configENS1_25partition_config_selectorILNS1_17partition_subalgoE8EhNS0_10empty_typeEbEEZZNS1_14partition_implILS5_8ELb0ES3_jPKhPS6_PKS6_NS0_5tupleIJPhS6_EEENSE_IJSB_SB_EEENS0_18inequality_wrapperIN6hipcub16HIPCUB_304000_NS8EqualityEEEPlJS6_EEE10hipError_tPvRmT3_T4_T5_T6_T7_T9_mT8_P12ihipStream_tbDpT10_ENKUlT_T0_E_clISt17integral_constantIbLb1EES17_EEDaS12_S13_EUlS12_E_NS1_11comp_targetILNS1_3genE5ELNS1_11target_archE942ELNS1_3gpuE9ELNS1_3repE0EEENS1_30default_config_static_selectorELNS0_4arch9wavefront6targetE1EEEvT1_
	.p2align	8
	.type	_ZN7rocprim17ROCPRIM_400000_NS6detail17trampoline_kernelINS0_14default_configENS1_25partition_config_selectorILNS1_17partition_subalgoE8EhNS0_10empty_typeEbEEZZNS1_14partition_implILS5_8ELb0ES3_jPKhPS6_PKS6_NS0_5tupleIJPhS6_EEENSE_IJSB_SB_EEENS0_18inequality_wrapperIN6hipcub16HIPCUB_304000_NS8EqualityEEEPlJS6_EEE10hipError_tPvRmT3_T4_T5_T6_T7_T9_mT8_P12ihipStream_tbDpT10_ENKUlT_T0_E_clISt17integral_constantIbLb1EES17_EEDaS12_S13_EUlS12_E_NS1_11comp_targetILNS1_3genE5ELNS1_11target_archE942ELNS1_3gpuE9ELNS1_3repE0EEENS1_30default_config_static_selectorELNS0_4arch9wavefront6targetE1EEEvT1_,@function
_ZN7rocprim17ROCPRIM_400000_NS6detail17trampoline_kernelINS0_14default_configENS1_25partition_config_selectorILNS1_17partition_subalgoE8EhNS0_10empty_typeEbEEZZNS1_14partition_implILS5_8ELb0ES3_jPKhPS6_PKS6_NS0_5tupleIJPhS6_EEENSE_IJSB_SB_EEENS0_18inequality_wrapperIN6hipcub16HIPCUB_304000_NS8EqualityEEEPlJS6_EEE10hipError_tPvRmT3_T4_T5_T6_T7_T9_mT8_P12ihipStream_tbDpT10_ENKUlT_T0_E_clISt17integral_constantIbLb1EES17_EEDaS12_S13_EUlS12_E_NS1_11comp_targetILNS1_3genE5ELNS1_11target_archE942ELNS1_3gpuE9ELNS1_3repE0EEENS1_30default_config_static_selectorELNS0_4arch9wavefront6targetE1EEEvT1_: ; @_ZN7rocprim17ROCPRIM_400000_NS6detail17trampoline_kernelINS0_14default_configENS1_25partition_config_selectorILNS1_17partition_subalgoE8EhNS0_10empty_typeEbEEZZNS1_14partition_implILS5_8ELb0ES3_jPKhPS6_PKS6_NS0_5tupleIJPhS6_EEENSE_IJSB_SB_EEENS0_18inequality_wrapperIN6hipcub16HIPCUB_304000_NS8EqualityEEEPlJS6_EEE10hipError_tPvRmT3_T4_T5_T6_T7_T9_mT8_P12ihipStream_tbDpT10_ENKUlT_T0_E_clISt17integral_constantIbLb1EES17_EEDaS12_S13_EUlS12_E_NS1_11comp_targetILNS1_3genE5ELNS1_11target_archE942ELNS1_3gpuE9ELNS1_3repE0EEENS1_30default_config_static_selectorELNS0_4arch9wavefront6targetE1EEEvT1_
; %bb.0:
	.section	.rodata,"a",@progbits
	.p2align	6, 0x0
	.amdhsa_kernel _ZN7rocprim17ROCPRIM_400000_NS6detail17trampoline_kernelINS0_14default_configENS1_25partition_config_selectorILNS1_17partition_subalgoE8EhNS0_10empty_typeEbEEZZNS1_14partition_implILS5_8ELb0ES3_jPKhPS6_PKS6_NS0_5tupleIJPhS6_EEENSE_IJSB_SB_EEENS0_18inequality_wrapperIN6hipcub16HIPCUB_304000_NS8EqualityEEEPlJS6_EEE10hipError_tPvRmT3_T4_T5_T6_T7_T9_mT8_P12ihipStream_tbDpT10_ENKUlT_T0_E_clISt17integral_constantIbLb1EES17_EEDaS12_S13_EUlS12_E_NS1_11comp_targetILNS1_3genE5ELNS1_11target_archE942ELNS1_3gpuE9ELNS1_3repE0EEENS1_30default_config_static_selectorELNS0_4arch9wavefront6targetE1EEEvT1_
		.amdhsa_group_segment_fixed_size 0
		.amdhsa_private_segment_fixed_size 0
		.amdhsa_kernarg_size 128
		.amdhsa_user_sgpr_count 6
		.amdhsa_user_sgpr_private_segment_buffer 1
		.amdhsa_user_sgpr_dispatch_ptr 0
		.amdhsa_user_sgpr_queue_ptr 0
		.amdhsa_user_sgpr_kernarg_segment_ptr 1
		.amdhsa_user_sgpr_dispatch_id 0
		.amdhsa_user_sgpr_flat_scratch_init 0
		.amdhsa_user_sgpr_kernarg_preload_length 0
		.amdhsa_user_sgpr_kernarg_preload_offset 0
		.amdhsa_user_sgpr_private_segment_size 0
		.amdhsa_uses_dynamic_stack 0
		.amdhsa_system_sgpr_private_segment_wavefront_offset 0
		.amdhsa_system_sgpr_workgroup_id_x 1
		.amdhsa_system_sgpr_workgroup_id_y 0
		.amdhsa_system_sgpr_workgroup_id_z 0
		.amdhsa_system_sgpr_workgroup_info 0
		.amdhsa_system_vgpr_workitem_id 0
		.amdhsa_next_free_vgpr 1
		.amdhsa_next_free_sgpr 0
		.amdhsa_accum_offset 4
		.amdhsa_reserve_vcc 0
		.amdhsa_reserve_flat_scratch 0
		.amdhsa_float_round_mode_32 0
		.amdhsa_float_round_mode_16_64 0
		.amdhsa_float_denorm_mode_32 3
		.amdhsa_float_denorm_mode_16_64 3
		.amdhsa_dx10_clamp 1
		.amdhsa_ieee_mode 1
		.amdhsa_fp16_overflow 0
		.amdhsa_tg_split 0
		.amdhsa_exception_fp_ieee_invalid_op 0
		.amdhsa_exception_fp_denorm_src 0
		.amdhsa_exception_fp_ieee_div_zero 0
		.amdhsa_exception_fp_ieee_overflow 0
		.amdhsa_exception_fp_ieee_underflow 0
		.amdhsa_exception_fp_ieee_inexact 0
		.amdhsa_exception_int_div_zero 0
	.end_amdhsa_kernel
	.section	.text._ZN7rocprim17ROCPRIM_400000_NS6detail17trampoline_kernelINS0_14default_configENS1_25partition_config_selectorILNS1_17partition_subalgoE8EhNS0_10empty_typeEbEEZZNS1_14partition_implILS5_8ELb0ES3_jPKhPS6_PKS6_NS0_5tupleIJPhS6_EEENSE_IJSB_SB_EEENS0_18inequality_wrapperIN6hipcub16HIPCUB_304000_NS8EqualityEEEPlJS6_EEE10hipError_tPvRmT3_T4_T5_T6_T7_T9_mT8_P12ihipStream_tbDpT10_ENKUlT_T0_E_clISt17integral_constantIbLb1EES17_EEDaS12_S13_EUlS12_E_NS1_11comp_targetILNS1_3genE5ELNS1_11target_archE942ELNS1_3gpuE9ELNS1_3repE0EEENS1_30default_config_static_selectorELNS0_4arch9wavefront6targetE1EEEvT1_,"axG",@progbits,_ZN7rocprim17ROCPRIM_400000_NS6detail17trampoline_kernelINS0_14default_configENS1_25partition_config_selectorILNS1_17partition_subalgoE8EhNS0_10empty_typeEbEEZZNS1_14partition_implILS5_8ELb0ES3_jPKhPS6_PKS6_NS0_5tupleIJPhS6_EEENSE_IJSB_SB_EEENS0_18inequality_wrapperIN6hipcub16HIPCUB_304000_NS8EqualityEEEPlJS6_EEE10hipError_tPvRmT3_T4_T5_T6_T7_T9_mT8_P12ihipStream_tbDpT10_ENKUlT_T0_E_clISt17integral_constantIbLb1EES17_EEDaS12_S13_EUlS12_E_NS1_11comp_targetILNS1_3genE5ELNS1_11target_archE942ELNS1_3gpuE9ELNS1_3repE0EEENS1_30default_config_static_selectorELNS0_4arch9wavefront6targetE1EEEvT1_,comdat
.Lfunc_end143:
	.size	_ZN7rocprim17ROCPRIM_400000_NS6detail17trampoline_kernelINS0_14default_configENS1_25partition_config_selectorILNS1_17partition_subalgoE8EhNS0_10empty_typeEbEEZZNS1_14partition_implILS5_8ELb0ES3_jPKhPS6_PKS6_NS0_5tupleIJPhS6_EEENSE_IJSB_SB_EEENS0_18inequality_wrapperIN6hipcub16HIPCUB_304000_NS8EqualityEEEPlJS6_EEE10hipError_tPvRmT3_T4_T5_T6_T7_T9_mT8_P12ihipStream_tbDpT10_ENKUlT_T0_E_clISt17integral_constantIbLb1EES17_EEDaS12_S13_EUlS12_E_NS1_11comp_targetILNS1_3genE5ELNS1_11target_archE942ELNS1_3gpuE9ELNS1_3repE0EEENS1_30default_config_static_selectorELNS0_4arch9wavefront6targetE1EEEvT1_, .Lfunc_end143-_ZN7rocprim17ROCPRIM_400000_NS6detail17trampoline_kernelINS0_14default_configENS1_25partition_config_selectorILNS1_17partition_subalgoE8EhNS0_10empty_typeEbEEZZNS1_14partition_implILS5_8ELb0ES3_jPKhPS6_PKS6_NS0_5tupleIJPhS6_EEENSE_IJSB_SB_EEENS0_18inequality_wrapperIN6hipcub16HIPCUB_304000_NS8EqualityEEEPlJS6_EEE10hipError_tPvRmT3_T4_T5_T6_T7_T9_mT8_P12ihipStream_tbDpT10_ENKUlT_T0_E_clISt17integral_constantIbLb1EES17_EEDaS12_S13_EUlS12_E_NS1_11comp_targetILNS1_3genE5ELNS1_11target_archE942ELNS1_3gpuE9ELNS1_3repE0EEENS1_30default_config_static_selectorELNS0_4arch9wavefront6targetE1EEEvT1_
                                        ; -- End function
	.section	.AMDGPU.csdata,"",@progbits
; Kernel info:
; codeLenInByte = 0
; NumSgprs: 4
; NumVgprs: 0
; NumAgprs: 0
; TotalNumVgprs: 0
; ScratchSize: 0
; MemoryBound: 0
; FloatMode: 240
; IeeeMode: 1
; LDSByteSize: 0 bytes/workgroup (compile time only)
; SGPRBlocks: 0
; VGPRBlocks: 0
; NumSGPRsForWavesPerEU: 4
; NumVGPRsForWavesPerEU: 1
; AccumOffset: 4
; Occupancy: 8
; WaveLimiterHint : 0
; COMPUTE_PGM_RSRC2:SCRATCH_EN: 0
; COMPUTE_PGM_RSRC2:USER_SGPR: 6
; COMPUTE_PGM_RSRC2:TRAP_HANDLER: 0
; COMPUTE_PGM_RSRC2:TGID_X_EN: 1
; COMPUTE_PGM_RSRC2:TGID_Y_EN: 0
; COMPUTE_PGM_RSRC2:TGID_Z_EN: 0
; COMPUTE_PGM_RSRC2:TIDIG_COMP_CNT: 0
; COMPUTE_PGM_RSRC3_GFX90A:ACCUM_OFFSET: 0
; COMPUTE_PGM_RSRC3_GFX90A:TG_SPLIT: 0
	.section	.text._ZN7rocprim17ROCPRIM_400000_NS6detail17trampoline_kernelINS0_14default_configENS1_25partition_config_selectorILNS1_17partition_subalgoE8EhNS0_10empty_typeEbEEZZNS1_14partition_implILS5_8ELb0ES3_jPKhPS6_PKS6_NS0_5tupleIJPhS6_EEENSE_IJSB_SB_EEENS0_18inequality_wrapperIN6hipcub16HIPCUB_304000_NS8EqualityEEEPlJS6_EEE10hipError_tPvRmT3_T4_T5_T6_T7_T9_mT8_P12ihipStream_tbDpT10_ENKUlT_T0_E_clISt17integral_constantIbLb1EES17_EEDaS12_S13_EUlS12_E_NS1_11comp_targetILNS1_3genE4ELNS1_11target_archE910ELNS1_3gpuE8ELNS1_3repE0EEENS1_30default_config_static_selectorELNS0_4arch9wavefront6targetE1EEEvT1_,"axG",@progbits,_ZN7rocprim17ROCPRIM_400000_NS6detail17trampoline_kernelINS0_14default_configENS1_25partition_config_selectorILNS1_17partition_subalgoE8EhNS0_10empty_typeEbEEZZNS1_14partition_implILS5_8ELb0ES3_jPKhPS6_PKS6_NS0_5tupleIJPhS6_EEENSE_IJSB_SB_EEENS0_18inequality_wrapperIN6hipcub16HIPCUB_304000_NS8EqualityEEEPlJS6_EEE10hipError_tPvRmT3_T4_T5_T6_T7_T9_mT8_P12ihipStream_tbDpT10_ENKUlT_T0_E_clISt17integral_constantIbLb1EES17_EEDaS12_S13_EUlS12_E_NS1_11comp_targetILNS1_3genE4ELNS1_11target_archE910ELNS1_3gpuE8ELNS1_3repE0EEENS1_30default_config_static_selectorELNS0_4arch9wavefront6targetE1EEEvT1_,comdat
	.protected	_ZN7rocprim17ROCPRIM_400000_NS6detail17trampoline_kernelINS0_14default_configENS1_25partition_config_selectorILNS1_17partition_subalgoE8EhNS0_10empty_typeEbEEZZNS1_14partition_implILS5_8ELb0ES3_jPKhPS6_PKS6_NS0_5tupleIJPhS6_EEENSE_IJSB_SB_EEENS0_18inequality_wrapperIN6hipcub16HIPCUB_304000_NS8EqualityEEEPlJS6_EEE10hipError_tPvRmT3_T4_T5_T6_T7_T9_mT8_P12ihipStream_tbDpT10_ENKUlT_T0_E_clISt17integral_constantIbLb1EES17_EEDaS12_S13_EUlS12_E_NS1_11comp_targetILNS1_3genE4ELNS1_11target_archE910ELNS1_3gpuE8ELNS1_3repE0EEENS1_30default_config_static_selectorELNS0_4arch9wavefront6targetE1EEEvT1_ ; -- Begin function _ZN7rocprim17ROCPRIM_400000_NS6detail17trampoline_kernelINS0_14default_configENS1_25partition_config_selectorILNS1_17partition_subalgoE8EhNS0_10empty_typeEbEEZZNS1_14partition_implILS5_8ELb0ES3_jPKhPS6_PKS6_NS0_5tupleIJPhS6_EEENSE_IJSB_SB_EEENS0_18inequality_wrapperIN6hipcub16HIPCUB_304000_NS8EqualityEEEPlJS6_EEE10hipError_tPvRmT3_T4_T5_T6_T7_T9_mT8_P12ihipStream_tbDpT10_ENKUlT_T0_E_clISt17integral_constantIbLb1EES17_EEDaS12_S13_EUlS12_E_NS1_11comp_targetILNS1_3genE4ELNS1_11target_archE910ELNS1_3gpuE8ELNS1_3repE0EEENS1_30default_config_static_selectorELNS0_4arch9wavefront6targetE1EEEvT1_
	.globl	_ZN7rocprim17ROCPRIM_400000_NS6detail17trampoline_kernelINS0_14default_configENS1_25partition_config_selectorILNS1_17partition_subalgoE8EhNS0_10empty_typeEbEEZZNS1_14partition_implILS5_8ELb0ES3_jPKhPS6_PKS6_NS0_5tupleIJPhS6_EEENSE_IJSB_SB_EEENS0_18inequality_wrapperIN6hipcub16HIPCUB_304000_NS8EqualityEEEPlJS6_EEE10hipError_tPvRmT3_T4_T5_T6_T7_T9_mT8_P12ihipStream_tbDpT10_ENKUlT_T0_E_clISt17integral_constantIbLb1EES17_EEDaS12_S13_EUlS12_E_NS1_11comp_targetILNS1_3genE4ELNS1_11target_archE910ELNS1_3gpuE8ELNS1_3repE0EEENS1_30default_config_static_selectorELNS0_4arch9wavefront6targetE1EEEvT1_
	.p2align	8
	.type	_ZN7rocprim17ROCPRIM_400000_NS6detail17trampoline_kernelINS0_14default_configENS1_25partition_config_selectorILNS1_17partition_subalgoE8EhNS0_10empty_typeEbEEZZNS1_14partition_implILS5_8ELb0ES3_jPKhPS6_PKS6_NS0_5tupleIJPhS6_EEENSE_IJSB_SB_EEENS0_18inequality_wrapperIN6hipcub16HIPCUB_304000_NS8EqualityEEEPlJS6_EEE10hipError_tPvRmT3_T4_T5_T6_T7_T9_mT8_P12ihipStream_tbDpT10_ENKUlT_T0_E_clISt17integral_constantIbLb1EES17_EEDaS12_S13_EUlS12_E_NS1_11comp_targetILNS1_3genE4ELNS1_11target_archE910ELNS1_3gpuE8ELNS1_3repE0EEENS1_30default_config_static_selectorELNS0_4arch9wavefront6targetE1EEEvT1_,@function
_ZN7rocprim17ROCPRIM_400000_NS6detail17trampoline_kernelINS0_14default_configENS1_25partition_config_selectorILNS1_17partition_subalgoE8EhNS0_10empty_typeEbEEZZNS1_14partition_implILS5_8ELb0ES3_jPKhPS6_PKS6_NS0_5tupleIJPhS6_EEENSE_IJSB_SB_EEENS0_18inequality_wrapperIN6hipcub16HIPCUB_304000_NS8EqualityEEEPlJS6_EEE10hipError_tPvRmT3_T4_T5_T6_T7_T9_mT8_P12ihipStream_tbDpT10_ENKUlT_T0_E_clISt17integral_constantIbLb1EES17_EEDaS12_S13_EUlS12_E_NS1_11comp_targetILNS1_3genE4ELNS1_11target_archE910ELNS1_3gpuE8ELNS1_3repE0EEENS1_30default_config_static_selectorELNS0_4arch9wavefront6targetE1EEEvT1_: ; @_ZN7rocprim17ROCPRIM_400000_NS6detail17trampoline_kernelINS0_14default_configENS1_25partition_config_selectorILNS1_17partition_subalgoE8EhNS0_10empty_typeEbEEZZNS1_14partition_implILS5_8ELb0ES3_jPKhPS6_PKS6_NS0_5tupleIJPhS6_EEENSE_IJSB_SB_EEENS0_18inequality_wrapperIN6hipcub16HIPCUB_304000_NS8EqualityEEEPlJS6_EEE10hipError_tPvRmT3_T4_T5_T6_T7_T9_mT8_P12ihipStream_tbDpT10_ENKUlT_T0_E_clISt17integral_constantIbLb1EES17_EEDaS12_S13_EUlS12_E_NS1_11comp_targetILNS1_3genE4ELNS1_11target_archE910ELNS1_3gpuE8ELNS1_3repE0EEENS1_30default_config_static_selectorELNS0_4arch9wavefront6targetE1EEEvT1_
; %bb.0:
	s_load_dwordx2 s[24:25], s[4:5], 0x28
	s_load_dwordx4 s[20:23], s[4:5], 0x40
	s_load_dwordx2 s[6:7], s[4:5], 0x50
	s_load_dwordx2 s[26:27], s[4:5], 0x60
	v_cmp_ne_u32_e64 s[2:3], 0, v0
	v_cmp_eq_u32_e64 s[0:1], 0, v0
	s_and_saveexec_b64 s[8:9], s[0:1]
	s_cbranch_execz .LBB144_4
; %bb.1:
	s_mov_b64 s[12:13], exec
	v_mbcnt_lo_u32_b32 v1, s12, 0
	v_mbcnt_hi_u32_b32 v1, s13, v1
	v_cmp_eq_u32_e32 vcc, 0, v1
                                        ; implicit-def: $vgpr2
	s_and_saveexec_b64 s[10:11], vcc
	s_cbranch_execz .LBB144_3
; %bb.2:
	s_load_dwordx2 s[14:15], s[4:5], 0x70
	s_bcnt1_i32_b64 s12, s[12:13]
	v_mov_b32_e32 v2, 0
	v_mov_b32_e32 v3, s12
	s_waitcnt lgkmcnt(0)
	global_atomic_add v2, v2, v3, s[14:15] glc
.LBB144_3:
	s_or_b64 exec, exec, s[10:11]
	s_waitcnt vmcnt(0)
	v_readfirstlane_b32 s10, v2
	v_add_u32_e32 v1, s10, v1
	v_mov_b32_e32 v2, 0
	ds_write_b32 v2, v1
.LBB144_4:
	s_or_b64 exec, exec, s[8:9]
	v_mov_b32_e32 v1, 0
	s_load_dwordx4 s[8:11], s[4:5], 0x8
	s_load_dword s14, s[4:5], 0x68
	s_waitcnt lgkmcnt(0)
	s_barrier
	ds_read_b32 v6, v1
	s_waitcnt lgkmcnt(0)
	s_barrier
	global_load_dwordx2 v[2:3], v1, s[22:23]
	s_add_u32 s8, s8, s10
	s_addc_u32 s4, s9, s11
	s_add_i32 s9, s14, -1
	v_mov_b32_e32 v5, s7
	s_lshl_b32 s7, s9, 12
	s_lshl_b32 s5, s14, 12
	s_add_i32 s7, s10, s7
	v_mov_b32_e32 v1, s4
	s_add_u32 s4, s10, s5
	v_mov_b32_e32 v4, s6
	s_addc_u32 s5, s11, 0
	v_readfirstlane_b32 s55, v6
	v_lshlrev_b32_e32 v6, 12, v6
	v_cmp_ge_u64_e32 vcc, s[4:5], v[4:5]
	s_cmp_eq_u32 s55, s9
	v_add_co_u32_e64 v10, s[4:5], s8, v6
	v_addc_co_u32_e64 v11, s[4:5], 0, v1, s[4:5]
	s_cselect_b64 s[18:19], -1, 0
	s_and_b64 s[4:5], vcc, s[18:19]
	s_xor_b64 s[22:23], s[4:5], -1
	s_mov_b64 s[12:13], -1
	s_and_b64 vcc, exec, s[22:23]
	s_waitcnt vmcnt(0)
	v_readfirstlane_b32 s33, v2
	v_readfirstlane_b32 s54, v3
	s_cbranch_vccz .LBB144_6
; %bb.5:
	v_readfirstlane_b32 s8, v10
	v_readfirstlane_b32 s9, v11
	s_nop 4
	global_load_ubyte v1, v0, s[8:9]
	global_load_ubyte v2, v0, s[8:9] offset:128
	global_load_ubyte v3, v0, s[8:9] offset:256
	;; [unrolled: 1-line block ×31, first 2 shown]
	s_mov_b64 s[12:13], 0
	s_waitcnt vmcnt(31)
	ds_write_b8 v0, v1
	s_waitcnt vmcnt(30)
	ds_write_b8 v0, v2 offset:132
	s_waitcnt vmcnt(29)
	ds_write_b8 v0, v3 offset:264
	;; [unrolled: 2-line block ×31, first 2 shown]
	s_waitcnt lgkmcnt(0)
	s_barrier
.LBB144_6:
	s_andn2_b64 vcc, exec, s[12:13]
	s_sub_i32 s56, s6, s7
	s_cbranch_vccnz .LBB144_72
; %bb.7:
	v_cmp_gt_u32_e32 vcc, s56, v0
                                        ; implicit-def: $vgpr1
	s_and_saveexec_b64 s[6:7], vcc
	s_cbranch_execz .LBB144_9
; %bb.8:
	v_readfirstlane_b32 s8, v10
	v_readfirstlane_b32 s9, v11
	s_nop 4
	global_load_ubyte v1, v0, s[8:9]
.LBB144_9:
	s_or_b64 exec, exec, s[6:7]
	v_or_b32_e32 v2, 0x80, v0
	v_cmp_gt_u32_e32 vcc, s56, v2
                                        ; implicit-def: $vgpr3
	s_and_saveexec_b64 s[6:7], vcc
	s_cbranch_execz .LBB144_11
; %bb.10:
	v_readfirstlane_b32 s8, v10
	v_readfirstlane_b32 s9, v11
	s_nop 4
	global_load_ubyte v3, v0, s[8:9] offset:128
.LBB144_11:
	s_or_b64 exec, exec, s[6:7]
	v_or_b32_e32 v4, 0x100, v0
	v_cmp_gt_u32_e32 vcc, s56, v4
                                        ; implicit-def: $vgpr5
	s_and_saveexec_b64 s[6:7], vcc
	s_cbranch_execz .LBB144_13
; %bb.12:
	v_readfirstlane_b32 s8, v10
	v_readfirstlane_b32 s9, v11
	s_nop 4
	global_load_ubyte v5, v0, s[8:9] offset:256
.LBB144_13:
	s_or_b64 exec, exec, s[6:7]
	v_or_b32_e32 v6, 0x180, v0
	v_cmp_gt_u32_e32 vcc, s56, v6
                                        ; implicit-def: $vgpr7
	s_and_saveexec_b64 s[6:7], vcc
	s_cbranch_execz .LBB144_15
; %bb.14:
	v_readfirstlane_b32 s8, v10
	v_readfirstlane_b32 s9, v11
	s_nop 4
	global_load_ubyte v7, v0, s[8:9] offset:384
.LBB144_15:
	s_or_b64 exec, exec, s[6:7]
	v_or_b32_e32 v8, 0x200, v0
	v_cmp_gt_u32_e32 vcc, s56, v8
                                        ; implicit-def: $vgpr9
	s_and_saveexec_b64 s[6:7], vcc
	s_cbranch_execz .LBB144_17
; %bb.16:
	v_readfirstlane_b32 s8, v10
	v_readfirstlane_b32 s9, v11
	s_nop 4
	global_load_ubyte v9, v0, s[8:9] offset:512
.LBB144_17:
	s_or_b64 exec, exec, s[6:7]
	v_or_b32_e32 v12, 0x280, v0
	v_cmp_gt_u32_e32 vcc, s56, v12
                                        ; implicit-def: $vgpr13
	s_and_saveexec_b64 s[6:7], vcc
	s_cbranch_execz .LBB144_19
; %bb.18:
	v_readfirstlane_b32 s8, v10
	v_readfirstlane_b32 s9, v11
	s_nop 4
	global_load_ubyte v13, v0, s[8:9] offset:640
.LBB144_19:
	s_or_b64 exec, exec, s[6:7]
	v_or_b32_e32 v14, 0x300, v0
	v_cmp_gt_u32_e32 vcc, s56, v14
                                        ; implicit-def: $vgpr15
	s_and_saveexec_b64 s[6:7], vcc
	s_cbranch_execz .LBB144_21
; %bb.20:
	v_readfirstlane_b32 s8, v10
	v_readfirstlane_b32 s9, v11
	s_nop 4
	global_load_ubyte v15, v0, s[8:9] offset:768
.LBB144_21:
	s_or_b64 exec, exec, s[6:7]
	v_or_b32_e32 v16, 0x380, v0
	v_cmp_gt_u32_e32 vcc, s56, v16
                                        ; implicit-def: $vgpr17
	s_and_saveexec_b64 s[6:7], vcc
	s_cbranch_execz .LBB144_23
; %bb.22:
	v_readfirstlane_b32 s8, v10
	v_readfirstlane_b32 s9, v11
	s_nop 4
	global_load_ubyte v17, v0, s[8:9] offset:896
.LBB144_23:
	s_or_b64 exec, exec, s[6:7]
	v_or_b32_e32 v18, 0x400, v0
	v_cmp_gt_u32_e32 vcc, s56, v18
                                        ; implicit-def: $vgpr19
	s_and_saveexec_b64 s[6:7], vcc
	s_cbranch_execz .LBB144_25
; %bb.24:
	v_readfirstlane_b32 s8, v10
	v_readfirstlane_b32 s9, v11
	s_nop 4
	global_load_ubyte v19, v0, s[8:9] offset:1024
.LBB144_25:
	s_or_b64 exec, exec, s[6:7]
	v_or_b32_e32 v20, 0x480, v0
	v_cmp_gt_u32_e32 vcc, s56, v20
                                        ; implicit-def: $vgpr21
	s_and_saveexec_b64 s[6:7], vcc
	s_cbranch_execz .LBB144_27
; %bb.26:
	v_readfirstlane_b32 s8, v10
	v_readfirstlane_b32 s9, v11
	s_nop 4
	global_load_ubyte v21, v0, s[8:9] offset:1152
.LBB144_27:
	s_or_b64 exec, exec, s[6:7]
	v_or_b32_e32 v22, 0x500, v0
	v_cmp_gt_u32_e32 vcc, s56, v22
                                        ; implicit-def: $vgpr23
	s_and_saveexec_b64 s[6:7], vcc
	s_cbranch_execz .LBB144_29
; %bb.28:
	v_readfirstlane_b32 s8, v10
	v_readfirstlane_b32 s9, v11
	s_nop 4
	global_load_ubyte v23, v0, s[8:9] offset:1280
.LBB144_29:
	s_or_b64 exec, exec, s[6:7]
	v_or_b32_e32 v24, 0x580, v0
	v_cmp_gt_u32_e32 vcc, s56, v24
                                        ; implicit-def: $vgpr25
	s_and_saveexec_b64 s[6:7], vcc
	s_cbranch_execz .LBB144_31
; %bb.30:
	v_readfirstlane_b32 s8, v10
	v_readfirstlane_b32 s9, v11
	s_nop 4
	global_load_ubyte v25, v0, s[8:9] offset:1408
.LBB144_31:
	s_or_b64 exec, exec, s[6:7]
	v_or_b32_e32 v26, 0x600, v0
	v_cmp_gt_u32_e32 vcc, s56, v26
                                        ; implicit-def: $vgpr27
	s_and_saveexec_b64 s[6:7], vcc
	s_cbranch_execz .LBB144_33
; %bb.32:
	v_readfirstlane_b32 s8, v10
	v_readfirstlane_b32 s9, v11
	s_nop 4
	global_load_ubyte v27, v0, s[8:9] offset:1536
.LBB144_33:
	s_or_b64 exec, exec, s[6:7]
	v_or_b32_e32 v28, 0x680, v0
	v_cmp_gt_u32_e32 vcc, s56, v28
                                        ; implicit-def: $vgpr29
	s_and_saveexec_b64 s[6:7], vcc
	s_cbranch_execz .LBB144_35
; %bb.34:
	v_readfirstlane_b32 s8, v10
	v_readfirstlane_b32 s9, v11
	s_nop 4
	global_load_ubyte v29, v0, s[8:9] offset:1664
.LBB144_35:
	s_or_b64 exec, exec, s[6:7]
	v_or_b32_e32 v30, 0x700, v0
	v_cmp_gt_u32_e32 vcc, s56, v30
                                        ; implicit-def: $vgpr31
	s_and_saveexec_b64 s[6:7], vcc
	s_cbranch_execz .LBB144_37
; %bb.36:
	v_readfirstlane_b32 s8, v10
	v_readfirstlane_b32 s9, v11
	s_nop 4
	global_load_ubyte v31, v0, s[8:9] offset:1792
.LBB144_37:
	s_or_b64 exec, exec, s[6:7]
	v_or_b32_e32 v32, 0x780, v0
	v_cmp_gt_u32_e32 vcc, s56, v32
                                        ; implicit-def: $vgpr33
	s_and_saveexec_b64 s[6:7], vcc
	s_cbranch_execz .LBB144_39
; %bb.38:
	v_readfirstlane_b32 s8, v10
	v_readfirstlane_b32 s9, v11
	s_nop 4
	global_load_ubyte v33, v0, s[8:9] offset:1920
.LBB144_39:
	s_or_b64 exec, exec, s[6:7]
	v_or_b32_e32 v34, 0x800, v0
	v_cmp_gt_u32_e32 vcc, s56, v34
                                        ; implicit-def: $vgpr35
	s_and_saveexec_b64 s[6:7], vcc
	s_cbranch_execz .LBB144_41
; %bb.40:
	v_readfirstlane_b32 s8, v10
	v_readfirstlane_b32 s9, v11
	s_nop 4
	global_load_ubyte v35, v0, s[8:9] offset:2048
.LBB144_41:
	s_or_b64 exec, exec, s[6:7]
	v_or_b32_e32 v36, 0x880, v0
	v_cmp_gt_u32_e32 vcc, s56, v36
                                        ; implicit-def: $vgpr37
	s_and_saveexec_b64 s[6:7], vcc
	s_cbranch_execz .LBB144_43
; %bb.42:
	v_readfirstlane_b32 s8, v10
	v_readfirstlane_b32 s9, v11
	s_nop 4
	global_load_ubyte v37, v0, s[8:9] offset:2176
.LBB144_43:
	s_or_b64 exec, exec, s[6:7]
	v_or_b32_e32 v38, 0x900, v0
	v_cmp_gt_u32_e32 vcc, s56, v38
                                        ; implicit-def: $vgpr39
	s_and_saveexec_b64 s[6:7], vcc
	s_cbranch_execz .LBB144_45
; %bb.44:
	v_readfirstlane_b32 s8, v10
	v_readfirstlane_b32 s9, v11
	s_nop 4
	global_load_ubyte v39, v0, s[8:9] offset:2304
.LBB144_45:
	s_or_b64 exec, exec, s[6:7]
	v_or_b32_e32 v40, 0x980, v0
	v_cmp_gt_u32_e32 vcc, s56, v40
                                        ; implicit-def: $vgpr41
	s_and_saveexec_b64 s[6:7], vcc
	s_cbranch_execz .LBB144_47
; %bb.46:
	v_readfirstlane_b32 s8, v10
	v_readfirstlane_b32 s9, v11
	s_nop 4
	global_load_ubyte v41, v0, s[8:9] offset:2432
.LBB144_47:
	s_or_b64 exec, exec, s[6:7]
	v_or_b32_e32 v42, 0xa00, v0
	v_cmp_gt_u32_e32 vcc, s56, v42
                                        ; implicit-def: $vgpr43
	s_and_saveexec_b64 s[6:7], vcc
	s_cbranch_execz .LBB144_49
; %bb.48:
	v_readfirstlane_b32 s8, v10
	v_readfirstlane_b32 s9, v11
	s_nop 4
	global_load_ubyte v43, v0, s[8:9] offset:2560
.LBB144_49:
	s_or_b64 exec, exec, s[6:7]
	v_or_b32_e32 v44, 0xa80, v0
	v_cmp_gt_u32_e32 vcc, s56, v44
                                        ; implicit-def: $vgpr45
	s_and_saveexec_b64 s[6:7], vcc
	s_cbranch_execz .LBB144_51
; %bb.50:
	v_readfirstlane_b32 s8, v10
	v_readfirstlane_b32 s9, v11
	s_nop 4
	global_load_ubyte v45, v0, s[8:9] offset:2688
.LBB144_51:
	s_or_b64 exec, exec, s[6:7]
	v_or_b32_e32 v46, 0xb00, v0
	v_cmp_gt_u32_e32 vcc, s56, v46
                                        ; implicit-def: $vgpr47
	s_and_saveexec_b64 s[6:7], vcc
	s_cbranch_execz .LBB144_53
; %bb.52:
	v_readfirstlane_b32 s8, v10
	v_readfirstlane_b32 s9, v11
	s_nop 4
	global_load_ubyte v47, v0, s[8:9] offset:2816
.LBB144_53:
	s_or_b64 exec, exec, s[6:7]
	v_or_b32_e32 v48, 0xb80, v0
	v_cmp_gt_u32_e32 vcc, s56, v48
                                        ; implicit-def: $vgpr49
	s_and_saveexec_b64 s[6:7], vcc
	s_cbranch_execz .LBB144_55
; %bb.54:
	v_readfirstlane_b32 s8, v10
	v_readfirstlane_b32 s9, v11
	s_nop 4
	global_load_ubyte v49, v0, s[8:9] offset:2944
.LBB144_55:
	s_or_b64 exec, exec, s[6:7]
	v_or_b32_e32 v50, 0xc00, v0
	v_cmp_gt_u32_e32 vcc, s56, v50
                                        ; implicit-def: $vgpr51
	s_and_saveexec_b64 s[6:7], vcc
	s_cbranch_execz .LBB144_57
; %bb.56:
	v_readfirstlane_b32 s8, v10
	v_readfirstlane_b32 s9, v11
	s_nop 4
	global_load_ubyte v51, v0, s[8:9] offset:3072
.LBB144_57:
	s_or_b64 exec, exec, s[6:7]
	v_or_b32_e32 v52, 0xc80, v0
	v_cmp_gt_u32_e32 vcc, s56, v52
                                        ; implicit-def: $vgpr53
	s_and_saveexec_b64 s[6:7], vcc
	s_cbranch_execz .LBB144_59
; %bb.58:
	v_readfirstlane_b32 s8, v10
	v_readfirstlane_b32 s9, v11
	s_nop 4
	global_load_ubyte v53, v0, s[8:9] offset:3200
.LBB144_59:
	s_or_b64 exec, exec, s[6:7]
	v_or_b32_e32 v54, 0xd00, v0
	v_cmp_gt_u32_e32 vcc, s56, v54
                                        ; implicit-def: $vgpr55
	s_and_saveexec_b64 s[6:7], vcc
	s_cbranch_execz .LBB144_61
; %bb.60:
	v_readfirstlane_b32 s8, v10
	v_readfirstlane_b32 s9, v11
	s_nop 4
	global_load_ubyte v55, v0, s[8:9] offset:3328
.LBB144_61:
	s_or_b64 exec, exec, s[6:7]
	v_or_b32_e32 v56, 0xd80, v0
	v_cmp_gt_u32_e32 vcc, s56, v56
                                        ; implicit-def: $vgpr57
	s_and_saveexec_b64 s[6:7], vcc
	s_cbranch_execz .LBB144_63
; %bb.62:
	v_readfirstlane_b32 s8, v10
	v_readfirstlane_b32 s9, v11
	s_nop 4
	global_load_ubyte v57, v0, s[8:9] offset:3456
.LBB144_63:
	s_or_b64 exec, exec, s[6:7]
	v_or_b32_e32 v58, 0xe00, v0
	v_cmp_gt_u32_e32 vcc, s56, v58
                                        ; implicit-def: $vgpr59
	s_and_saveexec_b64 s[6:7], vcc
	s_cbranch_execz .LBB144_65
; %bb.64:
	v_readfirstlane_b32 s8, v10
	v_readfirstlane_b32 s9, v11
	s_nop 4
	global_load_ubyte v59, v0, s[8:9] offset:3584
.LBB144_65:
	s_or_b64 exec, exec, s[6:7]
	v_or_b32_e32 v60, 0xe80, v0
	v_cmp_gt_u32_e32 vcc, s56, v60
                                        ; implicit-def: $vgpr61
	s_and_saveexec_b64 s[6:7], vcc
	s_cbranch_execz .LBB144_67
; %bb.66:
	v_readfirstlane_b32 s8, v10
	v_readfirstlane_b32 s9, v11
	s_nop 4
	global_load_ubyte v61, v0, s[8:9] offset:3712
.LBB144_67:
	s_or_b64 exec, exec, s[6:7]
	v_or_b32_e32 v62, 0xf00, v0
	v_cmp_gt_u32_e32 vcc, s56, v62
                                        ; implicit-def: $vgpr63
	s_and_saveexec_b64 s[6:7], vcc
	s_cbranch_execz .LBB144_69
; %bb.68:
	v_readfirstlane_b32 s8, v10
	v_readfirstlane_b32 s9, v11
	s_nop 4
	global_load_ubyte v63, v0, s[8:9] offset:3840
.LBB144_69:
	s_or_b64 exec, exec, s[6:7]
	v_or_b32_e32 v64, 0xf80, v0
	v_cmp_gt_u32_e32 vcc, s56, v64
                                        ; implicit-def: $vgpr65
	s_and_saveexec_b64 s[6:7], vcc
	s_cbranch_execz .LBB144_71
; %bb.70:
	v_readfirstlane_b32 s8, v10
	v_readfirstlane_b32 s9, v11
	s_nop 4
	global_load_ubyte v65, v0, s[8:9] offset:3968
.LBB144_71:
	s_or_b64 exec, exec, s[6:7]
	s_waitcnt vmcnt(0)
	ds_write_b8 v0, v1
	v_lshrrev_b32_e32 v1, 5, v2
	v_and_b32_e32 v1, 4, v1
	v_add_u32_e32 v1, v0, v1
	ds_write_b8 v1, v3 offset:128
	v_lshrrev_b32_e32 v1, 5, v4
	v_and_b32_e32 v1, 12, v1
	v_add_u32_e32 v1, v0, v1
	ds_write_b8 v1, v5 offset:256
	;; [unrolled: 4-line block ×31, first 2 shown]
	s_waitcnt lgkmcnt(0)
	s_barrier
.LBB144_72:
	v_lshlrev_b32_e32 v12, 5, v0
	v_and_b32_e32 v1, 0x7c, v0
	v_add_u32_e32 v1, v1, v12
	ds_read2_b32 v[2:3], v1 offset0:6 offset1:7
	ds_read2_b32 v[8:9], v1 offset1:1
	ds_read2_b32 v[6:7], v1 offset0:2 offset1:3
	ds_read2_b32 v[4:5], v1 offset0:4 offset1:5
	s_cmp_lg_u32 s55, 0
	s_cselect_b64 s[16:17], -1, 0
	s_cmp_lg_u64 s[10:11], 0
	s_cselect_b64 s[8:9], -1, 0
	s_or_b64 s[8:9], s[8:9], s[16:17]
	s_waitcnt lgkmcnt(3)
	v_lshrrev_b32_e32 v24, 8, v2
	v_lshrrev_b32_e32 v23, 16, v2
	v_lshrrev_b32_e32 v22, 24, v2
	v_lshrrev_b32_e32 v21, 8, v3
	v_lshrrev_b32_e32 v20, 16, v3
	v_lshrrev_b32_e32 v1, 24, v3
	s_waitcnt lgkmcnt(2)
	v_lshrrev_b32_e32 v49, 8, v8
	v_lshrrev_b32_e32 v47, 16, v8
	v_lshrrev_b32_e32 v46, 24, v8
	v_lshrrev_b32_e32 v44, 8, v9
	v_lshrrev_b32_e32 v42, 16, v9
	v_lshrrev_b32_e32 v41, 24, v9
	;; [unrolled: 7-line block ×4, first 2 shown]
	s_mov_b64 s[6:7], 0
	s_and_b64 vcc, exec, s[8:9]
	s_barrier
	s_cbranch_vccz .LBB144_77
; %bb.73:
	global_load_ubyte v10, v[10:11], off offset:-1
	s_and_b64 vcc, exec, s[22:23]
	ds_write_b8 v0, v1
	s_cbranch_vccz .LBB144_79
; %bb.74:
	s_waitcnt vmcnt(0)
	v_mov_b32_e32 v11, v10
	s_waitcnt lgkmcnt(0)
	s_barrier
	s_and_saveexec_b64 s[6:7], s[2:3]
	s_cbranch_execz .LBB144_76
; %bb.75:
	v_add_u32_e32 v11, -1, v0
	ds_read_u8 v11, v11
.LBB144_76:
	s_or_b64 exec, exec, s[6:7]
	v_cmp_ne_u16_sdwa s[6:7], v20, v1 src0_sel:BYTE_0 src1_sel:DWORD
	v_cndmask_b32_e64 v33, 0, 1, s[6:7]
	v_cmp_ne_u16_sdwa s[6:7], v21, v20 src0_sel:BYTE_0 src1_sel:BYTE_0
	v_cndmask_b32_e64 v35, 0, 1, s[6:7]
	v_cmp_ne_u16_sdwa s[6:7], v3, v21 src0_sel:BYTE_0 src1_sel:BYTE_0
	v_cndmask_b32_e64 v38, 0, 1, s[6:7]
	v_cmp_ne_u16_sdwa s[6:7], v22, v3 src0_sel:DWORD src1_sel:BYTE_0
	v_cndmask_b32_e64 v40, 0, 1, s[6:7]
	v_cmp_ne_u16_sdwa s[6:7], v23, v22 src0_sel:BYTE_0 src1_sel:DWORD
	v_cndmask_b32_e64 v43, 0, 1, s[6:7]
	v_cmp_ne_u16_sdwa s[6:7], v24, v23 src0_sel:BYTE_0 src1_sel:BYTE_0
	v_cndmask_b32_e64 v45, 0, 1, s[6:7]
	v_cmp_ne_u16_sdwa s[6:7], v2, v24 src0_sel:BYTE_0 src1_sel:BYTE_0
	v_cndmask_b32_e64 v48, 0, 1, s[6:7]
	v_cmp_ne_u16_sdwa s[6:7], v25, v2 src0_sel:DWORD src1_sel:BYTE_0
	v_cndmask_b32_e64 v50, 0, 1, s[6:7]
	;; [unrolled: 8-line block ×7, first 2 shown]
	v_cmp_ne_u16_sdwa s[6:7], v47, v46 src0_sel:BYTE_0 src1_sel:DWORD
	v_cndmask_b32_e64 v71, 0, 1, s[6:7]
	v_cmp_ne_u16_sdwa s[6:7], v49, v47 src0_sel:BYTE_0 src1_sel:BYTE_0
	v_cndmask_b32_e64 v72, 0, 1, s[6:7]
	v_cmp_ne_u16_sdwa s[6:7], v8, v49 src0_sel:BYTE_0 src1_sel:BYTE_0
	v_cndmask_b32_e64 v73, 0, 1, s[6:7]
	s_waitcnt lgkmcnt(0)
	v_cmp_ne_u16_sdwa s[8:9], v11, v8 src0_sel:BYTE_0 src1_sel:BYTE_0
	s_branch .LBB144_83
.LBB144_77:
                                        ; implicit-def: $sgpr8_sgpr9
                                        ; implicit-def: $vgpr73
                                        ; implicit-def: $vgpr72
                                        ; implicit-def: $vgpr71
                                        ; implicit-def: $vgpr70
                                        ; implicit-def: $vgpr69
                                        ; implicit-def: $vgpr68
                                        ; implicit-def: $vgpr67
                                        ; implicit-def: $vgpr66
                                        ; implicit-def: $vgpr65
                                        ; implicit-def: $vgpr64
                                        ; implicit-def: $vgpr63
                                        ; implicit-def: $vgpr62
                                        ; implicit-def: $vgpr61
                                        ; implicit-def: $vgpr60
                                        ; implicit-def: $vgpr59
                                        ; implicit-def: $vgpr58
                                        ; implicit-def: $vgpr57
                                        ; implicit-def: $vgpr56
                                        ; implicit-def: $vgpr55
                                        ; implicit-def: $vgpr54
                                        ; implicit-def: $vgpr53
                                        ; implicit-def: $vgpr52
                                        ; implicit-def: $vgpr51
                                        ; implicit-def: $vgpr50
                                        ; implicit-def: $vgpr48
                                        ; implicit-def: $vgpr45
                                        ; implicit-def: $vgpr43
                                        ; implicit-def: $vgpr40
                                        ; implicit-def: $vgpr38
                                        ; implicit-def: $vgpr35
                                        ; implicit-def: $vgpr33
	s_branch .LBB144_84
.LBB144_78:
                                        ; implicit-def: $sgpr12
	v_mov_b32_e32 v74, s12
	s_and_saveexec_b64 s[2:3], s[6:7]
	s_cbranch_execnz .LBB144_92
	s_branch .LBB144_93
.LBB144_79:
                                        ; implicit-def: $sgpr8_sgpr9
                                        ; implicit-def: $vgpr73
                                        ; implicit-def: $vgpr72
                                        ; implicit-def: $vgpr71
                                        ; implicit-def: $vgpr70
                                        ; implicit-def: $vgpr69
                                        ; implicit-def: $vgpr68
                                        ; implicit-def: $vgpr67
                                        ; implicit-def: $vgpr66
                                        ; implicit-def: $vgpr65
                                        ; implicit-def: $vgpr64
                                        ; implicit-def: $vgpr63
                                        ; implicit-def: $vgpr62
                                        ; implicit-def: $vgpr61
                                        ; implicit-def: $vgpr60
                                        ; implicit-def: $vgpr59
                                        ; implicit-def: $vgpr58
                                        ; implicit-def: $vgpr57
                                        ; implicit-def: $vgpr56
                                        ; implicit-def: $vgpr55
                                        ; implicit-def: $vgpr54
                                        ; implicit-def: $vgpr53
                                        ; implicit-def: $vgpr52
                                        ; implicit-def: $vgpr51
                                        ; implicit-def: $vgpr50
                                        ; implicit-def: $vgpr48
                                        ; implicit-def: $vgpr45
                                        ; implicit-def: $vgpr43
                                        ; implicit-def: $vgpr40
                                        ; implicit-def: $vgpr38
                                        ; implicit-def: $vgpr35
                                        ; implicit-def: $vgpr33
	s_cbranch_execz .LBB144_83
; %bb.80:
	s_waitcnt lgkmcnt(0)
	s_barrier
	s_and_saveexec_b64 s[6:7], s[2:3]
	s_cbranch_execz .LBB144_82
; %bb.81:
	s_waitcnt vmcnt(0)
	v_add_u32_e32 v10, -1, v0
	ds_read_u8 v10, v10
.LBB144_82:
	s_or_b64 exec, exec, s[6:7]
	v_or_b32_e32 v11, 31, v12
	v_cmp_gt_u32_e32 vcc, s56, v11
	v_cmp_ne_u16_sdwa s[6:7], v20, v1 src0_sel:BYTE_0 src1_sel:BYTE_0
	s_and_b64 s[6:7], vcc, s[6:7]
	v_or_b32_e32 v11, 30, v12
	v_cndmask_b32_e64 v33, 0, 1, s[6:7]
	v_cmp_gt_u32_e32 vcc, s56, v11
	v_cmp_ne_u16_sdwa s[6:7], v21, v20 src0_sel:BYTE_0 src1_sel:BYTE_0
	s_and_b64 s[6:7], vcc, s[6:7]
	v_or_b32_e32 v11, 29, v12
	v_cndmask_b32_e64 v35, 0, 1, s[6:7]
	;; [unrolled: 5-line block ×30, first 2 shown]
	v_cmp_gt_u32_e32 vcc, s56, v11
	v_cmp_ne_u16_sdwa s[6:7], v8, v49 src0_sel:BYTE_0 src1_sel:BYTE_0
	s_and_b64 s[6:7], vcc, s[6:7]
	v_cndmask_b32_e64 v73, 0, 1, s[6:7]
	v_cmp_gt_u32_e32 vcc, s56, v12
	s_waitcnt vmcnt(0) lgkmcnt(0)
	v_cmp_ne_u16_sdwa s[6:7], v10, v8 src0_sel:BYTE_0 src1_sel:BYTE_0
	s_and_b64 s[8:9], vcc, s[6:7]
.LBB144_83:
	s_mov_b64 s[6:7], -1
	s_cbranch_execnz .LBB144_78
.LBB144_84:
	s_and_b64 vcc, exec, s[22:23]
	v_cmp_ne_u16_sdwa s[50:51], v21, v20 src0_sel:BYTE_0 src1_sel:BYTE_0
	v_cmp_ne_u16_sdwa s[52:53], v3, v21 src0_sel:BYTE_0 src1_sel:BYTE_0
	;; [unrolled: 1-line block ×16, first 2 shown]
	ds_write_b8 v0, v1
	s_cbranch_vccz .LBB144_88
; %bb.85:
	v_cndmask_b32_e64 v35, 0, 1, s[50:51]
	v_cmp_ne_u16_sdwa s[50:51], v22, v3 src0_sel:DWORD src1_sel:BYTE_0
	v_cndmask_b32_e64 v45, 0, 1, s[46:47]
	v_cmp_ne_u16_sdwa s[46:47], v25, v2 src0_sel:DWORD src1_sel:BYTE_0
	;; [unrolled: 2-line block ×7, first 2 shown]
	v_cmp_ne_u16_sdwa s[58:59], v20, v1 src0_sel:BYTE_0 src1_sel:DWORD
	v_cndmask_b32_e64 v40, 0, 1, s[50:51]
	v_cmp_ne_u16_sdwa s[50:51], v23, v22 src0_sel:BYTE_0 src1_sel:DWORD
	v_cndmask_b32_e64 v50, 0, 1, s[46:47]
	;; [unrolled: 2-line block ×8, first 2 shown]
	v_cndmask_b32_e64 v38, 0, 1, s[52:53]
	v_cndmask_b32_e64 v43, 0, 1, s[50:51]
	;; [unrolled: 1-line block ×16, first 2 shown]
	s_waitcnt lgkmcnt(0)
	s_barrier
	s_waitcnt lgkmcnt(0)
                                        ; implicit-def: $sgpr8_sgpr9
	s_and_saveexec_b64 s[10:11], s[2:3]
	s_xor_b64 s[10:11], exec, s[10:11]
	s_cbranch_execz .LBB144_87
; %bb.86:
	s_waitcnt vmcnt(0)
	v_add_u32_e32 v10, -1, v0
	ds_read_u8 v10, v10
	s_or_b64 s[6:7], s[6:7], exec
	s_waitcnt lgkmcnt(0)
	v_cmp_ne_u16_sdwa s[8:9], v10, v8 src0_sel:DWORD src1_sel:BYTE_0
	s_and_b64 s[8:9], s[8:9], exec
.LBB144_87:
	s_or_b64 exec, exec, s[10:11]
	s_mov_b32 s12, 1
	s_branch .LBB144_91
.LBB144_88:
                                        ; implicit-def: $sgpr8_sgpr9
                                        ; implicit-def: $vgpr73
                                        ; implicit-def: $vgpr72
                                        ; implicit-def: $vgpr71
                                        ; implicit-def: $vgpr70
                                        ; implicit-def: $vgpr69
                                        ; implicit-def: $vgpr68
                                        ; implicit-def: $vgpr67
                                        ; implicit-def: $vgpr66
                                        ; implicit-def: $vgpr65
                                        ; implicit-def: $vgpr64
                                        ; implicit-def: $vgpr63
                                        ; implicit-def: $vgpr62
                                        ; implicit-def: $vgpr61
                                        ; implicit-def: $vgpr60
                                        ; implicit-def: $vgpr59
                                        ; implicit-def: $vgpr58
                                        ; implicit-def: $vgpr57
                                        ; implicit-def: $vgpr56
                                        ; implicit-def: $vgpr55
                                        ; implicit-def: $vgpr54
                                        ; implicit-def: $vgpr53
                                        ; implicit-def: $vgpr52
                                        ; implicit-def: $vgpr51
                                        ; implicit-def: $vgpr50
                                        ; implicit-def: $vgpr48
                                        ; implicit-def: $vgpr45
                                        ; implicit-def: $vgpr43
                                        ; implicit-def: $vgpr40
                                        ; implicit-def: $vgpr38
                                        ; implicit-def: $vgpr35
                                        ; implicit-def: $vgpr33
                                        ; implicit-def: $sgpr12
	s_cbranch_execz .LBB144_91
; %bb.89:
	s_waitcnt vmcnt(0)
	v_or_b32_e32 v10, 31, v12
	v_cmp_gt_u32_e32 vcc, s56, v10
	v_cmp_ne_u16_sdwa s[8:9], v20, v1 src0_sel:BYTE_0 src1_sel:BYTE_0
	s_and_b64 s[8:9], vcc, s[8:9]
	v_or_b32_e32 v10, 30, v12
	v_cndmask_b32_e64 v33, 0, 1, s[8:9]
	v_cmp_gt_u32_e32 vcc, s56, v10
	v_cmp_ne_u16_sdwa s[8:9], v21, v20 src0_sel:BYTE_0 src1_sel:BYTE_0
	s_and_b64 s[8:9], vcc, s[8:9]
	v_or_b32_e32 v10, 29, v12
	v_cndmask_b32_e64 v35, 0, 1, s[8:9]
	;; [unrolled: 5-line block ×30, first 2 shown]
	v_cmp_gt_u32_e32 vcc, s56, v10
	v_cmp_ne_u16_sdwa s[8:9], v8, v49 src0_sel:BYTE_0 src1_sel:BYTE_0
	s_and_b64 s[8:9], vcc, s[8:9]
	s_mov_b32 s12, 1
	v_cndmask_b32_e64 v73, 0, 1, s[8:9]
	s_waitcnt lgkmcnt(0)
	s_barrier
	s_waitcnt lgkmcnt(0)
                                        ; implicit-def: $sgpr8_sgpr9
	s_and_saveexec_b64 s[10:11], s[2:3]
	s_cbranch_execz .LBB144_317
; %bb.90:
	v_add_u32_e32 v10, -1, v0
	ds_read_u8 v10, v10
	v_cmp_gt_u32_e32 vcc, s56, v12
	s_or_b64 s[6:7], s[6:7], exec
	s_waitcnt lgkmcnt(0)
	v_and_b32_e32 v10, 0xff, v10
	v_cmp_ne_u16_sdwa s[2:3], v10, v8 src0_sel:DWORD src1_sel:BYTE_0
	s_and_b64 s[2:3], vcc, s[2:3]
	s_and_b64 s[8:9], s[2:3], exec
	s_or_b64 exec, exec, s[10:11]
.LBB144_91:
	v_mov_b32_e32 v74, s12
	s_and_saveexec_b64 s[2:3], s[6:7]
.LBB144_92:
	v_cndmask_b32_e64 v74, 0, 1, s[8:9]
.LBB144_93:
	s_or_b64 exec, exec, s[2:3]
	s_andn2_b64 vcc, exec, s[4:5]
	s_cbranch_vccnz .LBB144_95
; %bb.94:
	v_cmp_gt_u32_e32 vcc, s56, v12
	s_waitcnt vmcnt(0)
	v_or_b32_e32 v10, 1, v12
	v_cndmask_b32_e32 v74, 0, v74, vcc
	v_cmp_gt_u32_e32 vcc, s56, v10
	v_or_b32_e32 v10, 2, v12
	v_cndmask_b32_e32 v73, 0, v73, vcc
	v_cmp_gt_u32_e32 vcc, s56, v10
	;; [unrolled: 3-line block ×31, first 2 shown]
	v_cndmask_b32_e32 v33, 0, v33, vcc
.LBB144_95:
	s_waitcnt vmcnt(0)
	v_mbcnt_lo_u32_b32 v10, -1, 0
	v_mbcnt_hi_u32_b32 v85, -1, v10
	v_and_b32_e32 v10, 15, v85
	v_cmp_eq_u32_e64 s[12:13], 0, v10
	v_cmp_lt_u32_e64 s[10:11], 1, v10
	v_cmp_lt_u32_e64 s[8:9], 3, v10
	;; [unrolled: 1-line block ×3, first 2 shown]
	v_and_b32_e32 v10, 16, v85
	v_cmp_eq_u32_e64 s[4:5], 0, v10
	v_or_b32_e32 v10, 63, v0
	v_and_b32_e32 v113, 0xff, v40
	v_and_b32_e32 v114, 0xff, v38
	v_cmp_eq_u32_e64 s[2:3], v10, v0
	v_add_u32_sdwa v10, v35, v33 dst_sel:DWORD dst_unused:UNUSED_PAD src0_sel:BYTE_0 src1_sel:BYTE_0
	v_and_b32_e32 v111, 0xff, v45
	v_and_b32_e32 v112, 0xff, v43
	v_add3_u32 v10, v10, v114, v113
	v_and_b32_e32 v109, 0xff, v50
	v_and_b32_e32 v110, 0xff, v48
	v_add3_u32 v10, v10, v112, v111
	;; [unrolled: 3-line block ×12, first 2 shown]
	v_add3_u32 v10, v10, v76, v75
	v_and_b32_e32 v86, 0xff, v72
	v_and_b32_e32 v87, 0xff, v71
	v_add3_u32 v10, v10, v87, v86
	v_and_b32_e32 v88, 0xff, v74
	v_and_b32_e32 v89, 0xff, v73
	v_add3_u32 v91, v10, v89, v88
	v_cmp_lt_u32_e64 s[14:15], 31, v85
	s_and_b64 vcc, exec, s[16:17]
	v_lshrrev_b32_e32 v90, 6, v0
	s_waitcnt lgkmcnt(0)
	s_barrier
	s_cbranch_vccz .LBB144_126
; %bb.96:
	v_mov_b32_dpp v10, v91 row_shr:1 row_mask:0xf bank_mask:0xf
	v_cndmask_b32_e64 v10, v10, 0, s[12:13]
	v_add_u32_e32 v10, v10, v91
	s_nop 1
	v_mov_b32_dpp v11, v10 row_shr:2 row_mask:0xf bank_mask:0xf
	v_cndmask_b32_e64 v11, 0, v11, s[10:11]
	v_add_u32_e32 v10, v10, v11
	s_nop 1
	;; [unrolled: 4-line block ×4, first 2 shown]
	v_mov_b32_dpp v11, v10 row_bcast:15 row_mask:0xf bank_mask:0xf
	v_cndmask_b32_e64 v11, v11, 0, s[4:5]
	v_add_u32_e32 v10, v10, v11
	s_nop 1
	v_mov_b32_dpp v11, v10 row_bcast:31 row_mask:0xf bank_mask:0xf
	v_cndmask_b32_e64 v11, 0, v11, s[14:15]
	v_add_u32_e32 v10, v10, v11
	s_and_saveexec_b64 s[16:17], s[2:3]
	s_cbranch_execz .LBB144_98
; %bb.97:
	v_lshlrev_b32_e32 v11, 2, v90
	ds_write_b32 v11, v10
.LBB144_98:
	s_or_b64 exec, exec, s[16:17]
	v_cmp_gt_u32_e32 vcc, 2, v0
	s_waitcnt lgkmcnt(0)
	s_barrier
	s_and_saveexec_b64 s[16:17], vcc
	s_cbranch_execz .LBB144_100
; %bb.99:
	v_lshlrev_b32_e32 v11, 2, v0
	ds_read_b32 v12, v11
	v_bfe_i32 v13, v85, 0, 1
	s_waitcnt lgkmcnt(0)
	v_mov_b32_dpp v14, v12 row_shr:1 row_mask:0xf bank_mask:0xf
	v_and_b32_e32 v13, v13, v14
	v_add_u32_e32 v12, v13, v12
	ds_write_b32 v11, v12
.LBB144_100:
	s_or_b64 exec, exec, s[16:17]
	v_cmp_gt_u32_e32 vcc, 64, v0
	v_cmp_lt_u32_e64 s[16:17], 63, v0
	s_waitcnt lgkmcnt(0)
	s_barrier
	s_waitcnt lgkmcnt(0)
                                        ; implicit-def: $vgpr92
	s_and_saveexec_b64 s[28:29], s[16:17]
	s_cbranch_execz .LBB144_102
; %bb.101:
	v_lshl_add_u32 v11, v90, 2, -4
	ds_read_b32 v92, v11
	s_waitcnt lgkmcnt(0)
	v_add_u32_e32 v10, v92, v10
.LBB144_102:
	s_or_b64 exec, exec, s[28:29]
	v_add_u32_e32 v11, -1, v85
	v_and_b32_e32 v12, 64, v85
	v_cmp_lt_i32_e64 s[16:17], v11, v12
	v_cndmask_b32_e64 v11, v11, v85, s[16:17]
	v_lshlrev_b32_e32 v11, 2, v11
	ds_bpermute_b32 v93, v11, v10
	v_cmp_eq_u32_e64 s[16:17], 0, v85
	s_and_saveexec_b64 s[28:29], vcc
	s_cbranch_execz .LBB144_125
; %bb.103:
	v_mov_b32_e32 v19, 0
	ds_read_b32 v10, v19 offset:4
	s_and_saveexec_b64 s[30:31], s[16:17]
	s_cbranch_execz .LBB144_105
; %bb.104:
	s_add_i32 s34, s55, 64
	s_mov_b32 s35, 0
	s_lshl_b64 s[34:35], s[34:35], 3
	s_add_u32 s34, s26, s34
	v_mov_b32_e32 v11, 1
	s_addc_u32 s35, s27, s35
	s_waitcnt lgkmcnt(0)
	global_store_dwordx2 v19, v[10:11], s[34:35]
.LBB144_105:
	s_or_b64 exec, exec, s[30:31]
	v_xad_u32 v12, v85, -1, s55
	v_add_u32_e32 v18, 64, v12
	v_lshlrev_b64 v[14:15], 3, v[18:19]
	v_mov_b32_e32 v11, s27
	v_add_co_u32_e32 v14, vcc, s26, v14
	v_addc_co_u32_e32 v15, vcc, v11, v15, vcc
	global_load_dwordx2 v[16:17], v[14:15], off glc
	s_waitcnt vmcnt(0)
	v_cmp_eq_u16_sdwa s[34:35], v17, v19 src0_sel:BYTE_0 src1_sel:DWORD
	s_and_saveexec_b64 s[30:31], s[34:35]
	s_cbranch_execz .LBB144_111
; %bb.106:
	s_mov_b32 s36, 1
	s_mov_b64 s[34:35], 0
	v_mov_b32_e32 v11, 0
.LBB144_107:                            ; =>This Loop Header: Depth=1
                                        ;     Child Loop BB144_108 Depth 2
	s_max_u32 s37, s36, 1
.LBB144_108:                            ;   Parent Loop BB144_107 Depth=1
                                        ; =>  This Inner Loop Header: Depth=2
	s_add_i32 s37, s37, -1
	s_cmp_eq_u32 s37, 0
	s_sleep 1
	s_cbranch_scc0 .LBB144_108
; %bb.109:                              ;   in Loop: Header=BB144_107 Depth=1
	global_load_dwordx2 v[16:17], v[14:15], off glc
	s_cmp_lt_u32 s36, 32
	s_cselect_b64 s[38:39], -1, 0
	s_cmp_lg_u64 s[38:39], 0
	s_addc_u32 s36, s36, 0
	s_waitcnt vmcnt(0)
	v_cmp_ne_u16_sdwa s[38:39], v17, v11 src0_sel:BYTE_0 src1_sel:DWORD
	s_or_b64 s[34:35], s[38:39], s[34:35]
	s_andn2_b64 exec, exec, s[34:35]
	s_cbranch_execnz .LBB144_107
; %bb.110:
	s_or_b64 exec, exec, s[34:35]
.LBB144_111:
	s_or_b64 exec, exec, s[30:31]
	v_and_b32_e32 v95, 63, v85
	v_mov_b32_e32 v94, 2
	v_cmp_ne_u32_e32 vcc, 63, v95
	v_cmp_eq_u16_sdwa s[30:31], v17, v94 src0_sel:BYTE_0 src1_sel:DWORD
	v_lshlrev_b64 v[14:15], v85, -1
	v_addc_co_u32_e32 v18, vcc, 0, v85, vcc
	v_and_b32_e32 v11, s31, v15
	v_lshlrev_b32_e32 v96, 2, v18
	v_or_b32_e32 v11, 0x80000000, v11
	ds_bpermute_b32 v18, v96, v16
	v_and_b32_e32 v13, s30, v14
	v_ffbl_b32_e32 v11, v11
	v_add_u32_e32 v11, 32, v11
	v_ffbl_b32_e32 v13, v13
	v_min_u32_e32 v11, v13, v11
	v_cmp_lt_u32_e32 vcc, v95, v11
	s_waitcnt lgkmcnt(0)
	v_cndmask_b32_e32 v13, 0, v18, vcc
	v_cmp_gt_u32_e32 vcc, 62, v95
	v_add_u32_e32 v13, v13, v16
	v_cndmask_b32_e64 v16, 0, 1, vcc
	v_lshlrev_b32_e32 v16, 1, v16
	v_add_lshl_u32 v97, v16, v85, 2
	ds_bpermute_b32 v16, v97, v13
	v_add_u32_e32 v98, 2, v95
	v_cmp_le_u32_e32 vcc, v98, v11
	v_add_u32_e32 v116, 4, v95
	v_add_u32_e32 v118, 8, v95
	s_waitcnt lgkmcnt(0)
	v_cndmask_b32_e32 v16, 0, v16, vcc
	v_cmp_gt_u32_e32 vcc, 60, v95
	v_add_u32_e32 v13, v13, v16
	v_cndmask_b32_e64 v16, 0, 1, vcc
	v_lshlrev_b32_e32 v16, 2, v16
	v_add_lshl_u32 v115, v16, v85, 2
	ds_bpermute_b32 v16, v115, v13
	v_cmp_le_u32_e32 vcc, v116, v11
	v_add_u32_e32 v120, 16, v95
	v_add_u32_e32 v122, 32, v95
	s_waitcnt lgkmcnt(0)
	v_cndmask_b32_e32 v16, 0, v16, vcc
	v_cmp_gt_u32_e32 vcc, 56, v95
	v_add_u32_e32 v13, v13, v16
	v_cndmask_b32_e64 v16, 0, 1, vcc
	v_lshlrev_b32_e32 v16, 3, v16
	v_add_lshl_u32 v117, v16, v85, 2
	ds_bpermute_b32 v16, v117, v13
	v_cmp_le_u32_e32 vcc, v118, v11
	s_waitcnt lgkmcnt(0)
	v_cndmask_b32_e32 v16, 0, v16, vcc
	v_cmp_gt_u32_e32 vcc, 48, v95
	v_add_u32_e32 v13, v13, v16
	v_cndmask_b32_e64 v16, 0, 1, vcc
	v_lshlrev_b32_e32 v16, 4, v16
	v_add_lshl_u32 v119, v16, v85, 2
	ds_bpermute_b32 v16, v119, v13
	v_cmp_le_u32_e32 vcc, v120, v11
	;; [unrolled: 9-line block ×3, first 2 shown]
	s_waitcnt lgkmcnt(0)
	v_cndmask_b32_e32 v11, 0, v16, vcc
	v_add_u32_e32 v16, v13, v11
	v_mov_b32_e32 v13, 0
	s_branch .LBB144_113
.LBB144_112:                            ;   in Loop: Header=BB144_113 Depth=1
	s_or_b64 exec, exec, s[30:31]
	v_cmp_eq_u16_sdwa s[30:31], v17, v94 src0_sel:BYTE_0 src1_sel:DWORD
	v_and_b32_e32 v18, s31, v15
	v_or_b32_e32 v18, 0x80000000, v18
	ds_bpermute_b32 v123, v96, v16
	v_and_b32_e32 v19, s30, v14
	v_ffbl_b32_e32 v18, v18
	v_add_u32_e32 v18, 32, v18
	v_ffbl_b32_e32 v19, v19
	v_min_u32_e32 v18, v19, v18
	v_cmp_lt_u32_e32 vcc, v95, v18
	s_waitcnt lgkmcnt(0)
	v_cndmask_b32_e32 v19, 0, v123, vcc
	v_add_u32_e32 v16, v19, v16
	ds_bpermute_b32 v19, v97, v16
	v_cmp_le_u32_e32 vcc, v98, v18
	v_subrev_u32_e32 v12, 64, v12
	s_waitcnt lgkmcnt(0)
	v_cndmask_b32_e32 v19, 0, v19, vcc
	v_add_u32_e32 v16, v16, v19
	ds_bpermute_b32 v19, v115, v16
	v_cmp_le_u32_e32 vcc, v116, v18
	s_waitcnt lgkmcnt(0)
	v_cndmask_b32_e32 v19, 0, v19, vcc
	v_add_u32_e32 v16, v16, v19
	ds_bpermute_b32 v19, v117, v16
	v_cmp_le_u32_e32 vcc, v118, v18
	;; [unrolled: 5-line block ×4, first 2 shown]
	s_waitcnt lgkmcnt(0)
	v_cndmask_b32_e32 v18, 0, v19, vcc
	v_add3_u32 v16, v18, v11, v16
.LBB144_113:                            ; =>This Loop Header: Depth=1
                                        ;     Child Loop BB144_116 Depth 2
                                        ;       Child Loop BB144_117 Depth 3
	v_cmp_ne_u16_sdwa s[30:31], v17, v94 src0_sel:BYTE_0 src1_sel:DWORD
	v_cndmask_b32_e64 v11, 0, 1, s[30:31]
	;;#ASMSTART
	;;#ASMEND
	v_cmp_ne_u32_e32 vcc, 0, v11
	s_cmp_lg_u64 vcc, exec
	v_mov_b32_e32 v11, v16
	s_cbranch_scc1 .LBB144_120
; %bb.114:                              ;   in Loop: Header=BB144_113 Depth=1
	v_lshlrev_b64 v[16:17], 3, v[12:13]
	v_mov_b32_e32 v19, s27
	v_add_co_u32_e32 v18, vcc, s26, v16
	v_addc_co_u32_e32 v19, vcc, v19, v17, vcc
	global_load_dwordx2 v[16:17], v[18:19], off glc
	s_waitcnt vmcnt(0)
	v_cmp_eq_u16_sdwa s[34:35], v17, v13 src0_sel:BYTE_0 src1_sel:DWORD
	s_and_saveexec_b64 s[30:31], s[34:35]
	s_cbranch_execz .LBB144_112
; %bb.115:                              ;   in Loop: Header=BB144_113 Depth=1
	s_mov_b32 s36, 1
	s_mov_b64 s[34:35], 0
.LBB144_116:                            ;   Parent Loop BB144_113 Depth=1
                                        ; =>  This Loop Header: Depth=2
                                        ;       Child Loop BB144_117 Depth 3
	s_max_u32 s37, s36, 1
.LBB144_117:                            ;   Parent Loop BB144_113 Depth=1
                                        ;     Parent Loop BB144_116 Depth=2
                                        ; =>    This Inner Loop Header: Depth=3
	s_add_i32 s37, s37, -1
	s_cmp_eq_u32 s37, 0
	s_sleep 1
	s_cbranch_scc0 .LBB144_117
; %bb.118:                              ;   in Loop: Header=BB144_116 Depth=2
	global_load_dwordx2 v[16:17], v[18:19], off glc
	s_cmp_lt_u32 s36, 32
	s_cselect_b64 s[38:39], -1, 0
	s_cmp_lg_u64 s[38:39], 0
	s_addc_u32 s36, s36, 0
	s_waitcnt vmcnt(0)
	v_cmp_ne_u16_sdwa s[38:39], v17, v13 src0_sel:BYTE_0 src1_sel:DWORD
	s_or_b64 s[34:35], s[38:39], s[34:35]
	s_andn2_b64 exec, exec, s[34:35]
	s_cbranch_execnz .LBB144_116
; %bb.119:                              ;   in Loop: Header=BB144_113 Depth=1
	s_or_b64 exec, exec, s[34:35]
	s_branch .LBB144_112
.LBB144_120:                            ;   in Loop: Header=BB144_113 Depth=1
                                        ; implicit-def: $vgpr16
                                        ; implicit-def: $vgpr17
	s_cbranch_execz .LBB144_113
; %bb.121:
	s_and_saveexec_b64 s[30:31], s[16:17]
	s_cbranch_execz .LBB144_123
; %bb.122:
	s_add_i32 s34, s55, 64
	s_mov_b32 s35, 0
	s_lshl_b64 s[34:35], s[34:35], 3
	s_add_u32 s34, s26, s34
	v_add_u32_e32 v12, v11, v10
	v_mov_b32_e32 v13, 2
	s_addc_u32 s35, s27, s35
	v_mov_b32_e32 v14, 0
	global_store_dwordx2 v14, v[12:13], s[34:35]
	ds_write_b64 v14, v[10:11] offset:4224
.LBB144_123:
	s_or_b64 exec, exec, s[30:31]
	s_and_b64 exec, exec, s[0:1]
	s_cbranch_execz .LBB144_125
; %bb.124:
	v_mov_b32_e32 v10, 0
	ds_write_b32 v10, v11 offset:4
.LBB144_125:
	s_or_b64 exec, exec, s[28:29]
	v_mov_b32_e32 v10, 0
	s_waitcnt lgkmcnt(0)
	s_barrier
	ds_read_b32 v11, v10 offset:4
	s_waitcnt lgkmcnt(0)
	s_barrier
	ds_read_b64 v[16:17], v10 offset:4224
	v_cndmask_b32_e64 v10, v93, v92, s[16:17]
	v_cndmask_b32_e64 v10, v10, 0, s[0:1]
	v_add_u32_e32 v95, v11, v10
	s_branch .LBB144_136
.LBB144_126:
                                        ; implicit-def: $vgpr17
                                        ; implicit-def: $vgpr95
	s_cbranch_execz .LBB144_136
; %bb.127:
	v_mov_b32_dpp v10, v91 row_shr:1 row_mask:0xf bank_mask:0xf
	v_cndmask_b32_e64 v10, v10, 0, s[12:13]
	v_add_u32_e32 v10, v10, v91
	s_nop 1
	v_mov_b32_dpp v11, v10 row_shr:2 row_mask:0xf bank_mask:0xf
	v_cndmask_b32_e64 v11, 0, v11, s[10:11]
	v_add_u32_e32 v10, v10, v11
	s_nop 1
	;; [unrolled: 4-line block ×4, first 2 shown]
	v_mov_b32_dpp v11, v10 row_bcast:15 row_mask:0xf bank_mask:0xf
	v_cndmask_b32_e64 v11, v11, 0, s[4:5]
	v_add_u32_e32 v10, v10, v11
	s_nop 1
	v_mov_b32_dpp v11, v10 row_bcast:31 row_mask:0xf bank_mask:0xf
	v_cndmask_b32_e64 v11, 0, v11, s[14:15]
	v_add_u32_e32 v10, v10, v11
	s_and_saveexec_b64 s[4:5], s[2:3]
	s_cbranch_execz .LBB144_129
; %bb.128:
	v_lshlrev_b32_e32 v11, 2, v90
	ds_write_b32 v11, v10
.LBB144_129:
	s_or_b64 exec, exec, s[4:5]
	v_cmp_gt_u32_e32 vcc, 2, v0
	s_waitcnt lgkmcnt(0)
	s_barrier
	s_and_saveexec_b64 s[2:3], vcc
	s_cbranch_execz .LBB144_131
; %bb.130:
	v_lshlrev_b32_e32 v11, 2, v0
	ds_read_b32 v12, v11
	v_bfe_i32 v13, v85, 0, 1
	s_waitcnt lgkmcnt(0)
	v_mov_b32_dpp v14, v12 row_shr:1 row_mask:0xf bank_mask:0xf
	v_and_b32_e32 v13, v13, v14
	v_add_u32_e32 v12, v13, v12
	ds_write_b32 v11, v12
.LBB144_131:
	s_or_b64 exec, exec, s[2:3]
	v_cmp_lt_u32_e32 vcc, 63, v0
	v_mov_b32_e32 v12, 0
	v_mov_b32_e32 v11, 0
	s_waitcnt lgkmcnt(0)
	s_barrier
	s_and_saveexec_b64 s[2:3], vcc
	s_cbranch_execz .LBB144_133
; %bb.132:
	v_lshl_add_u32 v11, v90, 2, -4
	ds_read_b32 v11, v11
.LBB144_133:
	s_or_b64 exec, exec, s[2:3]
	v_add_u32_e32 v13, -1, v85
	v_and_b32_e32 v14, 64, v85
	v_cmp_lt_i32_e32 vcc, v13, v14
	v_cndmask_b32_e32 v13, v13, v85, vcc
	s_waitcnt lgkmcnt(0)
	v_add_u32_e32 v10, v11, v10
	v_lshlrev_b32_e32 v13, 2, v13
	ds_bpermute_b32 v10, v13, v10
	ds_read_b32 v16, v12 offset:4
	s_and_saveexec_b64 s[2:3], s[0:1]
	s_cbranch_execz .LBB144_135
; %bb.134:
	v_mov_b32_e32 v12, 0
	v_mov_b32_e32 v17, 2
	s_waitcnt lgkmcnt(0)
	global_store_dwordx2 v12, v[16:17], s[26:27] offset:512
.LBB144_135:
	s_or_b64 exec, exec, s[2:3]
	v_cmp_eq_u32_e32 vcc, 0, v85
	s_waitcnt lgkmcnt(1)
	v_cndmask_b32_e32 v10, v10, v11, vcc
	v_mov_b32_e32 v17, 0
	v_cndmask_b32_e64 v95, v10, 0, s[0:1]
	s_waitcnt lgkmcnt(0)
	s_barrier
.LBB144_136:
	v_add_u32_e32 v98, v95, v88
	v_add_u32_e32 v97, v98, v89
	;; [unrolled: 1-line block ×29, first 2 shown]
	s_movk_i32 s2, 0x81
	v_add_u32_e32 v11, v12, v114
	s_waitcnt lgkmcnt(0)
	v_cmp_gt_u32_e32 vcc, s2, v16
	v_add_u32_sdwa v10, v11, v35 dst_sel:DWORD dst_unused:UNUSED_PAD src0_sel:DWORD src1_sel:BYTE_0
	s_mov_b64 s[2:3], -1
	s_cbranch_vccnz .LBB144_140
; %bb.137:
	s_and_b64 vcc, exec, s[2:3]
	s_cbranch_vccnz .LBB144_237
.LBB144_138:
	s_and_b64 s[0:1], s[0:1], s[18:19]
	s_and_saveexec_b64 s[2:3], s[0:1]
	s_cbranch_execnz .LBB144_316
.LBB144_139:
	s_endpgm
.LBB144_140:
	v_add_u32_e32 v99, v17, v16
	v_cmp_lt_u32_e32 vcc, v95, v99
	s_or_b64 s[4:5], s[22:23], vcc
	s_and_saveexec_b64 s[2:3], s[4:5]
	s_cbranch_execz .LBB144_143
; %bb.141:
	v_and_b32_e32 v100, 1, v74
	v_cmp_eq_u32_e32 vcc, 1, v100
	s_and_b64 exec, exec, vcc
	s_cbranch_execz .LBB144_143
; %bb.142:
	s_add_u32 s4, s24, s33
	s_addc_u32 s5, s25, s54
	global_store_byte v95, v8, s[4:5]
.LBB144_143:
	s_or_b64 exec, exec, s[2:3]
	v_cmp_lt_u32_e32 vcc, v98, v99
	s_or_b64 s[4:5], s[22:23], vcc
	s_and_saveexec_b64 s[2:3], s[4:5]
	s_cbranch_execz .LBB144_146
; %bb.144:
	v_and_b32_e32 v100, 1, v73
	v_cmp_eq_u32_e32 vcc, 1, v100
	s_and_b64 exec, exec, vcc
	s_cbranch_execz .LBB144_146
; %bb.145:
	s_add_u32 s4, s24, s33
	s_addc_u32 s5, s25, s54
	global_store_byte v98, v49, s[4:5]
.LBB144_146:
	s_or_b64 exec, exec, s[2:3]
	;; [unrolled: 15-line block ×32, first 2 shown]
	s_branch .LBB144_138
.LBB144_237:
	v_and_b32_e32 v74, 1, v74
	v_cmp_eq_u32_e32 vcc, 1, v74
	s_and_saveexec_b64 s[2:3], vcc
	s_cbranch_execz .LBB144_239
; %bb.238:
	v_sub_u32_e32 v74, v95, v17
	ds_write_b8 v74, v8
.LBB144_239:
	s_or_b64 exec, exec, s[2:3]
	v_and_b32_e32 v8, 1, v73
	v_cmp_eq_u32_e32 vcc, 1, v8
	s_and_saveexec_b64 s[2:3], vcc
	s_cbranch_execz .LBB144_241
; %bb.240:
	v_sub_u32_e32 v8, v98, v17
	ds_write_b8 v8, v49
.LBB144_241:
	s_or_b64 exec, exec, s[2:3]
	;; [unrolled: 9-line block ×32, first 2 shown]
	v_cmp_lt_u32_e32 vcc, v0, v16
	s_waitcnt lgkmcnt(0)
	s_barrier
	s_and_saveexec_b64 s[4:5], vcc
	s_cbranch_execz .LBB144_315
; %bb.302:
	v_mov_b32_e32 v1, s25
	v_add_co_u32_e32 v2, vcc, s24, v17
	v_addc_co_u32_e32 v1, vcc, 0, v1, vcc
	v_mov_b32_e32 v3, s54
	v_add_co_u32_e32 v18, vcc, s33, v2
	v_addc_co_u32_e32 v19, vcc, v1, v3, vcc
	v_xad_u32 v1, v0, -1, v16
	s_movk_i32 s2, 0xb80
	v_cmp_gt_u32_e32 vcc, s2, v1
	s_movk_i32 s2, 0xb7f
	v_cmp_lt_u32_e64 s[2:3], s2, v1
	s_and_saveexec_b64 s[6:7], s[2:3]
	s_cbranch_execz .LBB144_312
; %bb.303:
	v_sub_u32_e32 v2, v0, v16
	v_or_b32_e32 v2, 0x7f, v2
	v_cmp_ge_u32_e64 s[2:3], v2, v0
	s_mov_b64 s[10:11], -1
	s_and_saveexec_b64 s[8:9], s[2:3]
	s_cbranch_execz .LBB144_311
; %bb.304:
	v_lshrrev_b32_e32 v20, 7, v1
	v_or_b32_e32 v7, 0x380, v0
	v_or_b32_e32 v6, 0x300, v0
	v_or_b32_e32 v5, 0x280, v0
	v_or_b32_e32 v4, 0x200, v0
	v_or_b32_e32 v3, 0x180, v0
	v_or_b32_e32 v2, 0x100, v0
	v_or_b32_e32 v1, 0x80, v0
	v_add_u32_e32 v21, -7, v20
	v_pk_mov_b32 v[14:15], v[6:7], v[6:7] op_sel:[0,1]
	v_cmp_lt_u32_e64 s[2:3], 7, v21
	v_mov_b32_e32 v22, 0
	v_pk_mov_b32 v[12:13], v[4:5], v[4:5] op_sel:[0,1]
	v_pk_mov_b32 v[10:11], v[2:3], v[2:3] op_sel:[0,1]
	;; [unrolled: 1-line block ×3, first 2 shown]
	s_and_saveexec_b64 s[10:11], s[2:3]
	s_cbranch_execz .LBB144_308
; %bb.305:
	v_lshrrev_b32_e32 v8, 3, v21
	v_add_u32_e32 v8, 1, v8
	v_and_b32_e32 v22, 0x3ffffffe, v8
	v_pk_mov_b32 v[14:15], v[6:7], v[6:7] op_sel:[0,1]
	s_mov_b32 s14, 0
	s_mov_b64 s[12:13], 0
	v_mov_b32_e32 v23, v0
	v_pk_mov_b32 v[12:13], v[4:5], v[4:5] op_sel:[0,1]
	v_pk_mov_b32 v[10:11], v[2:3], v[2:3] op_sel:[0,1]
	;; [unrolled: 1-line block ×3, first 2 shown]
.LBB144_306:                            ; =>This Inner Loop Header: Depth=1
	v_add_co_u32_e64 v2, s[2:3], v18, v8
	v_addc_co_u32_e64 v3, s[2:3], 0, v19, s[2:3]
	v_add_co_u32_e64 v4, s[2:3], v18, v9
	v_addc_co_u32_e64 v5, s[2:3], 0, v19, s[2:3]
	;; [unrolled: 2-line block ×8, first 2 shown]
	v_add_u32_e32 v34, 0x400, v8
	v_add_co_u32_e64 v34, s[2:3], v18, v34
	v_add_u32_e32 v36, 0x400, v9
	v_addc_co_u32_e64 v35, s[2:3], 0, v19, s[2:3]
	v_add_co_u32_e64 v36, s[2:3], v18, v36
	v_add_u32_e32 v38, 0x400, v10
	v_addc_co_u32_e64 v37, s[2:3], 0, v19, s[2:3]
	;; [unrolled: 3-line block ×6, first 2 shown]
	v_add_co_u32_e64 v46, s[2:3], v18, v46
	ds_read_u8 v50, v23
	ds_read_u8 v51, v23 offset:128
	ds_read_u8 v52, v23 offset:256
	;; [unrolled: 1-line block ×7, first 2 shown]
	v_add_u32_e32 v1, 0x400, v15
	ds_read_u8 v58, v23 offset:1024
	ds_read_u8 v59, v23 offset:1152
	ds_read_u8 v60, v23 offset:1280
	ds_read_u8 v61, v23 offset:1408
	ds_read_u8 v62, v23 offset:1536
	ds_read_u8 v63, v23 offset:1664
	ds_read_u8 v64, v23 offset:1792
	ds_read_u8 v65, v23 offset:1920
	v_addc_co_u32_e64 v47, s[2:3], 0, v19, s[2:3]
	v_add_co_u32_e64 v48, s[2:3], v18, v1
	v_add_u32_e32 v22, -2, v22
	v_addc_co_u32_e64 v49, s[2:3], 0, v19, s[2:3]
	s_add_i32 s14, s14, 16
	v_cmp_eq_u32_e64 s[2:3], 0, v22
	v_add_u32_e32 v15, 0x800, v15
	v_add_u32_e32 v14, 0x800, v14
	;; [unrolled: 1-line block ×9, first 2 shown]
	v_mov_b32_e32 v1, s14
	s_or_b64 s[12:13], s[2:3], s[12:13]
	s_waitcnt lgkmcnt(14)
	global_store_byte v[2:3], v50, off
	global_store_byte v[4:5], v51, off
	s_waitcnt lgkmcnt(13)
	global_store_byte v[6:7], v52, off
	s_waitcnt lgkmcnt(12)
	;; [unrolled: 2-line block ×14, first 2 shown]
	global_store_byte v[48:49], v65, off
	s_andn2_b64 exec, exec, s[12:13]
	s_cbranch_execnz .LBB144_306
; %bb.307:
	s_or_b64 exec, exec, s[12:13]
	v_lshlrev_b32_e32 v22, 7, v1
.LBB144_308:
	s_or_b64 exec, exec, s[10:11]
	v_and_b32_e32 v1, 8, v21
	v_cmp_eq_u32_e64 s[2:3], 0, v1
	s_and_saveexec_b64 s[10:11], s[2:3]
	s_cbranch_execz .LBB144_310
; %bb.309:
	v_add_co_u32_e64 v2, s[2:3], v18, v8
	v_addc_co_u32_e64 v3, s[2:3], 0, v19, s[2:3]
	v_add_co_u32_e64 v4, s[2:3], v18, v9
	v_addc_co_u32_e64 v5, s[2:3], 0, v19, s[2:3]
	;; [unrolled: 2-line block ×4, first 2 shown]
	v_add_co_u32_e64 v10, s[2:3], v18, v12
	v_or_b32_e32 v1, v0, v22
	v_addc_co_u32_e64 v11, s[2:3], 0, v19, s[2:3]
	ds_read_u8 v21, v1
	ds_read_u8 v24, v1 offset:128
	ds_read_u8 v25, v1 offset:256
	;; [unrolled: 1-line block ×7, first 2 shown]
	v_add_co_u32_e64 v12, s[2:3], v18, v13
	v_addc_co_u32_e64 v13, s[2:3], 0, v19, s[2:3]
	v_add_co_u32_e64 v22, s[2:3], v18, v14
	v_addc_co_u32_e64 v23, s[2:3], 0, v19, s[2:3]
	;; [unrolled: 2-line block ×3, first 2 shown]
	s_waitcnt lgkmcnt(7)
	global_store_byte v[2:3], v21, off
	s_waitcnt lgkmcnt(6)
	global_store_byte v[4:5], v24, off
	;; [unrolled: 2-line block ×8, first 2 shown]
.LBB144_310:
	s_or_b64 exec, exec, s[10:11]
	v_add_u32_e32 v1, 1, v20
	v_and_b32_e32 v2, 0x3fffff8, v1
	v_cmp_ne_u32_e64 s[2:3], v1, v2
	v_lshl_or_b32 v0, v2, 7, v0
	s_orn2_b64 s[10:11], s[2:3], exec
.LBB144_311:
	s_or_b64 exec, exec, s[8:9]
	s_andn2_b64 s[2:3], vcc, exec
	s_and_b64 s[8:9], s[10:11], exec
	s_or_b64 vcc, s[2:3], s[8:9]
.LBB144_312:
	s_or_b64 exec, exec, s[6:7]
	s_and_b64 exec, exec, vcc
	s_cbranch_execz .LBB144_315
; %bb.313:
	s_mov_b64 s[2:3], 0
.LBB144_314:                            ; =>This Inner Loop Header: Depth=1
	ds_read_u8 v1, v0
	v_readfirstlane_b32 s6, v18
	v_readfirstlane_b32 s7, v19
	s_waitcnt lgkmcnt(0)
	s_nop 3
	global_store_byte v0, v1, s[6:7]
	v_add_u32_e32 v0, 0x80, v0
	v_cmp_ge_u32_e32 vcc, v0, v16
	s_or_b64 s[2:3], vcc, s[2:3]
	s_andn2_b64 exec, exec, s[2:3]
	s_cbranch_execnz .LBB144_314
.LBB144_315:
	s_or_b64 exec, exec, s[4:5]
	s_and_b64 s[0:1], s[0:1], s[18:19]
	s_and_saveexec_b64 s[2:3], s[0:1]
	s_cbranch_execz .LBB144_139
.LBB144_316:
	v_mov_b32_e32 v0, s54
	v_add_co_u32_e32 v1, vcc, s33, v16
	v_addc_co_u32_e32 v3, vcc, 0, v0, vcc
	v_add_co_u32_e32 v0, vcc, v1, v17
	v_mov_b32_e32 v2, 0
	v_addc_co_u32_e32 v1, vcc, 0, v3, vcc
	global_store_dwordx2 v2, v[0:1], s[20:21]
	s_endpgm
.LBB144_317:
	s_or_b64 exec, exec, s[10:11]
	v_mov_b32_e32 v74, s12
	s_and_saveexec_b64 s[2:3], s[6:7]
	s_cbranch_execnz .LBB144_92
	s_branch .LBB144_93
	.section	.rodata,"a",@progbits
	.p2align	6, 0x0
	.amdhsa_kernel _ZN7rocprim17ROCPRIM_400000_NS6detail17trampoline_kernelINS0_14default_configENS1_25partition_config_selectorILNS1_17partition_subalgoE8EhNS0_10empty_typeEbEEZZNS1_14partition_implILS5_8ELb0ES3_jPKhPS6_PKS6_NS0_5tupleIJPhS6_EEENSE_IJSB_SB_EEENS0_18inequality_wrapperIN6hipcub16HIPCUB_304000_NS8EqualityEEEPlJS6_EEE10hipError_tPvRmT3_T4_T5_T6_T7_T9_mT8_P12ihipStream_tbDpT10_ENKUlT_T0_E_clISt17integral_constantIbLb1EES17_EEDaS12_S13_EUlS12_E_NS1_11comp_targetILNS1_3genE4ELNS1_11target_archE910ELNS1_3gpuE8ELNS1_3repE0EEENS1_30default_config_static_selectorELNS0_4arch9wavefront6targetE1EEEvT1_
		.amdhsa_group_segment_fixed_size 4232
		.amdhsa_private_segment_fixed_size 0
		.amdhsa_kernarg_size 128
		.amdhsa_user_sgpr_count 6
		.amdhsa_user_sgpr_private_segment_buffer 1
		.amdhsa_user_sgpr_dispatch_ptr 0
		.amdhsa_user_sgpr_queue_ptr 0
		.amdhsa_user_sgpr_kernarg_segment_ptr 1
		.amdhsa_user_sgpr_dispatch_id 0
		.amdhsa_user_sgpr_flat_scratch_init 0
		.amdhsa_user_sgpr_kernarg_preload_length 0
		.amdhsa_user_sgpr_kernarg_preload_offset 0
		.amdhsa_user_sgpr_private_segment_size 0
		.amdhsa_uses_dynamic_stack 0
		.amdhsa_system_sgpr_private_segment_wavefront_offset 0
		.amdhsa_system_sgpr_workgroup_id_x 1
		.amdhsa_system_sgpr_workgroup_id_y 0
		.amdhsa_system_sgpr_workgroup_id_z 0
		.amdhsa_system_sgpr_workgroup_info 0
		.amdhsa_system_vgpr_workitem_id 0
		.amdhsa_next_free_vgpr 124
		.amdhsa_next_free_sgpr 60
		.amdhsa_accum_offset 124
		.amdhsa_reserve_vcc 1
		.amdhsa_reserve_flat_scratch 0
		.amdhsa_float_round_mode_32 0
		.amdhsa_float_round_mode_16_64 0
		.amdhsa_float_denorm_mode_32 3
		.amdhsa_float_denorm_mode_16_64 3
		.amdhsa_dx10_clamp 1
		.amdhsa_ieee_mode 1
		.amdhsa_fp16_overflow 0
		.amdhsa_tg_split 0
		.amdhsa_exception_fp_ieee_invalid_op 0
		.amdhsa_exception_fp_denorm_src 0
		.amdhsa_exception_fp_ieee_div_zero 0
		.amdhsa_exception_fp_ieee_overflow 0
		.amdhsa_exception_fp_ieee_underflow 0
		.amdhsa_exception_fp_ieee_inexact 0
		.amdhsa_exception_int_div_zero 0
	.end_amdhsa_kernel
	.section	.text._ZN7rocprim17ROCPRIM_400000_NS6detail17trampoline_kernelINS0_14default_configENS1_25partition_config_selectorILNS1_17partition_subalgoE8EhNS0_10empty_typeEbEEZZNS1_14partition_implILS5_8ELb0ES3_jPKhPS6_PKS6_NS0_5tupleIJPhS6_EEENSE_IJSB_SB_EEENS0_18inequality_wrapperIN6hipcub16HIPCUB_304000_NS8EqualityEEEPlJS6_EEE10hipError_tPvRmT3_T4_T5_T6_T7_T9_mT8_P12ihipStream_tbDpT10_ENKUlT_T0_E_clISt17integral_constantIbLb1EES17_EEDaS12_S13_EUlS12_E_NS1_11comp_targetILNS1_3genE4ELNS1_11target_archE910ELNS1_3gpuE8ELNS1_3repE0EEENS1_30default_config_static_selectorELNS0_4arch9wavefront6targetE1EEEvT1_,"axG",@progbits,_ZN7rocprim17ROCPRIM_400000_NS6detail17trampoline_kernelINS0_14default_configENS1_25partition_config_selectorILNS1_17partition_subalgoE8EhNS0_10empty_typeEbEEZZNS1_14partition_implILS5_8ELb0ES3_jPKhPS6_PKS6_NS0_5tupleIJPhS6_EEENSE_IJSB_SB_EEENS0_18inequality_wrapperIN6hipcub16HIPCUB_304000_NS8EqualityEEEPlJS6_EEE10hipError_tPvRmT3_T4_T5_T6_T7_T9_mT8_P12ihipStream_tbDpT10_ENKUlT_T0_E_clISt17integral_constantIbLb1EES17_EEDaS12_S13_EUlS12_E_NS1_11comp_targetILNS1_3genE4ELNS1_11target_archE910ELNS1_3gpuE8ELNS1_3repE0EEENS1_30default_config_static_selectorELNS0_4arch9wavefront6targetE1EEEvT1_,comdat
.Lfunc_end144:
	.size	_ZN7rocprim17ROCPRIM_400000_NS6detail17trampoline_kernelINS0_14default_configENS1_25partition_config_selectorILNS1_17partition_subalgoE8EhNS0_10empty_typeEbEEZZNS1_14partition_implILS5_8ELb0ES3_jPKhPS6_PKS6_NS0_5tupleIJPhS6_EEENSE_IJSB_SB_EEENS0_18inequality_wrapperIN6hipcub16HIPCUB_304000_NS8EqualityEEEPlJS6_EEE10hipError_tPvRmT3_T4_T5_T6_T7_T9_mT8_P12ihipStream_tbDpT10_ENKUlT_T0_E_clISt17integral_constantIbLb1EES17_EEDaS12_S13_EUlS12_E_NS1_11comp_targetILNS1_3genE4ELNS1_11target_archE910ELNS1_3gpuE8ELNS1_3repE0EEENS1_30default_config_static_selectorELNS0_4arch9wavefront6targetE1EEEvT1_, .Lfunc_end144-_ZN7rocprim17ROCPRIM_400000_NS6detail17trampoline_kernelINS0_14default_configENS1_25partition_config_selectorILNS1_17partition_subalgoE8EhNS0_10empty_typeEbEEZZNS1_14partition_implILS5_8ELb0ES3_jPKhPS6_PKS6_NS0_5tupleIJPhS6_EEENSE_IJSB_SB_EEENS0_18inequality_wrapperIN6hipcub16HIPCUB_304000_NS8EqualityEEEPlJS6_EEE10hipError_tPvRmT3_T4_T5_T6_T7_T9_mT8_P12ihipStream_tbDpT10_ENKUlT_T0_E_clISt17integral_constantIbLb1EES17_EEDaS12_S13_EUlS12_E_NS1_11comp_targetILNS1_3genE4ELNS1_11target_archE910ELNS1_3gpuE8ELNS1_3repE0EEENS1_30default_config_static_selectorELNS0_4arch9wavefront6targetE1EEEvT1_
                                        ; -- End function
	.section	.AMDGPU.csdata,"",@progbits
; Kernel info:
; codeLenInByte = 13484
; NumSgprs: 64
; NumVgprs: 124
; NumAgprs: 0
; TotalNumVgprs: 124
; ScratchSize: 0
; MemoryBound: 0
; FloatMode: 240
; IeeeMode: 1
; LDSByteSize: 4232 bytes/workgroup (compile time only)
; SGPRBlocks: 7
; VGPRBlocks: 15
; NumSGPRsForWavesPerEU: 64
; NumVGPRsForWavesPerEU: 124
; AccumOffset: 124
; Occupancy: 4
; WaveLimiterHint : 1
; COMPUTE_PGM_RSRC2:SCRATCH_EN: 0
; COMPUTE_PGM_RSRC2:USER_SGPR: 6
; COMPUTE_PGM_RSRC2:TRAP_HANDLER: 0
; COMPUTE_PGM_RSRC2:TGID_X_EN: 1
; COMPUTE_PGM_RSRC2:TGID_Y_EN: 0
; COMPUTE_PGM_RSRC2:TGID_Z_EN: 0
; COMPUTE_PGM_RSRC2:TIDIG_COMP_CNT: 0
; COMPUTE_PGM_RSRC3_GFX90A:ACCUM_OFFSET: 30
; COMPUTE_PGM_RSRC3_GFX90A:TG_SPLIT: 0
	.section	.text._ZN7rocprim17ROCPRIM_400000_NS6detail17trampoline_kernelINS0_14default_configENS1_25partition_config_selectorILNS1_17partition_subalgoE8EhNS0_10empty_typeEbEEZZNS1_14partition_implILS5_8ELb0ES3_jPKhPS6_PKS6_NS0_5tupleIJPhS6_EEENSE_IJSB_SB_EEENS0_18inequality_wrapperIN6hipcub16HIPCUB_304000_NS8EqualityEEEPlJS6_EEE10hipError_tPvRmT3_T4_T5_T6_T7_T9_mT8_P12ihipStream_tbDpT10_ENKUlT_T0_E_clISt17integral_constantIbLb1EES17_EEDaS12_S13_EUlS12_E_NS1_11comp_targetILNS1_3genE3ELNS1_11target_archE908ELNS1_3gpuE7ELNS1_3repE0EEENS1_30default_config_static_selectorELNS0_4arch9wavefront6targetE1EEEvT1_,"axG",@progbits,_ZN7rocprim17ROCPRIM_400000_NS6detail17trampoline_kernelINS0_14default_configENS1_25partition_config_selectorILNS1_17partition_subalgoE8EhNS0_10empty_typeEbEEZZNS1_14partition_implILS5_8ELb0ES3_jPKhPS6_PKS6_NS0_5tupleIJPhS6_EEENSE_IJSB_SB_EEENS0_18inequality_wrapperIN6hipcub16HIPCUB_304000_NS8EqualityEEEPlJS6_EEE10hipError_tPvRmT3_T4_T5_T6_T7_T9_mT8_P12ihipStream_tbDpT10_ENKUlT_T0_E_clISt17integral_constantIbLb1EES17_EEDaS12_S13_EUlS12_E_NS1_11comp_targetILNS1_3genE3ELNS1_11target_archE908ELNS1_3gpuE7ELNS1_3repE0EEENS1_30default_config_static_selectorELNS0_4arch9wavefront6targetE1EEEvT1_,comdat
	.protected	_ZN7rocprim17ROCPRIM_400000_NS6detail17trampoline_kernelINS0_14default_configENS1_25partition_config_selectorILNS1_17partition_subalgoE8EhNS0_10empty_typeEbEEZZNS1_14partition_implILS5_8ELb0ES3_jPKhPS6_PKS6_NS0_5tupleIJPhS6_EEENSE_IJSB_SB_EEENS0_18inequality_wrapperIN6hipcub16HIPCUB_304000_NS8EqualityEEEPlJS6_EEE10hipError_tPvRmT3_T4_T5_T6_T7_T9_mT8_P12ihipStream_tbDpT10_ENKUlT_T0_E_clISt17integral_constantIbLb1EES17_EEDaS12_S13_EUlS12_E_NS1_11comp_targetILNS1_3genE3ELNS1_11target_archE908ELNS1_3gpuE7ELNS1_3repE0EEENS1_30default_config_static_selectorELNS0_4arch9wavefront6targetE1EEEvT1_ ; -- Begin function _ZN7rocprim17ROCPRIM_400000_NS6detail17trampoline_kernelINS0_14default_configENS1_25partition_config_selectorILNS1_17partition_subalgoE8EhNS0_10empty_typeEbEEZZNS1_14partition_implILS5_8ELb0ES3_jPKhPS6_PKS6_NS0_5tupleIJPhS6_EEENSE_IJSB_SB_EEENS0_18inequality_wrapperIN6hipcub16HIPCUB_304000_NS8EqualityEEEPlJS6_EEE10hipError_tPvRmT3_T4_T5_T6_T7_T9_mT8_P12ihipStream_tbDpT10_ENKUlT_T0_E_clISt17integral_constantIbLb1EES17_EEDaS12_S13_EUlS12_E_NS1_11comp_targetILNS1_3genE3ELNS1_11target_archE908ELNS1_3gpuE7ELNS1_3repE0EEENS1_30default_config_static_selectorELNS0_4arch9wavefront6targetE1EEEvT1_
	.globl	_ZN7rocprim17ROCPRIM_400000_NS6detail17trampoline_kernelINS0_14default_configENS1_25partition_config_selectorILNS1_17partition_subalgoE8EhNS0_10empty_typeEbEEZZNS1_14partition_implILS5_8ELb0ES3_jPKhPS6_PKS6_NS0_5tupleIJPhS6_EEENSE_IJSB_SB_EEENS0_18inequality_wrapperIN6hipcub16HIPCUB_304000_NS8EqualityEEEPlJS6_EEE10hipError_tPvRmT3_T4_T5_T6_T7_T9_mT8_P12ihipStream_tbDpT10_ENKUlT_T0_E_clISt17integral_constantIbLb1EES17_EEDaS12_S13_EUlS12_E_NS1_11comp_targetILNS1_3genE3ELNS1_11target_archE908ELNS1_3gpuE7ELNS1_3repE0EEENS1_30default_config_static_selectorELNS0_4arch9wavefront6targetE1EEEvT1_
	.p2align	8
	.type	_ZN7rocprim17ROCPRIM_400000_NS6detail17trampoline_kernelINS0_14default_configENS1_25partition_config_selectorILNS1_17partition_subalgoE8EhNS0_10empty_typeEbEEZZNS1_14partition_implILS5_8ELb0ES3_jPKhPS6_PKS6_NS0_5tupleIJPhS6_EEENSE_IJSB_SB_EEENS0_18inequality_wrapperIN6hipcub16HIPCUB_304000_NS8EqualityEEEPlJS6_EEE10hipError_tPvRmT3_T4_T5_T6_T7_T9_mT8_P12ihipStream_tbDpT10_ENKUlT_T0_E_clISt17integral_constantIbLb1EES17_EEDaS12_S13_EUlS12_E_NS1_11comp_targetILNS1_3genE3ELNS1_11target_archE908ELNS1_3gpuE7ELNS1_3repE0EEENS1_30default_config_static_selectorELNS0_4arch9wavefront6targetE1EEEvT1_,@function
_ZN7rocprim17ROCPRIM_400000_NS6detail17trampoline_kernelINS0_14default_configENS1_25partition_config_selectorILNS1_17partition_subalgoE8EhNS0_10empty_typeEbEEZZNS1_14partition_implILS5_8ELb0ES3_jPKhPS6_PKS6_NS0_5tupleIJPhS6_EEENSE_IJSB_SB_EEENS0_18inequality_wrapperIN6hipcub16HIPCUB_304000_NS8EqualityEEEPlJS6_EEE10hipError_tPvRmT3_T4_T5_T6_T7_T9_mT8_P12ihipStream_tbDpT10_ENKUlT_T0_E_clISt17integral_constantIbLb1EES17_EEDaS12_S13_EUlS12_E_NS1_11comp_targetILNS1_3genE3ELNS1_11target_archE908ELNS1_3gpuE7ELNS1_3repE0EEENS1_30default_config_static_selectorELNS0_4arch9wavefront6targetE1EEEvT1_: ; @_ZN7rocprim17ROCPRIM_400000_NS6detail17trampoline_kernelINS0_14default_configENS1_25partition_config_selectorILNS1_17partition_subalgoE8EhNS0_10empty_typeEbEEZZNS1_14partition_implILS5_8ELb0ES3_jPKhPS6_PKS6_NS0_5tupleIJPhS6_EEENSE_IJSB_SB_EEENS0_18inequality_wrapperIN6hipcub16HIPCUB_304000_NS8EqualityEEEPlJS6_EEE10hipError_tPvRmT3_T4_T5_T6_T7_T9_mT8_P12ihipStream_tbDpT10_ENKUlT_T0_E_clISt17integral_constantIbLb1EES17_EEDaS12_S13_EUlS12_E_NS1_11comp_targetILNS1_3genE3ELNS1_11target_archE908ELNS1_3gpuE7ELNS1_3repE0EEENS1_30default_config_static_selectorELNS0_4arch9wavefront6targetE1EEEvT1_
; %bb.0:
	.section	.rodata,"a",@progbits
	.p2align	6, 0x0
	.amdhsa_kernel _ZN7rocprim17ROCPRIM_400000_NS6detail17trampoline_kernelINS0_14default_configENS1_25partition_config_selectorILNS1_17partition_subalgoE8EhNS0_10empty_typeEbEEZZNS1_14partition_implILS5_8ELb0ES3_jPKhPS6_PKS6_NS0_5tupleIJPhS6_EEENSE_IJSB_SB_EEENS0_18inequality_wrapperIN6hipcub16HIPCUB_304000_NS8EqualityEEEPlJS6_EEE10hipError_tPvRmT3_T4_T5_T6_T7_T9_mT8_P12ihipStream_tbDpT10_ENKUlT_T0_E_clISt17integral_constantIbLb1EES17_EEDaS12_S13_EUlS12_E_NS1_11comp_targetILNS1_3genE3ELNS1_11target_archE908ELNS1_3gpuE7ELNS1_3repE0EEENS1_30default_config_static_selectorELNS0_4arch9wavefront6targetE1EEEvT1_
		.amdhsa_group_segment_fixed_size 0
		.amdhsa_private_segment_fixed_size 0
		.amdhsa_kernarg_size 128
		.amdhsa_user_sgpr_count 6
		.amdhsa_user_sgpr_private_segment_buffer 1
		.amdhsa_user_sgpr_dispatch_ptr 0
		.amdhsa_user_sgpr_queue_ptr 0
		.amdhsa_user_sgpr_kernarg_segment_ptr 1
		.amdhsa_user_sgpr_dispatch_id 0
		.amdhsa_user_sgpr_flat_scratch_init 0
		.amdhsa_user_sgpr_kernarg_preload_length 0
		.amdhsa_user_sgpr_kernarg_preload_offset 0
		.amdhsa_user_sgpr_private_segment_size 0
		.amdhsa_uses_dynamic_stack 0
		.amdhsa_system_sgpr_private_segment_wavefront_offset 0
		.amdhsa_system_sgpr_workgroup_id_x 1
		.amdhsa_system_sgpr_workgroup_id_y 0
		.amdhsa_system_sgpr_workgroup_id_z 0
		.amdhsa_system_sgpr_workgroup_info 0
		.amdhsa_system_vgpr_workitem_id 0
		.amdhsa_next_free_vgpr 1
		.amdhsa_next_free_sgpr 0
		.amdhsa_accum_offset 4
		.amdhsa_reserve_vcc 0
		.amdhsa_reserve_flat_scratch 0
		.amdhsa_float_round_mode_32 0
		.amdhsa_float_round_mode_16_64 0
		.amdhsa_float_denorm_mode_32 3
		.amdhsa_float_denorm_mode_16_64 3
		.amdhsa_dx10_clamp 1
		.amdhsa_ieee_mode 1
		.amdhsa_fp16_overflow 0
		.amdhsa_tg_split 0
		.amdhsa_exception_fp_ieee_invalid_op 0
		.amdhsa_exception_fp_denorm_src 0
		.amdhsa_exception_fp_ieee_div_zero 0
		.amdhsa_exception_fp_ieee_overflow 0
		.amdhsa_exception_fp_ieee_underflow 0
		.amdhsa_exception_fp_ieee_inexact 0
		.amdhsa_exception_int_div_zero 0
	.end_amdhsa_kernel
	.section	.text._ZN7rocprim17ROCPRIM_400000_NS6detail17trampoline_kernelINS0_14default_configENS1_25partition_config_selectorILNS1_17partition_subalgoE8EhNS0_10empty_typeEbEEZZNS1_14partition_implILS5_8ELb0ES3_jPKhPS6_PKS6_NS0_5tupleIJPhS6_EEENSE_IJSB_SB_EEENS0_18inequality_wrapperIN6hipcub16HIPCUB_304000_NS8EqualityEEEPlJS6_EEE10hipError_tPvRmT3_T4_T5_T6_T7_T9_mT8_P12ihipStream_tbDpT10_ENKUlT_T0_E_clISt17integral_constantIbLb1EES17_EEDaS12_S13_EUlS12_E_NS1_11comp_targetILNS1_3genE3ELNS1_11target_archE908ELNS1_3gpuE7ELNS1_3repE0EEENS1_30default_config_static_selectorELNS0_4arch9wavefront6targetE1EEEvT1_,"axG",@progbits,_ZN7rocprim17ROCPRIM_400000_NS6detail17trampoline_kernelINS0_14default_configENS1_25partition_config_selectorILNS1_17partition_subalgoE8EhNS0_10empty_typeEbEEZZNS1_14partition_implILS5_8ELb0ES3_jPKhPS6_PKS6_NS0_5tupleIJPhS6_EEENSE_IJSB_SB_EEENS0_18inequality_wrapperIN6hipcub16HIPCUB_304000_NS8EqualityEEEPlJS6_EEE10hipError_tPvRmT3_T4_T5_T6_T7_T9_mT8_P12ihipStream_tbDpT10_ENKUlT_T0_E_clISt17integral_constantIbLb1EES17_EEDaS12_S13_EUlS12_E_NS1_11comp_targetILNS1_3genE3ELNS1_11target_archE908ELNS1_3gpuE7ELNS1_3repE0EEENS1_30default_config_static_selectorELNS0_4arch9wavefront6targetE1EEEvT1_,comdat
.Lfunc_end145:
	.size	_ZN7rocprim17ROCPRIM_400000_NS6detail17trampoline_kernelINS0_14default_configENS1_25partition_config_selectorILNS1_17partition_subalgoE8EhNS0_10empty_typeEbEEZZNS1_14partition_implILS5_8ELb0ES3_jPKhPS6_PKS6_NS0_5tupleIJPhS6_EEENSE_IJSB_SB_EEENS0_18inequality_wrapperIN6hipcub16HIPCUB_304000_NS8EqualityEEEPlJS6_EEE10hipError_tPvRmT3_T4_T5_T6_T7_T9_mT8_P12ihipStream_tbDpT10_ENKUlT_T0_E_clISt17integral_constantIbLb1EES17_EEDaS12_S13_EUlS12_E_NS1_11comp_targetILNS1_3genE3ELNS1_11target_archE908ELNS1_3gpuE7ELNS1_3repE0EEENS1_30default_config_static_selectorELNS0_4arch9wavefront6targetE1EEEvT1_, .Lfunc_end145-_ZN7rocprim17ROCPRIM_400000_NS6detail17trampoline_kernelINS0_14default_configENS1_25partition_config_selectorILNS1_17partition_subalgoE8EhNS0_10empty_typeEbEEZZNS1_14partition_implILS5_8ELb0ES3_jPKhPS6_PKS6_NS0_5tupleIJPhS6_EEENSE_IJSB_SB_EEENS0_18inequality_wrapperIN6hipcub16HIPCUB_304000_NS8EqualityEEEPlJS6_EEE10hipError_tPvRmT3_T4_T5_T6_T7_T9_mT8_P12ihipStream_tbDpT10_ENKUlT_T0_E_clISt17integral_constantIbLb1EES17_EEDaS12_S13_EUlS12_E_NS1_11comp_targetILNS1_3genE3ELNS1_11target_archE908ELNS1_3gpuE7ELNS1_3repE0EEENS1_30default_config_static_selectorELNS0_4arch9wavefront6targetE1EEEvT1_
                                        ; -- End function
	.section	.AMDGPU.csdata,"",@progbits
; Kernel info:
; codeLenInByte = 0
; NumSgprs: 4
; NumVgprs: 0
; NumAgprs: 0
; TotalNumVgprs: 0
; ScratchSize: 0
; MemoryBound: 0
; FloatMode: 240
; IeeeMode: 1
; LDSByteSize: 0 bytes/workgroup (compile time only)
; SGPRBlocks: 0
; VGPRBlocks: 0
; NumSGPRsForWavesPerEU: 4
; NumVGPRsForWavesPerEU: 1
; AccumOffset: 4
; Occupancy: 8
; WaveLimiterHint : 0
; COMPUTE_PGM_RSRC2:SCRATCH_EN: 0
; COMPUTE_PGM_RSRC2:USER_SGPR: 6
; COMPUTE_PGM_RSRC2:TRAP_HANDLER: 0
; COMPUTE_PGM_RSRC2:TGID_X_EN: 1
; COMPUTE_PGM_RSRC2:TGID_Y_EN: 0
; COMPUTE_PGM_RSRC2:TGID_Z_EN: 0
; COMPUTE_PGM_RSRC2:TIDIG_COMP_CNT: 0
; COMPUTE_PGM_RSRC3_GFX90A:ACCUM_OFFSET: 0
; COMPUTE_PGM_RSRC3_GFX90A:TG_SPLIT: 0
	.section	.text._ZN7rocprim17ROCPRIM_400000_NS6detail17trampoline_kernelINS0_14default_configENS1_25partition_config_selectorILNS1_17partition_subalgoE8EhNS0_10empty_typeEbEEZZNS1_14partition_implILS5_8ELb0ES3_jPKhPS6_PKS6_NS0_5tupleIJPhS6_EEENSE_IJSB_SB_EEENS0_18inequality_wrapperIN6hipcub16HIPCUB_304000_NS8EqualityEEEPlJS6_EEE10hipError_tPvRmT3_T4_T5_T6_T7_T9_mT8_P12ihipStream_tbDpT10_ENKUlT_T0_E_clISt17integral_constantIbLb1EES17_EEDaS12_S13_EUlS12_E_NS1_11comp_targetILNS1_3genE2ELNS1_11target_archE906ELNS1_3gpuE6ELNS1_3repE0EEENS1_30default_config_static_selectorELNS0_4arch9wavefront6targetE1EEEvT1_,"axG",@progbits,_ZN7rocprim17ROCPRIM_400000_NS6detail17trampoline_kernelINS0_14default_configENS1_25partition_config_selectorILNS1_17partition_subalgoE8EhNS0_10empty_typeEbEEZZNS1_14partition_implILS5_8ELb0ES3_jPKhPS6_PKS6_NS0_5tupleIJPhS6_EEENSE_IJSB_SB_EEENS0_18inequality_wrapperIN6hipcub16HIPCUB_304000_NS8EqualityEEEPlJS6_EEE10hipError_tPvRmT3_T4_T5_T6_T7_T9_mT8_P12ihipStream_tbDpT10_ENKUlT_T0_E_clISt17integral_constantIbLb1EES17_EEDaS12_S13_EUlS12_E_NS1_11comp_targetILNS1_3genE2ELNS1_11target_archE906ELNS1_3gpuE6ELNS1_3repE0EEENS1_30default_config_static_selectorELNS0_4arch9wavefront6targetE1EEEvT1_,comdat
	.protected	_ZN7rocprim17ROCPRIM_400000_NS6detail17trampoline_kernelINS0_14default_configENS1_25partition_config_selectorILNS1_17partition_subalgoE8EhNS0_10empty_typeEbEEZZNS1_14partition_implILS5_8ELb0ES3_jPKhPS6_PKS6_NS0_5tupleIJPhS6_EEENSE_IJSB_SB_EEENS0_18inequality_wrapperIN6hipcub16HIPCUB_304000_NS8EqualityEEEPlJS6_EEE10hipError_tPvRmT3_T4_T5_T6_T7_T9_mT8_P12ihipStream_tbDpT10_ENKUlT_T0_E_clISt17integral_constantIbLb1EES17_EEDaS12_S13_EUlS12_E_NS1_11comp_targetILNS1_3genE2ELNS1_11target_archE906ELNS1_3gpuE6ELNS1_3repE0EEENS1_30default_config_static_selectorELNS0_4arch9wavefront6targetE1EEEvT1_ ; -- Begin function _ZN7rocprim17ROCPRIM_400000_NS6detail17trampoline_kernelINS0_14default_configENS1_25partition_config_selectorILNS1_17partition_subalgoE8EhNS0_10empty_typeEbEEZZNS1_14partition_implILS5_8ELb0ES3_jPKhPS6_PKS6_NS0_5tupleIJPhS6_EEENSE_IJSB_SB_EEENS0_18inequality_wrapperIN6hipcub16HIPCUB_304000_NS8EqualityEEEPlJS6_EEE10hipError_tPvRmT3_T4_T5_T6_T7_T9_mT8_P12ihipStream_tbDpT10_ENKUlT_T0_E_clISt17integral_constantIbLb1EES17_EEDaS12_S13_EUlS12_E_NS1_11comp_targetILNS1_3genE2ELNS1_11target_archE906ELNS1_3gpuE6ELNS1_3repE0EEENS1_30default_config_static_selectorELNS0_4arch9wavefront6targetE1EEEvT1_
	.globl	_ZN7rocprim17ROCPRIM_400000_NS6detail17trampoline_kernelINS0_14default_configENS1_25partition_config_selectorILNS1_17partition_subalgoE8EhNS0_10empty_typeEbEEZZNS1_14partition_implILS5_8ELb0ES3_jPKhPS6_PKS6_NS0_5tupleIJPhS6_EEENSE_IJSB_SB_EEENS0_18inequality_wrapperIN6hipcub16HIPCUB_304000_NS8EqualityEEEPlJS6_EEE10hipError_tPvRmT3_T4_T5_T6_T7_T9_mT8_P12ihipStream_tbDpT10_ENKUlT_T0_E_clISt17integral_constantIbLb1EES17_EEDaS12_S13_EUlS12_E_NS1_11comp_targetILNS1_3genE2ELNS1_11target_archE906ELNS1_3gpuE6ELNS1_3repE0EEENS1_30default_config_static_selectorELNS0_4arch9wavefront6targetE1EEEvT1_
	.p2align	8
	.type	_ZN7rocprim17ROCPRIM_400000_NS6detail17trampoline_kernelINS0_14default_configENS1_25partition_config_selectorILNS1_17partition_subalgoE8EhNS0_10empty_typeEbEEZZNS1_14partition_implILS5_8ELb0ES3_jPKhPS6_PKS6_NS0_5tupleIJPhS6_EEENSE_IJSB_SB_EEENS0_18inequality_wrapperIN6hipcub16HIPCUB_304000_NS8EqualityEEEPlJS6_EEE10hipError_tPvRmT3_T4_T5_T6_T7_T9_mT8_P12ihipStream_tbDpT10_ENKUlT_T0_E_clISt17integral_constantIbLb1EES17_EEDaS12_S13_EUlS12_E_NS1_11comp_targetILNS1_3genE2ELNS1_11target_archE906ELNS1_3gpuE6ELNS1_3repE0EEENS1_30default_config_static_selectorELNS0_4arch9wavefront6targetE1EEEvT1_,@function
_ZN7rocprim17ROCPRIM_400000_NS6detail17trampoline_kernelINS0_14default_configENS1_25partition_config_selectorILNS1_17partition_subalgoE8EhNS0_10empty_typeEbEEZZNS1_14partition_implILS5_8ELb0ES3_jPKhPS6_PKS6_NS0_5tupleIJPhS6_EEENSE_IJSB_SB_EEENS0_18inequality_wrapperIN6hipcub16HIPCUB_304000_NS8EqualityEEEPlJS6_EEE10hipError_tPvRmT3_T4_T5_T6_T7_T9_mT8_P12ihipStream_tbDpT10_ENKUlT_T0_E_clISt17integral_constantIbLb1EES17_EEDaS12_S13_EUlS12_E_NS1_11comp_targetILNS1_3genE2ELNS1_11target_archE906ELNS1_3gpuE6ELNS1_3repE0EEENS1_30default_config_static_selectorELNS0_4arch9wavefront6targetE1EEEvT1_: ; @_ZN7rocprim17ROCPRIM_400000_NS6detail17trampoline_kernelINS0_14default_configENS1_25partition_config_selectorILNS1_17partition_subalgoE8EhNS0_10empty_typeEbEEZZNS1_14partition_implILS5_8ELb0ES3_jPKhPS6_PKS6_NS0_5tupleIJPhS6_EEENSE_IJSB_SB_EEENS0_18inequality_wrapperIN6hipcub16HIPCUB_304000_NS8EqualityEEEPlJS6_EEE10hipError_tPvRmT3_T4_T5_T6_T7_T9_mT8_P12ihipStream_tbDpT10_ENKUlT_T0_E_clISt17integral_constantIbLb1EES17_EEDaS12_S13_EUlS12_E_NS1_11comp_targetILNS1_3genE2ELNS1_11target_archE906ELNS1_3gpuE6ELNS1_3repE0EEENS1_30default_config_static_selectorELNS0_4arch9wavefront6targetE1EEEvT1_
; %bb.0:
	.section	.rodata,"a",@progbits
	.p2align	6, 0x0
	.amdhsa_kernel _ZN7rocprim17ROCPRIM_400000_NS6detail17trampoline_kernelINS0_14default_configENS1_25partition_config_selectorILNS1_17partition_subalgoE8EhNS0_10empty_typeEbEEZZNS1_14partition_implILS5_8ELb0ES3_jPKhPS6_PKS6_NS0_5tupleIJPhS6_EEENSE_IJSB_SB_EEENS0_18inequality_wrapperIN6hipcub16HIPCUB_304000_NS8EqualityEEEPlJS6_EEE10hipError_tPvRmT3_T4_T5_T6_T7_T9_mT8_P12ihipStream_tbDpT10_ENKUlT_T0_E_clISt17integral_constantIbLb1EES17_EEDaS12_S13_EUlS12_E_NS1_11comp_targetILNS1_3genE2ELNS1_11target_archE906ELNS1_3gpuE6ELNS1_3repE0EEENS1_30default_config_static_selectorELNS0_4arch9wavefront6targetE1EEEvT1_
		.amdhsa_group_segment_fixed_size 0
		.amdhsa_private_segment_fixed_size 0
		.amdhsa_kernarg_size 128
		.amdhsa_user_sgpr_count 6
		.amdhsa_user_sgpr_private_segment_buffer 1
		.amdhsa_user_sgpr_dispatch_ptr 0
		.amdhsa_user_sgpr_queue_ptr 0
		.amdhsa_user_sgpr_kernarg_segment_ptr 1
		.amdhsa_user_sgpr_dispatch_id 0
		.amdhsa_user_sgpr_flat_scratch_init 0
		.amdhsa_user_sgpr_kernarg_preload_length 0
		.amdhsa_user_sgpr_kernarg_preload_offset 0
		.amdhsa_user_sgpr_private_segment_size 0
		.amdhsa_uses_dynamic_stack 0
		.amdhsa_system_sgpr_private_segment_wavefront_offset 0
		.amdhsa_system_sgpr_workgroup_id_x 1
		.amdhsa_system_sgpr_workgroup_id_y 0
		.amdhsa_system_sgpr_workgroup_id_z 0
		.amdhsa_system_sgpr_workgroup_info 0
		.amdhsa_system_vgpr_workitem_id 0
		.amdhsa_next_free_vgpr 1
		.amdhsa_next_free_sgpr 0
		.amdhsa_accum_offset 4
		.amdhsa_reserve_vcc 0
		.amdhsa_reserve_flat_scratch 0
		.amdhsa_float_round_mode_32 0
		.amdhsa_float_round_mode_16_64 0
		.amdhsa_float_denorm_mode_32 3
		.amdhsa_float_denorm_mode_16_64 3
		.amdhsa_dx10_clamp 1
		.amdhsa_ieee_mode 1
		.amdhsa_fp16_overflow 0
		.amdhsa_tg_split 0
		.amdhsa_exception_fp_ieee_invalid_op 0
		.amdhsa_exception_fp_denorm_src 0
		.amdhsa_exception_fp_ieee_div_zero 0
		.amdhsa_exception_fp_ieee_overflow 0
		.amdhsa_exception_fp_ieee_underflow 0
		.amdhsa_exception_fp_ieee_inexact 0
		.amdhsa_exception_int_div_zero 0
	.end_amdhsa_kernel
	.section	.text._ZN7rocprim17ROCPRIM_400000_NS6detail17trampoline_kernelINS0_14default_configENS1_25partition_config_selectorILNS1_17partition_subalgoE8EhNS0_10empty_typeEbEEZZNS1_14partition_implILS5_8ELb0ES3_jPKhPS6_PKS6_NS0_5tupleIJPhS6_EEENSE_IJSB_SB_EEENS0_18inequality_wrapperIN6hipcub16HIPCUB_304000_NS8EqualityEEEPlJS6_EEE10hipError_tPvRmT3_T4_T5_T6_T7_T9_mT8_P12ihipStream_tbDpT10_ENKUlT_T0_E_clISt17integral_constantIbLb1EES17_EEDaS12_S13_EUlS12_E_NS1_11comp_targetILNS1_3genE2ELNS1_11target_archE906ELNS1_3gpuE6ELNS1_3repE0EEENS1_30default_config_static_selectorELNS0_4arch9wavefront6targetE1EEEvT1_,"axG",@progbits,_ZN7rocprim17ROCPRIM_400000_NS6detail17trampoline_kernelINS0_14default_configENS1_25partition_config_selectorILNS1_17partition_subalgoE8EhNS0_10empty_typeEbEEZZNS1_14partition_implILS5_8ELb0ES3_jPKhPS6_PKS6_NS0_5tupleIJPhS6_EEENSE_IJSB_SB_EEENS0_18inequality_wrapperIN6hipcub16HIPCUB_304000_NS8EqualityEEEPlJS6_EEE10hipError_tPvRmT3_T4_T5_T6_T7_T9_mT8_P12ihipStream_tbDpT10_ENKUlT_T0_E_clISt17integral_constantIbLb1EES17_EEDaS12_S13_EUlS12_E_NS1_11comp_targetILNS1_3genE2ELNS1_11target_archE906ELNS1_3gpuE6ELNS1_3repE0EEENS1_30default_config_static_selectorELNS0_4arch9wavefront6targetE1EEEvT1_,comdat
.Lfunc_end146:
	.size	_ZN7rocprim17ROCPRIM_400000_NS6detail17trampoline_kernelINS0_14default_configENS1_25partition_config_selectorILNS1_17partition_subalgoE8EhNS0_10empty_typeEbEEZZNS1_14partition_implILS5_8ELb0ES3_jPKhPS6_PKS6_NS0_5tupleIJPhS6_EEENSE_IJSB_SB_EEENS0_18inequality_wrapperIN6hipcub16HIPCUB_304000_NS8EqualityEEEPlJS6_EEE10hipError_tPvRmT3_T4_T5_T6_T7_T9_mT8_P12ihipStream_tbDpT10_ENKUlT_T0_E_clISt17integral_constantIbLb1EES17_EEDaS12_S13_EUlS12_E_NS1_11comp_targetILNS1_3genE2ELNS1_11target_archE906ELNS1_3gpuE6ELNS1_3repE0EEENS1_30default_config_static_selectorELNS0_4arch9wavefront6targetE1EEEvT1_, .Lfunc_end146-_ZN7rocprim17ROCPRIM_400000_NS6detail17trampoline_kernelINS0_14default_configENS1_25partition_config_selectorILNS1_17partition_subalgoE8EhNS0_10empty_typeEbEEZZNS1_14partition_implILS5_8ELb0ES3_jPKhPS6_PKS6_NS0_5tupleIJPhS6_EEENSE_IJSB_SB_EEENS0_18inequality_wrapperIN6hipcub16HIPCUB_304000_NS8EqualityEEEPlJS6_EEE10hipError_tPvRmT3_T4_T5_T6_T7_T9_mT8_P12ihipStream_tbDpT10_ENKUlT_T0_E_clISt17integral_constantIbLb1EES17_EEDaS12_S13_EUlS12_E_NS1_11comp_targetILNS1_3genE2ELNS1_11target_archE906ELNS1_3gpuE6ELNS1_3repE0EEENS1_30default_config_static_selectorELNS0_4arch9wavefront6targetE1EEEvT1_
                                        ; -- End function
	.section	.AMDGPU.csdata,"",@progbits
; Kernel info:
; codeLenInByte = 0
; NumSgprs: 4
; NumVgprs: 0
; NumAgprs: 0
; TotalNumVgprs: 0
; ScratchSize: 0
; MemoryBound: 0
; FloatMode: 240
; IeeeMode: 1
; LDSByteSize: 0 bytes/workgroup (compile time only)
; SGPRBlocks: 0
; VGPRBlocks: 0
; NumSGPRsForWavesPerEU: 4
; NumVGPRsForWavesPerEU: 1
; AccumOffset: 4
; Occupancy: 8
; WaveLimiterHint : 0
; COMPUTE_PGM_RSRC2:SCRATCH_EN: 0
; COMPUTE_PGM_RSRC2:USER_SGPR: 6
; COMPUTE_PGM_RSRC2:TRAP_HANDLER: 0
; COMPUTE_PGM_RSRC2:TGID_X_EN: 1
; COMPUTE_PGM_RSRC2:TGID_Y_EN: 0
; COMPUTE_PGM_RSRC2:TGID_Z_EN: 0
; COMPUTE_PGM_RSRC2:TIDIG_COMP_CNT: 0
; COMPUTE_PGM_RSRC3_GFX90A:ACCUM_OFFSET: 0
; COMPUTE_PGM_RSRC3_GFX90A:TG_SPLIT: 0
	.section	.text._ZN7rocprim17ROCPRIM_400000_NS6detail17trampoline_kernelINS0_14default_configENS1_25partition_config_selectorILNS1_17partition_subalgoE8EhNS0_10empty_typeEbEEZZNS1_14partition_implILS5_8ELb0ES3_jPKhPS6_PKS6_NS0_5tupleIJPhS6_EEENSE_IJSB_SB_EEENS0_18inequality_wrapperIN6hipcub16HIPCUB_304000_NS8EqualityEEEPlJS6_EEE10hipError_tPvRmT3_T4_T5_T6_T7_T9_mT8_P12ihipStream_tbDpT10_ENKUlT_T0_E_clISt17integral_constantIbLb1EES17_EEDaS12_S13_EUlS12_E_NS1_11comp_targetILNS1_3genE10ELNS1_11target_archE1200ELNS1_3gpuE4ELNS1_3repE0EEENS1_30default_config_static_selectorELNS0_4arch9wavefront6targetE1EEEvT1_,"axG",@progbits,_ZN7rocprim17ROCPRIM_400000_NS6detail17trampoline_kernelINS0_14default_configENS1_25partition_config_selectorILNS1_17partition_subalgoE8EhNS0_10empty_typeEbEEZZNS1_14partition_implILS5_8ELb0ES3_jPKhPS6_PKS6_NS0_5tupleIJPhS6_EEENSE_IJSB_SB_EEENS0_18inequality_wrapperIN6hipcub16HIPCUB_304000_NS8EqualityEEEPlJS6_EEE10hipError_tPvRmT3_T4_T5_T6_T7_T9_mT8_P12ihipStream_tbDpT10_ENKUlT_T0_E_clISt17integral_constantIbLb1EES17_EEDaS12_S13_EUlS12_E_NS1_11comp_targetILNS1_3genE10ELNS1_11target_archE1200ELNS1_3gpuE4ELNS1_3repE0EEENS1_30default_config_static_selectorELNS0_4arch9wavefront6targetE1EEEvT1_,comdat
	.protected	_ZN7rocprim17ROCPRIM_400000_NS6detail17trampoline_kernelINS0_14default_configENS1_25partition_config_selectorILNS1_17partition_subalgoE8EhNS0_10empty_typeEbEEZZNS1_14partition_implILS5_8ELb0ES3_jPKhPS6_PKS6_NS0_5tupleIJPhS6_EEENSE_IJSB_SB_EEENS0_18inequality_wrapperIN6hipcub16HIPCUB_304000_NS8EqualityEEEPlJS6_EEE10hipError_tPvRmT3_T4_T5_T6_T7_T9_mT8_P12ihipStream_tbDpT10_ENKUlT_T0_E_clISt17integral_constantIbLb1EES17_EEDaS12_S13_EUlS12_E_NS1_11comp_targetILNS1_3genE10ELNS1_11target_archE1200ELNS1_3gpuE4ELNS1_3repE0EEENS1_30default_config_static_selectorELNS0_4arch9wavefront6targetE1EEEvT1_ ; -- Begin function _ZN7rocprim17ROCPRIM_400000_NS6detail17trampoline_kernelINS0_14default_configENS1_25partition_config_selectorILNS1_17partition_subalgoE8EhNS0_10empty_typeEbEEZZNS1_14partition_implILS5_8ELb0ES3_jPKhPS6_PKS6_NS0_5tupleIJPhS6_EEENSE_IJSB_SB_EEENS0_18inequality_wrapperIN6hipcub16HIPCUB_304000_NS8EqualityEEEPlJS6_EEE10hipError_tPvRmT3_T4_T5_T6_T7_T9_mT8_P12ihipStream_tbDpT10_ENKUlT_T0_E_clISt17integral_constantIbLb1EES17_EEDaS12_S13_EUlS12_E_NS1_11comp_targetILNS1_3genE10ELNS1_11target_archE1200ELNS1_3gpuE4ELNS1_3repE0EEENS1_30default_config_static_selectorELNS0_4arch9wavefront6targetE1EEEvT1_
	.globl	_ZN7rocprim17ROCPRIM_400000_NS6detail17trampoline_kernelINS0_14default_configENS1_25partition_config_selectorILNS1_17partition_subalgoE8EhNS0_10empty_typeEbEEZZNS1_14partition_implILS5_8ELb0ES3_jPKhPS6_PKS6_NS0_5tupleIJPhS6_EEENSE_IJSB_SB_EEENS0_18inequality_wrapperIN6hipcub16HIPCUB_304000_NS8EqualityEEEPlJS6_EEE10hipError_tPvRmT3_T4_T5_T6_T7_T9_mT8_P12ihipStream_tbDpT10_ENKUlT_T0_E_clISt17integral_constantIbLb1EES17_EEDaS12_S13_EUlS12_E_NS1_11comp_targetILNS1_3genE10ELNS1_11target_archE1200ELNS1_3gpuE4ELNS1_3repE0EEENS1_30default_config_static_selectorELNS0_4arch9wavefront6targetE1EEEvT1_
	.p2align	8
	.type	_ZN7rocprim17ROCPRIM_400000_NS6detail17trampoline_kernelINS0_14default_configENS1_25partition_config_selectorILNS1_17partition_subalgoE8EhNS0_10empty_typeEbEEZZNS1_14partition_implILS5_8ELb0ES3_jPKhPS6_PKS6_NS0_5tupleIJPhS6_EEENSE_IJSB_SB_EEENS0_18inequality_wrapperIN6hipcub16HIPCUB_304000_NS8EqualityEEEPlJS6_EEE10hipError_tPvRmT3_T4_T5_T6_T7_T9_mT8_P12ihipStream_tbDpT10_ENKUlT_T0_E_clISt17integral_constantIbLb1EES17_EEDaS12_S13_EUlS12_E_NS1_11comp_targetILNS1_3genE10ELNS1_11target_archE1200ELNS1_3gpuE4ELNS1_3repE0EEENS1_30default_config_static_selectorELNS0_4arch9wavefront6targetE1EEEvT1_,@function
_ZN7rocprim17ROCPRIM_400000_NS6detail17trampoline_kernelINS0_14default_configENS1_25partition_config_selectorILNS1_17partition_subalgoE8EhNS0_10empty_typeEbEEZZNS1_14partition_implILS5_8ELb0ES3_jPKhPS6_PKS6_NS0_5tupleIJPhS6_EEENSE_IJSB_SB_EEENS0_18inequality_wrapperIN6hipcub16HIPCUB_304000_NS8EqualityEEEPlJS6_EEE10hipError_tPvRmT3_T4_T5_T6_T7_T9_mT8_P12ihipStream_tbDpT10_ENKUlT_T0_E_clISt17integral_constantIbLb1EES17_EEDaS12_S13_EUlS12_E_NS1_11comp_targetILNS1_3genE10ELNS1_11target_archE1200ELNS1_3gpuE4ELNS1_3repE0EEENS1_30default_config_static_selectorELNS0_4arch9wavefront6targetE1EEEvT1_: ; @_ZN7rocprim17ROCPRIM_400000_NS6detail17trampoline_kernelINS0_14default_configENS1_25partition_config_selectorILNS1_17partition_subalgoE8EhNS0_10empty_typeEbEEZZNS1_14partition_implILS5_8ELb0ES3_jPKhPS6_PKS6_NS0_5tupleIJPhS6_EEENSE_IJSB_SB_EEENS0_18inequality_wrapperIN6hipcub16HIPCUB_304000_NS8EqualityEEEPlJS6_EEE10hipError_tPvRmT3_T4_T5_T6_T7_T9_mT8_P12ihipStream_tbDpT10_ENKUlT_T0_E_clISt17integral_constantIbLb1EES17_EEDaS12_S13_EUlS12_E_NS1_11comp_targetILNS1_3genE10ELNS1_11target_archE1200ELNS1_3gpuE4ELNS1_3repE0EEENS1_30default_config_static_selectorELNS0_4arch9wavefront6targetE1EEEvT1_
; %bb.0:
	.section	.rodata,"a",@progbits
	.p2align	6, 0x0
	.amdhsa_kernel _ZN7rocprim17ROCPRIM_400000_NS6detail17trampoline_kernelINS0_14default_configENS1_25partition_config_selectorILNS1_17partition_subalgoE8EhNS0_10empty_typeEbEEZZNS1_14partition_implILS5_8ELb0ES3_jPKhPS6_PKS6_NS0_5tupleIJPhS6_EEENSE_IJSB_SB_EEENS0_18inequality_wrapperIN6hipcub16HIPCUB_304000_NS8EqualityEEEPlJS6_EEE10hipError_tPvRmT3_T4_T5_T6_T7_T9_mT8_P12ihipStream_tbDpT10_ENKUlT_T0_E_clISt17integral_constantIbLb1EES17_EEDaS12_S13_EUlS12_E_NS1_11comp_targetILNS1_3genE10ELNS1_11target_archE1200ELNS1_3gpuE4ELNS1_3repE0EEENS1_30default_config_static_selectorELNS0_4arch9wavefront6targetE1EEEvT1_
		.amdhsa_group_segment_fixed_size 0
		.amdhsa_private_segment_fixed_size 0
		.amdhsa_kernarg_size 128
		.amdhsa_user_sgpr_count 6
		.amdhsa_user_sgpr_private_segment_buffer 1
		.amdhsa_user_sgpr_dispatch_ptr 0
		.amdhsa_user_sgpr_queue_ptr 0
		.amdhsa_user_sgpr_kernarg_segment_ptr 1
		.amdhsa_user_sgpr_dispatch_id 0
		.amdhsa_user_sgpr_flat_scratch_init 0
		.amdhsa_user_sgpr_kernarg_preload_length 0
		.amdhsa_user_sgpr_kernarg_preload_offset 0
		.amdhsa_user_sgpr_private_segment_size 0
		.amdhsa_uses_dynamic_stack 0
		.amdhsa_system_sgpr_private_segment_wavefront_offset 0
		.amdhsa_system_sgpr_workgroup_id_x 1
		.amdhsa_system_sgpr_workgroup_id_y 0
		.amdhsa_system_sgpr_workgroup_id_z 0
		.amdhsa_system_sgpr_workgroup_info 0
		.amdhsa_system_vgpr_workitem_id 0
		.amdhsa_next_free_vgpr 1
		.amdhsa_next_free_sgpr 0
		.amdhsa_accum_offset 4
		.amdhsa_reserve_vcc 0
		.amdhsa_reserve_flat_scratch 0
		.amdhsa_float_round_mode_32 0
		.amdhsa_float_round_mode_16_64 0
		.amdhsa_float_denorm_mode_32 3
		.amdhsa_float_denorm_mode_16_64 3
		.amdhsa_dx10_clamp 1
		.amdhsa_ieee_mode 1
		.amdhsa_fp16_overflow 0
		.amdhsa_tg_split 0
		.amdhsa_exception_fp_ieee_invalid_op 0
		.amdhsa_exception_fp_denorm_src 0
		.amdhsa_exception_fp_ieee_div_zero 0
		.amdhsa_exception_fp_ieee_overflow 0
		.amdhsa_exception_fp_ieee_underflow 0
		.amdhsa_exception_fp_ieee_inexact 0
		.amdhsa_exception_int_div_zero 0
	.end_amdhsa_kernel
	.section	.text._ZN7rocprim17ROCPRIM_400000_NS6detail17trampoline_kernelINS0_14default_configENS1_25partition_config_selectorILNS1_17partition_subalgoE8EhNS0_10empty_typeEbEEZZNS1_14partition_implILS5_8ELb0ES3_jPKhPS6_PKS6_NS0_5tupleIJPhS6_EEENSE_IJSB_SB_EEENS0_18inequality_wrapperIN6hipcub16HIPCUB_304000_NS8EqualityEEEPlJS6_EEE10hipError_tPvRmT3_T4_T5_T6_T7_T9_mT8_P12ihipStream_tbDpT10_ENKUlT_T0_E_clISt17integral_constantIbLb1EES17_EEDaS12_S13_EUlS12_E_NS1_11comp_targetILNS1_3genE10ELNS1_11target_archE1200ELNS1_3gpuE4ELNS1_3repE0EEENS1_30default_config_static_selectorELNS0_4arch9wavefront6targetE1EEEvT1_,"axG",@progbits,_ZN7rocprim17ROCPRIM_400000_NS6detail17trampoline_kernelINS0_14default_configENS1_25partition_config_selectorILNS1_17partition_subalgoE8EhNS0_10empty_typeEbEEZZNS1_14partition_implILS5_8ELb0ES3_jPKhPS6_PKS6_NS0_5tupleIJPhS6_EEENSE_IJSB_SB_EEENS0_18inequality_wrapperIN6hipcub16HIPCUB_304000_NS8EqualityEEEPlJS6_EEE10hipError_tPvRmT3_T4_T5_T6_T7_T9_mT8_P12ihipStream_tbDpT10_ENKUlT_T0_E_clISt17integral_constantIbLb1EES17_EEDaS12_S13_EUlS12_E_NS1_11comp_targetILNS1_3genE10ELNS1_11target_archE1200ELNS1_3gpuE4ELNS1_3repE0EEENS1_30default_config_static_selectorELNS0_4arch9wavefront6targetE1EEEvT1_,comdat
.Lfunc_end147:
	.size	_ZN7rocprim17ROCPRIM_400000_NS6detail17trampoline_kernelINS0_14default_configENS1_25partition_config_selectorILNS1_17partition_subalgoE8EhNS0_10empty_typeEbEEZZNS1_14partition_implILS5_8ELb0ES3_jPKhPS6_PKS6_NS0_5tupleIJPhS6_EEENSE_IJSB_SB_EEENS0_18inequality_wrapperIN6hipcub16HIPCUB_304000_NS8EqualityEEEPlJS6_EEE10hipError_tPvRmT3_T4_T5_T6_T7_T9_mT8_P12ihipStream_tbDpT10_ENKUlT_T0_E_clISt17integral_constantIbLb1EES17_EEDaS12_S13_EUlS12_E_NS1_11comp_targetILNS1_3genE10ELNS1_11target_archE1200ELNS1_3gpuE4ELNS1_3repE0EEENS1_30default_config_static_selectorELNS0_4arch9wavefront6targetE1EEEvT1_, .Lfunc_end147-_ZN7rocprim17ROCPRIM_400000_NS6detail17trampoline_kernelINS0_14default_configENS1_25partition_config_selectorILNS1_17partition_subalgoE8EhNS0_10empty_typeEbEEZZNS1_14partition_implILS5_8ELb0ES3_jPKhPS6_PKS6_NS0_5tupleIJPhS6_EEENSE_IJSB_SB_EEENS0_18inequality_wrapperIN6hipcub16HIPCUB_304000_NS8EqualityEEEPlJS6_EEE10hipError_tPvRmT3_T4_T5_T6_T7_T9_mT8_P12ihipStream_tbDpT10_ENKUlT_T0_E_clISt17integral_constantIbLb1EES17_EEDaS12_S13_EUlS12_E_NS1_11comp_targetILNS1_3genE10ELNS1_11target_archE1200ELNS1_3gpuE4ELNS1_3repE0EEENS1_30default_config_static_selectorELNS0_4arch9wavefront6targetE1EEEvT1_
                                        ; -- End function
	.section	.AMDGPU.csdata,"",@progbits
; Kernel info:
; codeLenInByte = 0
; NumSgprs: 4
; NumVgprs: 0
; NumAgprs: 0
; TotalNumVgprs: 0
; ScratchSize: 0
; MemoryBound: 0
; FloatMode: 240
; IeeeMode: 1
; LDSByteSize: 0 bytes/workgroup (compile time only)
; SGPRBlocks: 0
; VGPRBlocks: 0
; NumSGPRsForWavesPerEU: 4
; NumVGPRsForWavesPerEU: 1
; AccumOffset: 4
; Occupancy: 8
; WaveLimiterHint : 0
; COMPUTE_PGM_RSRC2:SCRATCH_EN: 0
; COMPUTE_PGM_RSRC2:USER_SGPR: 6
; COMPUTE_PGM_RSRC2:TRAP_HANDLER: 0
; COMPUTE_PGM_RSRC2:TGID_X_EN: 1
; COMPUTE_PGM_RSRC2:TGID_Y_EN: 0
; COMPUTE_PGM_RSRC2:TGID_Z_EN: 0
; COMPUTE_PGM_RSRC2:TIDIG_COMP_CNT: 0
; COMPUTE_PGM_RSRC3_GFX90A:ACCUM_OFFSET: 0
; COMPUTE_PGM_RSRC3_GFX90A:TG_SPLIT: 0
	.section	.text._ZN7rocprim17ROCPRIM_400000_NS6detail17trampoline_kernelINS0_14default_configENS1_25partition_config_selectorILNS1_17partition_subalgoE8EhNS0_10empty_typeEbEEZZNS1_14partition_implILS5_8ELb0ES3_jPKhPS6_PKS6_NS0_5tupleIJPhS6_EEENSE_IJSB_SB_EEENS0_18inequality_wrapperIN6hipcub16HIPCUB_304000_NS8EqualityEEEPlJS6_EEE10hipError_tPvRmT3_T4_T5_T6_T7_T9_mT8_P12ihipStream_tbDpT10_ENKUlT_T0_E_clISt17integral_constantIbLb1EES17_EEDaS12_S13_EUlS12_E_NS1_11comp_targetILNS1_3genE9ELNS1_11target_archE1100ELNS1_3gpuE3ELNS1_3repE0EEENS1_30default_config_static_selectorELNS0_4arch9wavefront6targetE1EEEvT1_,"axG",@progbits,_ZN7rocprim17ROCPRIM_400000_NS6detail17trampoline_kernelINS0_14default_configENS1_25partition_config_selectorILNS1_17partition_subalgoE8EhNS0_10empty_typeEbEEZZNS1_14partition_implILS5_8ELb0ES3_jPKhPS6_PKS6_NS0_5tupleIJPhS6_EEENSE_IJSB_SB_EEENS0_18inequality_wrapperIN6hipcub16HIPCUB_304000_NS8EqualityEEEPlJS6_EEE10hipError_tPvRmT3_T4_T5_T6_T7_T9_mT8_P12ihipStream_tbDpT10_ENKUlT_T0_E_clISt17integral_constantIbLb1EES17_EEDaS12_S13_EUlS12_E_NS1_11comp_targetILNS1_3genE9ELNS1_11target_archE1100ELNS1_3gpuE3ELNS1_3repE0EEENS1_30default_config_static_selectorELNS0_4arch9wavefront6targetE1EEEvT1_,comdat
	.protected	_ZN7rocprim17ROCPRIM_400000_NS6detail17trampoline_kernelINS0_14default_configENS1_25partition_config_selectorILNS1_17partition_subalgoE8EhNS0_10empty_typeEbEEZZNS1_14partition_implILS5_8ELb0ES3_jPKhPS6_PKS6_NS0_5tupleIJPhS6_EEENSE_IJSB_SB_EEENS0_18inequality_wrapperIN6hipcub16HIPCUB_304000_NS8EqualityEEEPlJS6_EEE10hipError_tPvRmT3_T4_T5_T6_T7_T9_mT8_P12ihipStream_tbDpT10_ENKUlT_T0_E_clISt17integral_constantIbLb1EES17_EEDaS12_S13_EUlS12_E_NS1_11comp_targetILNS1_3genE9ELNS1_11target_archE1100ELNS1_3gpuE3ELNS1_3repE0EEENS1_30default_config_static_selectorELNS0_4arch9wavefront6targetE1EEEvT1_ ; -- Begin function _ZN7rocprim17ROCPRIM_400000_NS6detail17trampoline_kernelINS0_14default_configENS1_25partition_config_selectorILNS1_17partition_subalgoE8EhNS0_10empty_typeEbEEZZNS1_14partition_implILS5_8ELb0ES3_jPKhPS6_PKS6_NS0_5tupleIJPhS6_EEENSE_IJSB_SB_EEENS0_18inequality_wrapperIN6hipcub16HIPCUB_304000_NS8EqualityEEEPlJS6_EEE10hipError_tPvRmT3_T4_T5_T6_T7_T9_mT8_P12ihipStream_tbDpT10_ENKUlT_T0_E_clISt17integral_constantIbLb1EES17_EEDaS12_S13_EUlS12_E_NS1_11comp_targetILNS1_3genE9ELNS1_11target_archE1100ELNS1_3gpuE3ELNS1_3repE0EEENS1_30default_config_static_selectorELNS0_4arch9wavefront6targetE1EEEvT1_
	.globl	_ZN7rocprim17ROCPRIM_400000_NS6detail17trampoline_kernelINS0_14default_configENS1_25partition_config_selectorILNS1_17partition_subalgoE8EhNS0_10empty_typeEbEEZZNS1_14partition_implILS5_8ELb0ES3_jPKhPS6_PKS6_NS0_5tupleIJPhS6_EEENSE_IJSB_SB_EEENS0_18inequality_wrapperIN6hipcub16HIPCUB_304000_NS8EqualityEEEPlJS6_EEE10hipError_tPvRmT3_T4_T5_T6_T7_T9_mT8_P12ihipStream_tbDpT10_ENKUlT_T0_E_clISt17integral_constantIbLb1EES17_EEDaS12_S13_EUlS12_E_NS1_11comp_targetILNS1_3genE9ELNS1_11target_archE1100ELNS1_3gpuE3ELNS1_3repE0EEENS1_30default_config_static_selectorELNS0_4arch9wavefront6targetE1EEEvT1_
	.p2align	8
	.type	_ZN7rocprim17ROCPRIM_400000_NS6detail17trampoline_kernelINS0_14default_configENS1_25partition_config_selectorILNS1_17partition_subalgoE8EhNS0_10empty_typeEbEEZZNS1_14partition_implILS5_8ELb0ES3_jPKhPS6_PKS6_NS0_5tupleIJPhS6_EEENSE_IJSB_SB_EEENS0_18inequality_wrapperIN6hipcub16HIPCUB_304000_NS8EqualityEEEPlJS6_EEE10hipError_tPvRmT3_T4_T5_T6_T7_T9_mT8_P12ihipStream_tbDpT10_ENKUlT_T0_E_clISt17integral_constantIbLb1EES17_EEDaS12_S13_EUlS12_E_NS1_11comp_targetILNS1_3genE9ELNS1_11target_archE1100ELNS1_3gpuE3ELNS1_3repE0EEENS1_30default_config_static_selectorELNS0_4arch9wavefront6targetE1EEEvT1_,@function
_ZN7rocprim17ROCPRIM_400000_NS6detail17trampoline_kernelINS0_14default_configENS1_25partition_config_selectorILNS1_17partition_subalgoE8EhNS0_10empty_typeEbEEZZNS1_14partition_implILS5_8ELb0ES3_jPKhPS6_PKS6_NS0_5tupleIJPhS6_EEENSE_IJSB_SB_EEENS0_18inequality_wrapperIN6hipcub16HIPCUB_304000_NS8EqualityEEEPlJS6_EEE10hipError_tPvRmT3_T4_T5_T6_T7_T9_mT8_P12ihipStream_tbDpT10_ENKUlT_T0_E_clISt17integral_constantIbLb1EES17_EEDaS12_S13_EUlS12_E_NS1_11comp_targetILNS1_3genE9ELNS1_11target_archE1100ELNS1_3gpuE3ELNS1_3repE0EEENS1_30default_config_static_selectorELNS0_4arch9wavefront6targetE1EEEvT1_: ; @_ZN7rocprim17ROCPRIM_400000_NS6detail17trampoline_kernelINS0_14default_configENS1_25partition_config_selectorILNS1_17partition_subalgoE8EhNS0_10empty_typeEbEEZZNS1_14partition_implILS5_8ELb0ES3_jPKhPS6_PKS6_NS0_5tupleIJPhS6_EEENSE_IJSB_SB_EEENS0_18inequality_wrapperIN6hipcub16HIPCUB_304000_NS8EqualityEEEPlJS6_EEE10hipError_tPvRmT3_T4_T5_T6_T7_T9_mT8_P12ihipStream_tbDpT10_ENKUlT_T0_E_clISt17integral_constantIbLb1EES17_EEDaS12_S13_EUlS12_E_NS1_11comp_targetILNS1_3genE9ELNS1_11target_archE1100ELNS1_3gpuE3ELNS1_3repE0EEENS1_30default_config_static_selectorELNS0_4arch9wavefront6targetE1EEEvT1_
; %bb.0:
	.section	.rodata,"a",@progbits
	.p2align	6, 0x0
	.amdhsa_kernel _ZN7rocprim17ROCPRIM_400000_NS6detail17trampoline_kernelINS0_14default_configENS1_25partition_config_selectorILNS1_17partition_subalgoE8EhNS0_10empty_typeEbEEZZNS1_14partition_implILS5_8ELb0ES3_jPKhPS6_PKS6_NS0_5tupleIJPhS6_EEENSE_IJSB_SB_EEENS0_18inequality_wrapperIN6hipcub16HIPCUB_304000_NS8EqualityEEEPlJS6_EEE10hipError_tPvRmT3_T4_T5_T6_T7_T9_mT8_P12ihipStream_tbDpT10_ENKUlT_T0_E_clISt17integral_constantIbLb1EES17_EEDaS12_S13_EUlS12_E_NS1_11comp_targetILNS1_3genE9ELNS1_11target_archE1100ELNS1_3gpuE3ELNS1_3repE0EEENS1_30default_config_static_selectorELNS0_4arch9wavefront6targetE1EEEvT1_
		.amdhsa_group_segment_fixed_size 0
		.amdhsa_private_segment_fixed_size 0
		.amdhsa_kernarg_size 128
		.amdhsa_user_sgpr_count 6
		.amdhsa_user_sgpr_private_segment_buffer 1
		.amdhsa_user_sgpr_dispatch_ptr 0
		.amdhsa_user_sgpr_queue_ptr 0
		.amdhsa_user_sgpr_kernarg_segment_ptr 1
		.amdhsa_user_sgpr_dispatch_id 0
		.amdhsa_user_sgpr_flat_scratch_init 0
		.amdhsa_user_sgpr_kernarg_preload_length 0
		.amdhsa_user_sgpr_kernarg_preload_offset 0
		.amdhsa_user_sgpr_private_segment_size 0
		.amdhsa_uses_dynamic_stack 0
		.amdhsa_system_sgpr_private_segment_wavefront_offset 0
		.amdhsa_system_sgpr_workgroup_id_x 1
		.amdhsa_system_sgpr_workgroup_id_y 0
		.amdhsa_system_sgpr_workgroup_id_z 0
		.amdhsa_system_sgpr_workgroup_info 0
		.amdhsa_system_vgpr_workitem_id 0
		.amdhsa_next_free_vgpr 1
		.amdhsa_next_free_sgpr 0
		.amdhsa_accum_offset 4
		.amdhsa_reserve_vcc 0
		.amdhsa_reserve_flat_scratch 0
		.amdhsa_float_round_mode_32 0
		.amdhsa_float_round_mode_16_64 0
		.amdhsa_float_denorm_mode_32 3
		.amdhsa_float_denorm_mode_16_64 3
		.amdhsa_dx10_clamp 1
		.amdhsa_ieee_mode 1
		.amdhsa_fp16_overflow 0
		.amdhsa_tg_split 0
		.amdhsa_exception_fp_ieee_invalid_op 0
		.amdhsa_exception_fp_denorm_src 0
		.amdhsa_exception_fp_ieee_div_zero 0
		.amdhsa_exception_fp_ieee_overflow 0
		.amdhsa_exception_fp_ieee_underflow 0
		.amdhsa_exception_fp_ieee_inexact 0
		.amdhsa_exception_int_div_zero 0
	.end_amdhsa_kernel
	.section	.text._ZN7rocprim17ROCPRIM_400000_NS6detail17trampoline_kernelINS0_14default_configENS1_25partition_config_selectorILNS1_17partition_subalgoE8EhNS0_10empty_typeEbEEZZNS1_14partition_implILS5_8ELb0ES3_jPKhPS6_PKS6_NS0_5tupleIJPhS6_EEENSE_IJSB_SB_EEENS0_18inequality_wrapperIN6hipcub16HIPCUB_304000_NS8EqualityEEEPlJS6_EEE10hipError_tPvRmT3_T4_T5_T6_T7_T9_mT8_P12ihipStream_tbDpT10_ENKUlT_T0_E_clISt17integral_constantIbLb1EES17_EEDaS12_S13_EUlS12_E_NS1_11comp_targetILNS1_3genE9ELNS1_11target_archE1100ELNS1_3gpuE3ELNS1_3repE0EEENS1_30default_config_static_selectorELNS0_4arch9wavefront6targetE1EEEvT1_,"axG",@progbits,_ZN7rocprim17ROCPRIM_400000_NS6detail17trampoline_kernelINS0_14default_configENS1_25partition_config_selectorILNS1_17partition_subalgoE8EhNS0_10empty_typeEbEEZZNS1_14partition_implILS5_8ELb0ES3_jPKhPS6_PKS6_NS0_5tupleIJPhS6_EEENSE_IJSB_SB_EEENS0_18inequality_wrapperIN6hipcub16HIPCUB_304000_NS8EqualityEEEPlJS6_EEE10hipError_tPvRmT3_T4_T5_T6_T7_T9_mT8_P12ihipStream_tbDpT10_ENKUlT_T0_E_clISt17integral_constantIbLb1EES17_EEDaS12_S13_EUlS12_E_NS1_11comp_targetILNS1_3genE9ELNS1_11target_archE1100ELNS1_3gpuE3ELNS1_3repE0EEENS1_30default_config_static_selectorELNS0_4arch9wavefront6targetE1EEEvT1_,comdat
.Lfunc_end148:
	.size	_ZN7rocprim17ROCPRIM_400000_NS6detail17trampoline_kernelINS0_14default_configENS1_25partition_config_selectorILNS1_17partition_subalgoE8EhNS0_10empty_typeEbEEZZNS1_14partition_implILS5_8ELb0ES3_jPKhPS6_PKS6_NS0_5tupleIJPhS6_EEENSE_IJSB_SB_EEENS0_18inequality_wrapperIN6hipcub16HIPCUB_304000_NS8EqualityEEEPlJS6_EEE10hipError_tPvRmT3_T4_T5_T6_T7_T9_mT8_P12ihipStream_tbDpT10_ENKUlT_T0_E_clISt17integral_constantIbLb1EES17_EEDaS12_S13_EUlS12_E_NS1_11comp_targetILNS1_3genE9ELNS1_11target_archE1100ELNS1_3gpuE3ELNS1_3repE0EEENS1_30default_config_static_selectorELNS0_4arch9wavefront6targetE1EEEvT1_, .Lfunc_end148-_ZN7rocprim17ROCPRIM_400000_NS6detail17trampoline_kernelINS0_14default_configENS1_25partition_config_selectorILNS1_17partition_subalgoE8EhNS0_10empty_typeEbEEZZNS1_14partition_implILS5_8ELb0ES3_jPKhPS6_PKS6_NS0_5tupleIJPhS6_EEENSE_IJSB_SB_EEENS0_18inequality_wrapperIN6hipcub16HIPCUB_304000_NS8EqualityEEEPlJS6_EEE10hipError_tPvRmT3_T4_T5_T6_T7_T9_mT8_P12ihipStream_tbDpT10_ENKUlT_T0_E_clISt17integral_constantIbLb1EES17_EEDaS12_S13_EUlS12_E_NS1_11comp_targetILNS1_3genE9ELNS1_11target_archE1100ELNS1_3gpuE3ELNS1_3repE0EEENS1_30default_config_static_selectorELNS0_4arch9wavefront6targetE1EEEvT1_
                                        ; -- End function
	.section	.AMDGPU.csdata,"",@progbits
; Kernel info:
; codeLenInByte = 0
; NumSgprs: 4
; NumVgprs: 0
; NumAgprs: 0
; TotalNumVgprs: 0
; ScratchSize: 0
; MemoryBound: 0
; FloatMode: 240
; IeeeMode: 1
; LDSByteSize: 0 bytes/workgroup (compile time only)
; SGPRBlocks: 0
; VGPRBlocks: 0
; NumSGPRsForWavesPerEU: 4
; NumVGPRsForWavesPerEU: 1
; AccumOffset: 4
; Occupancy: 8
; WaveLimiterHint : 0
; COMPUTE_PGM_RSRC2:SCRATCH_EN: 0
; COMPUTE_PGM_RSRC2:USER_SGPR: 6
; COMPUTE_PGM_RSRC2:TRAP_HANDLER: 0
; COMPUTE_PGM_RSRC2:TGID_X_EN: 1
; COMPUTE_PGM_RSRC2:TGID_Y_EN: 0
; COMPUTE_PGM_RSRC2:TGID_Z_EN: 0
; COMPUTE_PGM_RSRC2:TIDIG_COMP_CNT: 0
; COMPUTE_PGM_RSRC3_GFX90A:ACCUM_OFFSET: 0
; COMPUTE_PGM_RSRC3_GFX90A:TG_SPLIT: 0
	.section	.text._ZN7rocprim17ROCPRIM_400000_NS6detail17trampoline_kernelINS0_14default_configENS1_25partition_config_selectorILNS1_17partition_subalgoE8EhNS0_10empty_typeEbEEZZNS1_14partition_implILS5_8ELb0ES3_jPKhPS6_PKS6_NS0_5tupleIJPhS6_EEENSE_IJSB_SB_EEENS0_18inequality_wrapperIN6hipcub16HIPCUB_304000_NS8EqualityEEEPlJS6_EEE10hipError_tPvRmT3_T4_T5_T6_T7_T9_mT8_P12ihipStream_tbDpT10_ENKUlT_T0_E_clISt17integral_constantIbLb1EES17_EEDaS12_S13_EUlS12_E_NS1_11comp_targetILNS1_3genE8ELNS1_11target_archE1030ELNS1_3gpuE2ELNS1_3repE0EEENS1_30default_config_static_selectorELNS0_4arch9wavefront6targetE1EEEvT1_,"axG",@progbits,_ZN7rocprim17ROCPRIM_400000_NS6detail17trampoline_kernelINS0_14default_configENS1_25partition_config_selectorILNS1_17partition_subalgoE8EhNS0_10empty_typeEbEEZZNS1_14partition_implILS5_8ELb0ES3_jPKhPS6_PKS6_NS0_5tupleIJPhS6_EEENSE_IJSB_SB_EEENS0_18inequality_wrapperIN6hipcub16HIPCUB_304000_NS8EqualityEEEPlJS6_EEE10hipError_tPvRmT3_T4_T5_T6_T7_T9_mT8_P12ihipStream_tbDpT10_ENKUlT_T0_E_clISt17integral_constantIbLb1EES17_EEDaS12_S13_EUlS12_E_NS1_11comp_targetILNS1_3genE8ELNS1_11target_archE1030ELNS1_3gpuE2ELNS1_3repE0EEENS1_30default_config_static_selectorELNS0_4arch9wavefront6targetE1EEEvT1_,comdat
	.protected	_ZN7rocprim17ROCPRIM_400000_NS6detail17trampoline_kernelINS0_14default_configENS1_25partition_config_selectorILNS1_17partition_subalgoE8EhNS0_10empty_typeEbEEZZNS1_14partition_implILS5_8ELb0ES3_jPKhPS6_PKS6_NS0_5tupleIJPhS6_EEENSE_IJSB_SB_EEENS0_18inequality_wrapperIN6hipcub16HIPCUB_304000_NS8EqualityEEEPlJS6_EEE10hipError_tPvRmT3_T4_T5_T6_T7_T9_mT8_P12ihipStream_tbDpT10_ENKUlT_T0_E_clISt17integral_constantIbLb1EES17_EEDaS12_S13_EUlS12_E_NS1_11comp_targetILNS1_3genE8ELNS1_11target_archE1030ELNS1_3gpuE2ELNS1_3repE0EEENS1_30default_config_static_selectorELNS0_4arch9wavefront6targetE1EEEvT1_ ; -- Begin function _ZN7rocprim17ROCPRIM_400000_NS6detail17trampoline_kernelINS0_14default_configENS1_25partition_config_selectorILNS1_17partition_subalgoE8EhNS0_10empty_typeEbEEZZNS1_14partition_implILS5_8ELb0ES3_jPKhPS6_PKS6_NS0_5tupleIJPhS6_EEENSE_IJSB_SB_EEENS0_18inequality_wrapperIN6hipcub16HIPCUB_304000_NS8EqualityEEEPlJS6_EEE10hipError_tPvRmT3_T4_T5_T6_T7_T9_mT8_P12ihipStream_tbDpT10_ENKUlT_T0_E_clISt17integral_constantIbLb1EES17_EEDaS12_S13_EUlS12_E_NS1_11comp_targetILNS1_3genE8ELNS1_11target_archE1030ELNS1_3gpuE2ELNS1_3repE0EEENS1_30default_config_static_selectorELNS0_4arch9wavefront6targetE1EEEvT1_
	.globl	_ZN7rocprim17ROCPRIM_400000_NS6detail17trampoline_kernelINS0_14default_configENS1_25partition_config_selectorILNS1_17partition_subalgoE8EhNS0_10empty_typeEbEEZZNS1_14partition_implILS5_8ELb0ES3_jPKhPS6_PKS6_NS0_5tupleIJPhS6_EEENSE_IJSB_SB_EEENS0_18inequality_wrapperIN6hipcub16HIPCUB_304000_NS8EqualityEEEPlJS6_EEE10hipError_tPvRmT3_T4_T5_T6_T7_T9_mT8_P12ihipStream_tbDpT10_ENKUlT_T0_E_clISt17integral_constantIbLb1EES17_EEDaS12_S13_EUlS12_E_NS1_11comp_targetILNS1_3genE8ELNS1_11target_archE1030ELNS1_3gpuE2ELNS1_3repE0EEENS1_30default_config_static_selectorELNS0_4arch9wavefront6targetE1EEEvT1_
	.p2align	8
	.type	_ZN7rocprim17ROCPRIM_400000_NS6detail17trampoline_kernelINS0_14default_configENS1_25partition_config_selectorILNS1_17partition_subalgoE8EhNS0_10empty_typeEbEEZZNS1_14partition_implILS5_8ELb0ES3_jPKhPS6_PKS6_NS0_5tupleIJPhS6_EEENSE_IJSB_SB_EEENS0_18inequality_wrapperIN6hipcub16HIPCUB_304000_NS8EqualityEEEPlJS6_EEE10hipError_tPvRmT3_T4_T5_T6_T7_T9_mT8_P12ihipStream_tbDpT10_ENKUlT_T0_E_clISt17integral_constantIbLb1EES17_EEDaS12_S13_EUlS12_E_NS1_11comp_targetILNS1_3genE8ELNS1_11target_archE1030ELNS1_3gpuE2ELNS1_3repE0EEENS1_30default_config_static_selectorELNS0_4arch9wavefront6targetE1EEEvT1_,@function
_ZN7rocprim17ROCPRIM_400000_NS6detail17trampoline_kernelINS0_14default_configENS1_25partition_config_selectorILNS1_17partition_subalgoE8EhNS0_10empty_typeEbEEZZNS1_14partition_implILS5_8ELb0ES3_jPKhPS6_PKS6_NS0_5tupleIJPhS6_EEENSE_IJSB_SB_EEENS0_18inequality_wrapperIN6hipcub16HIPCUB_304000_NS8EqualityEEEPlJS6_EEE10hipError_tPvRmT3_T4_T5_T6_T7_T9_mT8_P12ihipStream_tbDpT10_ENKUlT_T0_E_clISt17integral_constantIbLb1EES17_EEDaS12_S13_EUlS12_E_NS1_11comp_targetILNS1_3genE8ELNS1_11target_archE1030ELNS1_3gpuE2ELNS1_3repE0EEENS1_30default_config_static_selectorELNS0_4arch9wavefront6targetE1EEEvT1_: ; @_ZN7rocprim17ROCPRIM_400000_NS6detail17trampoline_kernelINS0_14default_configENS1_25partition_config_selectorILNS1_17partition_subalgoE8EhNS0_10empty_typeEbEEZZNS1_14partition_implILS5_8ELb0ES3_jPKhPS6_PKS6_NS0_5tupleIJPhS6_EEENSE_IJSB_SB_EEENS0_18inequality_wrapperIN6hipcub16HIPCUB_304000_NS8EqualityEEEPlJS6_EEE10hipError_tPvRmT3_T4_T5_T6_T7_T9_mT8_P12ihipStream_tbDpT10_ENKUlT_T0_E_clISt17integral_constantIbLb1EES17_EEDaS12_S13_EUlS12_E_NS1_11comp_targetILNS1_3genE8ELNS1_11target_archE1030ELNS1_3gpuE2ELNS1_3repE0EEENS1_30default_config_static_selectorELNS0_4arch9wavefront6targetE1EEEvT1_
; %bb.0:
	.section	.rodata,"a",@progbits
	.p2align	6, 0x0
	.amdhsa_kernel _ZN7rocprim17ROCPRIM_400000_NS6detail17trampoline_kernelINS0_14default_configENS1_25partition_config_selectorILNS1_17partition_subalgoE8EhNS0_10empty_typeEbEEZZNS1_14partition_implILS5_8ELb0ES3_jPKhPS6_PKS6_NS0_5tupleIJPhS6_EEENSE_IJSB_SB_EEENS0_18inequality_wrapperIN6hipcub16HIPCUB_304000_NS8EqualityEEEPlJS6_EEE10hipError_tPvRmT3_T4_T5_T6_T7_T9_mT8_P12ihipStream_tbDpT10_ENKUlT_T0_E_clISt17integral_constantIbLb1EES17_EEDaS12_S13_EUlS12_E_NS1_11comp_targetILNS1_3genE8ELNS1_11target_archE1030ELNS1_3gpuE2ELNS1_3repE0EEENS1_30default_config_static_selectorELNS0_4arch9wavefront6targetE1EEEvT1_
		.amdhsa_group_segment_fixed_size 0
		.amdhsa_private_segment_fixed_size 0
		.amdhsa_kernarg_size 128
		.amdhsa_user_sgpr_count 6
		.amdhsa_user_sgpr_private_segment_buffer 1
		.amdhsa_user_sgpr_dispatch_ptr 0
		.amdhsa_user_sgpr_queue_ptr 0
		.amdhsa_user_sgpr_kernarg_segment_ptr 1
		.amdhsa_user_sgpr_dispatch_id 0
		.amdhsa_user_sgpr_flat_scratch_init 0
		.amdhsa_user_sgpr_kernarg_preload_length 0
		.amdhsa_user_sgpr_kernarg_preload_offset 0
		.amdhsa_user_sgpr_private_segment_size 0
		.amdhsa_uses_dynamic_stack 0
		.amdhsa_system_sgpr_private_segment_wavefront_offset 0
		.amdhsa_system_sgpr_workgroup_id_x 1
		.amdhsa_system_sgpr_workgroup_id_y 0
		.amdhsa_system_sgpr_workgroup_id_z 0
		.amdhsa_system_sgpr_workgroup_info 0
		.amdhsa_system_vgpr_workitem_id 0
		.amdhsa_next_free_vgpr 1
		.amdhsa_next_free_sgpr 0
		.amdhsa_accum_offset 4
		.amdhsa_reserve_vcc 0
		.amdhsa_reserve_flat_scratch 0
		.amdhsa_float_round_mode_32 0
		.amdhsa_float_round_mode_16_64 0
		.amdhsa_float_denorm_mode_32 3
		.amdhsa_float_denorm_mode_16_64 3
		.amdhsa_dx10_clamp 1
		.amdhsa_ieee_mode 1
		.amdhsa_fp16_overflow 0
		.amdhsa_tg_split 0
		.amdhsa_exception_fp_ieee_invalid_op 0
		.amdhsa_exception_fp_denorm_src 0
		.amdhsa_exception_fp_ieee_div_zero 0
		.amdhsa_exception_fp_ieee_overflow 0
		.amdhsa_exception_fp_ieee_underflow 0
		.amdhsa_exception_fp_ieee_inexact 0
		.amdhsa_exception_int_div_zero 0
	.end_amdhsa_kernel
	.section	.text._ZN7rocprim17ROCPRIM_400000_NS6detail17trampoline_kernelINS0_14default_configENS1_25partition_config_selectorILNS1_17partition_subalgoE8EhNS0_10empty_typeEbEEZZNS1_14partition_implILS5_8ELb0ES3_jPKhPS6_PKS6_NS0_5tupleIJPhS6_EEENSE_IJSB_SB_EEENS0_18inequality_wrapperIN6hipcub16HIPCUB_304000_NS8EqualityEEEPlJS6_EEE10hipError_tPvRmT3_T4_T5_T6_T7_T9_mT8_P12ihipStream_tbDpT10_ENKUlT_T0_E_clISt17integral_constantIbLb1EES17_EEDaS12_S13_EUlS12_E_NS1_11comp_targetILNS1_3genE8ELNS1_11target_archE1030ELNS1_3gpuE2ELNS1_3repE0EEENS1_30default_config_static_selectorELNS0_4arch9wavefront6targetE1EEEvT1_,"axG",@progbits,_ZN7rocprim17ROCPRIM_400000_NS6detail17trampoline_kernelINS0_14default_configENS1_25partition_config_selectorILNS1_17partition_subalgoE8EhNS0_10empty_typeEbEEZZNS1_14partition_implILS5_8ELb0ES3_jPKhPS6_PKS6_NS0_5tupleIJPhS6_EEENSE_IJSB_SB_EEENS0_18inequality_wrapperIN6hipcub16HIPCUB_304000_NS8EqualityEEEPlJS6_EEE10hipError_tPvRmT3_T4_T5_T6_T7_T9_mT8_P12ihipStream_tbDpT10_ENKUlT_T0_E_clISt17integral_constantIbLb1EES17_EEDaS12_S13_EUlS12_E_NS1_11comp_targetILNS1_3genE8ELNS1_11target_archE1030ELNS1_3gpuE2ELNS1_3repE0EEENS1_30default_config_static_selectorELNS0_4arch9wavefront6targetE1EEEvT1_,comdat
.Lfunc_end149:
	.size	_ZN7rocprim17ROCPRIM_400000_NS6detail17trampoline_kernelINS0_14default_configENS1_25partition_config_selectorILNS1_17partition_subalgoE8EhNS0_10empty_typeEbEEZZNS1_14partition_implILS5_8ELb0ES3_jPKhPS6_PKS6_NS0_5tupleIJPhS6_EEENSE_IJSB_SB_EEENS0_18inequality_wrapperIN6hipcub16HIPCUB_304000_NS8EqualityEEEPlJS6_EEE10hipError_tPvRmT3_T4_T5_T6_T7_T9_mT8_P12ihipStream_tbDpT10_ENKUlT_T0_E_clISt17integral_constantIbLb1EES17_EEDaS12_S13_EUlS12_E_NS1_11comp_targetILNS1_3genE8ELNS1_11target_archE1030ELNS1_3gpuE2ELNS1_3repE0EEENS1_30default_config_static_selectorELNS0_4arch9wavefront6targetE1EEEvT1_, .Lfunc_end149-_ZN7rocprim17ROCPRIM_400000_NS6detail17trampoline_kernelINS0_14default_configENS1_25partition_config_selectorILNS1_17partition_subalgoE8EhNS0_10empty_typeEbEEZZNS1_14partition_implILS5_8ELb0ES3_jPKhPS6_PKS6_NS0_5tupleIJPhS6_EEENSE_IJSB_SB_EEENS0_18inequality_wrapperIN6hipcub16HIPCUB_304000_NS8EqualityEEEPlJS6_EEE10hipError_tPvRmT3_T4_T5_T6_T7_T9_mT8_P12ihipStream_tbDpT10_ENKUlT_T0_E_clISt17integral_constantIbLb1EES17_EEDaS12_S13_EUlS12_E_NS1_11comp_targetILNS1_3genE8ELNS1_11target_archE1030ELNS1_3gpuE2ELNS1_3repE0EEENS1_30default_config_static_selectorELNS0_4arch9wavefront6targetE1EEEvT1_
                                        ; -- End function
	.section	.AMDGPU.csdata,"",@progbits
; Kernel info:
; codeLenInByte = 0
; NumSgprs: 4
; NumVgprs: 0
; NumAgprs: 0
; TotalNumVgprs: 0
; ScratchSize: 0
; MemoryBound: 0
; FloatMode: 240
; IeeeMode: 1
; LDSByteSize: 0 bytes/workgroup (compile time only)
; SGPRBlocks: 0
; VGPRBlocks: 0
; NumSGPRsForWavesPerEU: 4
; NumVGPRsForWavesPerEU: 1
; AccumOffset: 4
; Occupancy: 8
; WaveLimiterHint : 0
; COMPUTE_PGM_RSRC2:SCRATCH_EN: 0
; COMPUTE_PGM_RSRC2:USER_SGPR: 6
; COMPUTE_PGM_RSRC2:TRAP_HANDLER: 0
; COMPUTE_PGM_RSRC2:TGID_X_EN: 1
; COMPUTE_PGM_RSRC2:TGID_Y_EN: 0
; COMPUTE_PGM_RSRC2:TGID_Z_EN: 0
; COMPUTE_PGM_RSRC2:TIDIG_COMP_CNT: 0
; COMPUTE_PGM_RSRC3_GFX90A:ACCUM_OFFSET: 0
; COMPUTE_PGM_RSRC3_GFX90A:TG_SPLIT: 0
	.section	.text._ZN7rocprim17ROCPRIM_400000_NS6detail17trampoline_kernelINS0_14default_configENS1_25partition_config_selectorILNS1_17partition_subalgoE8EhNS0_10empty_typeEbEEZZNS1_14partition_implILS5_8ELb0ES3_jPKhPS6_PKS6_NS0_5tupleIJPhS6_EEENSE_IJSB_SB_EEENS0_18inequality_wrapperIN6hipcub16HIPCUB_304000_NS8EqualityEEEPlJS6_EEE10hipError_tPvRmT3_T4_T5_T6_T7_T9_mT8_P12ihipStream_tbDpT10_ENKUlT_T0_E_clISt17integral_constantIbLb1EES16_IbLb0EEEEDaS12_S13_EUlS12_E_NS1_11comp_targetILNS1_3genE0ELNS1_11target_archE4294967295ELNS1_3gpuE0ELNS1_3repE0EEENS1_30default_config_static_selectorELNS0_4arch9wavefront6targetE1EEEvT1_,"axG",@progbits,_ZN7rocprim17ROCPRIM_400000_NS6detail17trampoline_kernelINS0_14default_configENS1_25partition_config_selectorILNS1_17partition_subalgoE8EhNS0_10empty_typeEbEEZZNS1_14partition_implILS5_8ELb0ES3_jPKhPS6_PKS6_NS0_5tupleIJPhS6_EEENSE_IJSB_SB_EEENS0_18inequality_wrapperIN6hipcub16HIPCUB_304000_NS8EqualityEEEPlJS6_EEE10hipError_tPvRmT3_T4_T5_T6_T7_T9_mT8_P12ihipStream_tbDpT10_ENKUlT_T0_E_clISt17integral_constantIbLb1EES16_IbLb0EEEEDaS12_S13_EUlS12_E_NS1_11comp_targetILNS1_3genE0ELNS1_11target_archE4294967295ELNS1_3gpuE0ELNS1_3repE0EEENS1_30default_config_static_selectorELNS0_4arch9wavefront6targetE1EEEvT1_,comdat
	.protected	_ZN7rocprim17ROCPRIM_400000_NS6detail17trampoline_kernelINS0_14default_configENS1_25partition_config_selectorILNS1_17partition_subalgoE8EhNS0_10empty_typeEbEEZZNS1_14partition_implILS5_8ELb0ES3_jPKhPS6_PKS6_NS0_5tupleIJPhS6_EEENSE_IJSB_SB_EEENS0_18inequality_wrapperIN6hipcub16HIPCUB_304000_NS8EqualityEEEPlJS6_EEE10hipError_tPvRmT3_T4_T5_T6_T7_T9_mT8_P12ihipStream_tbDpT10_ENKUlT_T0_E_clISt17integral_constantIbLb1EES16_IbLb0EEEEDaS12_S13_EUlS12_E_NS1_11comp_targetILNS1_3genE0ELNS1_11target_archE4294967295ELNS1_3gpuE0ELNS1_3repE0EEENS1_30default_config_static_selectorELNS0_4arch9wavefront6targetE1EEEvT1_ ; -- Begin function _ZN7rocprim17ROCPRIM_400000_NS6detail17trampoline_kernelINS0_14default_configENS1_25partition_config_selectorILNS1_17partition_subalgoE8EhNS0_10empty_typeEbEEZZNS1_14partition_implILS5_8ELb0ES3_jPKhPS6_PKS6_NS0_5tupleIJPhS6_EEENSE_IJSB_SB_EEENS0_18inequality_wrapperIN6hipcub16HIPCUB_304000_NS8EqualityEEEPlJS6_EEE10hipError_tPvRmT3_T4_T5_T6_T7_T9_mT8_P12ihipStream_tbDpT10_ENKUlT_T0_E_clISt17integral_constantIbLb1EES16_IbLb0EEEEDaS12_S13_EUlS12_E_NS1_11comp_targetILNS1_3genE0ELNS1_11target_archE4294967295ELNS1_3gpuE0ELNS1_3repE0EEENS1_30default_config_static_selectorELNS0_4arch9wavefront6targetE1EEEvT1_
	.globl	_ZN7rocprim17ROCPRIM_400000_NS6detail17trampoline_kernelINS0_14default_configENS1_25partition_config_selectorILNS1_17partition_subalgoE8EhNS0_10empty_typeEbEEZZNS1_14partition_implILS5_8ELb0ES3_jPKhPS6_PKS6_NS0_5tupleIJPhS6_EEENSE_IJSB_SB_EEENS0_18inequality_wrapperIN6hipcub16HIPCUB_304000_NS8EqualityEEEPlJS6_EEE10hipError_tPvRmT3_T4_T5_T6_T7_T9_mT8_P12ihipStream_tbDpT10_ENKUlT_T0_E_clISt17integral_constantIbLb1EES16_IbLb0EEEEDaS12_S13_EUlS12_E_NS1_11comp_targetILNS1_3genE0ELNS1_11target_archE4294967295ELNS1_3gpuE0ELNS1_3repE0EEENS1_30default_config_static_selectorELNS0_4arch9wavefront6targetE1EEEvT1_
	.p2align	8
	.type	_ZN7rocprim17ROCPRIM_400000_NS6detail17trampoline_kernelINS0_14default_configENS1_25partition_config_selectorILNS1_17partition_subalgoE8EhNS0_10empty_typeEbEEZZNS1_14partition_implILS5_8ELb0ES3_jPKhPS6_PKS6_NS0_5tupleIJPhS6_EEENSE_IJSB_SB_EEENS0_18inequality_wrapperIN6hipcub16HIPCUB_304000_NS8EqualityEEEPlJS6_EEE10hipError_tPvRmT3_T4_T5_T6_T7_T9_mT8_P12ihipStream_tbDpT10_ENKUlT_T0_E_clISt17integral_constantIbLb1EES16_IbLb0EEEEDaS12_S13_EUlS12_E_NS1_11comp_targetILNS1_3genE0ELNS1_11target_archE4294967295ELNS1_3gpuE0ELNS1_3repE0EEENS1_30default_config_static_selectorELNS0_4arch9wavefront6targetE1EEEvT1_,@function
_ZN7rocprim17ROCPRIM_400000_NS6detail17trampoline_kernelINS0_14default_configENS1_25partition_config_selectorILNS1_17partition_subalgoE8EhNS0_10empty_typeEbEEZZNS1_14partition_implILS5_8ELb0ES3_jPKhPS6_PKS6_NS0_5tupleIJPhS6_EEENSE_IJSB_SB_EEENS0_18inequality_wrapperIN6hipcub16HIPCUB_304000_NS8EqualityEEEPlJS6_EEE10hipError_tPvRmT3_T4_T5_T6_T7_T9_mT8_P12ihipStream_tbDpT10_ENKUlT_T0_E_clISt17integral_constantIbLb1EES16_IbLb0EEEEDaS12_S13_EUlS12_E_NS1_11comp_targetILNS1_3genE0ELNS1_11target_archE4294967295ELNS1_3gpuE0ELNS1_3repE0EEENS1_30default_config_static_selectorELNS0_4arch9wavefront6targetE1EEEvT1_: ; @_ZN7rocprim17ROCPRIM_400000_NS6detail17trampoline_kernelINS0_14default_configENS1_25partition_config_selectorILNS1_17partition_subalgoE8EhNS0_10empty_typeEbEEZZNS1_14partition_implILS5_8ELb0ES3_jPKhPS6_PKS6_NS0_5tupleIJPhS6_EEENSE_IJSB_SB_EEENS0_18inequality_wrapperIN6hipcub16HIPCUB_304000_NS8EqualityEEEPlJS6_EEE10hipError_tPvRmT3_T4_T5_T6_T7_T9_mT8_P12ihipStream_tbDpT10_ENKUlT_T0_E_clISt17integral_constantIbLb1EES16_IbLb0EEEEDaS12_S13_EUlS12_E_NS1_11comp_targetILNS1_3genE0ELNS1_11target_archE4294967295ELNS1_3gpuE0ELNS1_3repE0EEENS1_30default_config_static_selectorELNS0_4arch9wavefront6targetE1EEEvT1_
; %bb.0:
	.section	.rodata,"a",@progbits
	.p2align	6, 0x0
	.amdhsa_kernel _ZN7rocprim17ROCPRIM_400000_NS6detail17trampoline_kernelINS0_14default_configENS1_25partition_config_selectorILNS1_17partition_subalgoE8EhNS0_10empty_typeEbEEZZNS1_14partition_implILS5_8ELb0ES3_jPKhPS6_PKS6_NS0_5tupleIJPhS6_EEENSE_IJSB_SB_EEENS0_18inequality_wrapperIN6hipcub16HIPCUB_304000_NS8EqualityEEEPlJS6_EEE10hipError_tPvRmT3_T4_T5_T6_T7_T9_mT8_P12ihipStream_tbDpT10_ENKUlT_T0_E_clISt17integral_constantIbLb1EES16_IbLb0EEEEDaS12_S13_EUlS12_E_NS1_11comp_targetILNS1_3genE0ELNS1_11target_archE4294967295ELNS1_3gpuE0ELNS1_3repE0EEENS1_30default_config_static_selectorELNS0_4arch9wavefront6targetE1EEEvT1_
		.amdhsa_group_segment_fixed_size 0
		.amdhsa_private_segment_fixed_size 0
		.amdhsa_kernarg_size 112
		.amdhsa_user_sgpr_count 6
		.amdhsa_user_sgpr_private_segment_buffer 1
		.amdhsa_user_sgpr_dispatch_ptr 0
		.amdhsa_user_sgpr_queue_ptr 0
		.amdhsa_user_sgpr_kernarg_segment_ptr 1
		.amdhsa_user_sgpr_dispatch_id 0
		.amdhsa_user_sgpr_flat_scratch_init 0
		.amdhsa_user_sgpr_kernarg_preload_length 0
		.amdhsa_user_sgpr_kernarg_preload_offset 0
		.amdhsa_user_sgpr_private_segment_size 0
		.amdhsa_uses_dynamic_stack 0
		.amdhsa_system_sgpr_private_segment_wavefront_offset 0
		.amdhsa_system_sgpr_workgroup_id_x 1
		.amdhsa_system_sgpr_workgroup_id_y 0
		.amdhsa_system_sgpr_workgroup_id_z 0
		.amdhsa_system_sgpr_workgroup_info 0
		.amdhsa_system_vgpr_workitem_id 0
		.amdhsa_next_free_vgpr 1
		.amdhsa_next_free_sgpr 0
		.amdhsa_accum_offset 4
		.amdhsa_reserve_vcc 0
		.amdhsa_reserve_flat_scratch 0
		.amdhsa_float_round_mode_32 0
		.amdhsa_float_round_mode_16_64 0
		.amdhsa_float_denorm_mode_32 3
		.amdhsa_float_denorm_mode_16_64 3
		.amdhsa_dx10_clamp 1
		.amdhsa_ieee_mode 1
		.amdhsa_fp16_overflow 0
		.amdhsa_tg_split 0
		.amdhsa_exception_fp_ieee_invalid_op 0
		.amdhsa_exception_fp_denorm_src 0
		.amdhsa_exception_fp_ieee_div_zero 0
		.amdhsa_exception_fp_ieee_overflow 0
		.amdhsa_exception_fp_ieee_underflow 0
		.amdhsa_exception_fp_ieee_inexact 0
		.amdhsa_exception_int_div_zero 0
	.end_amdhsa_kernel
	.section	.text._ZN7rocprim17ROCPRIM_400000_NS6detail17trampoline_kernelINS0_14default_configENS1_25partition_config_selectorILNS1_17partition_subalgoE8EhNS0_10empty_typeEbEEZZNS1_14partition_implILS5_8ELb0ES3_jPKhPS6_PKS6_NS0_5tupleIJPhS6_EEENSE_IJSB_SB_EEENS0_18inequality_wrapperIN6hipcub16HIPCUB_304000_NS8EqualityEEEPlJS6_EEE10hipError_tPvRmT3_T4_T5_T6_T7_T9_mT8_P12ihipStream_tbDpT10_ENKUlT_T0_E_clISt17integral_constantIbLb1EES16_IbLb0EEEEDaS12_S13_EUlS12_E_NS1_11comp_targetILNS1_3genE0ELNS1_11target_archE4294967295ELNS1_3gpuE0ELNS1_3repE0EEENS1_30default_config_static_selectorELNS0_4arch9wavefront6targetE1EEEvT1_,"axG",@progbits,_ZN7rocprim17ROCPRIM_400000_NS6detail17trampoline_kernelINS0_14default_configENS1_25partition_config_selectorILNS1_17partition_subalgoE8EhNS0_10empty_typeEbEEZZNS1_14partition_implILS5_8ELb0ES3_jPKhPS6_PKS6_NS0_5tupleIJPhS6_EEENSE_IJSB_SB_EEENS0_18inequality_wrapperIN6hipcub16HIPCUB_304000_NS8EqualityEEEPlJS6_EEE10hipError_tPvRmT3_T4_T5_T6_T7_T9_mT8_P12ihipStream_tbDpT10_ENKUlT_T0_E_clISt17integral_constantIbLb1EES16_IbLb0EEEEDaS12_S13_EUlS12_E_NS1_11comp_targetILNS1_3genE0ELNS1_11target_archE4294967295ELNS1_3gpuE0ELNS1_3repE0EEENS1_30default_config_static_selectorELNS0_4arch9wavefront6targetE1EEEvT1_,comdat
.Lfunc_end150:
	.size	_ZN7rocprim17ROCPRIM_400000_NS6detail17trampoline_kernelINS0_14default_configENS1_25partition_config_selectorILNS1_17partition_subalgoE8EhNS0_10empty_typeEbEEZZNS1_14partition_implILS5_8ELb0ES3_jPKhPS6_PKS6_NS0_5tupleIJPhS6_EEENSE_IJSB_SB_EEENS0_18inequality_wrapperIN6hipcub16HIPCUB_304000_NS8EqualityEEEPlJS6_EEE10hipError_tPvRmT3_T4_T5_T6_T7_T9_mT8_P12ihipStream_tbDpT10_ENKUlT_T0_E_clISt17integral_constantIbLb1EES16_IbLb0EEEEDaS12_S13_EUlS12_E_NS1_11comp_targetILNS1_3genE0ELNS1_11target_archE4294967295ELNS1_3gpuE0ELNS1_3repE0EEENS1_30default_config_static_selectorELNS0_4arch9wavefront6targetE1EEEvT1_, .Lfunc_end150-_ZN7rocprim17ROCPRIM_400000_NS6detail17trampoline_kernelINS0_14default_configENS1_25partition_config_selectorILNS1_17partition_subalgoE8EhNS0_10empty_typeEbEEZZNS1_14partition_implILS5_8ELb0ES3_jPKhPS6_PKS6_NS0_5tupleIJPhS6_EEENSE_IJSB_SB_EEENS0_18inequality_wrapperIN6hipcub16HIPCUB_304000_NS8EqualityEEEPlJS6_EEE10hipError_tPvRmT3_T4_T5_T6_T7_T9_mT8_P12ihipStream_tbDpT10_ENKUlT_T0_E_clISt17integral_constantIbLb1EES16_IbLb0EEEEDaS12_S13_EUlS12_E_NS1_11comp_targetILNS1_3genE0ELNS1_11target_archE4294967295ELNS1_3gpuE0ELNS1_3repE0EEENS1_30default_config_static_selectorELNS0_4arch9wavefront6targetE1EEEvT1_
                                        ; -- End function
	.section	.AMDGPU.csdata,"",@progbits
; Kernel info:
; codeLenInByte = 0
; NumSgprs: 4
; NumVgprs: 0
; NumAgprs: 0
; TotalNumVgprs: 0
; ScratchSize: 0
; MemoryBound: 0
; FloatMode: 240
; IeeeMode: 1
; LDSByteSize: 0 bytes/workgroup (compile time only)
; SGPRBlocks: 0
; VGPRBlocks: 0
; NumSGPRsForWavesPerEU: 4
; NumVGPRsForWavesPerEU: 1
; AccumOffset: 4
; Occupancy: 8
; WaveLimiterHint : 0
; COMPUTE_PGM_RSRC2:SCRATCH_EN: 0
; COMPUTE_PGM_RSRC2:USER_SGPR: 6
; COMPUTE_PGM_RSRC2:TRAP_HANDLER: 0
; COMPUTE_PGM_RSRC2:TGID_X_EN: 1
; COMPUTE_PGM_RSRC2:TGID_Y_EN: 0
; COMPUTE_PGM_RSRC2:TGID_Z_EN: 0
; COMPUTE_PGM_RSRC2:TIDIG_COMP_CNT: 0
; COMPUTE_PGM_RSRC3_GFX90A:ACCUM_OFFSET: 0
; COMPUTE_PGM_RSRC3_GFX90A:TG_SPLIT: 0
	.section	.text._ZN7rocprim17ROCPRIM_400000_NS6detail17trampoline_kernelINS0_14default_configENS1_25partition_config_selectorILNS1_17partition_subalgoE8EhNS0_10empty_typeEbEEZZNS1_14partition_implILS5_8ELb0ES3_jPKhPS6_PKS6_NS0_5tupleIJPhS6_EEENSE_IJSB_SB_EEENS0_18inequality_wrapperIN6hipcub16HIPCUB_304000_NS8EqualityEEEPlJS6_EEE10hipError_tPvRmT3_T4_T5_T6_T7_T9_mT8_P12ihipStream_tbDpT10_ENKUlT_T0_E_clISt17integral_constantIbLb1EES16_IbLb0EEEEDaS12_S13_EUlS12_E_NS1_11comp_targetILNS1_3genE5ELNS1_11target_archE942ELNS1_3gpuE9ELNS1_3repE0EEENS1_30default_config_static_selectorELNS0_4arch9wavefront6targetE1EEEvT1_,"axG",@progbits,_ZN7rocprim17ROCPRIM_400000_NS6detail17trampoline_kernelINS0_14default_configENS1_25partition_config_selectorILNS1_17partition_subalgoE8EhNS0_10empty_typeEbEEZZNS1_14partition_implILS5_8ELb0ES3_jPKhPS6_PKS6_NS0_5tupleIJPhS6_EEENSE_IJSB_SB_EEENS0_18inequality_wrapperIN6hipcub16HIPCUB_304000_NS8EqualityEEEPlJS6_EEE10hipError_tPvRmT3_T4_T5_T6_T7_T9_mT8_P12ihipStream_tbDpT10_ENKUlT_T0_E_clISt17integral_constantIbLb1EES16_IbLb0EEEEDaS12_S13_EUlS12_E_NS1_11comp_targetILNS1_3genE5ELNS1_11target_archE942ELNS1_3gpuE9ELNS1_3repE0EEENS1_30default_config_static_selectorELNS0_4arch9wavefront6targetE1EEEvT1_,comdat
	.protected	_ZN7rocprim17ROCPRIM_400000_NS6detail17trampoline_kernelINS0_14default_configENS1_25partition_config_selectorILNS1_17partition_subalgoE8EhNS0_10empty_typeEbEEZZNS1_14partition_implILS5_8ELb0ES3_jPKhPS6_PKS6_NS0_5tupleIJPhS6_EEENSE_IJSB_SB_EEENS0_18inequality_wrapperIN6hipcub16HIPCUB_304000_NS8EqualityEEEPlJS6_EEE10hipError_tPvRmT3_T4_T5_T6_T7_T9_mT8_P12ihipStream_tbDpT10_ENKUlT_T0_E_clISt17integral_constantIbLb1EES16_IbLb0EEEEDaS12_S13_EUlS12_E_NS1_11comp_targetILNS1_3genE5ELNS1_11target_archE942ELNS1_3gpuE9ELNS1_3repE0EEENS1_30default_config_static_selectorELNS0_4arch9wavefront6targetE1EEEvT1_ ; -- Begin function _ZN7rocprim17ROCPRIM_400000_NS6detail17trampoline_kernelINS0_14default_configENS1_25partition_config_selectorILNS1_17partition_subalgoE8EhNS0_10empty_typeEbEEZZNS1_14partition_implILS5_8ELb0ES3_jPKhPS6_PKS6_NS0_5tupleIJPhS6_EEENSE_IJSB_SB_EEENS0_18inequality_wrapperIN6hipcub16HIPCUB_304000_NS8EqualityEEEPlJS6_EEE10hipError_tPvRmT3_T4_T5_T6_T7_T9_mT8_P12ihipStream_tbDpT10_ENKUlT_T0_E_clISt17integral_constantIbLb1EES16_IbLb0EEEEDaS12_S13_EUlS12_E_NS1_11comp_targetILNS1_3genE5ELNS1_11target_archE942ELNS1_3gpuE9ELNS1_3repE0EEENS1_30default_config_static_selectorELNS0_4arch9wavefront6targetE1EEEvT1_
	.globl	_ZN7rocprim17ROCPRIM_400000_NS6detail17trampoline_kernelINS0_14default_configENS1_25partition_config_selectorILNS1_17partition_subalgoE8EhNS0_10empty_typeEbEEZZNS1_14partition_implILS5_8ELb0ES3_jPKhPS6_PKS6_NS0_5tupleIJPhS6_EEENSE_IJSB_SB_EEENS0_18inequality_wrapperIN6hipcub16HIPCUB_304000_NS8EqualityEEEPlJS6_EEE10hipError_tPvRmT3_T4_T5_T6_T7_T9_mT8_P12ihipStream_tbDpT10_ENKUlT_T0_E_clISt17integral_constantIbLb1EES16_IbLb0EEEEDaS12_S13_EUlS12_E_NS1_11comp_targetILNS1_3genE5ELNS1_11target_archE942ELNS1_3gpuE9ELNS1_3repE0EEENS1_30default_config_static_selectorELNS0_4arch9wavefront6targetE1EEEvT1_
	.p2align	8
	.type	_ZN7rocprim17ROCPRIM_400000_NS6detail17trampoline_kernelINS0_14default_configENS1_25partition_config_selectorILNS1_17partition_subalgoE8EhNS0_10empty_typeEbEEZZNS1_14partition_implILS5_8ELb0ES3_jPKhPS6_PKS6_NS0_5tupleIJPhS6_EEENSE_IJSB_SB_EEENS0_18inequality_wrapperIN6hipcub16HIPCUB_304000_NS8EqualityEEEPlJS6_EEE10hipError_tPvRmT3_T4_T5_T6_T7_T9_mT8_P12ihipStream_tbDpT10_ENKUlT_T0_E_clISt17integral_constantIbLb1EES16_IbLb0EEEEDaS12_S13_EUlS12_E_NS1_11comp_targetILNS1_3genE5ELNS1_11target_archE942ELNS1_3gpuE9ELNS1_3repE0EEENS1_30default_config_static_selectorELNS0_4arch9wavefront6targetE1EEEvT1_,@function
_ZN7rocprim17ROCPRIM_400000_NS6detail17trampoline_kernelINS0_14default_configENS1_25partition_config_selectorILNS1_17partition_subalgoE8EhNS0_10empty_typeEbEEZZNS1_14partition_implILS5_8ELb0ES3_jPKhPS6_PKS6_NS0_5tupleIJPhS6_EEENSE_IJSB_SB_EEENS0_18inequality_wrapperIN6hipcub16HIPCUB_304000_NS8EqualityEEEPlJS6_EEE10hipError_tPvRmT3_T4_T5_T6_T7_T9_mT8_P12ihipStream_tbDpT10_ENKUlT_T0_E_clISt17integral_constantIbLb1EES16_IbLb0EEEEDaS12_S13_EUlS12_E_NS1_11comp_targetILNS1_3genE5ELNS1_11target_archE942ELNS1_3gpuE9ELNS1_3repE0EEENS1_30default_config_static_selectorELNS0_4arch9wavefront6targetE1EEEvT1_: ; @_ZN7rocprim17ROCPRIM_400000_NS6detail17trampoline_kernelINS0_14default_configENS1_25partition_config_selectorILNS1_17partition_subalgoE8EhNS0_10empty_typeEbEEZZNS1_14partition_implILS5_8ELb0ES3_jPKhPS6_PKS6_NS0_5tupleIJPhS6_EEENSE_IJSB_SB_EEENS0_18inequality_wrapperIN6hipcub16HIPCUB_304000_NS8EqualityEEEPlJS6_EEE10hipError_tPvRmT3_T4_T5_T6_T7_T9_mT8_P12ihipStream_tbDpT10_ENKUlT_T0_E_clISt17integral_constantIbLb1EES16_IbLb0EEEEDaS12_S13_EUlS12_E_NS1_11comp_targetILNS1_3genE5ELNS1_11target_archE942ELNS1_3gpuE9ELNS1_3repE0EEENS1_30default_config_static_selectorELNS0_4arch9wavefront6targetE1EEEvT1_
; %bb.0:
	.section	.rodata,"a",@progbits
	.p2align	6, 0x0
	.amdhsa_kernel _ZN7rocprim17ROCPRIM_400000_NS6detail17trampoline_kernelINS0_14default_configENS1_25partition_config_selectorILNS1_17partition_subalgoE8EhNS0_10empty_typeEbEEZZNS1_14partition_implILS5_8ELb0ES3_jPKhPS6_PKS6_NS0_5tupleIJPhS6_EEENSE_IJSB_SB_EEENS0_18inequality_wrapperIN6hipcub16HIPCUB_304000_NS8EqualityEEEPlJS6_EEE10hipError_tPvRmT3_T4_T5_T6_T7_T9_mT8_P12ihipStream_tbDpT10_ENKUlT_T0_E_clISt17integral_constantIbLb1EES16_IbLb0EEEEDaS12_S13_EUlS12_E_NS1_11comp_targetILNS1_3genE5ELNS1_11target_archE942ELNS1_3gpuE9ELNS1_3repE0EEENS1_30default_config_static_selectorELNS0_4arch9wavefront6targetE1EEEvT1_
		.amdhsa_group_segment_fixed_size 0
		.amdhsa_private_segment_fixed_size 0
		.amdhsa_kernarg_size 112
		.amdhsa_user_sgpr_count 6
		.amdhsa_user_sgpr_private_segment_buffer 1
		.amdhsa_user_sgpr_dispatch_ptr 0
		.amdhsa_user_sgpr_queue_ptr 0
		.amdhsa_user_sgpr_kernarg_segment_ptr 1
		.amdhsa_user_sgpr_dispatch_id 0
		.amdhsa_user_sgpr_flat_scratch_init 0
		.amdhsa_user_sgpr_kernarg_preload_length 0
		.amdhsa_user_sgpr_kernarg_preload_offset 0
		.amdhsa_user_sgpr_private_segment_size 0
		.amdhsa_uses_dynamic_stack 0
		.amdhsa_system_sgpr_private_segment_wavefront_offset 0
		.amdhsa_system_sgpr_workgroup_id_x 1
		.amdhsa_system_sgpr_workgroup_id_y 0
		.amdhsa_system_sgpr_workgroup_id_z 0
		.amdhsa_system_sgpr_workgroup_info 0
		.amdhsa_system_vgpr_workitem_id 0
		.amdhsa_next_free_vgpr 1
		.amdhsa_next_free_sgpr 0
		.amdhsa_accum_offset 4
		.amdhsa_reserve_vcc 0
		.amdhsa_reserve_flat_scratch 0
		.amdhsa_float_round_mode_32 0
		.amdhsa_float_round_mode_16_64 0
		.amdhsa_float_denorm_mode_32 3
		.amdhsa_float_denorm_mode_16_64 3
		.amdhsa_dx10_clamp 1
		.amdhsa_ieee_mode 1
		.amdhsa_fp16_overflow 0
		.amdhsa_tg_split 0
		.amdhsa_exception_fp_ieee_invalid_op 0
		.amdhsa_exception_fp_denorm_src 0
		.amdhsa_exception_fp_ieee_div_zero 0
		.amdhsa_exception_fp_ieee_overflow 0
		.amdhsa_exception_fp_ieee_underflow 0
		.amdhsa_exception_fp_ieee_inexact 0
		.amdhsa_exception_int_div_zero 0
	.end_amdhsa_kernel
	.section	.text._ZN7rocprim17ROCPRIM_400000_NS6detail17trampoline_kernelINS0_14default_configENS1_25partition_config_selectorILNS1_17partition_subalgoE8EhNS0_10empty_typeEbEEZZNS1_14partition_implILS5_8ELb0ES3_jPKhPS6_PKS6_NS0_5tupleIJPhS6_EEENSE_IJSB_SB_EEENS0_18inequality_wrapperIN6hipcub16HIPCUB_304000_NS8EqualityEEEPlJS6_EEE10hipError_tPvRmT3_T4_T5_T6_T7_T9_mT8_P12ihipStream_tbDpT10_ENKUlT_T0_E_clISt17integral_constantIbLb1EES16_IbLb0EEEEDaS12_S13_EUlS12_E_NS1_11comp_targetILNS1_3genE5ELNS1_11target_archE942ELNS1_3gpuE9ELNS1_3repE0EEENS1_30default_config_static_selectorELNS0_4arch9wavefront6targetE1EEEvT1_,"axG",@progbits,_ZN7rocprim17ROCPRIM_400000_NS6detail17trampoline_kernelINS0_14default_configENS1_25partition_config_selectorILNS1_17partition_subalgoE8EhNS0_10empty_typeEbEEZZNS1_14partition_implILS5_8ELb0ES3_jPKhPS6_PKS6_NS0_5tupleIJPhS6_EEENSE_IJSB_SB_EEENS0_18inequality_wrapperIN6hipcub16HIPCUB_304000_NS8EqualityEEEPlJS6_EEE10hipError_tPvRmT3_T4_T5_T6_T7_T9_mT8_P12ihipStream_tbDpT10_ENKUlT_T0_E_clISt17integral_constantIbLb1EES16_IbLb0EEEEDaS12_S13_EUlS12_E_NS1_11comp_targetILNS1_3genE5ELNS1_11target_archE942ELNS1_3gpuE9ELNS1_3repE0EEENS1_30default_config_static_selectorELNS0_4arch9wavefront6targetE1EEEvT1_,comdat
.Lfunc_end151:
	.size	_ZN7rocprim17ROCPRIM_400000_NS6detail17trampoline_kernelINS0_14default_configENS1_25partition_config_selectorILNS1_17partition_subalgoE8EhNS0_10empty_typeEbEEZZNS1_14partition_implILS5_8ELb0ES3_jPKhPS6_PKS6_NS0_5tupleIJPhS6_EEENSE_IJSB_SB_EEENS0_18inequality_wrapperIN6hipcub16HIPCUB_304000_NS8EqualityEEEPlJS6_EEE10hipError_tPvRmT3_T4_T5_T6_T7_T9_mT8_P12ihipStream_tbDpT10_ENKUlT_T0_E_clISt17integral_constantIbLb1EES16_IbLb0EEEEDaS12_S13_EUlS12_E_NS1_11comp_targetILNS1_3genE5ELNS1_11target_archE942ELNS1_3gpuE9ELNS1_3repE0EEENS1_30default_config_static_selectorELNS0_4arch9wavefront6targetE1EEEvT1_, .Lfunc_end151-_ZN7rocprim17ROCPRIM_400000_NS6detail17trampoline_kernelINS0_14default_configENS1_25partition_config_selectorILNS1_17partition_subalgoE8EhNS0_10empty_typeEbEEZZNS1_14partition_implILS5_8ELb0ES3_jPKhPS6_PKS6_NS0_5tupleIJPhS6_EEENSE_IJSB_SB_EEENS0_18inequality_wrapperIN6hipcub16HIPCUB_304000_NS8EqualityEEEPlJS6_EEE10hipError_tPvRmT3_T4_T5_T6_T7_T9_mT8_P12ihipStream_tbDpT10_ENKUlT_T0_E_clISt17integral_constantIbLb1EES16_IbLb0EEEEDaS12_S13_EUlS12_E_NS1_11comp_targetILNS1_3genE5ELNS1_11target_archE942ELNS1_3gpuE9ELNS1_3repE0EEENS1_30default_config_static_selectorELNS0_4arch9wavefront6targetE1EEEvT1_
                                        ; -- End function
	.section	.AMDGPU.csdata,"",@progbits
; Kernel info:
; codeLenInByte = 0
; NumSgprs: 4
; NumVgprs: 0
; NumAgprs: 0
; TotalNumVgprs: 0
; ScratchSize: 0
; MemoryBound: 0
; FloatMode: 240
; IeeeMode: 1
; LDSByteSize: 0 bytes/workgroup (compile time only)
; SGPRBlocks: 0
; VGPRBlocks: 0
; NumSGPRsForWavesPerEU: 4
; NumVGPRsForWavesPerEU: 1
; AccumOffset: 4
; Occupancy: 8
; WaveLimiterHint : 0
; COMPUTE_PGM_RSRC2:SCRATCH_EN: 0
; COMPUTE_PGM_RSRC2:USER_SGPR: 6
; COMPUTE_PGM_RSRC2:TRAP_HANDLER: 0
; COMPUTE_PGM_RSRC2:TGID_X_EN: 1
; COMPUTE_PGM_RSRC2:TGID_Y_EN: 0
; COMPUTE_PGM_RSRC2:TGID_Z_EN: 0
; COMPUTE_PGM_RSRC2:TIDIG_COMP_CNT: 0
; COMPUTE_PGM_RSRC3_GFX90A:ACCUM_OFFSET: 0
; COMPUTE_PGM_RSRC3_GFX90A:TG_SPLIT: 0
	.section	.text._ZN7rocprim17ROCPRIM_400000_NS6detail17trampoline_kernelINS0_14default_configENS1_25partition_config_selectorILNS1_17partition_subalgoE8EhNS0_10empty_typeEbEEZZNS1_14partition_implILS5_8ELb0ES3_jPKhPS6_PKS6_NS0_5tupleIJPhS6_EEENSE_IJSB_SB_EEENS0_18inequality_wrapperIN6hipcub16HIPCUB_304000_NS8EqualityEEEPlJS6_EEE10hipError_tPvRmT3_T4_T5_T6_T7_T9_mT8_P12ihipStream_tbDpT10_ENKUlT_T0_E_clISt17integral_constantIbLb1EES16_IbLb0EEEEDaS12_S13_EUlS12_E_NS1_11comp_targetILNS1_3genE4ELNS1_11target_archE910ELNS1_3gpuE8ELNS1_3repE0EEENS1_30default_config_static_selectorELNS0_4arch9wavefront6targetE1EEEvT1_,"axG",@progbits,_ZN7rocprim17ROCPRIM_400000_NS6detail17trampoline_kernelINS0_14default_configENS1_25partition_config_selectorILNS1_17partition_subalgoE8EhNS0_10empty_typeEbEEZZNS1_14partition_implILS5_8ELb0ES3_jPKhPS6_PKS6_NS0_5tupleIJPhS6_EEENSE_IJSB_SB_EEENS0_18inequality_wrapperIN6hipcub16HIPCUB_304000_NS8EqualityEEEPlJS6_EEE10hipError_tPvRmT3_T4_T5_T6_T7_T9_mT8_P12ihipStream_tbDpT10_ENKUlT_T0_E_clISt17integral_constantIbLb1EES16_IbLb0EEEEDaS12_S13_EUlS12_E_NS1_11comp_targetILNS1_3genE4ELNS1_11target_archE910ELNS1_3gpuE8ELNS1_3repE0EEENS1_30default_config_static_selectorELNS0_4arch9wavefront6targetE1EEEvT1_,comdat
	.protected	_ZN7rocprim17ROCPRIM_400000_NS6detail17trampoline_kernelINS0_14default_configENS1_25partition_config_selectorILNS1_17partition_subalgoE8EhNS0_10empty_typeEbEEZZNS1_14partition_implILS5_8ELb0ES3_jPKhPS6_PKS6_NS0_5tupleIJPhS6_EEENSE_IJSB_SB_EEENS0_18inequality_wrapperIN6hipcub16HIPCUB_304000_NS8EqualityEEEPlJS6_EEE10hipError_tPvRmT3_T4_T5_T6_T7_T9_mT8_P12ihipStream_tbDpT10_ENKUlT_T0_E_clISt17integral_constantIbLb1EES16_IbLb0EEEEDaS12_S13_EUlS12_E_NS1_11comp_targetILNS1_3genE4ELNS1_11target_archE910ELNS1_3gpuE8ELNS1_3repE0EEENS1_30default_config_static_selectorELNS0_4arch9wavefront6targetE1EEEvT1_ ; -- Begin function _ZN7rocprim17ROCPRIM_400000_NS6detail17trampoline_kernelINS0_14default_configENS1_25partition_config_selectorILNS1_17partition_subalgoE8EhNS0_10empty_typeEbEEZZNS1_14partition_implILS5_8ELb0ES3_jPKhPS6_PKS6_NS0_5tupleIJPhS6_EEENSE_IJSB_SB_EEENS0_18inequality_wrapperIN6hipcub16HIPCUB_304000_NS8EqualityEEEPlJS6_EEE10hipError_tPvRmT3_T4_T5_T6_T7_T9_mT8_P12ihipStream_tbDpT10_ENKUlT_T0_E_clISt17integral_constantIbLb1EES16_IbLb0EEEEDaS12_S13_EUlS12_E_NS1_11comp_targetILNS1_3genE4ELNS1_11target_archE910ELNS1_3gpuE8ELNS1_3repE0EEENS1_30default_config_static_selectorELNS0_4arch9wavefront6targetE1EEEvT1_
	.globl	_ZN7rocprim17ROCPRIM_400000_NS6detail17trampoline_kernelINS0_14default_configENS1_25partition_config_selectorILNS1_17partition_subalgoE8EhNS0_10empty_typeEbEEZZNS1_14partition_implILS5_8ELb0ES3_jPKhPS6_PKS6_NS0_5tupleIJPhS6_EEENSE_IJSB_SB_EEENS0_18inequality_wrapperIN6hipcub16HIPCUB_304000_NS8EqualityEEEPlJS6_EEE10hipError_tPvRmT3_T4_T5_T6_T7_T9_mT8_P12ihipStream_tbDpT10_ENKUlT_T0_E_clISt17integral_constantIbLb1EES16_IbLb0EEEEDaS12_S13_EUlS12_E_NS1_11comp_targetILNS1_3genE4ELNS1_11target_archE910ELNS1_3gpuE8ELNS1_3repE0EEENS1_30default_config_static_selectorELNS0_4arch9wavefront6targetE1EEEvT1_
	.p2align	8
	.type	_ZN7rocprim17ROCPRIM_400000_NS6detail17trampoline_kernelINS0_14default_configENS1_25partition_config_selectorILNS1_17partition_subalgoE8EhNS0_10empty_typeEbEEZZNS1_14partition_implILS5_8ELb0ES3_jPKhPS6_PKS6_NS0_5tupleIJPhS6_EEENSE_IJSB_SB_EEENS0_18inequality_wrapperIN6hipcub16HIPCUB_304000_NS8EqualityEEEPlJS6_EEE10hipError_tPvRmT3_T4_T5_T6_T7_T9_mT8_P12ihipStream_tbDpT10_ENKUlT_T0_E_clISt17integral_constantIbLb1EES16_IbLb0EEEEDaS12_S13_EUlS12_E_NS1_11comp_targetILNS1_3genE4ELNS1_11target_archE910ELNS1_3gpuE8ELNS1_3repE0EEENS1_30default_config_static_selectorELNS0_4arch9wavefront6targetE1EEEvT1_,@function
_ZN7rocprim17ROCPRIM_400000_NS6detail17trampoline_kernelINS0_14default_configENS1_25partition_config_selectorILNS1_17partition_subalgoE8EhNS0_10empty_typeEbEEZZNS1_14partition_implILS5_8ELb0ES3_jPKhPS6_PKS6_NS0_5tupleIJPhS6_EEENSE_IJSB_SB_EEENS0_18inequality_wrapperIN6hipcub16HIPCUB_304000_NS8EqualityEEEPlJS6_EEE10hipError_tPvRmT3_T4_T5_T6_T7_T9_mT8_P12ihipStream_tbDpT10_ENKUlT_T0_E_clISt17integral_constantIbLb1EES16_IbLb0EEEEDaS12_S13_EUlS12_E_NS1_11comp_targetILNS1_3genE4ELNS1_11target_archE910ELNS1_3gpuE8ELNS1_3repE0EEENS1_30default_config_static_selectorELNS0_4arch9wavefront6targetE1EEEvT1_: ; @_ZN7rocprim17ROCPRIM_400000_NS6detail17trampoline_kernelINS0_14default_configENS1_25partition_config_selectorILNS1_17partition_subalgoE8EhNS0_10empty_typeEbEEZZNS1_14partition_implILS5_8ELb0ES3_jPKhPS6_PKS6_NS0_5tupleIJPhS6_EEENSE_IJSB_SB_EEENS0_18inequality_wrapperIN6hipcub16HIPCUB_304000_NS8EqualityEEEPlJS6_EEE10hipError_tPvRmT3_T4_T5_T6_T7_T9_mT8_P12ihipStream_tbDpT10_ENKUlT_T0_E_clISt17integral_constantIbLb1EES16_IbLb0EEEEDaS12_S13_EUlS12_E_NS1_11comp_targetILNS1_3genE4ELNS1_11target_archE910ELNS1_3gpuE8ELNS1_3repE0EEENS1_30default_config_static_selectorELNS0_4arch9wavefront6targetE1EEEvT1_
; %bb.0:
	s_load_dwordx2 s[8:9], s[4:5], 0x50
	s_load_dwordx4 s[0:3], s[4:5], 0x8
	s_load_dwordx4 s[20:23], s[4:5], 0x40
	s_load_dword s10, s[4:5], 0x68
	v_mov_b32_e32 v1, v0
	s_waitcnt lgkmcnt(0)
	v_mov_b32_e32 v3, s9
	s_add_u32 s9, s0, s2
	s_addc_u32 s14, s1, s3
	s_add_i32 s11, s10, -1
	s_lshl_b32 s0, s11, 12
	s_lshl_b32 s15, s6, 12
	s_add_i32 s7, s2, s0
	s_lshl_b32 s0, s10, 12
	s_add_u32 s0, s2, s0
	s_addc_u32 s1, s3, 0
	v_mov_b32_e32 v2, s8
	s_cmp_eq_u32 s6, s11
	s_load_dwordx2 s[22:23], s[22:23], 0x0
	v_cmp_ge_u64_e32 vcc, s[0:1], v[2:3]
	s_cselect_b64 s[24:25], -1, 0
	s_and_b64 s[12:13], s[24:25], vcc
	s_xor_b64 s[26:27], s[12:13], -1
	s_add_u32 s0, s9, s15
	s_mov_b64 s[10:11], -1
	s_addc_u32 s1, s14, 0
	s_and_b64 vcc, exec, s[26:27]
	s_cbranch_vccz .LBB152_2
; %bb.1:
	global_load_ubyte v2, v0, s[0:1]
	global_load_ubyte v3, v0, s[0:1] offset:128
	global_load_ubyte v4, v0, s[0:1] offset:256
	;; [unrolled: 1-line block ×31, first 2 shown]
	s_mov_b64 s[10:11], 0
	s_waitcnt vmcnt(31)
	ds_write_b8 v0, v2
	s_waitcnt vmcnt(30)
	ds_write_b8 v0, v3 offset:132
	s_waitcnt vmcnt(29)
	ds_write_b8 v0, v4 offset:264
	;; [unrolled: 2-line block ×31, first 2 shown]
	s_waitcnt lgkmcnt(0)
	s_barrier
.LBB152_2:
	s_andn2_b64 vcc, exec, s[10:11]
	s_sub_i32 s7, s8, s7
	s_cbranch_vccnz .LBB152_68
; %bb.3:
	v_cmp_gt_u32_e32 vcc, s7, v0
                                        ; implicit-def: $vgpr2
	s_and_saveexec_b64 s[8:9], vcc
	s_cbranch_execz .LBB152_5
; %bb.4:
	global_load_ubyte v2, v0, s[0:1]
.LBB152_5:
	s_or_b64 exec, exec, s[8:9]
	v_or_b32_e32 v3, 0x80, v0
	v_cmp_gt_u32_e32 vcc, s7, v3
                                        ; implicit-def: $vgpr4
	s_and_saveexec_b64 s[8:9], vcc
	s_cbranch_execz .LBB152_7
; %bb.6:
	global_load_ubyte v4, v0, s[0:1] offset:128
.LBB152_7:
	s_or_b64 exec, exec, s[8:9]
	v_or_b32_e32 v5, 0x100, v0
	v_cmp_gt_u32_e32 vcc, s7, v5
                                        ; implicit-def: $vgpr6
	s_and_saveexec_b64 s[8:9], vcc
	s_cbranch_execz .LBB152_9
; %bb.8:
	global_load_ubyte v6, v0, s[0:1] offset:256
.LBB152_9:
	s_or_b64 exec, exec, s[8:9]
	v_or_b32_e32 v7, 0x180, v0
	v_cmp_gt_u32_e32 vcc, s7, v7
                                        ; implicit-def: $vgpr8
	s_and_saveexec_b64 s[8:9], vcc
	s_cbranch_execz .LBB152_11
; %bb.10:
	global_load_ubyte v8, v0, s[0:1] offset:384
.LBB152_11:
	s_or_b64 exec, exec, s[8:9]
	v_or_b32_e32 v9, 0x200, v0
	v_cmp_gt_u32_e32 vcc, s7, v9
                                        ; implicit-def: $vgpr10
	s_and_saveexec_b64 s[8:9], vcc
	s_cbranch_execz .LBB152_13
; %bb.12:
	global_load_ubyte v10, v0, s[0:1] offset:512
.LBB152_13:
	s_or_b64 exec, exec, s[8:9]
	v_or_b32_e32 v11, 0x280, v0
	v_cmp_gt_u32_e32 vcc, s7, v11
                                        ; implicit-def: $vgpr12
	s_and_saveexec_b64 s[8:9], vcc
	s_cbranch_execz .LBB152_15
; %bb.14:
	global_load_ubyte v12, v0, s[0:1] offset:640
.LBB152_15:
	s_or_b64 exec, exec, s[8:9]
	v_or_b32_e32 v13, 0x300, v0
	v_cmp_gt_u32_e32 vcc, s7, v13
                                        ; implicit-def: $vgpr14
	s_and_saveexec_b64 s[8:9], vcc
	s_cbranch_execz .LBB152_17
; %bb.16:
	global_load_ubyte v14, v0, s[0:1] offset:768
.LBB152_17:
	s_or_b64 exec, exec, s[8:9]
	v_or_b32_e32 v15, 0x380, v0
	v_cmp_gt_u32_e32 vcc, s7, v15
                                        ; implicit-def: $vgpr16
	s_and_saveexec_b64 s[8:9], vcc
	s_cbranch_execz .LBB152_19
; %bb.18:
	global_load_ubyte v16, v0, s[0:1] offset:896
.LBB152_19:
	s_or_b64 exec, exec, s[8:9]
	v_or_b32_e32 v17, 0x400, v0
	v_cmp_gt_u32_e32 vcc, s7, v17
                                        ; implicit-def: $vgpr18
	s_and_saveexec_b64 s[8:9], vcc
	s_cbranch_execz .LBB152_21
; %bb.20:
	global_load_ubyte v18, v0, s[0:1] offset:1024
.LBB152_21:
	s_or_b64 exec, exec, s[8:9]
	v_or_b32_e32 v19, 0x480, v0
	v_cmp_gt_u32_e32 vcc, s7, v19
                                        ; implicit-def: $vgpr20
	s_and_saveexec_b64 s[8:9], vcc
	s_cbranch_execz .LBB152_23
; %bb.22:
	global_load_ubyte v20, v0, s[0:1] offset:1152
.LBB152_23:
	s_or_b64 exec, exec, s[8:9]
	v_or_b32_e32 v21, 0x500, v0
	v_cmp_gt_u32_e32 vcc, s7, v21
                                        ; implicit-def: $vgpr22
	s_and_saveexec_b64 s[8:9], vcc
	s_cbranch_execz .LBB152_25
; %bb.24:
	global_load_ubyte v22, v0, s[0:1] offset:1280
.LBB152_25:
	s_or_b64 exec, exec, s[8:9]
	v_or_b32_e32 v23, 0x580, v0
	v_cmp_gt_u32_e32 vcc, s7, v23
                                        ; implicit-def: $vgpr24
	s_and_saveexec_b64 s[8:9], vcc
	s_cbranch_execz .LBB152_27
; %bb.26:
	global_load_ubyte v24, v0, s[0:1] offset:1408
.LBB152_27:
	s_or_b64 exec, exec, s[8:9]
	v_or_b32_e32 v25, 0x600, v0
	v_cmp_gt_u32_e32 vcc, s7, v25
                                        ; implicit-def: $vgpr26
	s_and_saveexec_b64 s[8:9], vcc
	s_cbranch_execz .LBB152_29
; %bb.28:
	global_load_ubyte v26, v0, s[0:1] offset:1536
.LBB152_29:
	s_or_b64 exec, exec, s[8:9]
	v_or_b32_e32 v27, 0x680, v0
	v_cmp_gt_u32_e32 vcc, s7, v27
                                        ; implicit-def: $vgpr28
	s_and_saveexec_b64 s[8:9], vcc
	s_cbranch_execz .LBB152_31
; %bb.30:
	global_load_ubyte v28, v0, s[0:1] offset:1664
.LBB152_31:
	s_or_b64 exec, exec, s[8:9]
	v_or_b32_e32 v29, 0x700, v0
	v_cmp_gt_u32_e32 vcc, s7, v29
                                        ; implicit-def: $vgpr30
	s_and_saveexec_b64 s[8:9], vcc
	s_cbranch_execz .LBB152_33
; %bb.32:
	global_load_ubyte v30, v0, s[0:1] offset:1792
.LBB152_33:
	s_or_b64 exec, exec, s[8:9]
	v_or_b32_e32 v31, 0x780, v0
	v_cmp_gt_u32_e32 vcc, s7, v31
                                        ; implicit-def: $vgpr32
	s_and_saveexec_b64 s[8:9], vcc
	s_cbranch_execz .LBB152_35
; %bb.34:
	global_load_ubyte v32, v0, s[0:1] offset:1920
.LBB152_35:
	s_or_b64 exec, exec, s[8:9]
	v_or_b32_e32 v33, 0x800, v0
	v_cmp_gt_u32_e32 vcc, s7, v33
                                        ; implicit-def: $vgpr34
	s_and_saveexec_b64 s[8:9], vcc
	s_cbranch_execz .LBB152_37
; %bb.36:
	global_load_ubyte v34, v0, s[0:1] offset:2048
.LBB152_37:
	s_or_b64 exec, exec, s[8:9]
	v_or_b32_e32 v35, 0x880, v0
	v_cmp_gt_u32_e32 vcc, s7, v35
                                        ; implicit-def: $vgpr36
	s_and_saveexec_b64 s[8:9], vcc
	s_cbranch_execz .LBB152_39
; %bb.38:
	global_load_ubyte v36, v0, s[0:1] offset:2176
.LBB152_39:
	s_or_b64 exec, exec, s[8:9]
	v_or_b32_e32 v37, 0x900, v0
	v_cmp_gt_u32_e32 vcc, s7, v37
                                        ; implicit-def: $vgpr38
	s_and_saveexec_b64 s[8:9], vcc
	s_cbranch_execz .LBB152_41
; %bb.40:
	global_load_ubyte v38, v0, s[0:1] offset:2304
.LBB152_41:
	s_or_b64 exec, exec, s[8:9]
	v_or_b32_e32 v39, 0x980, v0
	v_cmp_gt_u32_e32 vcc, s7, v39
                                        ; implicit-def: $vgpr40
	s_and_saveexec_b64 s[8:9], vcc
	s_cbranch_execz .LBB152_43
; %bb.42:
	global_load_ubyte v40, v0, s[0:1] offset:2432
.LBB152_43:
	s_or_b64 exec, exec, s[8:9]
	v_or_b32_e32 v41, 0xa00, v0
	v_cmp_gt_u32_e32 vcc, s7, v41
                                        ; implicit-def: $vgpr42
	s_and_saveexec_b64 s[8:9], vcc
	s_cbranch_execz .LBB152_45
; %bb.44:
	global_load_ubyte v42, v0, s[0:1] offset:2560
.LBB152_45:
	s_or_b64 exec, exec, s[8:9]
	v_or_b32_e32 v43, 0xa80, v0
	v_cmp_gt_u32_e32 vcc, s7, v43
                                        ; implicit-def: $vgpr44
	s_and_saveexec_b64 s[8:9], vcc
	s_cbranch_execz .LBB152_47
; %bb.46:
	global_load_ubyte v44, v0, s[0:1] offset:2688
.LBB152_47:
	s_or_b64 exec, exec, s[8:9]
	v_or_b32_e32 v45, 0xb00, v0
	v_cmp_gt_u32_e32 vcc, s7, v45
                                        ; implicit-def: $vgpr46
	s_and_saveexec_b64 s[8:9], vcc
	s_cbranch_execz .LBB152_49
; %bb.48:
	global_load_ubyte v46, v0, s[0:1] offset:2816
.LBB152_49:
	s_or_b64 exec, exec, s[8:9]
	v_or_b32_e32 v47, 0xb80, v0
	v_cmp_gt_u32_e32 vcc, s7, v47
                                        ; implicit-def: $vgpr48
	s_and_saveexec_b64 s[8:9], vcc
	s_cbranch_execz .LBB152_51
; %bb.50:
	global_load_ubyte v48, v0, s[0:1] offset:2944
.LBB152_51:
	s_or_b64 exec, exec, s[8:9]
	v_or_b32_e32 v49, 0xc00, v0
	v_cmp_gt_u32_e32 vcc, s7, v49
                                        ; implicit-def: $vgpr50
	s_and_saveexec_b64 s[8:9], vcc
	s_cbranch_execz .LBB152_53
; %bb.52:
	global_load_ubyte v50, v0, s[0:1] offset:3072
.LBB152_53:
	s_or_b64 exec, exec, s[8:9]
	v_or_b32_e32 v51, 0xc80, v0
	v_cmp_gt_u32_e32 vcc, s7, v51
                                        ; implicit-def: $vgpr52
	s_and_saveexec_b64 s[8:9], vcc
	s_cbranch_execz .LBB152_55
; %bb.54:
	global_load_ubyte v52, v0, s[0:1] offset:3200
.LBB152_55:
	s_or_b64 exec, exec, s[8:9]
	v_or_b32_e32 v53, 0xd00, v0
	v_cmp_gt_u32_e32 vcc, s7, v53
                                        ; implicit-def: $vgpr54
	s_and_saveexec_b64 s[8:9], vcc
	s_cbranch_execz .LBB152_57
; %bb.56:
	global_load_ubyte v54, v0, s[0:1] offset:3328
.LBB152_57:
	s_or_b64 exec, exec, s[8:9]
	v_or_b32_e32 v55, 0xd80, v0
	v_cmp_gt_u32_e32 vcc, s7, v55
                                        ; implicit-def: $vgpr56
	s_and_saveexec_b64 s[8:9], vcc
	s_cbranch_execz .LBB152_59
; %bb.58:
	global_load_ubyte v56, v0, s[0:1] offset:3456
.LBB152_59:
	s_or_b64 exec, exec, s[8:9]
	v_or_b32_e32 v57, 0xe00, v0
	v_cmp_gt_u32_e32 vcc, s7, v57
                                        ; implicit-def: $vgpr58
	s_and_saveexec_b64 s[8:9], vcc
	s_cbranch_execz .LBB152_61
; %bb.60:
	global_load_ubyte v58, v0, s[0:1] offset:3584
.LBB152_61:
	s_or_b64 exec, exec, s[8:9]
	v_or_b32_e32 v59, 0xe80, v0
	v_cmp_gt_u32_e32 vcc, s7, v59
                                        ; implicit-def: $vgpr60
	s_and_saveexec_b64 s[8:9], vcc
	s_cbranch_execz .LBB152_63
; %bb.62:
	global_load_ubyte v60, v0, s[0:1] offset:3712
.LBB152_63:
	s_or_b64 exec, exec, s[8:9]
	v_or_b32_e32 v61, 0xf00, v0
	v_cmp_gt_u32_e32 vcc, s7, v61
                                        ; implicit-def: $vgpr62
	s_and_saveexec_b64 s[8:9], vcc
	s_cbranch_execz .LBB152_65
; %bb.64:
	global_load_ubyte v62, v0, s[0:1] offset:3840
.LBB152_65:
	s_or_b64 exec, exec, s[8:9]
	v_or_b32_e32 v63, 0xf80, v0
	v_cmp_gt_u32_e32 vcc, s7, v63
                                        ; implicit-def: $vgpr64
	s_and_saveexec_b64 s[8:9], vcc
	s_cbranch_execz .LBB152_67
; %bb.66:
	global_load_ubyte v64, v0, s[0:1] offset:3968
.LBB152_67:
	s_or_b64 exec, exec, s[8:9]
	s_waitcnt vmcnt(0)
	ds_write_b8 v0, v2
	v_lshrrev_b32_e32 v2, 5, v3
	v_and_b32_e32 v2, 4, v2
	v_add_u32_e32 v2, v0, v2
	ds_write_b8 v2, v4 offset:128
	v_lshrrev_b32_e32 v2, 5, v5
	v_and_b32_e32 v2, 12, v2
	v_add_u32_e32 v2, v0, v2
	ds_write_b8 v2, v6 offset:256
	v_lshrrev_b32_e32 v2, 5, v7
	v_and_b32_e32 v2, 12, v2
	v_add_u32_e32 v2, v0, v2
	ds_write_b8 v2, v8 offset:384
	v_lshrrev_b32_e32 v2, 5, v9
	v_and_b32_e32 v2, 28, v2
	v_add_u32_e32 v2, v0, v2
	ds_write_b8 v2, v10 offset:512
	v_lshrrev_b32_e32 v2, 5, v11
	v_and_b32_e32 v2, 28, v2
	v_add_u32_e32 v2, v0, v2
	ds_write_b8 v2, v12 offset:640
	v_lshrrev_b32_e32 v2, 5, v13
	v_and_b32_e32 v2, 28, v2
	v_add_u32_e32 v2, v0, v2
	ds_write_b8 v2, v14 offset:768
	v_lshrrev_b32_e32 v2, 5, v15
	v_and_b32_e32 v2, 28, v2
	v_add_u32_e32 v2, v0, v2
	ds_write_b8 v2, v16 offset:896
	v_lshrrev_b32_e32 v2, 5, v17
	v_and_b32_e32 v2, 60, v2
	v_add_u32_e32 v2, v0, v2
	ds_write_b8 v2, v18 offset:1024
	v_lshrrev_b32_e32 v2, 5, v19
	v_and_b32_e32 v2, 60, v2
	v_add_u32_e32 v2, v0, v2
	ds_write_b8 v2, v20 offset:1152
	v_lshrrev_b32_e32 v2, 5, v21
	v_and_b32_e32 v2, 60, v2
	v_add_u32_e32 v2, v0, v2
	ds_write_b8 v2, v22 offset:1280
	v_lshrrev_b32_e32 v2, 5, v23
	v_and_b32_e32 v2, 60, v2
	v_add_u32_e32 v2, v0, v2
	ds_write_b8 v2, v24 offset:1408
	v_lshrrev_b32_e32 v2, 5, v25
	v_and_b32_e32 v2, 60, v2
	v_add_u32_e32 v2, v0, v2
	ds_write_b8 v2, v26 offset:1536
	v_lshrrev_b32_e32 v2, 5, v27
	v_and_b32_e32 v2, 60, v2
	v_add_u32_e32 v2, v0, v2
	ds_write_b8 v2, v28 offset:1664
	v_lshrrev_b32_e32 v2, 5, v29
	v_and_b32_e32 v2, 60, v2
	v_add_u32_e32 v2, v0, v2
	ds_write_b8 v2, v30 offset:1792
	v_lshrrev_b32_e32 v2, 5, v31
	v_and_b32_e32 v2, 60, v2
	v_add_u32_e32 v2, v0, v2
	ds_write_b8 v2, v32 offset:1920
	v_lshrrev_b32_e32 v2, 5, v33
	v_and_b32_e32 v2, 0x5c, v2
	v_add_u32_e32 v2, v0, v2
	ds_write_b8 v2, v34 offset:2048
	v_lshrrev_b32_e32 v2, 5, v35
	v_and_b32_e32 v2, 0x7c, v2
	v_add_u32_e32 v2, v0, v2
	ds_write_b8 v2, v36 offset:2176
	v_lshrrev_b32_e32 v2, 5, v37
	v_and_b32_e32 v2, 0x7c, v2
	v_add_u32_e32 v2, v0, v2
	ds_write_b8 v2, v38 offset:2304
	v_lshrrev_b32_e32 v2, 5, v39
	v_and_b32_e32 v2, 0x7c, v2
	v_add_u32_e32 v2, v0, v2
	ds_write_b8 v2, v40 offset:2432
	v_lshrrev_b32_e32 v2, 5, v41
	v_and_b32_e32 v2, 0x7c, v2
	v_add_u32_e32 v2, v0, v2
	ds_write_b8 v2, v42 offset:2560
	v_lshrrev_b32_e32 v2, 5, v43
	v_and_b32_e32 v2, 0x7c, v2
	v_add_u32_e32 v2, v0, v2
	ds_write_b8 v2, v44 offset:2688
	v_lshrrev_b32_e32 v2, 5, v45
	v_and_b32_e32 v2, 0x7c, v2
	v_add_u32_e32 v2, v0, v2
	ds_write_b8 v2, v46 offset:2816
	v_lshrrev_b32_e32 v2, 5, v47
	v_and_b32_e32 v2, 0x7c, v2
	v_add_u32_e32 v2, v0, v2
	ds_write_b8 v2, v48 offset:2944
	v_lshrrev_b32_e32 v2, 5, v49
	v_and_b32_e32 v2, 0x7c, v2
	v_add_u32_e32 v2, v0, v2
	ds_write_b8 v2, v50 offset:3072
	v_lshrrev_b32_e32 v2, 5, v51
	v_and_b32_e32 v2, 0x7c, v2
	v_add_u32_e32 v2, v0, v2
	ds_write_b8 v2, v52 offset:3200
	v_lshrrev_b32_e32 v2, 5, v53
	v_and_b32_e32 v2, 0x7c, v2
	v_add_u32_e32 v2, v0, v2
	ds_write_b8 v2, v54 offset:3328
	v_lshrrev_b32_e32 v2, 5, v55
	v_and_b32_e32 v2, 0x7c, v2
	v_add_u32_e32 v2, v0, v2
	ds_write_b8 v2, v56 offset:3456
	v_lshrrev_b32_e32 v2, 5, v57
	v_and_b32_e32 v2, 0x7c, v2
	v_add_u32_e32 v2, v0, v2
	ds_write_b8 v2, v58 offset:3584
	v_lshrrev_b32_e32 v2, 5, v59
	v_and_b32_e32 v2, 0x7c, v2
	v_add_u32_e32 v2, v0, v2
	ds_write_b8 v2, v60 offset:3712
	v_lshrrev_b32_e32 v2, 5, v61
	v_and_b32_e32 v2, 0x7c, v2
	v_add_u32_e32 v2, v0, v2
	ds_write_b8 v2, v62 offset:3840
	v_lshrrev_b32_e32 v2, 5, v63
	v_and_b32_e32 v2, 0x7c, v2
	v_add_u32_e32 v2, v0, v2
	ds_write_b8 v2, v64 offset:3968
	s_waitcnt lgkmcnt(0)
	s_barrier
.LBB152_68:
	v_lshlrev_b32_e32 v10, 5, v0
	v_and_b32_e32 v2, 0x7c, v0
	v_add_u32_e32 v4, v2, v10
	s_waitcnt lgkmcnt(0)
	ds_read2_b32 v[2:3], v4 offset0:6 offset1:7
	ds_read2_b32 v[8:9], v4 offset1:1
	ds_read2_b32 v[6:7], v4 offset0:2 offset1:3
	ds_read2_b32 v[4:5], v4 offset0:4 offset1:5
	s_cmp_lg_u32 s6, 0
	s_cselect_b64 s[16:17], -1, 0
	s_cmp_lg_u64 s[2:3], 0
	s_cselect_b64 s[2:3], -1, 0
	s_or_b64 s[2:3], s[16:17], s[2:3]
	s_waitcnt lgkmcnt(3)
	v_lshrrev_b32_e32 v25, 8, v2
	v_lshrrev_b32_e32 v24, 16, v2
	v_lshrrev_b32_e32 v23, 24, v2
	v_lshrrev_b32_e32 v22, 8, v3
	v_lshrrev_b32_e32 v21, 16, v3
	v_lshrrev_b32_e32 v20, 24, v3
	s_waitcnt lgkmcnt(2)
	v_lshrrev_b32_e32 v50, 8, v8
	v_lshrrev_b32_e32 v48, 16, v8
	v_lshrrev_b32_e32 v47, 24, v8
	v_lshrrev_b32_e32 v45, 8, v9
	v_lshrrev_b32_e32 v43, 16, v9
	v_lshrrev_b32_e32 v42, 24, v9
	;; [unrolled: 7-line block ×4, first 2 shown]
	s_mov_b64 s[14:15], 0
	s_and_b64 vcc, exec, s[2:3]
	s_barrier
	s_cbranch_vccz .LBB152_73
; %bb.69:
	v_mov_b32_e32 v11, 0
	global_load_ubyte v11, v11, s[0:1] offset:-1
	s_and_b64 vcc, exec, s[26:27]
	ds_write_b8 v0, v20
	s_cbranch_vccz .LBB152_75
; %bb.70:
	v_cmp_ne_u32_e32 vcc, 0, v0
	s_waitcnt vmcnt(0)
	v_mov_b32_e32 v12, v11
	s_waitcnt lgkmcnt(0)
	s_barrier
	s_and_saveexec_b64 s[0:1], vcc
	s_cbranch_execz .LBB152_72
; %bb.71:
	v_add_u32_e32 v12, -1, v0
	ds_read_u8 v12, v12
.LBB152_72:
	s_or_b64 exec, exec, s[0:1]
	v_cmp_ne_u16_sdwa s[0:1], v21, v20 src0_sel:BYTE_0 src1_sel:DWORD
	v_cndmask_b32_e64 v34, 0, 1, s[0:1]
	v_cmp_ne_u16_sdwa s[0:1], v22, v21 src0_sel:BYTE_0 src1_sel:BYTE_0
	v_cndmask_b32_e64 v36, 0, 1, s[0:1]
	v_cmp_ne_u16_sdwa s[0:1], v3, v22 src0_sel:BYTE_0 src1_sel:BYTE_0
	v_cndmask_b32_e64 v39, 0, 1, s[0:1]
	v_cmp_ne_u16_sdwa s[0:1], v23, v3 src0_sel:DWORD src1_sel:BYTE_0
	v_cndmask_b32_e64 v41, 0, 1, s[0:1]
	v_cmp_ne_u16_sdwa s[0:1], v24, v23 src0_sel:BYTE_0 src1_sel:DWORD
	v_cndmask_b32_e64 v44, 0, 1, s[0:1]
	v_cmp_ne_u16_sdwa s[0:1], v25, v24 src0_sel:BYTE_0 src1_sel:BYTE_0
	v_cndmask_b32_e64 v46, 0, 1, s[0:1]
	v_cmp_ne_u16_sdwa s[0:1], v2, v25 src0_sel:BYTE_0 src1_sel:BYTE_0
	v_cndmask_b32_e64 v49, 0, 1, s[0:1]
	v_cmp_ne_u16_sdwa s[0:1], v26, v2 src0_sel:DWORD src1_sel:BYTE_0
	v_cndmask_b32_e64 v51, 0, 1, s[0:1]
	;; [unrolled: 8-line block ×7, first 2 shown]
	v_cmp_ne_u16_sdwa s[0:1], v48, v47 src0_sel:BYTE_0 src1_sel:DWORD
	v_cndmask_b32_e64 v72, 0, 1, s[0:1]
	v_cmp_ne_u16_sdwa s[0:1], v50, v48 src0_sel:BYTE_0 src1_sel:BYTE_0
	v_cndmask_b32_e64 v73, 0, 1, s[0:1]
	v_cmp_ne_u16_sdwa s[0:1], v8, v50 src0_sel:BYTE_0 src1_sel:BYTE_0
	v_cndmask_b32_e64 v74, 0, 1, s[0:1]
	s_waitcnt lgkmcnt(0)
	v_cmp_ne_u16_sdwa s[18:19], v12, v8 src0_sel:BYTE_0 src1_sel:BYTE_0
	s_branch .LBB152_79
.LBB152_73:
                                        ; implicit-def: $sgpr18_sgpr19
                                        ; implicit-def: $vgpr74
                                        ; implicit-def: $vgpr73
                                        ; implicit-def: $vgpr72
                                        ; implicit-def: $vgpr71
                                        ; implicit-def: $vgpr70
                                        ; implicit-def: $vgpr69
                                        ; implicit-def: $vgpr68
                                        ; implicit-def: $vgpr67
                                        ; implicit-def: $vgpr66
                                        ; implicit-def: $vgpr65
                                        ; implicit-def: $vgpr64
                                        ; implicit-def: $vgpr63
                                        ; implicit-def: $vgpr62
                                        ; implicit-def: $vgpr61
                                        ; implicit-def: $vgpr60
                                        ; implicit-def: $vgpr59
                                        ; implicit-def: $vgpr58
                                        ; implicit-def: $vgpr57
                                        ; implicit-def: $vgpr56
                                        ; implicit-def: $vgpr55
                                        ; implicit-def: $vgpr54
                                        ; implicit-def: $vgpr53
                                        ; implicit-def: $vgpr52
                                        ; implicit-def: $vgpr51
                                        ; implicit-def: $vgpr49
                                        ; implicit-def: $vgpr46
                                        ; implicit-def: $vgpr44
                                        ; implicit-def: $vgpr41
                                        ; implicit-def: $vgpr39
                                        ; implicit-def: $vgpr36
                                        ; implicit-def: $vgpr34
	s_branch .LBB152_80
.LBB152_74:
                                        ; implicit-def: $sgpr28
	v_mov_b32_e32 v75, s28
	s_and_saveexec_b64 s[0:1], s[14:15]
	s_cbranch_execnz .LBB152_88
	s_branch .LBB152_89
.LBB152_75:
                                        ; implicit-def: $sgpr18_sgpr19
                                        ; implicit-def: $vgpr74
                                        ; implicit-def: $vgpr73
                                        ; implicit-def: $vgpr72
                                        ; implicit-def: $vgpr71
                                        ; implicit-def: $vgpr70
                                        ; implicit-def: $vgpr69
                                        ; implicit-def: $vgpr68
                                        ; implicit-def: $vgpr67
                                        ; implicit-def: $vgpr66
                                        ; implicit-def: $vgpr65
                                        ; implicit-def: $vgpr64
                                        ; implicit-def: $vgpr63
                                        ; implicit-def: $vgpr62
                                        ; implicit-def: $vgpr61
                                        ; implicit-def: $vgpr60
                                        ; implicit-def: $vgpr59
                                        ; implicit-def: $vgpr58
                                        ; implicit-def: $vgpr57
                                        ; implicit-def: $vgpr56
                                        ; implicit-def: $vgpr55
                                        ; implicit-def: $vgpr54
                                        ; implicit-def: $vgpr53
                                        ; implicit-def: $vgpr52
                                        ; implicit-def: $vgpr51
                                        ; implicit-def: $vgpr49
                                        ; implicit-def: $vgpr46
                                        ; implicit-def: $vgpr44
                                        ; implicit-def: $vgpr41
                                        ; implicit-def: $vgpr39
                                        ; implicit-def: $vgpr36
                                        ; implicit-def: $vgpr34
	s_cbranch_execz .LBB152_79
; %bb.76:
	v_cmp_ne_u32_e32 vcc, 0, v0
	s_waitcnt lgkmcnt(0)
	s_barrier
	s_and_saveexec_b64 s[0:1], vcc
	s_cbranch_execz .LBB152_78
; %bb.77:
	s_waitcnt vmcnt(0)
	v_add_u32_e32 v11, -1, v0
	ds_read_u8 v11, v11
.LBB152_78:
	s_or_b64 exec, exec, s[0:1]
	v_or_b32_e32 v12, 31, v10
	v_cmp_gt_u32_e32 vcc, s7, v12
	v_cmp_ne_u16_sdwa s[0:1], v21, v20 src0_sel:BYTE_0 src1_sel:BYTE_0
	s_and_b64 s[0:1], vcc, s[0:1]
	v_or_b32_e32 v12, 30, v10
	v_cndmask_b32_e64 v34, 0, 1, s[0:1]
	v_cmp_gt_u32_e32 vcc, s7, v12
	v_cmp_ne_u16_sdwa s[0:1], v22, v21 src0_sel:BYTE_0 src1_sel:BYTE_0
	s_and_b64 s[0:1], vcc, s[0:1]
	v_or_b32_e32 v12, 29, v10
	v_cndmask_b32_e64 v36, 0, 1, s[0:1]
	;; [unrolled: 5-line block ×30, first 2 shown]
	v_cmp_gt_u32_e32 vcc, s7, v12
	v_cmp_ne_u16_sdwa s[0:1], v8, v50 src0_sel:BYTE_0 src1_sel:BYTE_0
	s_and_b64 s[0:1], vcc, s[0:1]
	v_cndmask_b32_e64 v74, 0, 1, s[0:1]
	v_cmp_gt_u32_e32 vcc, s7, v10
	s_waitcnt vmcnt(0) lgkmcnt(0)
	v_cmp_ne_u16_sdwa s[0:1], v11, v8 src0_sel:BYTE_0 src1_sel:BYTE_0
	s_and_b64 s[18:19], vcc, s[0:1]
.LBB152_79:
	s_mov_b64 s[14:15], -1
	s_cbranch_execnz .LBB152_74
.LBB152_80:
	s_and_b64 vcc, exec, s[26:27]
	v_cmp_ne_u16_sdwa s[48:49], v22, v21 src0_sel:BYTE_0 src1_sel:BYTE_0
	v_cmp_ne_u16_sdwa s[50:51], v3, v22 src0_sel:BYTE_0 src1_sel:BYTE_0
	;; [unrolled: 1-line block ×16, first 2 shown]
	ds_write_b8 v0, v20
	s_cbranch_vccz .LBB152_84
; %bb.81:
	v_cndmask_b32_e64 v36, 0, 1, s[48:49]
	v_cmp_ne_u16_sdwa s[48:49], v23, v3 src0_sel:DWORD src1_sel:BYTE_0
	v_cndmask_b32_e64 v46, 0, 1, s[44:45]
	v_cmp_ne_u16_sdwa s[44:45], v26, v2 src0_sel:DWORD src1_sel:BYTE_0
	;; [unrolled: 2-line block ×7, first 2 shown]
	v_cmp_ne_u16_sdwa s[52:53], v21, v20 src0_sel:BYTE_0 src1_sel:DWORD
	v_cndmask_b32_e64 v41, 0, 1, s[48:49]
	v_cmp_ne_u16_sdwa s[48:49], v24, v23 src0_sel:BYTE_0 src1_sel:DWORD
	v_cndmask_b32_e64 v51, 0, 1, s[44:45]
	;; [unrolled: 2-line block ×8, first 2 shown]
	v_cndmask_b32_e64 v39, 0, 1, s[50:51]
	v_cndmask_b32_e64 v44, 0, 1, s[48:49]
	;; [unrolled: 1-line block ×16, first 2 shown]
	v_cmp_ne_u32_e32 vcc, 0, v0
	s_waitcnt lgkmcnt(0)
	s_barrier
	s_waitcnt lgkmcnt(0)
                                        ; implicit-def: $sgpr18_sgpr19
	s_and_saveexec_b64 s[0:1], vcc
	s_xor_b64 s[0:1], exec, s[0:1]
	s_cbranch_execz .LBB152_83
; %bb.82:
	s_waitcnt vmcnt(0)
	v_add_u32_e32 v11, -1, v0
	ds_read_u8 v11, v11
	s_or_b64 s[14:15], s[14:15], exec
	s_waitcnt lgkmcnt(0)
	v_cmp_ne_u16_sdwa s[2:3], v11, v8 src0_sel:DWORD src1_sel:BYTE_0
	s_and_b64 s[18:19], s[2:3], exec
.LBB152_83:
	s_or_b64 exec, exec, s[0:1]
	s_mov_b32 s28, 1
	s_branch .LBB152_87
.LBB152_84:
                                        ; implicit-def: $sgpr18_sgpr19
                                        ; implicit-def: $vgpr74
                                        ; implicit-def: $vgpr73
                                        ; implicit-def: $vgpr72
                                        ; implicit-def: $vgpr71
                                        ; implicit-def: $vgpr70
                                        ; implicit-def: $vgpr69
                                        ; implicit-def: $vgpr68
                                        ; implicit-def: $vgpr67
                                        ; implicit-def: $vgpr66
                                        ; implicit-def: $vgpr65
                                        ; implicit-def: $vgpr64
                                        ; implicit-def: $vgpr63
                                        ; implicit-def: $vgpr62
                                        ; implicit-def: $vgpr61
                                        ; implicit-def: $vgpr60
                                        ; implicit-def: $vgpr59
                                        ; implicit-def: $vgpr58
                                        ; implicit-def: $vgpr57
                                        ; implicit-def: $vgpr56
                                        ; implicit-def: $vgpr55
                                        ; implicit-def: $vgpr54
                                        ; implicit-def: $vgpr53
                                        ; implicit-def: $vgpr52
                                        ; implicit-def: $vgpr51
                                        ; implicit-def: $vgpr49
                                        ; implicit-def: $vgpr46
                                        ; implicit-def: $vgpr44
                                        ; implicit-def: $vgpr41
                                        ; implicit-def: $vgpr39
                                        ; implicit-def: $vgpr36
                                        ; implicit-def: $vgpr34
                                        ; implicit-def: $sgpr28
	s_cbranch_execz .LBB152_87
; %bb.85:
	s_waitcnt vmcnt(0)
	v_or_b32_e32 v11, 31, v10
	v_cmp_gt_u32_e32 vcc, s7, v11
	v_cmp_ne_u16_sdwa s[0:1], v21, v20 src0_sel:BYTE_0 src1_sel:BYTE_0
	s_and_b64 s[0:1], vcc, s[0:1]
	v_or_b32_e32 v11, 30, v10
	v_cndmask_b32_e64 v34, 0, 1, s[0:1]
	v_cmp_gt_u32_e32 vcc, s7, v11
	v_cmp_ne_u16_sdwa s[0:1], v22, v21 src0_sel:BYTE_0 src1_sel:BYTE_0
	s_and_b64 s[0:1], vcc, s[0:1]
	v_or_b32_e32 v11, 29, v10
	v_cndmask_b32_e64 v36, 0, 1, s[0:1]
	;; [unrolled: 5-line block ×25, first 2 shown]
	v_cmp_gt_u32_e32 vcc, s7, v11
	v_cmp_ne_u16_sdwa s[0:1], v45, v43 src0_sel:BYTE_0 src1_sel:BYTE_0
	v_or_b32_e32 v11, 5, v10
	s_and_b64 s[0:1], vcc, s[0:1]
	v_cmp_gt_u32_e32 vcc, s7, v11
	v_or_b32_e32 v11, 4, v10
	v_cndmask_b32_e64 v69, 0, 1, s[0:1]
	v_cmp_gt_u32_e64 s[0:1], s7, v11
	v_or_b32_e32 v11, 3, v10
	v_cmp_ne_u16_sdwa s[30:31], v47, v9 src0_sel:BYTE_0 src1_sel:BYTE_0
	v_cmp_gt_u32_e64 s[2:3], s7, v11
	v_or_b32_e32 v11, 2, v10
	v_cmp_ne_u16_sdwa s[34:35], v48, v47 src0_sel:BYTE_0 src1_sel:BYTE_0
	s_and_b64 s[0:1], s[0:1], s[30:31]
	v_cmp_gt_u32_e64 s[8:9], s7, v11
	v_or_b32_e32 v11, 1, v10
	v_cmp_ne_u16_sdwa s[36:37], v50, v48 src0_sel:BYTE_0 src1_sel:BYTE_0
	v_cndmask_b32_e64 v71, 0, 1, s[0:1]
	s_and_b64 s[0:1], s[2:3], s[34:35]
	v_cmp_ne_u16_sdwa s[18:19], v9, v45 src0_sel:BYTE_0 src1_sel:BYTE_0
	v_cmp_gt_u32_e64 s[10:11], s7, v11
	v_cmp_ne_u16_sdwa s[38:39], v8, v50 src0_sel:BYTE_0 src1_sel:BYTE_0
	v_cndmask_b32_e64 v72, 0, 1, s[0:1]
	s_and_b64 s[0:1], s[8:9], s[36:37]
	s_and_b64 s[18:19], vcc, s[18:19]
	v_cndmask_b32_e64 v73, 0, 1, s[0:1]
	s_and_b64 s[0:1], s[10:11], s[38:39]
	v_cndmask_b32_e64 v70, 0, 1, s[18:19]
	s_mov_b32 s28, 1
	v_cmp_ne_u32_e32 vcc, 0, v0
	v_cndmask_b32_e64 v74, 0, 1, s[0:1]
	s_waitcnt lgkmcnt(0)
	s_barrier
	s_waitcnt lgkmcnt(0)
                                        ; implicit-def: $sgpr18_sgpr19
	s_and_saveexec_b64 s[0:1], vcc
	s_cbranch_execz .LBB152_313
; %bb.86:
	v_add_u32_e32 v11, -1, v0
	ds_read_u8 v11, v11
	v_cmp_gt_u32_e32 vcc, s7, v10
	s_or_b64 s[14:15], s[14:15], exec
	s_waitcnt lgkmcnt(0)
	v_and_b32_e32 v11, 0xff, v11
	v_cmp_ne_u16_sdwa s[2:3], v11, v8 src0_sel:DWORD src1_sel:BYTE_0
	s_and_b64 s[2:3], vcc, s[2:3]
	s_and_b64 s[18:19], s[2:3], exec
	s_or_b64 exec, exec, s[0:1]
.LBB152_87:
	v_mov_b32_e32 v75, s28
	s_and_saveexec_b64 s[0:1], s[14:15]
.LBB152_88:
	v_cndmask_b32_e64 v75, 0, 1, s[18:19]
.LBB152_89:
	s_or_b64 exec, exec, s[0:1]
	s_load_dwordx2 s[28:29], s[4:5], 0x60
	s_andn2_b64 vcc, exec, s[12:13]
	s_cbranch_vccnz .LBB152_91
; %bb.90:
	v_cmp_gt_u32_e32 vcc, s7, v10
	s_waitcnt vmcnt(0)
	v_or_b32_e32 v11, 1, v10
	v_cndmask_b32_e32 v75, 0, v75, vcc
	v_cmp_gt_u32_e32 vcc, s7, v11
	v_or_b32_e32 v11, 2, v10
	v_cndmask_b32_e32 v74, 0, v74, vcc
	v_cmp_gt_u32_e32 vcc, s7, v11
	;; [unrolled: 3-line block ×31, first 2 shown]
	v_cndmask_b32_e32 v34, 0, v34, vcc
.LBB152_91:
	v_mbcnt_lo_u32_b32 v10, -1, 0
	v_mbcnt_hi_u32_b32 v86, -1, v10
	v_and_b32_e32 v10, 15, v86
	v_cmp_eq_u32_e64 s[12:13], 0, v10
	v_cmp_lt_u32_e64 s[10:11], 1, v10
	v_cmp_lt_u32_e64 s[8:9], 3, v10
	;; [unrolled: 1-line block ×3, first 2 shown]
	v_and_b32_e32 v10, 16, v86
	v_cmp_eq_u32_e64 s[2:3], 0, v10
	v_or_b32_e32 v10, 63, v0
	v_and_b32_e32 v114, 0xff, v41
	v_and_b32_e32 v115, 0xff, v39
	v_cmp_eq_u32_e64 s[0:1], v10, v0
	v_add_u32_sdwa v10, v36, v34 dst_sel:DWORD dst_unused:UNUSED_PAD src0_sel:BYTE_0 src1_sel:BYTE_0
	v_and_b32_e32 v112, 0xff, v46
	v_and_b32_e32 v113, 0xff, v44
	v_add3_u32 v10, v10, v115, v114
	v_and_b32_e32 v110, 0xff, v51
	v_and_b32_e32 v111, 0xff, v49
	v_add3_u32 v10, v10, v113, v112
	;; [unrolled: 3-line block ×12, first 2 shown]
	v_add3_u32 v10, v10, v77, v76
	v_and_b32_e32 v87, 0xff, v73
	v_and_b32_e32 v88, 0xff, v72
	v_add3_u32 v10, v10, v88, v87
	v_and_b32_e32 v89, 0xff, v75
	v_and_b32_e32 v90, 0xff, v74
	v_add3_u32 v92, v10, v90, v89
	v_cmp_lt_u32_e64 s[14:15], 31, v86
	s_and_b64 vcc, exec, s[16:17]
	v_lshrrev_b32_e32 v91, 6, v0
	s_waitcnt lgkmcnt(0)
	s_barrier
	s_cbranch_vccz .LBB152_122
; %bb.92:
	v_mov_b32_dpp v10, v92 row_shr:1 row_mask:0xf bank_mask:0xf
	v_cndmask_b32_e64 v10, v10, 0, s[12:13]
	v_add_u32_e32 v10, v10, v92
	s_waitcnt vmcnt(0)
	s_nop 0
	v_mov_b32_dpp v11, v10 row_shr:2 row_mask:0xf bank_mask:0xf
	v_cndmask_b32_e64 v11, 0, v11, s[10:11]
	v_add_u32_e32 v10, v10, v11
	s_nop 1
	v_mov_b32_dpp v11, v10 row_shr:4 row_mask:0xf bank_mask:0xf
	v_cndmask_b32_e64 v11, 0, v11, s[8:9]
	v_add_u32_e32 v10, v10, v11
	;; [unrolled: 4-line block ×3, first 2 shown]
	s_nop 1
	v_mov_b32_dpp v11, v10 row_bcast:15 row_mask:0xf bank_mask:0xf
	v_cndmask_b32_e64 v11, v11, 0, s[2:3]
	v_add_u32_e32 v10, v10, v11
	s_nop 1
	v_mov_b32_dpp v11, v10 row_bcast:31 row_mask:0xf bank_mask:0xf
	v_cndmask_b32_e64 v11, 0, v11, s[14:15]
	v_add_u32_e32 v10, v10, v11
	s_and_saveexec_b64 s[16:17], s[0:1]
	s_cbranch_execz .LBB152_94
; %bb.93:
	v_lshlrev_b32_e32 v11, 2, v91
	ds_write_b32 v11, v10
.LBB152_94:
	s_or_b64 exec, exec, s[16:17]
	v_cmp_gt_u32_e32 vcc, 2, v0
	s_waitcnt lgkmcnt(0)
	s_barrier
	s_and_saveexec_b64 s[16:17], vcc
	s_cbranch_execz .LBB152_96
; %bb.95:
	v_lshlrev_b32_e32 v11, 2, v0
	ds_read_b32 v12, v11
	v_bfe_i32 v13, v86, 0, 1
	s_waitcnt lgkmcnt(0)
	v_mov_b32_dpp v14, v12 row_shr:1 row_mask:0xf bank_mask:0xf
	v_and_b32_e32 v13, v13, v14
	v_add_u32_e32 v12, v13, v12
	ds_write_b32 v11, v12
.LBB152_96:
	s_or_b64 exec, exec, s[16:17]
	v_cmp_gt_u32_e32 vcc, 64, v0
	v_cmp_lt_u32_e64 s[16:17], 63, v0
	s_waitcnt lgkmcnt(0)
	s_barrier
	s_waitcnt lgkmcnt(0)
                                        ; implicit-def: $vgpr93
	s_and_saveexec_b64 s[30:31], s[16:17]
	s_cbranch_execz .LBB152_98
; %bb.97:
	v_lshl_add_u32 v11, v91, 2, -4
	ds_read_b32 v93, v11
	s_waitcnt lgkmcnt(0)
	v_add_u32_e32 v10, v93, v10
.LBB152_98:
	s_or_b64 exec, exec, s[30:31]
	v_add_u32_e32 v11, -1, v86
	v_and_b32_e32 v12, 64, v86
	v_cmp_lt_i32_e64 s[16:17], v11, v12
	v_cndmask_b32_e64 v11, v11, v86, s[16:17]
	v_lshlrev_b32_e32 v11, 2, v11
	ds_bpermute_b32 v94, v11, v10
	v_cmp_eq_u32_e64 s[16:17], 0, v86
	s_and_saveexec_b64 s[30:31], vcc
	s_cbranch_execz .LBB152_121
; %bb.99:
	v_mov_b32_e32 v19, 0
	ds_read_b32 v10, v19 offset:4
	s_and_saveexec_b64 s[34:35], s[16:17]
	s_cbranch_execz .LBB152_101
; %bb.100:
	s_add_i32 s36, s6, 64
	s_mov_b32 s37, 0
	s_lshl_b64 s[36:37], s[36:37], 3
	s_add_u32 s36, s28, s36
	v_mov_b32_e32 v11, 1
	s_addc_u32 s37, s29, s37
	s_waitcnt lgkmcnt(0)
	global_store_dwordx2 v19, v[10:11], s[36:37]
.LBB152_101:
	s_or_b64 exec, exec, s[34:35]
	v_xad_u32 v12, v86, -1, s6
	v_add_u32_e32 v18, 64, v12
	v_lshlrev_b64 v[14:15], 3, v[18:19]
	v_mov_b32_e32 v11, s29
	v_add_co_u32_e32 v14, vcc, s28, v14
	v_addc_co_u32_e32 v15, vcc, v11, v15, vcc
	global_load_dwordx2 v[16:17], v[14:15], off glc
	s_waitcnt vmcnt(0)
	v_cmp_eq_u16_sdwa s[36:37], v17, v19 src0_sel:BYTE_0 src1_sel:DWORD
	s_and_saveexec_b64 s[34:35], s[36:37]
	s_cbranch_execz .LBB152_107
; %bb.102:
	s_mov_b32 s7, 1
	s_mov_b64 s[36:37], 0
	v_mov_b32_e32 v11, 0
.LBB152_103:                            ; =>This Loop Header: Depth=1
                                        ;     Child Loop BB152_104 Depth 2
	s_max_u32 s33, s7, 1
.LBB152_104:                            ;   Parent Loop BB152_103 Depth=1
                                        ; =>  This Inner Loop Header: Depth=2
	s_add_i32 s33, s33, -1
	s_cmp_eq_u32 s33, 0
	s_sleep 1
	s_cbranch_scc0 .LBB152_104
; %bb.105:                              ;   in Loop: Header=BB152_103 Depth=1
	global_load_dwordx2 v[16:17], v[14:15], off glc
	s_cmp_lt_u32 s7, 32
	s_cselect_b64 s[38:39], -1, 0
	s_cmp_lg_u64 s[38:39], 0
	s_addc_u32 s7, s7, 0
	s_waitcnt vmcnt(0)
	v_cmp_ne_u16_sdwa s[38:39], v17, v11 src0_sel:BYTE_0 src1_sel:DWORD
	s_or_b64 s[36:37], s[38:39], s[36:37]
	s_andn2_b64 exec, exec, s[36:37]
	s_cbranch_execnz .LBB152_103
; %bb.106:
	s_or_b64 exec, exec, s[36:37]
.LBB152_107:
	s_or_b64 exec, exec, s[34:35]
	v_and_b32_e32 v96, 63, v86
	v_mov_b32_e32 v95, 2
	v_cmp_ne_u32_e32 vcc, 63, v96
	v_cmp_eq_u16_sdwa s[34:35], v17, v95 src0_sel:BYTE_0 src1_sel:DWORD
	v_lshlrev_b64 v[14:15], v86, -1
	v_addc_co_u32_e32 v18, vcc, 0, v86, vcc
	v_and_b32_e32 v11, s35, v15
	v_lshlrev_b32_e32 v97, 2, v18
	v_or_b32_e32 v11, 0x80000000, v11
	ds_bpermute_b32 v18, v97, v16
	v_and_b32_e32 v13, s34, v14
	v_ffbl_b32_e32 v11, v11
	v_add_u32_e32 v11, 32, v11
	v_ffbl_b32_e32 v13, v13
	v_min_u32_e32 v11, v13, v11
	v_cmp_lt_u32_e32 vcc, v96, v11
	s_waitcnt lgkmcnt(0)
	v_cndmask_b32_e32 v13, 0, v18, vcc
	v_cmp_gt_u32_e32 vcc, 62, v96
	v_add_u32_e32 v13, v13, v16
	v_cndmask_b32_e64 v16, 0, 1, vcc
	v_lshlrev_b32_e32 v16, 1, v16
	v_add_lshl_u32 v98, v16, v86, 2
	ds_bpermute_b32 v16, v98, v13
	v_add_u32_e32 v99, 2, v96
	v_cmp_le_u32_e32 vcc, v99, v11
	v_add_u32_e32 v117, 4, v96
	v_add_u32_e32 v119, 8, v96
	s_waitcnt lgkmcnt(0)
	v_cndmask_b32_e32 v16, 0, v16, vcc
	v_cmp_gt_u32_e32 vcc, 60, v96
	v_add_u32_e32 v13, v13, v16
	v_cndmask_b32_e64 v16, 0, 1, vcc
	v_lshlrev_b32_e32 v16, 2, v16
	v_add_lshl_u32 v116, v16, v86, 2
	ds_bpermute_b32 v16, v116, v13
	v_cmp_le_u32_e32 vcc, v117, v11
	v_add_u32_e32 v121, 16, v96
	v_add_u32_e32 v123, 32, v96
	s_waitcnt lgkmcnt(0)
	v_cndmask_b32_e32 v16, 0, v16, vcc
	v_cmp_gt_u32_e32 vcc, 56, v96
	v_add_u32_e32 v13, v13, v16
	v_cndmask_b32_e64 v16, 0, 1, vcc
	v_lshlrev_b32_e32 v16, 3, v16
	v_add_lshl_u32 v118, v16, v86, 2
	ds_bpermute_b32 v16, v118, v13
	v_cmp_le_u32_e32 vcc, v119, v11
	s_waitcnt lgkmcnt(0)
	v_cndmask_b32_e32 v16, 0, v16, vcc
	v_cmp_gt_u32_e32 vcc, 48, v96
	v_add_u32_e32 v13, v13, v16
	v_cndmask_b32_e64 v16, 0, 1, vcc
	v_lshlrev_b32_e32 v16, 4, v16
	v_add_lshl_u32 v120, v16, v86, 2
	ds_bpermute_b32 v16, v120, v13
	v_cmp_le_u32_e32 vcc, v121, v11
	;; [unrolled: 9-line block ×3, first 2 shown]
	s_waitcnt lgkmcnt(0)
	v_cndmask_b32_e32 v11, 0, v16, vcc
	v_add_u32_e32 v16, v13, v11
	v_mov_b32_e32 v13, 0
	s_branch .LBB152_109
.LBB152_108:                            ;   in Loop: Header=BB152_109 Depth=1
	s_or_b64 exec, exec, s[34:35]
	v_cmp_eq_u16_sdwa s[34:35], v17, v95 src0_sel:BYTE_0 src1_sel:DWORD
	v_and_b32_e32 v18, s35, v15
	v_or_b32_e32 v18, 0x80000000, v18
	ds_bpermute_b32 v124, v97, v16
	v_and_b32_e32 v19, s34, v14
	v_ffbl_b32_e32 v18, v18
	v_add_u32_e32 v18, 32, v18
	v_ffbl_b32_e32 v19, v19
	v_min_u32_e32 v18, v19, v18
	v_cmp_lt_u32_e32 vcc, v96, v18
	s_waitcnt lgkmcnt(0)
	v_cndmask_b32_e32 v19, 0, v124, vcc
	v_add_u32_e32 v16, v19, v16
	ds_bpermute_b32 v19, v98, v16
	v_cmp_le_u32_e32 vcc, v99, v18
	v_subrev_u32_e32 v12, 64, v12
	s_waitcnt lgkmcnt(0)
	v_cndmask_b32_e32 v19, 0, v19, vcc
	v_add_u32_e32 v16, v16, v19
	ds_bpermute_b32 v19, v116, v16
	v_cmp_le_u32_e32 vcc, v117, v18
	s_waitcnt lgkmcnt(0)
	v_cndmask_b32_e32 v19, 0, v19, vcc
	v_add_u32_e32 v16, v16, v19
	ds_bpermute_b32 v19, v118, v16
	v_cmp_le_u32_e32 vcc, v119, v18
	;; [unrolled: 5-line block ×4, first 2 shown]
	s_waitcnt lgkmcnt(0)
	v_cndmask_b32_e32 v18, 0, v19, vcc
	v_add3_u32 v16, v18, v11, v16
.LBB152_109:                            ; =>This Loop Header: Depth=1
                                        ;     Child Loop BB152_112 Depth 2
                                        ;       Child Loop BB152_113 Depth 3
	v_cmp_ne_u16_sdwa s[34:35], v17, v95 src0_sel:BYTE_0 src1_sel:DWORD
	v_cndmask_b32_e64 v11, 0, 1, s[34:35]
	;;#ASMSTART
	;;#ASMEND
	v_cmp_ne_u32_e32 vcc, 0, v11
	s_cmp_lg_u64 vcc, exec
	v_mov_b32_e32 v11, v16
	s_cbranch_scc1 .LBB152_116
; %bb.110:                              ;   in Loop: Header=BB152_109 Depth=1
	v_lshlrev_b64 v[16:17], 3, v[12:13]
	v_mov_b32_e32 v19, s29
	v_add_co_u32_e32 v18, vcc, s28, v16
	v_addc_co_u32_e32 v19, vcc, v19, v17, vcc
	global_load_dwordx2 v[16:17], v[18:19], off glc
	s_waitcnt vmcnt(0)
	v_cmp_eq_u16_sdwa s[36:37], v17, v13 src0_sel:BYTE_0 src1_sel:DWORD
	s_and_saveexec_b64 s[34:35], s[36:37]
	s_cbranch_execz .LBB152_108
; %bb.111:                              ;   in Loop: Header=BB152_109 Depth=1
	s_mov_b32 s7, 1
	s_mov_b64 s[36:37], 0
.LBB152_112:                            ;   Parent Loop BB152_109 Depth=1
                                        ; =>  This Loop Header: Depth=2
                                        ;       Child Loop BB152_113 Depth 3
	s_max_u32 s33, s7, 1
.LBB152_113:                            ;   Parent Loop BB152_109 Depth=1
                                        ;     Parent Loop BB152_112 Depth=2
                                        ; =>    This Inner Loop Header: Depth=3
	s_add_i32 s33, s33, -1
	s_cmp_eq_u32 s33, 0
	s_sleep 1
	s_cbranch_scc0 .LBB152_113
; %bb.114:                              ;   in Loop: Header=BB152_112 Depth=2
	global_load_dwordx2 v[16:17], v[18:19], off glc
	s_cmp_lt_u32 s7, 32
	s_cselect_b64 s[38:39], -1, 0
	s_cmp_lg_u64 s[38:39], 0
	s_addc_u32 s7, s7, 0
	s_waitcnt vmcnt(0)
	v_cmp_ne_u16_sdwa s[38:39], v17, v13 src0_sel:BYTE_0 src1_sel:DWORD
	s_or_b64 s[36:37], s[38:39], s[36:37]
	s_andn2_b64 exec, exec, s[36:37]
	s_cbranch_execnz .LBB152_112
; %bb.115:                              ;   in Loop: Header=BB152_109 Depth=1
	s_or_b64 exec, exec, s[36:37]
	s_branch .LBB152_108
.LBB152_116:                            ;   in Loop: Header=BB152_109 Depth=1
                                        ; implicit-def: $vgpr16
                                        ; implicit-def: $vgpr17
	s_cbranch_execz .LBB152_109
; %bb.117:
	s_and_saveexec_b64 s[34:35], s[16:17]
	s_cbranch_execz .LBB152_119
; %bb.118:
	s_add_i32 s6, s6, 64
	s_mov_b32 s7, 0
	s_lshl_b64 s[6:7], s[6:7], 3
	s_add_u32 s6, s28, s6
	v_add_u32_e32 v12, v11, v10
	v_mov_b32_e32 v13, 2
	s_addc_u32 s7, s29, s7
	v_mov_b32_e32 v14, 0
	global_store_dwordx2 v14, v[12:13], s[6:7]
	ds_write_b64 v14, v[10:11] offset:4224
.LBB152_119:
	s_or_b64 exec, exec, s[34:35]
	v_cmp_eq_u32_e32 vcc, 0, v0
	s_and_b64 exec, exec, vcc
	s_cbranch_execz .LBB152_121
; %bb.120:
	v_mov_b32_e32 v10, 0
	ds_write_b32 v10, v11 offset:4
.LBB152_121:
	s_or_b64 exec, exec, s[30:31]
	v_mov_b32_e32 v11, 0
	s_waitcnt lgkmcnt(0)
	s_barrier
	ds_read_b32 v12, v11 offset:4
	s_waitcnt lgkmcnt(0)
	s_barrier
	ds_read_b64 v[16:17], v11 offset:4224
	v_cndmask_b32_e64 v10, v94, v93, s[16:17]
	v_cmp_ne_u32_e32 vcc, 0, v0
	v_cndmask_b32_e32 v10, 0, v10, vcc
	v_add_u32_e32 v96, v12, v10
	s_load_dwordx2 s[4:5], s[4:5], 0x28
	s_branch .LBB152_132
.LBB152_122:
                                        ; implicit-def: $vgpr17
                                        ; implicit-def: $vgpr96
	s_load_dwordx2 s[4:5], s[4:5], 0x28
	s_cbranch_execz .LBB152_132
; %bb.123:
	v_mov_b32_dpp v10, v92 row_shr:1 row_mask:0xf bank_mask:0xf
	v_cndmask_b32_e64 v10, v10, 0, s[12:13]
	v_add_u32_e32 v10, v10, v92
	s_waitcnt vmcnt(0)
	s_nop 0
	v_mov_b32_dpp v11, v10 row_shr:2 row_mask:0xf bank_mask:0xf
	v_cndmask_b32_e64 v11, 0, v11, s[10:11]
	v_add_u32_e32 v10, v10, v11
	s_nop 1
	v_mov_b32_dpp v11, v10 row_shr:4 row_mask:0xf bank_mask:0xf
	v_cndmask_b32_e64 v11, 0, v11, s[8:9]
	v_add_u32_e32 v10, v10, v11
	;; [unrolled: 4-line block ×3, first 2 shown]
	s_nop 1
	v_mov_b32_dpp v11, v10 row_bcast:15 row_mask:0xf bank_mask:0xf
	v_cndmask_b32_e64 v11, v11, 0, s[2:3]
	v_add_u32_e32 v10, v10, v11
	s_nop 1
	v_mov_b32_dpp v11, v10 row_bcast:31 row_mask:0xf bank_mask:0xf
	v_cndmask_b32_e64 v11, 0, v11, s[14:15]
	v_add_u32_e32 v10, v10, v11
	s_and_saveexec_b64 s[2:3], s[0:1]
	s_cbranch_execz .LBB152_125
; %bb.124:
	v_lshlrev_b32_e32 v11, 2, v91
	ds_write_b32 v11, v10
.LBB152_125:
	s_or_b64 exec, exec, s[2:3]
	v_cmp_gt_u32_e32 vcc, 2, v0
	s_waitcnt lgkmcnt(0)
	s_barrier
	s_and_saveexec_b64 s[0:1], vcc
	s_cbranch_execz .LBB152_127
; %bb.126:
	v_lshlrev_b32_e32 v11, 2, v0
	ds_read_b32 v12, v11
	v_bfe_i32 v13, v86, 0, 1
	s_waitcnt lgkmcnt(0)
	v_mov_b32_dpp v14, v12 row_shr:1 row_mask:0xf bank_mask:0xf
	v_and_b32_e32 v13, v13, v14
	v_add_u32_e32 v12, v13, v12
	ds_write_b32 v11, v12
.LBB152_127:
	s_or_b64 exec, exec, s[0:1]
	v_cmp_lt_u32_e32 vcc, 63, v0
	v_mov_b32_e32 v12, 0
	v_mov_b32_e32 v11, 0
	s_waitcnt lgkmcnt(0)
	s_barrier
	s_and_saveexec_b64 s[0:1], vcc
	s_cbranch_execz .LBB152_129
; %bb.128:
	v_lshl_add_u32 v11, v91, 2, -4
	ds_read_b32 v11, v11
.LBB152_129:
	s_or_b64 exec, exec, s[0:1]
	v_add_u32_e32 v13, -1, v86
	v_and_b32_e32 v14, 64, v86
	v_cmp_lt_i32_e32 vcc, v13, v14
	v_cndmask_b32_e32 v13, v13, v86, vcc
	s_waitcnt lgkmcnt(0)
	v_add_u32_e32 v10, v11, v10
	v_lshlrev_b32_e32 v13, 2, v13
	ds_bpermute_b32 v10, v13, v10
	ds_read_b32 v16, v12 offset:4
	v_cmp_eq_u32_e32 vcc, 0, v0
	s_and_saveexec_b64 s[0:1], vcc
	s_cbranch_execz .LBB152_131
; %bb.130:
	v_mov_b32_e32 v12, 0
	v_mov_b32_e32 v17, 2
	s_waitcnt lgkmcnt(0)
	global_store_dwordx2 v12, v[16:17], s[28:29] offset:512
.LBB152_131:
	s_or_b64 exec, exec, s[0:1]
	v_cmp_eq_u32_e64 s[0:1], 0, v86
	s_waitcnt lgkmcnt(1)
	v_cndmask_b32_e64 v10, v10, v11, s[0:1]
	v_mov_b32_e32 v17, 0
	v_cndmask_b32_e64 v96, v10, 0, vcc
	s_waitcnt lgkmcnt(0)
	s_barrier
.LBB152_132:
	v_add_u32_e32 v99, v96, v89
	v_add_u32_e32 v98, v99, v90
	;; [unrolled: 1-line block ×29, first 2 shown]
	s_movk_i32 s0, 0x81
	s_waitcnt vmcnt(0)
	v_add_u32_e32 v11, v12, v115
	s_waitcnt lgkmcnt(0)
	v_cmp_gt_u32_e32 vcc, s0, v16
	v_add_u32_sdwa v10, v11, v36 dst_sel:DWORD dst_unused:UNUSED_PAD src0_sel:DWORD src1_sel:BYTE_0
	s_mov_b64 s[0:1], -1
	s_cbranch_vccnz .LBB152_136
; %bb.133:
	s_and_b64 vcc, exec, s[0:1]
	s_cbranch_vccnz .LBB152_233
.LBB152_134:
	v_cmp_eq_u32_e32 vcc, 0, v0
	s_and_b64 s[0:1], vcc, s[24:25]
	s_and_saveexec_b64 s[2:3], s[0:1]
	s_cbranch_execnz .LBB152_312
.LBB152_135:
	s_endpgm
.LBB152_136:
	v_add_u32_e32 v100, v17, v16
	v_cmp_lt_u32_e32 vcc, v96, v100
	s_or_b64 s[2:3], s[26:27], vcc
	s_and_saveexec_b64 s[0:1], s[2:3]
	s_cbranch_execz .LBB152_139
; %bb.137:
	v_and_b32_e32 v101, 1, v75
	v_cmp_eq_u32_e32 vcc, 1, v101
	s_and_b64 exec, exec, vcc
	s_cbranch_execz .LBB152_139
; %bb.138:
	s_add_u32 s2, s4, s22
	s_addc_u32 s3, s5, s23
	global_store_byte v96, v8, s[2:3]
.LBB152_139:
	s_or_b64 exec, exec, s[0:1]
	v_cmp_lt_u32_e32 vcc, v99, v100
	s_or_b64 s[2:3], s[26:27], vcc
	s_and_saveexec_b64 s[0:1], s[2:3]
	s_cbranch_execz .LBB152_142
; %bb.140:
	v_and_b32_e32 v101, 1, v74
	v_cmp_eq_u32_e32 vcc, 1, v101
	s_and_b64 exec, exec, vcc
	s_cbranch_execz .LBB152_142
; %bb.141:
	s_add_u32 s2, s4, s22
	s_addc_u32 s3, s5, s23
	global_store_byte v99, v50, s[2:3]
.LBB152_142:
	s_or_b64 exec, exec, s[0:1]
	v_cmp_lt_u32_e32 vcc, v98, v100
	s_or_b64 s[2:3], s[26:27], vcc
	s_and_saveexec_b64 s[0:1], s[2:3]
	s_cbranch_execz .LBB152_145
; %bb.143:
	v_and_b32_e32 v101, 1, v73
	v_cmp_eq_u32_e32 vcc, 1, v101
	s_and_b64 exec, exec, vcc
	s_cbranch_execz .LBB152_145
; %bb.144:
	s_add_u32 s2, s4, s22
	s_addc_u32 s3, s5, s23
	global_store_byte v98, v48, s[2:3]
.LBB152_145:
	s_or_b64 exec, exec, s[0:1]
	v_cmp_lt_u32_e32 vcc, v97, v100
	s_or_b64 s[2:3], s[26:27], vcc
	s_and_saveexec_b64 s[0:1], s[2:3]
	s_cbranch_execz .LBB152_148
; %bb.146:
	v_and_b32_e32 v101, 1, v72
	v_cmp_eq_u32_e32 vcc, 1, v101
	s_and_b64 exec, exec, vcc
	s_cbranch_execz .LBB152_148
; %bb.147:
	s_add_u32 s2, s4, s22
	s_addc_u32 s3, s5, s23
	global_store_byte v97, v47, s[2:3]
.LBB152_148:
	s_or_b64 exec, exec, s[0:1]
	v_cmp_lt_u32_e32 vcc, v95, v100
	s_or_b64 s[2:3], s[26:27], vcc
	s_and_saveexec_b64 s[0:1], s[2:3]
	s_cbranch_execz .LBB152_151
; %bb.149:
	v_and_b32_e32 v101, 1, v71
	v_cmp_eq_u32_e32 vcc, 1, v101
	s_and_b64 exec, exec, vcc
	s_cbranch_execz .LBB152_151
; %bb.150:
	s_add_u32 s2, s4, s22
	s_addc_u32 s3, s5, s23
	global_store_byte v95, v9, s[2:3]
.LBB152_151:
	s_or_b64 exec, exec, s[0:1]
	v_cmp_lt_u32_e32 vcc, v94, v100
	s_or_b64 s[2:3], s[26:27], vcc
	s_and_saveexec_b64 s[0:1], s[2:3]
	s_cbranch_execz .LBB152_154
; %bb.152:
	v_and_b32_e32 v101, 1, v70
	v_cmp_eq_u32_e32 vcc, 1, v101
	s_and_b64 exec, exec, vcc
	s_cbranch_execz .LBB152_154
; %bb.153:
	s_add_u32 s2, s4, s22
	s_addc_u32 s3, s5, s23
	global_store_byte v94, v45, s[2:3]
.LBB152_154:
	s_or_b64 exec, exec, s[0:1]
	v_cmp_lt_u32_e32 vcc, v93, v100
	s_or_b64 s[2:3], s[26:27], vcc
	s_and_saveexec_b64 s[0:1], s[2:3]
	s_cbranch_execz .LBB152_157
; %bb.155:
	v_and_b32_e32 v101, 1, v69
	v_cmp_eq_u32_e32 vcc, 1, v101
	s_and_b64 exec, exec, vcc
	s_cbranch_execz .LBB152_157
; %bb.156:
	s_add_u32 s2, s4, s22
	s_addc_u32 s3, s5, s23
	global_store_byte v93, v43, s[2:3]
.LBB152_157:
	s_or_b64 exec, exec, s[0:1]
	v_cmp_lt_u32_e32 vcc, v92, v100
	s_or_b64 s[2:3], s[26:27], vcc
	s_and_saveexec_b64 s[0:1], s[2:3]
	s_cbranch_execz .LBB152_160
; %bb.158:
	v_and_b32_e32 v101, 1, v68
	v_cmp_eq_u32_e32 vcc, 1, v101
	s_and_b64 exec, exec, vcc
	s_cbranch_execz .LBB152_160
; %bb.159:
	s_add_u32 s2, s4, s22
	s_addc_u32 s3, s5, s23
	global_store_byte v92, v42, s[2:3]
.LBB152_160:
	s_or_b64 exec, exec, s[0:1]
	v_cmp_lt_u32_e32 vcc, v91, v100
	s_or_b64 s[2:3], s[26:27], vcc
	s_and_saveexec_b64 s[0:1], s[2:3]
	s_cbranch_execz .LBB152_163
; %bb.161:
	v_and_b32_e32 v101, 1, v67
	v_cmp_eq_u32_e32 vcc, 1, v101
	s_and_b64 exec, exec, vcc
	s_cbranch_execz .LBB152_163
; %bb.162:
	s_add_u32 s2, s4, s22
	s_addc_u32 s3, s5, s23
	global_store_byte v91, v6, s[2:3]
.LBB152_163:
	s_or_b64 exec, exec, s[0:1]
	v_cmp_lt_u32_e32 vcc, v90, v100
	s_or_b64 s[2:3], s[26:27], vcc
	s_and_saveexec_b64 s[0:1], s[2:3]
	s_cbranch_execz .LBB152_166
; %bb.164:
	v_and_b32_e32 v101, 1, v66
	v_cmp_eq_u32_e32 vcc, 1, v101
	s_and_b64 exec, exec, vcc
	s_cbranch_execz .LBB152_166
; %bb.165:
	s_add_u32 s2, s4, s22
	s_addc_u32 s3, s5, s23
	global_store_byte v90, v40, s[2:3]
.LBB152_166:
	s_or_b64 exec, exec, s[0:1]
	v_cmp_lt_u32_e32 vcc, v89, v100
	s_or_b64 s[2:3], s[26:27], vcc
	s_and_saveexec_b64 s[0:1], s[2:3]
	s_cbranch_execz .LBB152_169
; %bb.167:
	v_and_b32_e32 v101, 1, v65
	v_cmp_eq_u32_e32 vcc, 1, v101
	s_and_b64 exec, exec, vcc
	s_cbranch_execz .LBB152_169
; %bb.168:
	s_add_u32 s2, s4, s22
	s_addc_u32 s3, s5, s23
	global_store_byte v89, v38, s[2:3]
.LBB152_169:
	s_or_b64 exec, exec, s[0:1]
	v_cmp_lt_u32_e32 vcc, v88, v100
	s_or_b64 s[2:3], s[26:27], vcc
	s_and_saveexec_b64 s[0:1], s[2:3]
	s_cbranch_execz .LBB152_172
; %bb.170:
	v_and_b32_e32 v101, 1, v64
	v_cmp_eq_u32_e32 vcc, 1, v101
	s_and_b64 exec, exec, vcc
	s_cbranch_execz .LBB152_172
; %bb.171:
	s_add_u32 s2, s4, s22
	s_addc_u32 s3, s5, s23
	global_store_byte v88, v37, s[2:3]
.LBB152_172:
	s_or_b64 exec, exec, s[0:1]
	v_cmp_lt_u32_e32 vcc, v87, v100
	s_or_b64 s[2:3], s[26:27], vcc
	s_and_saveexec_b64 s[0:1], s[2:3]
	s_cbranch_execz .LBB152_175
; %bb.173:
	v_and_b32_e32 v101, 1, v63
	v_cmp_eq_u32_e32 vcc, 1, v101
	s_and_b64 exec, exec, vcc
	s_cbranch_execz .LBB152_175
; %bb.174:
	s_add_u32 s2, s4, s22
	s_addc_u32 s3, s5, s23
	global_store_byte v87, v7, s[2:3]
.LBB152_175:
	s_or_b64 exec, exec, s[0:1]
	v_cmp_lt_u32_e32 vcc, v86, v100
	s_or_b64 s[2:3], s[26:27], vcc
	s_and_saveexec_b64 s[0:1], s[2:3]
	s_cbranch_execz .LBB152_178
; %bb.176:
	v_and_b32_e32 v101, 1, v62
	v_cmp_eq_u32_e32 vcc, 1, v101
	s_and_b64 exec, exec, vcc
	s_cbranch_execz .LBB152_178
; %bb.177:
	s_add_u32 s2, s4, s22
	s_addc_u32 s3, s5, s23
	global_store_byte v86, v35, s[2:3]
.LBB152_178:
	s_or_b64 exec, exec, s[0:1]
	v_cmp_lt_u32_e32 vcc, v85, v100
	s_or_b64 s[2:3], s[26:27], vcc
	s_and_saveexec_b64 s[0:1], s[2:3]
	s_cbranch_execz .LBB152_181
; %bb.179:
	v_and_b32_e32 v101, 1, v61
	v_cmp_eq_u32_e32 vcc, 1, v101
	s_and_b64 exec, exec, vcc
	s_cbranch_execz .LBB152_181
; %bb.180:
	s_add_u32 s2, s4, s22
	s_addc_u32 s3, s5, s23
	global_store_byte v85, v33, s[2:3]
.LBB152_181:
	s_or_b64 exec, exec, s[0:1]
	v_cmp_lt_u32_e32 vcc, v84, v100
	s_or_b64 s[2:3], s[26:27], vcc
	s_and_saveexec_b64 s[0:1], s[2:3]
	s_cbranch_execz .LBB152_184
; %bb.182:
	v_and_b32_e32 v101, 1, v60
	v_cmp_eq_u32_e32 vcc, 1, v101
	s_and_b64 exec, exec, vcc
	s_cbranch_execz .LBB152_184
; %bb.183:
	s_add_u32 s2, s4, s22
	s_addc_u32 s3, s5, s23
	global_store_byte v84, v32, s[2:3]
.LBB152_184:
	s_or_b64 exec, exec, s[0:1]
	v_cmp_lt_u32_e32 vcc, v83, v100
	s_or_b64 s[2:3], s[26:27], vcc
	s_and_saveexec_b64 s[0:1], s[2:3]
	s_cbranch_execz .LBB152_187
; %bb.185:
	v_and_b32_e32 v101, 1, v59
	v_cmp_eq_u32_e32 vcc, 1, v101
	s_and_b64 exec, exec, vcc
	s_cbranch_execz .LBB152_187
; %bb.186:
	s_add_u32 s2, s4, s22
	s_addc_u32 s3, s5, s23
	global_store_byte v83, v4, s[2:3]
.LBB152_187:
	s_or_b64 exec, exec, s[0:1]
	v_cmp_lt_u32_e32 vcc, v82, v100
	s_or_b64 s[2:3], s[26:27], vcc
	s_and_saveexec_b64 s[0:1], s[2:3]
	s_cbranch_execz .LBB152_190
; %bb.188:
	v_and_b32_e32 v101, 1, v58
	v_cmp_eq_u32_e32 vcc, 1, v101
	s_and_b64 exec, exec, vcc
	s_cbranch_execz .LBB152_190
; %bb.189:
	s_add_u32 s2, s4, s22
	s_addc_u32 s3, s5, s23
	global_store_byte v82, v31, s[2:3]
.LBB152_190:
	s_or_b64 exec, exec, s[0:1]
	v_cmp_lt_u32_e32 vcc, v81, v100
	s_or_b64 s[2:3], s[26:27], vcc
	s_and_saveexec_b64 s[0:1], s[2:3]
	s_cbranch_execz .LBB152_193
; %bb.191:
	v_and_b32_e32 v101, 1, v57
	v_cmp_eq_u32_e32 vcc, 1, v101
	s_and_b64 exec, exec, vcc
	s_cbranch_execz .LBB152_193
; %bb.192:
	s_add_u32 s2, s4, s22
	s_addc_u32 s3, s5, s23
	global_store_byte v81, v30, s[2:3]
.LBB152_193:
	s_or_b64 exec, exec, s[0:1]
	v_cmp_lt_u32_e32 vcc, v80, v100
	s_or_b64 s[2:3], s[26:27], vcc
	s_and_saveexec_b64 s[0:1], s[2:3]
	s_cbranch_execz .LBB152_196
; %bb.194:
	v_and_b32_e32 v101, 1, v56
	v_cmp_eq_u32_e32 vcc, 1, v101
	s_and_b64 exec, exec, vcc
	s_cbranch_execz .LBB152_196
; %bb.195:
	s_add_u32 s2, s4, s22
	s_addc_u32 s3, s5, s23
	global_store_byte v80, v29, s[2:3]
.LBB152_196:
	s_or_b64 exec, exec, s[0:1]
	v_cmp_lt_u32_e32 vcc, v79, v100
	s_or_b64 s[2:3], s[26:27], vcc
	s_and_saveexec_b64 s[0:1], s[2:3]
	s_cbranch_execz .LBB152_199
; %bb.197:
	v_and_b32_e32 v101, 1, v55
	v_cmp_eq_u32_e32 vcc, 1, v101
	s_and_b64 exec, exec, vcc
	s_cbranch_execz .LBB152_199
; %bb.198:
	s_add_u32 s2, s4, s22
	s_addc_u32 s3, s5, s23
	global_store_byte v79, v5, s[2:3]
.LBB152_199:
	s_or_b64 exec, exec, s[0:1]
	v_cmp_lt_u32_e32 vcc, v78, v100
	s_or_b64 s[2:3], s[26:27], vcc
	s_and_saveexec_b64 s[0:1], s[2:3]
	s_cbranch_execz .LBB152_202
; %bb.200:
	v_and_b32_e32 v101, 1, v54
	v_cmp_eq_u32_e32 vcc, 1, v101
	s_and_b64 exec, exec, vcc
	s_cbranch_execz .LBB152_202
; %bb.201:
	s_add_u32 s2, s4, s22
	s_addc_u32 s3, s5, s23
	global_store_byte v78, v28, s[2:3]
.LBB152_202:
	s_or_b64 exec, exec, s[0:1]
	v_cmp_lt_u32_e32 vcc, v77, v100
	s_or_b64 s[2:3], s[26:27], vcc
	s_and_saveexec_b64 s[0:1], s[2:3]
	s_cbranch_execz .LBB152_205
; %bb.203:
	v_and_b32_e32 v101, 1, v53
	v_cmp_eq_u32_e32 vcc, 1, v101
	s_and_b64 exec, exec, vcc
	s_cbranch_execz .LBB152_205
; %bb.204:
	s_add_u32 s2, s4, s22
	s_addc_u32 s3, s5, s23
	global_store_byte v77, v27, s[2:3]
.LBB152_205:
	s_or_b64 exec, exec, s[0:1]
	v_cmp_lt_u32_e32 vcc, v76, v100
	s_or_b64 s[2:3], s[26:27], vcc
	s_and_saveexec_b64 s[0:1], s[2:3]
	s_cbranch_execz .LBB152_208
; %bb.206:
	v_and_b32_e32 v101, 1, v52
	v_cmp_eq_u32_e32 vcc, 1, v101
	s_and_b64 exec, exec, vcc
	s_cbranch_execz .LBB152_208
; %bb.207:
	s_add_u32 s2, s4, s22
	s_addc_u32 s3, s5, s23
	global_store_byte v76, v26, s[2:3]
.LBB152_208:
	s_or_b64 exec, exec, s[0:1]
	v_cmp_lt_u32_e32 vcc, v19, v100
	s_or_b64 s[2:3], s[26:27], vcc
	s_and_saveexec_b64 s[0:1], s[2:3]
	s_cbranch_execz .LBB152_211
; %bb.209:
	v_and_b32_e32 v101, 1, v51
	v_cmp_eq_u32_e32 vcc, 1, v101
	s_and_b64 exec, exec, vcc
	s_cbranch_execz .LBB152_211
; %bb.210:
	s_add_u32 s2, s4, s22
	s_addc_u32 s3, s5, s23
	global_store_byte v19, v2, s[2:3]
.LBB152_211:
	s_or_b64 exec, exec, s[0:1]
	v_cmp_lt_u32_e32 vcc, v18, v100
	s_or_b64 s[2:3], s[26:27], vcc
	s_and_saveexec_b64 s[0:1], s[2:3]
	s_cbranch_execz .LBB152_214
; %bb.212:
	v_and_b32_e32 v101, 1, v49
	v_cmp_eq_u32_e32 vcc, 1, v101
	s_and_b64 exec, exec, vcc
	s_cbranch_execz .LBB152_214
; %bb.213:
	s_add_u32 s2, s4, s22
	s_addc_u32 s3, s5, s23
	global_store_byte v18, v25, s[2:3]
.LBB152_214:
	s_or_b64 exec, exec, s[0:1]
	v_cmp_lt_u32_e32 vcc, v15, v100
	s_or_b64 s[2:3], s[26:27], vcc
	s_and_saveexec_b64 s[0:1], s[2:3]
	s_cbranch_execz .LBB152_217
; %bb.215:
	v_and_b32_e32 v101, 1, v46
	v_cmp_eq_u32_e32 vcc, 1, v101
	s_and_b64 exec, exec, vcc
	s_cbranch_execz .LBB152_217
; %bb.216:
	s_add_u32 s2, s4, s22
	s_addc_u32 s3, s5, s23
	global_store_byte v15, v24, s[2:3]
.LBB152_217:
	s_or_b64 exec, exec, s[0:1]
	v_cmp_lt_u32_e32 vcc, v14, v100
	s_or_b64 s[2:3], s[26:27], vcc
	s_and_saveexec_b64 s[0:1], s[2:3]
	s_cbranch_execz .LBB152_220
; %bb.218:
	v_and_b32_e32 v101, 1, v44
	v_cmp_eq_u32_e32 vcc, 1, v101
	s_and_b64 exec, exec, vcc
	s_cbranch_execz .LBB152_220
; %bb.219:
	s_add_u32 s2, s4, s22
	s_addc_u32 s3, s5, s23
	global_store_byte v14, v23, s[2:3]
.LBB152_220:
	s_or_b64 exec, exec, s[0:1]
	v_cmp_lt_u32_e32 vcc, v13, v100
	s_or_b64 s[2:3], s[26:27], vcc
	s_and_saveexec_b64 s[0:1], s[2:3]
	s_cbranch_execz .LBB152_223
; %bb.221:
	v_and_b32_e32 v101, 1, v41
	v_cmp_eq_u32_e32 vcc, 1, v101
	s_and_b64 exec, exec, vcc
	s_cbranch_execz .LBB152_223
; %bb.222:
	s_add_u32 s2, s4, s22
	s_addc_u32 s3, s5, s23
	global_store_byte v13, v3, s[2:3]
.LBB152_223:
	s_or_b64 exec, exec, s[0:1]
	v_cmp_lt_u32_e32 vcc, v12, v100
	s_or_b64 s[2:3], s[26:27], vcc
	s_and_saveexec_b64 s[0:1], s[2:3]
	s_cbranch_execz .LBB152_226
; %bb.224:
	v_and_b32_e32 v101, 1, v39
	v_cmp_eq_u32_e32 vcc, 1, v101
	s_and_b64 exec, exec, vcc
	s_cbranch_execz .LBB152_226
; %bb.225:
	s_add_u32 s2, s4, s22
	s_addc_u32 s3, s5, s23
	global_store_byte v12, v22, s[2:3]
.LBB152_226:
	s_or_b64 exec, exec, s[0:1]
	v_cmp_lt_u32_e32 vcc, v11, v100
	s_or_b64 s[2:3], s[26:27], vcc
	s_and_saveexec_b64 s[0:1], s[2:3]
	s_cbranch_execz .LBB152_229
; %bb.227:
	v_and_b32_e32 v101, 1, v36
	v_cmp_eq_u32_e32 vcc, 1, v101
	s_and_b64 exec, exec, vcc
	s_cbranch_execz .LBB152_229
; %bb.228:
	s_add_u32 s2, s4, s22
	s_addc_u32 s3, s5, s23
	global_store_byte v11, v21, s[2:3]
.LBB152_229:
	s_or_b64 exec, exec, s[0:1]
	v_cmp_lt_u32_e32 vcc, v10, v100
	s_or_b64 s[2:3], s[26:27], vcc
	s_and_saveexec_b64 s[0:1], s[2:3]
	s_cbranch_execz .LBB152_232
; %bb.230:
	v_and_b32_e32 v100, 1, v34
	v_cmp_eq_u32_e32 vcc, 1, v100
	s_and_b64 exec, exec, vcc
	s_cbranch_execz .LBB152_232
; %bb.231:
	s_add_u32 s2, s4, s22
	s_addc_u32 s3, s5, s23
	global_store_byte v10, v20, s[2:3]
.LBB152_232:
	s_or_b64 exec, exec, s[0:1]
	s_branch .LBB152_134
.LBB152_233:
	v_and_b32_e32 v75, 1, v75
	v_cmp_eq_u32_e32 vcc, 1, v75
	s_and_saveexec_b64 s[0:1], vcc
	s_cbranch_execz .LBB152_235
; %bb.234:
	v_sub_u32_e32 v75, v96, v17
	ds_write_b8 v75, v8
.LBB152_235:
	s_or_b64 exec, exec, s[0:1]
	v_and_b32_e32 v8, 1, v74
	v_cmp_eq_u32_e32 vcc, 1, v8
	s_and_saveexec_b64 s[0:1], vcc
	s_cbranch_execz .LBB152_237
; %bb.236:
	v_sub_u32_e32 v8, v99, v17
	ds_write_b8 v8, v50
.LBB152_237:
	s_or_b64 exec, exec, s[0:1]
	;; [unrolled: 9-line block ×32, first 2 shown]
	v_cmp_lt_u32_e32 vcc, v0, v16
	s_waitcnt lgkmcnt(0)
	s_barrier
	s_and_saveexec_b64 s[2:3], vcc
	s_cbranch_execz .LBB152_311
; %bb.298:
	v_mov_b32_e32 v2, s5
	v_add_co_u32_e32 v3, vcc, s4, v17
	v_addc_co_u32_e32 v2, vcc, 0, v2, vcc
	v_mov_b32_e32 v4, s23
	v_add_co_u32_e32 v18, vcc, s22, v3
	v_addc_co_u32_e32 v19, vcc, v2, v4, vcc
	v_xad_u32 v2, v0, -1, v16
	s_movk_i32 s0, 0xb80
	v_cmp_gt_u32_e32 vcc, s0, v2
	s_movk_i32 s0, 0xb7f
	v_cmp_lt_u32_e64 s[0:1], s0, v2
	s_and_saveexec_b64 s[4:5], s[0:1]
	s_cbranch_execz .LBB152_308
; %bb.299:
	v_sub_u32_e32 v3, v0, v16
	v_or_b32_e32 v3, 0x7f, v3
	v_cmp_ge_u32_e64 s[0:1], v3, v0
	s_mov_b64 s[8:9], -1
	s_and_saveexec_b64 s[6:7], s[0:1]
	s_cbranch_execz .LBB152_307
; %bb.300:
	v_lshrrev_b32_e32 v20, 7, v2
	v_or_b32_e32 v7, 0x380, v0
	v_or_b32_e32 v6, 0x300, v0
	;; [unrolled: 1-line block ×7, first 2 shown]
	v_add_u32_e32 v21, -7, v20
	v_pk_mov_b32 v[14:15], v[6:7], v[6:7] op_sel:[0,1]
	v_cmp_lt_u32_e64 s[0:1], 7, v21
	v_mov_b32_e32 v22, 0
	v_pk_mov_b32 v[12:13], v[4:5], v[4:5] op_sel:[0,1]
	v_pk_mov_b32 v[10:11], v[2:3], v[2:3] op_sel:[0,1]
	;; [unrolled: 1-line block ×3, first 2 shown]
	s_and_saveexec_b64 s[8:9], s[0:1]
	s_cbranch_execz .LBB152_304
; %bb.301:
	v_lshrrev_b32_e32 v8, 3, v21
	v_add_u32_e32 v8, 1, v8
	v_and_b32_e32 v22, 0x3ffffffe, v8
	v_pk_mov_b32 v[14:15], v[6:7], v[6:7] op_sel:[0,1]
	s_mov_b32 s12, 0
	s_mov_b64 s[10:11], 0
	v_mov_b32_e32 v23, v0
	v_pk_mov_b32 v[12:13], v[4:5], v[4:5] op_sel:[0,1]
	v_pk_mov_b32 v[10:11], v[2:3], v[2:3] op_sel:[0,1]
	;; [unrolled: 1-line block ×3, first 2 shown]
.LBB152_302:                            ; =>This Inner Loop Header: Depth=1
	v_add_co_u32_e64 v2, s[0:1], v18, v8
	v_addc_co_u32_e64 v3, s[0:1], 0, v19, s[0:1]
	v_add_co_u32_e64 v4, s[0:1], v18, v9
	v_addc_co_u32_e64 v5, s[0:1], 0, v19, s[0:1]
	v_add_co_u32_e64 v6, s[0:1], v18, v10
	v_addc_co_u32_e64 v7, s[0:1], 0, v19, s[0:1]
	v_add_co_u32_e64 v24, s[0:1], v18, v11
	v_addc_co_u32_e64 v25, s[0:1], 0, v19, s[0:1]
	v_add_co_u32_e64 v26, s[0:1], v18, v12
	v_addc_co_u32_e64 v27, s[0:1], 0, v19, s[0:1]
	v_add_co_u32_e64 v28, s[0:1], v18, v13
	v_addc_co_u32_e64 v29, s[0:1], 0, v19, s[0:1]
	v_add_co_u32_e64 v30, s[0:1], v18, v14
	v_addc_co_u32_e64 v31, s[0:1], 0, v19, s[0:1]
	v_add_co_u32_e64 v32, s[0:1], v18, v15
	v_addc_co_u32_e64 v33, s[0:1], 0, v19, s[0:1]
	v_add_u32_e32 v34, 0x400, v8
	v_add_co_u32_e64 v34, s[0:1], v18, v34
	v_add_u32_e32 v36, 0x400, v9
	v_addc_co_u32_e64 v35, s[0:1], 0, v19, s[0:1]
	v_add_co_u32_e64 v36, s[0:1], v18, v36
	v_add_u32_e32 v38, 0x400, v10
	v_addc_co_u32_e64 v37, s[0:1], 0, v19, s[0:1]
	;; [unrolled: 3-line block ×6, first 2 shown]
	v_add_co_u32_e64 v46, s[0:1], v18, v46
	ds_read_u8 v50, v23
	ds_read_u8 v51, v23 offset:128
	ds_read_u8 v52, v23 offset:256
	;; [unrolled: 1-line block ×7, first 2 shown]
	v_add_u32_e32 v1, 0x400, v15
	ds_read_u8 v58, v23 offset:1024
	ds_read_u8 v59, v23 offset:1152
	;; [unrolled: 1-line block ×8, first 2 shown]
	v_addc_co_u32_e64 v47, s[0:1], 0, v19, s[0:1]
	v_add_co_u32_e64 v48, s[0:1], v18, v1
	v_add_u32_e32 v22, -2, v22
	v_addc_co_u32_e64 v49, s[0:1], 0, v19, s[0:1]
	s_add_i32 s12, s12, 16
	v_cmp_eq_u32_e64 s[0:1], 0, v22
	v_add_u32_e32 v15, 0x800, v15
	v_add_u32_e32 v14, 0x800, v14
	;; [unrolled: 1-line block ×9, first 2 shown]
	v_mov_b32_e32 v1, s12
	s_or_b64 s[10:11], s[0:1], s[10:11]
	s_waitcnt lgkmcnt(14)
	global_store_byte v[2:3], v50, off
	global_store_byte v[4:5], v51, off
	s_waitcnt lgkmcnt(13)
	global_store_byte v[6:7], v52, off
	s_waitcnt lgkmcnt(12)
	;; [unrolled: 2-line block ×14, first 2 shown]
	global_store_byte v[48:49], v65, off
	s_andn2_b64 exec, exec, s[10:11]
	s_cbranch_execnz .LBB152_302
; %bb.303:
	s_or_b64 exec, exec, s[10:11]
	v_lshlrev_b32_e32 v22, 7, v1
.LBB152_304:
	s_or_b64 exec, exec, s[8:9]
	v_and_b32_e32 v1, 8, v21
	v_cmp_eq_u32_e64 s[0:1], 0, v1
	s_and_saveexec_b64 s[8:9], s[0:1]
	s_cbranch_execz .LBB152_306
; %bb.305:
	v_add_co_u32_e64 v2, s[0:1], v18, v8
	v_addc_co_u32_e64 v3, s[0:1], 0, v19, s[0:1]
	v_add_co_u32_e64 v4, s[0:1], v18, v9
	v_addc_co_u32_e64 v5, s[0:1], 0, v19, s[0:1]
	;; [unrolled: 2-line block ×4, first 2 shown]
	v_add_co_u32_e64 v10, s[0:1], v18, v12
	v_or_b32_e32 v1, v0, v22
	v_addc_co_u32_e64 v11, s[0:1], 0, v19, s[0:1]
	ds_read_u8 v21, v1
	ds_read_u8 v24, v1 offset:128
	ds_read_u8 v25, v1 offset:256
	;; [unrolled: 1-line block ×7, first 2 shown]
	v_add_co_u32_e64 v12, s[0:1], v18, v13
	v_addc_co_u32_e64 v13, s[0:1], 0, v19, s[0:1]
	v_add_co_u32_e64 v22, s[0:1], v18, v14
	v_addc_co_u32_e64 v23, s[0:1], 0, v19, s[0:1]
	;; [unrolled: 2-line block ×3, first 2 shown]
	s_waitcnt lgkmcnt(7)
	global_store_byte v[2:3], v21, off
	s_waitcnt lgkmcnt(6)
	global_store_byte v[4:5], v24, off
	;; [unrolled: 2-line block ×8, first 2 shown]
.LBB152_306:
	s_or_b64 exec, exec, s[8:9]
	v_add_u32_e32 v2, 1, v20
	v_and_b32_e32 v3, 0x3fffff8, v2
	v_cmp_ne_u32_e64 s[0:1], v2, v3
	v_lshl_or_b32 v1, v3, 7, v0
	s_orn2_b64 s[8:9], s[0:1], exec
.LBB152_307:
	s_or_b64 exec, exec, s[6:7]
	s_andn2_b64 s[0:1], vcc, exec
	s_and_b64 s[6:7], s[8:9], exec
	s_or_b64 vcc, s[0:1], s[6:7]
.LBB152_308:
	s_or_b64 exec, exec, s[4:5]
	s_and_b64 exec, exec, vcc
	s_cbranch_execz .LBB152_311
; %bb.309:
	s_mov_b64 s[0:1], 0
.LBB152_310:                            ; =>This Inner Loop Header: Depth=1
	ds_read_u8 v2, v1
	v_readfirstlane_b32 s4, v18
	v_readfirstlane_b32 s5, v19
	s_waitcnt lgkmcnt(0)
	s_nop 3
	global_store_byte v1, v2, s[4:5]
	v_add_u32_e32 v1, 0x80, v1
	v_cmp_ge_u32_e32 vcc, v1, v16
	s_or_b64 s[0:1], vcc, s[0:1]
	s_andn2_b64 exec, exec, s[0:1]
	s_cbranch_execnz .LBB152_310
.LBB152_311:
	s_or_b64 exec, exec, s[2:3]
	v_cmp_eq_u32_e32 vcc, 0, v0
	s_and_b64 s[0:1], vcc, s[24:25]
	s_and_saveexec_b64 s[2:3], s[0:1]
	s_cbranch_execz .LBB152_135
.LBB152_312:
	v_mov_b32_e32 v0, s23
	v_add_co_u32_e32 v1, vcc, s22, v16
	v_addc_co_u32_e32 v3, vcc, 0, v0, vcc
	v_add_co_u32_e32 v0, vcc, v1, v17
	v_mov_b32_e32 v2, 0
	v_addc_co_u32_e32 v1, vcc, 0, v3, vcc
	global_store_dwordx2 v2, v[0:1], s[20:21]
	s_endpgm
.LBB152_313:
	s_or_b64 exec, exec, s[0:1]
	v_mov_b32_e32 v75, s28
	s_and_saveexec_b64 s[0:1], s[14:15]
	s_cbranch_execnz .LBB152_88
	s_branch .LBB152_89
	.section	.rodata,"a",@progbits
	.p2align	6, 0x0
	.amdhsa_kernel _ZN7rocprim17ROCPRIM_400000_NS6detail17trampoline_kernelINS0_14default_configENS1_25partition_config_selectorILNS1_17partition_subalgoE8EhNS0_10empty_typeEbEEZZNS1_14partition_implILS5_8ELb0ES3_jPKhPS6_PKS6_NS0_5tupleIJPhS6_EEENSE_IJSB_SB_EEENS0_18inequality_wrapperIN6hipcub16HIPCUB_304000_NS8EqualityEEEPlJS6_EEE10hipError_tPvRmT3_T4_T5_T6_T7_T9_mT8_P12ihipStream_tbDpT10_ENKUlT_T0_E_clISt17integral_constantIbLb1EES16_IbLb0EEEEDaS12_S13_EUlS12_E_NS1_11comp_targetILNS1_3genE4ELNS1_11target_archE910ELNS1_3gpuE8ELNS1_3repE0EEENS1_30default_config_static_selectorELNS0_4arch9wavefront6targetE1EEEvT1_
		.amdhsa_group_segment_fixed_size 4232
		.amdhsa_private_segment_fixed_size 0
		.amdhsa_kernarg_size 112
		.amdhsa_user_sgpr_count 6
		.amdhsa_user_sgpr_private_segment_buffer 1
		.amdhsa_user_sgpr_dispatch_ptr 0
		.amdhsa_user_sgpr_queue_ptr 0
		.amdhsa_user_sgpr_kernarg_segment_ptr 1
		.amdhsa_user_sgpr_dispatch_id 0
		.amdhsa_user_sgpr_flat_scratch_init 0
		.amdhsa_user_sgpr_kernarg_preload_length 0
		.amdhsa_user_sgpr_kernarg_preload_offset 0
		.amdhsa_user_sgpr_private_segment_size 0
		.amdhsa_uses_dynamic_stack 0
		.amdhsa_system_sgpr_private_segment_wavefront_offset 0
		.amdhsa_system_sgpr_workgroup_id_x 1
		.amdhsa_system_sgpr_workgroup_id_y 0
		.amdhsa_system_sgpr_workgroup_id_z 0
		.amdhsa_system_sgpr_workgroup_info 0
		.amdhsa_system_vgpr_workitem_id 0
		.amdhsa_next_free_vgpr 125
		.amdhsa_next_free_sgpr 54
		.amdhsa_accum_offset 128
		.amdhsa_reserve_vcc 1
		.amdhsa_reserve_flat_scratch 0
		.amdhsa_float_round_mode_32 0
		.amdhsa_float_round_mode_16_64 0
		.amdhsa_float_denorm_mode_32 3
		.amdhsa_float_denorm_mode_16_64 3
		.amdhsa_dx10_clamp 1
		.amdhsa_ieee_mode 1
		.amdhsa_fp16_overflow 0
		.amdhsa_tg_split 0
		.amdhsa_exception_fp_ieee_invalid_op 0
		.amdhsa_exception_fp_denorm_src 0
		.amdhsa_exception_fp_ieee_div_zero 0
		.amdhsa_exception_fp_ieee_overflow 0
		.amdhsa_exception_fp_ieee_underflow 0
		.amdhsa_exception_fp_ieee_inexact 0
		.amdhsa_exception_int_div_zero 0
	.end_amdhsa_kernel
	.section	.text._ZN7rocprim17ROCPRIM_400000_NS6detail17trampoline_kernelINS0_14default_configENS1_25partition_config_selectorILNS1_17partition_subalgoE8EhNS0_10empty_typeEbEEZZNS1_14partition_implILS5_8ELb0ES3_jPKhPS6_PKS6_NS0_5tupleIJPhS6_EEENSE_IJSB_SB_EEENS0_18inequality_wrapperIN6hipcub16HIPCUB_304000_NS8EqualityEEEPlJS6_EEE10hipError_tPvRmT3_T4_T5_T6_T7_T9_mT8_P12ihipStream_tbDpT10_ENKUlT_T0_E_clISt17integral_constantIbLb1EES16_IbLb0EEEEDaS12_S13_EUlS12_E_NS1_11comp_targetILNS1_3genE4ELNS1_11target_archE910ELNS1_3gpuE8ELNS1_3repE0EEENS1_30default_config_static_selectorELNS0_4arch9wavefront6targetE1EEEvT1_,"axG",@progbits,_ZN7rocprim17ROCPRIM_400000_NS6detail17trampoline_kernelINS0_14default_configENS1_25partition_config_selectorILNS1_17partition_subalgoE8EhNS0_10empty_typeEbEEZZNS1_14partition_implILS5_8ELb0ES3_jPKhPS6_PKS6_NS0_5tupleIJPhS6_EEENSE_IJSB_SB_EEENS0_18inequality_wrapperIN6hipcub16HIPCUB_304000_NS8EqualityEEEPlJS6_EEE10hipError_tPvRmT3_T4_T5_T6_T7_T9_mT8_P12ihipStream_tbDpT10_ENKUlT_T0_E_clISt17integral_constantIbLb1EES16_IbLb0EEEEDaS12_S13_EUlS12_E_NS1_11comp_targetILNS1_3genE4ELNS1_11target_archE910ELNS1_3gpuE8ELNS1_3repE0EEENS1_30default_config_static_selectorELNS0_4arch9wavefront6targetE1EEEvT1_,comdat
.Lfunc_end152:
	.size	_ZN7rocprim17ROCPRIM_400000_NS6detail17trampoline_kernelINS0_14default_configENS1_25partition_config_selectorILNS1_17partition_subalgoE8EhNS0_10empty_typeEbEEZZNS1_14partition_implILS5_8ELb0ES3_jPKhPS6_PKS6_NS0_5tupleIJPhS6_EEENSE_IJSB_SB_EEENS0_18inequality_wrapperIN6hipcub16HIPCUB_304000_NS8EqualityEEEPlJS6_EEE10hipError_tPvRmT3_T4_T5_T6_T7_T9_mT8_P12ihipStream_tbDpT10_ENKUlT_T0_E_clISt17integral_constantIbLb1EES16_IbLb0EEEEDaS12_S13_EUlS12_E_NS1_11comp_targetILNS1_3genE4ELNS1_11target_archE910ELNS1_3gpuE8ELNS1_3repE0EEENS1_30default_config_static_selectorELNS0_4arch9wavefront6targetE1EEEvT1_, .Lfunc_end152-_ZN7rocprim17ROCPRIM_400000_NS6detail17trampoline_kernelINS0_14default_configENS1_25partition_config_selectorILNS1_17partition_subalgoE8EhNS0_10empty_typeEbEEZZNS1_14partition_implILS5_8ELb0ES3_jPKhPS6_PKS6_NS0_5tupleIJPhS6_EEENSE_IJSB_SB_EEENS0_18inequality_wrapperIN6hipcub16HIPCUB_304000_NS8EqualityEEEPlJS6_EEE10hipError_tPvRmT3_T4_T5_T6_T7_T9_mT8_P12ihipStream_tbDpT10_ENKUlT_T0_E_clISt17integral_constantIbLb1EES16_IbLb0EEEEDaS12_S13_EUlS12_E_NS1_11comp_targetILNS1_3genE4ELNS1_11target_archE910ELNS1_3gpuE8ELNS1_3repE0EEENS1_30default_config_static_selectorELNS0_4arch9wavefront6targetE1EEEvT1_
                                        ; -- End function
	.section	.AMDGPU.csdata,"",@progbits
; Kernel info:
; codeLenInByte = 13000
; NumSgprs: 58
; NumVgprs: 125
; NumAgprs: 0
; TotalNumVgprs: 125
; ScratchSize: 0
; MemoryBound: 0
; FloatMode: 240
; IeeeMode: 1
; LDSByteSize: 4232 bytes/workgroup (compile time only)
; SGPRBlocks: 7
; VGPRBlocks: 15
; NumSGPRsForWavesPerEU: 58
; NumVGPRsForWavesPerEU: 125
; AccumOffset: 128
; Occupancy: 4
; WaveLimiterHint : 1
; COMPUTE_PGM_RSRC2:SCRATCH_EN: 0
; COMPUTE_PGM_RSRC2:USER_SGPR: 6
; COMPUTE_PGM_RSRC2:TRAP_HANDLER: 0
; COMPUTE_PGM_RSRC2:TGID_X_EN: 1
; COMPUTE_PGM_RSRC2:TGID_Y_EN: 0
; COMPUTE_PGM_RSRC2:TGID_Z_EN: 0
; COMPUTE_PGM_RSRC2:TIDIG_COMP_CNT: 0
; COMPUTE_PGM_RSRC3_GFX90A:ACCUM_OFFSET: 31
; COMPUTE_PGM_RSRC3_GFX90A:TG_SPLIT: 0
	.section	.text._ZN7rocprim17ROCPRIM_400000_NS6detail17trampoline_kernelINS0_14default_configENS1_25partition_config_selectorILNS1_17partition_subalgoE8EhNS0_10empty_typeEbEEZZNS1_14partition_implILS5_8ELb0ES3_jPKhPS6_PKS6_NS0_5tupleIJPhS6_EEENSE_IJSB_SB_EEENS0_18inequality_wrapperIN6hipcub16HIPCUB_304000_NS8EqualityEEEPlJS6_EEE10hipError_tPvRmT3_T4_T5_T6_T7_T9_mT8_P12ihipStream_tbDpT10_ENKUlT_T0_E_clISt17integral_constantIbLb1EES16_IbLb0EEEEDaS12_S13_EUlS12_E_NS1_11comp_targetILNS1_3genE3ELNS1_11target_archE908ELNS1_3gpuE7ELNS1_3repE0EEENS1_30default_config_static_selectorELNS0_4arch9wavefront6targetE1EEEvT1_,"axG",@progbits,_ZN7rocprim17ROCPRIM_400000_NS6detail17trampoline_kernelINS0_14default_configENS1_25partition_config_selectorILNS1_17partition_subalgoE8EhNS0_10empty_typeEbEEZZNS1_14partition_implILS5_8ELb0ES3_jPKhPS6_PKS6_NS0_5tupleIJPhS6_EEENSE_IJSB_SB_EEENS0_18inequality_wrapperIN6hipcub16HIPCUB_304000_NS8EqualityEEEPlJS6_EEE10hipError_tPvRmT3_T4_T5_T6_T7_T9_mT8_P12ihipStream_tbDpT10_ENKUlT_T0_E_clISt17integral_constantIbLb1EES16_IbLb0EEEEDaS12_S13_EUlS12_E_NS1_11comp_targetILNS1_3genE3ELNS1_11target_archE908ELNS1_3gpuE7ELNS1_3repE0EEENS1_30default_config_static_selectorELNS0_4arch9wavefront6targetE1EEEvT1_,comdat
	.protected	_ZN7rocprim17ROCPRIM_400000_NS6detail17trampoline_kernelINS0_14default_configENS1_25partition_config_selectorILNS1_17partition_subalgoE8EhNS0_10empty_typeEbEEZZNS1_14partition_implILS5_8ELb0ES3_jPKhPS6_PKS6_NS0_5tupleIJPhS6_EEENSE_IJSB_SB_EEENS0_18inequality_wrapperIN6hipcub16HIPCUB_304000_NS8EqualityEEEPlJS6_EEE10hipError_tPvRmT3_T4_T5_T6_T7_T9_mT8_P12ihipStream_tbDpT10_ENKUlT_T0_E_clISt17integral_constantIbLb1EES16_IbLb0EEEEDaS12_S13_EUlS12_E_NS1_11comp_targetILNS1_3genE3ELNS1_11target_archE908ELNS1_3gpuE7ELNS1_3repE0EEENS1_30default_config_static_selectorELNS0_4arch9wavefront6targetE1EEEvT1_ ; -- Begin function _ZN7rocprim17ROCPRIM_400000_NS6detail17trampoline_kernelINS0_14default_configENS1_25partition_config_selectorILNS1_17partition_subalgoE8EhNS0_10empty_typeEbEEZZNS1_14partition_implILS5_8ELb0ES3_jPKhPS6_PKS6_NS0_5tupleIJPhS6_EEENSE_IJSB_SB_EEENS0_18inequality_wrapperIN6hipcub16HIPCUB_304000_NS8EqualityEEEPlJS6_EEE10hipError_tPvRmT3_T4_T5_T6_T7_T9_mT8_P12ihipStream_tbDpT10_ENKUlT_T0_E_clISt17integral_constantIbLb1EES16_IbLb0EEEEDaS12_S13_EUlS12_E_NS1_11comp_targetILNS1_3genE3ELNS1_11target_archE908ELNS1_3gpuE7ELNS1_3repE0EEENS1_30default_config_static_selectorELNS0_4arch9wavefront6targetE1EEEvT1_
	.globl	_ZN7rocprim17ROCPRIM_400000_NS6detail17trampoline_kernelINS0_14default_configENS1_25partition_config_selectorILNS1_17partition_subalgoE8EhNS0_10empty_typeEbEEZZNS1_14partition_implILS5_8ELb0ES3_jPKhPS6_PKS6_NS0_5tupleIJPhS6_EEENSE_IJSB_SB_EEENS0_18inequality_wrapperIN6hipcub16HIPCUB_304000_NS8EqualityEEEPlJS6_EEE10hipError_tPvRmT3_T4_T5_T6_T7_T9_mT8_P12ihipStream_tbDpT10_ENKUlT_T0_E_clISt17integral_constantIbLb1EES16_IbLb0EEEEDaS12_S13_EUlS12_E_NS1_11comp_targetILNS1_3genE3ELNS1_11target_archE908ELNS1_3gpuE7ELNS1_3repE0EEENS1_30default_config_static_selectorELNS0_4arch9wavefront6targetE1EEEvT1_
	.p2align	8
	.type	_ZN7rocprim17ROCPRIM_400000_NS6detail17trampoline_kernelINS0_14default_configENS1_25partition_config_selectorILNS1_17partition_subalgoE8EhNS0_10empty_typeEbEEZZNS1_14partition_implILS5_8ELb0ES3_jPKhPS6_PKS6_NS0_5tupleIJPhS6_EEENSE_IJSB_SB_EEENS0_18inequality_wrapperIN6hipcub16HIPCUB_304000_NS8EqualityEEEPlJS6_EEE10hipError_tPvRmT3_T4_T5_T6_T7_T9_mT8_P12ihipStream_tbDpT10_ENKUlT_T0_E_clISt17integral_constantIbLb1EES16_IbLb0EEEEDaS12_S13_EUlS12_E_NS1_11comp_targetILNS1_3genE3ELNS1_11target_archE908ELNS1_3gpuE7ELNS1_3repE0EEENS1_30default_config_static_selectorELNS0_4arch9wavefront6targetE1EEEvT1_,@function
_ZN7rocprim17ROCPRIM_400000_NS6detail17trampoline_kernelINS0_14default_configENS1_25partition_config_selectorILNS1_17partition_subalgoE8EhNS0_10empty_typeEbEEZZNS1_14partition_implILS5_8ELb0ES3_jPKhPS6_PKS6_NS0_5tupleIJPhS6_EEENSE_IJSB_SB_EEENS0_18inequality_wrapperIN6hipcub16HIPCUB_304000_NS8EqualityEEEPlJS6_EEE10hipError_tPvRmT3_T4_T5_T6_T7_T9_mT8_P12ihipStream_tbDpT10_ENKUlT_T0_E_clISt17integral_constantIbLb1EES16_IbLb0EEEEDaS12_S13_EUlS12_E_NS1_11comp_targetILNS1_3genE3ELNS1_11target_archE908ELNS1_3gpuE7ELNS1_3repE0EEENS1_30default_config_static_selectorELNS0_4arch9wavefront6targetE1EEEvT1_: ; @_ZN7rocprim17ROCPRIM_400000_NS6detail17trampoline_kernelINS0_14default_configENS1_25partition_config_selectorILNS1_17partition_subalgoE8EhNS0_10empty_typeEbEEZZNS1_14partition_implILS5_8ELb0ES3_jPKhPS6_PKS6_NS0_5tupleIJPhS6_EEENSE_IJSB_SB_EEENS0_18inequality_wrapperIN6hipcub16HIPCUB_304000_NS8EqualityEEEPlJS6_EEE10hipError_tPvRmT3_T4_T5_T6_T7_T9_mT8_P12ihipStream_tbDpT10_ENKUlT_T0_E_clISt17integral_constantIbLb1EES16_IbLb0EEEEDaS12_S13_EUlS12_E_NS1_11comp_targetILNS1_3genE3ELNS1_11target_archE908ELNS1_3gpuE7ELNS1_3repE0EEENS1_30default_config_static_selectorELNS0_4arch9wavefront6targetE1EEEvT1_
; %bb.0:
	.section	.rodata,"a",@progbits
	.p2align	6, 0x0
	.amdhsa_kernel _ZN7rocprim17ROCPRIM_400000_NS6detail17trampoline_kernelINS0_14default_configENS1_25partition_config_selectorILNS1_17partition_subalgoE8EhNS0_10empty_typeEbEEZZNS1_14partition_implILS5_8ELb0ES3_jPKhPS6_PKS6_NS0_5tupleIJPhS6_EEENSE_IJSB_SB_EEENS0_18inequality_wrapperIN6hipcub16HIPCUB_304000_NS8EqualityEEEPlJS6_EEE10hipError_tPvRmT3_T4_T5_T6_T7_T9_mT8_P12ihipStream_tbDpT10_ENKUlT_T0_E_clISt17integral_constantIbLb1EES16_IbLb0EEEEDaS12_S13_EUlS12_E_NS1_11comp_targetILNS1_3genE3ELNS1_11target_archE908ELNS1_3gpuE7ELNS1_3repE0EEENS1_30default_config_static_selectorELNS0_4arch9wavefront6targetE1EEEvT1_
		.amdhsa_group_segment_fixed_size 0
		.amdhsa_private_segment_fixed_size 0
		.amdhsa_kernarg_size 112
		.amdhsa_user_sgpr_count 6
		.amdhsa_user_sgpr_private_segment_buffer 1
		.amdhsa_user_sgpr_dispatch_ptr 0
		.amdhsa_user_sgpr_queue_ptr 0
		.amdhsa_user_sgpr_kernarg_segment_ptr 1
		.amdhsa_user_sgpr_dispatch_id 0
		.amdhsa_user_sgpr_flat_scratch_init 0
		.amdhsa_user_sgpr_kernarg_preload_length 0
		.amdhsa_user_sgpr_kernarg_preload_offset 0
		.amdhsa_user_sgpr_private_segment_size 0
		.amdhsa_uses_dynamic_stack 0
		.amdhsa_system_sgpr_private_segment_wavefront_offset 0
		.amdhsa_system_sgpr_workgroup_id_x 1
		.amdhsa_system_sgpr_workgroup_id_y 0
		.amdhsa_system_sgpr_workgroup_id_z 0
		.amdhsa_system_sgpr_workgroup_info 0
		.amdhsa_system_vgpr_workitem_id 0
		.amdhsa_next_free_vgpr 1
		.amdhsa_next_free_sgpr 0
		.amdhsa_accum_offset 4
		.amdhsa_reserve_vcc 0
		.amdhsa_reserve_flat_scratch 0
		.amdhsa_float_round_mode_32 0
		.amdhsa_float_round_mode_16_64 0
		.amdhsa_float_denorm_mode_32 3
		.amdhsa_float_denorm_mode_16_64 3
		.amdhsa_dx10_clamp 1
		.amdhsa_ieee_mode 1
		.amdhsa_fp16_overflow 0
		.amdhsa_tg_split 0
		.amdhsa_exception_fp_ieee_invalid_op 0
		.amdhsa_exception_fp_denorm_src 0
		.amdhsa_exception_fp_ieee_div_zero 0
		.amdhsa_exception_fp_ieee_overflow 0
		.amdhsa_exception_fp_ieee_underflow 0
		.amdhsa_exception_fp_ieee_inexact 0
		.amdhsa_exception_int_div_zero 0
	.end_amdhsa_kernel
	.section	.text._ZN7rocprim17ROCPRIM_400000_NS6detail17trampoline_kernelINS0_14default_configENS1_25partition_config_selectorILNS1_17partition_subalgoE8EhNS0_10empty_typeEbEEZZNS1_14partition_implILS5_8ELb0ES3_jPKhPS6_PKS6_NS0_5tupleIJPhS6_EEENSE_IJSB_SB_EEENS0_18inequality_wrapperIN6hipcub16HIPCUB_304000_NS8EqualityEEEPlJS6_EEE10hipError_tPvRmT3_T4_T5_T6_T7_T9_mT8_P12ihipStream_tbDpT10_ENKUlT_T0_E_clISt17integral_constantIbLb1EES16_IbLb0EEEEDaS12_S13_EUlS12_E_NS1_11comp_targetILNS1_3genE3ELNS1_11target_archE908ELNS1_3gpuE7ELNS1_3repE0EEENS1_30default_config_static_selectorELNS0_4arch9wavefront6targetE1EEEvT1_,"axG",@progbits,_ZN7rocprim17ROCPRIM_400000_NS6detail17trampoline_kernelINS0_14default_configENS1_25partition_config_selectorILNS1_17partition_subalgoE8EhNS0_10empty_typeEbEEZZNS1_14partition_implILS5_8ELb0ES3_jPKhPS6_PKS6_NS0_5tupleIJPhS6_EEENSE_IJSB_SB_EEENS0_18inequality_wrapperIN6hipcub16HIPCUB_304000_NS8EqualityEEEPlJS6_EEE10hipError_tPvRmT3_T4_T5_T6_T7_T9_mT8_P12ihipStream_tbDpT10_ENKUlT_T0_E_clISt17integral_constantIbLb1EES16_IbLb0EEEEDaS12_S13_EUlS12_E_NS1_11comp_targetILNS1_3genE3ELNS1_11target_archE908ELNS1_3gpuE7ELNS1_3repE0EEENS1_30default_config_static_selectorELNS0_4arch9wavefront6targetE1EEEvT1_,comdat
.Lfunc_end153:
	.size	_ZN7rocprim17ROCPRIM_400000_NS6detail17trampoline_kernelINS0_14default_configENS1_25partition_config_selectorILNS1_17partition_subalgoE8EhNS0_10empty_typeEbEEZZNS1_14partition_implILS5_8ELb0ES3_jPKhPS6_PKS6_NS0_5tupleIJPhS6_EEENSE_IJSB_SB_EEENS0_18inequality_wrapperIN6hipcub16HIPCUB_304000_NS8EqualityEEEPlJS6_EEE10hipError_tPvRmT3_T4_T5_T6_T7_T9_mT8_P12ihipStream_tbDpT10_ENKUlT_T0_E_clISt17integral_constantIbLb1EES16_IbLb0EEEEDaS12_S13_EUlS12_E_NS1_11comp_targetILNS1_3genE3ELNS1_11target_archE908ELNS1_3gpuE7ELNS1_3repE0EEENS1_30default_config_static_selectorELNS0_4arch9wavefront6targetE1EEEvT1_, .Lfunc_end153-_ZN7rocprim17ROCPRIM_400000_NS6detail17trampoline_kernelINS0_14default_configENS1_25partition_config_selectorILNS1_17partition_subalgoE8EhNS0_10empty_typeEbEEZZNS1_14partition_implILS5_8ELb0ES3_jPKhPS6_PKS6_NS0_5tupleIJPhS6_EEENSE_IJSB_SB_EEENS0_18inequality_wrapperIN6hipcub16HIPCUB_304000_NS8EqualityEEEPlJS6_EEE10hipError_tPvRmT3_T4_T5_T6_T7_T9_mT8_P12ihipStream_tbDpT10_ENKUlT_T0_E_clISt17integral_constantIbLb1EES16_IbLb0EEEEDaS12_S13_EUlS12_E_NS1_11comp_targetILNS1_3genE3ELNS1_11target_archE908ELNS1_3gpuE7ELNS1_3repE0EEENS1_30default_config_static_selectorELNS0_4arch9wavefront6targetE1EEEvT1_
                                        ; -- End function
	.section	.AMDGPU.csdata,"",@progbits
; Kernel info:
; codeLenInByte = 0
; NumSgprs: 4
; NumVgprs: 0
; NumAgprs: 0
; TotalNumVgprs: 0
; ScratchSize: 0
; MemoryBound: 0
; FloatMode: 240
; IeeeMode: 1
; LDSByteSize: 0 bytes/workgroup (compile time only)
; SGPRBlocks: 0
; VGPRBlocks: 0
; NumSGPRsForWavesPerEU: 4
; NumVGPRsForWavesPerEU: 1
; AccumOffset: 4
; Occupancy: 8
; WaveLimiterHint : 0
; COMPUTE_PGM_RSRC2:SCRATCH_EN: 0
; COMPUTE_PGM_RSRC2:USER_SGPR: 6
; COMPUTE_PGM_RSRC2:TRAP_HANDLER: 0
; COMPUTE_PGM_RSRC2:TGID_X_EN: 1
; COMPUTE_PGM_RSRC2:TGID_Y_EN: 0
; COMPUTE_PGM_RSRC2:TGID_Z_EN: 0
; COMPUTE_PGM_RSRC2:TIDIG_COMP_CNT: 0
; COMPUTE_PGM_RSRC3_GFX90A:ACCUM_OFFSET: 0
; COMPUTE_PGM_RSRC3_GFX90A:TG_SPLIT: 0
	.section	.text._ZN7rocprim17ROCPRIM_400000_NS6detail17trampoline_kernelINS0_14default_configENS1_25partition_config_selectorILNS1_17partition_subalgoE8EhNS0_10empty_typeEbEEZZNS1_14partition_implILS5_8ELb0ES3_jPKhPS6_PKS6_NS0_5tupleIJPhS6_EEENSE_IJSB_SB_EEENS0_18inequality_wrapperIN6hipcub16HIPCUB_304000_NS8EqualityEEEPlJS6_EEE10hipError_tPvRmT3_T4_T5_T6_T7_T9_mT8_P12ihipStream_tbDpT10_ENKUlT_T0_E_clISt17integral_constantIbLb1EES16_IbLb0EEEEDaS12_S13_EUlS12_E_NS1_11comp_targetILNS1_3genE2ELNS1_11target_archE906ELNS1_3gpuE6ELNS1_3repE0EEENS1_30default_config_static_selectorELNS0_4arch9wavefront6targetE1EEEvT1_,"axG",@progbits,_ZN7rocprim17ROCPRIM_400000_NS6detail17trampoline_kernelINS0_14default_configENS1_25partition_config_selectorILNS1_17partition_subalgoE8EhNS0_10empty_typeEbEEZZNS1_14partition_implILS5_8ELb0ES3_jPKhPS6_PKS6_NS0_5tupleIJPhS6_EEENSE_IJSB_SB_EEENS0_18inequality_wrapperIN6hipcub16HIPCUB_304000_NS8EqualityEEEPlJS6_EEE10hipError_tPvRmT3_T4_T5_T6_T7_T9_mT8_P12ihipStream_tbDpT10_ENKUlT_T0_E_clISt17integral_constantIbLb1EES16_IbLb0EEEEDaS12_S13_EUlS12_E_NS1_11comp_targetILNS1_3genE2ELNS1_11target_archE906ELNS1_3gpuE6ELNS1_3repE0EEENS1_30default_config_static_selectorELNS0_4arch9wavefront6targetE1EEEvT1_,comdat
	.protected	_ZN7rocprim17ROCPRIM_400000_NS6detail17trampoline_kernelINS0_14default_configENS1_25partition_config_selectorILNS1_17partition_subalgoE8EhNS0_10empty_typeEbEEZZNS1_14partition_implILS5_8ELb0ES3_jPKhPS6_PKS6_NS0_5tupleIJPhS6_EEENSE_IJSB_SB_EEENS0_18inequality_wrapperIN6hipcub16HIPCUB_304000_NS8EqualityEEEPlJS6_EEE10hipError_tPvRmT3_T4_T5_T6_T7_T9_mT8_P12ihipStream_tbDpT10_ENKUlT_T0_E_clISt17integral_constantIbLb1EES16_IbLb0EEEEDaS12_S13_EUlS12_E_NS1_11comp_targetILNS1_3genE2ELNS1_11target_archE906ELNS1_3gpuE6ELNS1_3repE0EEENS1_30default_config_static_selectorELNS0_4arch9wavefront6targetE1EEEvT1_ ; -- Begin function _ZN7rocprim17ROCPRIM_400000_NS6detail17trampoline_kernelINS0_14default_configENS1_25partition_config_selectorILNS1_17partition_subalgoE8EhNS0_10empty_typeEbEEZZNS1_14partition_implILS5_8ELb0ES3_jPKhPS6_PKS6_NS0_5tupleIJPhS6_EEENSE_IJSB_SB_EEENS0_18inequality_wrapperIN6hipcub16HIPCUB_304000_NS8EqualityEEEPlJS6_EEE10hipError_tPvRmT3_T4_T5_T6_T7_T9_mT8_P12ihipStream_tbDpT10_ENKUlT_T0_E_clISt17integral_constantIbLb1EES16_IbLb0EEEEDaS12_S13_EUlS12_E_NS1_11comp_targetILNS1_3genE2ELNS1_11target_archE906ELNS1_3gpuE6ELNS1_3repE0EEENS1_30default_config_static_selectorELNS0_4arch9wavefront6targetE1EEEvT1_
	.globl	_ZN7rocprim17ROCPRIM_400000_NS6detail17trampoline_kernelINS0_14default_configENS1_25partition_config_selectorILNS1_17partition_subalgoE8EhNS0_10empty_typeEbEEZZNS1_14partition_implILS5_8ELb0ES3_jPKhPS6_PKS6_NS0_5tupleIJPhS6_EEENSE_IJSB_SB_EEENS0_18inequality_wrapperIN6hipcub16HIPCUB_304000_NS8EqualityEEEPlJS6_EEE10hipError_tPvRmT3_T4_T5_T6_T7_T9_mT8_P12ihipStream_tbDpT10_ENKUlT_T0_E_clISt17integral_constantIbLb1EES16_IbLb0EEEEDaS12_S13_EUlS12_E_NS1_11comp_targetILNS1_3genE2ELNS1_11target_archE906ELNS1_3gpuE6ELNS1_3repE0EEENS1_30default_config_static_selectorELNS0_4arch9wavefront6targetE1EEEvT1_
	.p2align	8
	.type	_ZN7rocprim17ROCPRIM_400000_NS6detail17trampoline_kernelINS0_14default_configENS1_25partition_config_selectorILNS1_17partition_subalgoE8EhNS0_10empty_typeEbEEZZNS1_14partition_implILS5_8ELb0ES3_jPKhPS6_PKS6_NS0_5tupleIJPhS6_EEENSE_IJSB_SB_EEENS0_18inequality_wrapperIN6hipcub16HIPCUB_304000_NS8EqualityEEEPlJS6_EEE10hipError_tPvRmT3_T4_T5_T6_T7_T9_mT8_P12ihipStream_tbDpT10_ENKUlT_T0_E_clISt17integral_constantIbLb1EES16_IbLb0EEEEDaS12_S13_EUlS12_E_NS1_11comp_targetILNS1_3genE2ELNS1_11target_archE906ELNS1_3gpuE6ELNS1_3repE0EEENS1_30default_config_static_selectorELNS0_4arch9wavefront6targetE1EEEvT1_,@function
_ZN7rocprim17ROCPRIM_400000_NS6detail17trampoline_kernelINS0_14default_configENS1_25partition_config_selectorILNS1_17partition_subalgoE8EhNS0_10empty_typeEbEEZZNS1_14partition_implILS5_8ELb0ES3_jPKhPS6_PKS6_NS0_5tupleIJPhS6_EEENSE_IJSB_SB_EEENS0_18inequality_wrapperIN6hipcub16HIPCUB_304000_NS8EqualityEEEPlJS6_EEE10hipError_tPvRmT3_T4_T5_T6_T7_T9_mT8_P12ihipStream_tbDpT10_ENKUlT_T0_E_clISt17integral_constantIbLb1EES16_IbLb0EEEEDaS12_S13_EUlS12_E_NS1_11comp_targetILNS1_3genE2ELNS1_11target_archE906ELNS1_3gpuE6ELNS1_3repE0EEENS1_30default_config_static_selectorELNS0_4arch9wavefront6targetE1EEEvT1_: ; @_ZN7rocprim17ROCPRIM_400000_NS6detail17trampoline_kernelINS0_14default_configENS1_25partition_config_selectorILNS1_17partition_subalgoE8EhNS0_10empty_typeEbEEZZNS1_14partition_implILS5_8ELb0ES3_jPKhPS6_PKS6_NS0_5tupleIJPhS6_EEENSE_IJSB_SB_EEENS0_18inequality_wrapperIN6hipcub16HIPCUB_304000_NS8EqualityEEEPlJS6_EEE10hipError_tPvRmT3_T4_T5_T6_T7_T9_mT8_P12ihipStream_tbDpT10_ENKUlT_T0_E_clISt17integral_constantIbLb1EES16_IbLb0EEEEDaS12_S13_EUlS12_E_NS1_11comp_targetILNS1_3genE2ELNS1_11target_archE906ELNS1_3gpuE6ELNS1_3repE0EEENS1_30default_config_static_selectorELNS0_4arch9wavefront6targetE1EEEvT1_
; %bb.0:
	.section	.rodata,"a",@progbits
	.p2align	6, 0x0
	.amdhsa_kernel _ZN7rocprim17ROCPRIM_400000_NS6detail17trampoline_kernelINS0_14default_configENS1_25partition_config_selectorILNS1_17partition_subalgoE8EhNS0_10empty_typeEbEEZZNS1_14partition_implILS5_8ELb0ES3_jPKhPS6_PKS6_NS0_5tupleIJPhS6_EEENSE_IJSB_SB_EEENS0_18inequality_wrapperIN6hipcub16HIPCUB_304000_NS8EqualityEEEPlJS6_EEE10hipError_tPvRmT3_T4_T5_T6_T7_T9_mT8_P12ihipStream_tbDpT10_ENKUlT_T0_E_clISt17integral_constantIbLb1EES16_IbLb0EEEEDaS12_S13_EUlS12_E_NS1_11comp_targetILNS1_3genE2ELNS1_11target_archE906ELNS1_3gpuE6ELNS1_3repE0EEENS1_30default_config_static_selectorELNS0_4arch9wavefront6targetE1EEEvT1_
		.amdhsa_group_segment_fixed_size 0
		.amdhsa_private_segment_fixed_size 0
		.amdhsa_kernarg_size 112
		.amdhsa_user_sgpr_count 6
		.amdhsa_user_sgpr_private_segment_buffer 1
		.amdhsa_user_sgpr_dispatch_ptr 0
		.amdhsa_user_sgpr_queue_ptr 0
		.amdhsa_user_sgpr_kernarg_segment_ptr 1
		.amdhsa_user_sgpr_dispatch_id 0
		.amdhsa_user_sgpr_flat_scratch_init 0
		.amdhsa_user_sgpr_kernarg_preload_length 0
		.amdhsa_user_sgpr_kernarg_preload_offset 0
		.amdhsa_user_sgpr_private_segment_size 0
		.amdhsa_uses_dynamic_stack 0
		.amdhsa_system_sgpr_private_segment_wavefront_offset 0
		.amdhsa_system_sgpr_workgroup_id_x 1
		.amdhsa_system_sgpr_workgroup_id_y 0
		.amdhsa_system_sgpr_workgroup_id_z 0
		.amdhsa_system_sgpr_workgroup_info 0
		.amdhsa_system_vgpr_workitem_id 0
		.amdhsa_next_free_vgpr 1
		.amdhsa_next_free_sgpr 0
		.amdhsa_accum_offset 4
		.amdhsa_reserve_vcc 0
		.amdhsa_reserve_flat_scratch 0
		.amdhsa_float_round_mode_32 0
		.amdhsa_float_round_mode_16_64 0
		.amdhsa_float_denorm_mode_32 3
		.amdhsa_float_denorm_mode_16_64 3
		.amdhsa_dx10_clamp 1
		.amdhsa_ieee_mode 1
		.amdhsa_fp16_overflow 0
		.amdhsa_tg_split 0
		.amdhsa_exception_fp_ieee_invalid_op 0
		.amdhsa_exception_fp_denorm_src 0
		.amdhsa_exception_fp_ieee_div_zero 0
		.amdhsa_exception_fp_ieee_overflow 0
		.amdhsa_exception_fp_ieee_underflow 0
		.amdhsa_exception_fp_ieee_inexact 0
		.amdhsa_exception_int_div_zero 0
	.end_amdhsa_kernel
	.section	.text._ZN7rocprim17ROCPRIM_400000_NS6detail17trampoline_kernelINS0_14default_configENS1_25partition_config_selectorILNS1_17partition_subalgoE8EhNS0_10empty_typeEbEEZZNS1_14partition_implILS5_8ELb0ES3_jPKhPS6_PKS6_NS0_5tupleIJPhS6_EEENSE_IJSB_SB_EEENS0_18inequality_wrapperIN6hipcub16HIPCUB_304000_NS8EqualityEEEPlJS6_EEE10hipError_tPvRmT3_T4_T5_T6_T7_T9_mT8_P12ihipStream_tbDpT10_ENKUlT_T0_E_clISt17integral_constantIbLb1EES16_IbLb0EEEEDaS12_S13_EUlS12_E_NS1_11comp_targetILNS1_3genE2ELNS1_11target_archE906ELNS1_3gpuE6ELNS1_3repE0EEENS1_30default_config_static_selectorELNS0_4arch9wavefront6targetE1EEEvT1_,"axG",@progbits,_ZN7rocprim17ROCPRIM_400000_NS6detail17trampoline_kernelINS0_14default_configENS1_25partition_config_selectorILNS1_17partition_subalgoE8EhNS0_10empty_typeEbEEZZNS1_14partition_implILS5_8ELb0ES3_jPKhPS6_PKS6_NS0_5tupleIJPhS6_EEENSE_IJSB_SB_EEENS0_18inequality_wrapperIN6hipcub16HIPCUB_304000_NS8EqualityEEEPlJS6_EEE10hipError_tPvRmT3_T4_T5_T6_T7_T9_mT8_P12ihipStream_tbDpT10_ENKUlT_T0_E_clISt17integral_constantIbLb1EES16_IbLb0EEEEDaS12_S13_EUlS12_E_NS1_11comp_targetILNS1_3genE2ELNS1_11target_archE906ELNS1_3gpuE6ELNS1_3repE0EEENS1_30default_config_static_selectorELNS0_4arch9wavefront6targetE1EEEvT1_,comdat
.Lfunc_end154:
	.size	_ZN7rocprim17ROCPRIM_400000_NS6detail17trampoline_kernelINS0_14default_configENS1_25partition_config_selectorILNS1_17partition_subalgoE8EhNS0_10empty_typeEbEEZZNS1_14partition_implILS5_8ELb0ES3_jPKhPS6_PKS6_NS0_5tupleIJPhS6_EEENSE_IJSB_SB_EEENS0_18inequality_wrapperIN6hipcub16HIPCUB_304000_NS8EqualityEEEPlJS6_EEE10hipError_tPvRmT3_T4_T5_T6_T7_T9_mT8_P12ihipStream_tbDpT10_ENKUlT_T0_E_clISt17integral_constantIbLb1EES16_IbLb0EEEEDaS12_S13_EUlS12_E_NS1_11comp_targetILNS1_3genE2ELNS1_11target_archE906ELNS1_3gpuE6ELNS1_3repE0EEENS1_30default_config_static_selectorELNS0_4arch9wavefront6targetE1EEEvT1_, .Lfunc_end154-_ZN7rocprim17ROCPRIM_400000_NS6detail17trampoline_kernelINS0_14default_configENS1_25partition_config_selectorILNS1_17partition_subalgoE8EhNS0_10empty_typeEbEEZZNS1_14partition_implILS5_8ELb0ES3_jPKhPS6_PKS6_NS0_5tupleIJPhS6_EEENSE_IJSB_SB_EEENS0_18inequality_wrapperIN6hipcub16HIPCUB_304000_NS8EqualityEEEPlJS6_EEE10hipError_tPvRmT3_T4_T5_T6_T7_T9_mT8_P12ihipStream_tbDpT10_ENKUlT_T0_E_clISt17integral_constantIbLb1EES16_IbLb0EEEEDaS12_S13_EUlS12_E_NS1_11comp_targetILNS1_3genE2ELNS1_11target_archE906ELNS1_3gpuE6ELNS1_3repE0EEENS1_30default_config_static_selectorELNS0_4arch9wavefront6targetE1EEEvT1_
                                        ; -- End function
	.section	.AMDGPU.csdata,"",@progbits
; Kernel info:
; codeLenInByte = 0
; NumSgprs: 4
; NumVgprs: 0
; NumAgprs: 0
; TotalNumVgprs: 0
; ScratchSize: 0
; MemoryBound: 0
; FloatMode: 240
; IeeeMode: 1
; LDSByteSize: 0 bytes/workgroup (compile time only)
; SGPRBlocks: 0
; VGPRBlocks: 0
; NumSGPRsForWavesPerEU: 4
; NumVGPRsForWavesPerEU: 1
; AccumOffset: 4
; Occupancy: 8
; WaveLimiterHint : 0
; COMPUTE_PGM_RSRC2:SCRATCH_EN: 0
; COMPUTE_PGM_RSRC2:USER_SGPR: 6
; COMPUTE_PGM_RSRC2:TRAP_HANDLER: 0
; COMPUTE_PGM_RSRC2:TGID_X_EN: 1
; COMPUTE_PGM_RSRC2:TGID_Y_EN: 0
; COMPUTE_PGM_RSRC2:TGID_Z_EN: 0
; COMPUTE_PGM_RSRC2:TIDIG_COMP_CNT: 0
; COMPUTE_PGM_RSRC3_GFX90A:ACCUM_OFFSET: 0
; COMPUTE_PGM_RSRC3_GFX90A:TG_SPLIT: 0
	.section	.text._ZN7rocprim17ROCPRIM_400000_NS6detail17trampoline_kernelINS0_14default_configENS1_25partition_config_selectorILNS1_17partition_subalgoE8EhNS0_10empty_typeEbEEZZNS1_14partition_implILS5_8ELb0ES3_jPKhPS6_PKS6_NS0_5tupleIJPhS6_EEENSE_IJSB_SB_EEENS0_18inequality_wrapperIN6hipcub16HIPCUB_304000_NS8EqualityEEEPlJS6_EEE10hipError_tPvRmT3_T4_T5_T6_T7_T9_mT8_P12ihipStream_tbDpT10_ENKUlT_T0_E_clISt17integral_constantIbLb1EES16_IbLb0EEEEDaS12_S13_EUlS12_E_NS1_11comp_targetILNS1_3genE10ELNS1_11target_archE1200ELNS1_3gpuE4ELNS1_3repE0EEENS1_30default_config_static_selectorELNS0_4arch9wavefront6targetE1EEEvT1_,"axG",@progbits,_ZN7rocprim17ROCPRIM_400000_NS6detail17trampoline_kernelINS0_14default_configENS1_25partition_config_selectorILNS1_17partition_subalgoE8EhNS0_10empty_typeEbEEZZNS1_14partition_implILS5_8ELb0ES3_jPKhPS6_PKS6_NS0_5tupleIJPhS6_EEENSE_IJSB_SB_EEENS0_18inequality_wrapperIN6hipcub16HIPCUB_304000_NS8EqualityEEEPlJS6_EEE10hipError_tPvRmT3_T4_T5_T6_T7_T9_mT8_P12ihipStream_tbDpT10_ENKUlT_T0_E_clISt17integral_constantIbLb1EES16_IbLb0EEEEDaS12_S13_EUlS12_E_NS1_11comp_targetILNS1_3genE10ELNS1_11target_archE1200ELNS1_3gpuE4ELNS1_3repE0EEENS1_30default_config_static_selectorELNS0_4arch9wavefront6targetE1EEEvT1_,comdat
	.protected	_ZN7rocprim17ROCPRIM_400000_NS6detail17trampoline_kernelINS0_14default_configENS1_25partition_config_selectorILNS1_17partition_subalgoE8EhNS0_10empty_typeEbEEZZNS1_14partition_implILS5_8ELb0ES3_jPKhPS6_PKS6_NS0_5tupleIJPhS6_EEENSE_IJSB_SB_EEENS0_18inequality_wrapperIN6hipcub16HIPCUB_304000_NS8EqualityEEEPlJS6_EEE10hipError_tPvRmT3_T4_T5_T6_T7_T9_mT8_P12ihipStream_tbDpT10_ENKUlT_T0_E_clISt17integral_constantIbLb1EES16_IbLb0EEEEDaS12_S13_EUlS12_E_NS1_11comp_targetILNS1_3genE10ELNS1_11target_archE1200ELNS1_3gpuE4ELNS1_3repE0EEENS1_30default_config_static_selectorELNS0_4arch9wavefront6targetE1EEEvT1_ ; -- Begin function _ZN7rocprim17ROCPRIM_400000_NS6detail17trampoline_kernelINS0_14default_configENS1_25partition_config_selectorILNS1_17partition_subalgoE8EhNS0_10empty_typeEbEEZZNS1_14partition_implILS5_8ELb0ES3_jPKhPS6_PKS6_NS0_5tupleIJPhS6_EEENSE_IJSB_SB_EEENS0_18inequality_wrapperIN6hipcub16HIPCUB_304000_NS8EqualityEEEPlJS6_EEE10hipError_tPvRmT3_T4_T5_T6_T7_T9_mT8_P12ihipStream_tbDpT10_ENKUlT_T0_E_clISt17integral_constantIbLb1EES16_IbLb0EEEEDaS12_S13_EUlS12_E_NS1_11comp_targetILNS1_3genE10ELNS1_11target_archE1200ELNS1_3gpuE4ELNS1_3repE0EEENS1_30default_config_static_selectorELNS0_4arch9wavefront6targetE1EEEvT1_
	.globl	_ZN7rocprim17ROCPRIM_400000_NS6detail17trampoline_kernelINS0_14default_configENS1_25partition_config_selectorILNS1_17partition_subalgoE8EhNS0_10empty_typeEbEEZZNS1_14partition_implILS5_8ELb0ES3_jPKhPS6_PKS6_NS0_5tupleIJPhS6_EEENSE_IJSB_SB_EEENS0_18inequality_wrapperIN6hipcub16HIPCUB_304000_NS8EqualityEEEPlJS6_EEE10hipError_tPvRmT3_T4_T5_T6_T7_T9_mT8_P12ihipStream_tbDpT10_ENKUlT_T0_E_clISt17integral_constantIbLb1EES16_IbLb0EEEEDaS12_S13_EUlS12_E_NS1_11comp_targetILNS1_3genE10ELNS1_11target_archE1200ELNS1_3gpuE4ELNS1_3repE0EEENS1_30default_config_static_selectorELNS0_4arch9wavefront6targetE1EEEvT1_
	.p2align	8
	.type	_ZN7rocprim17ROCPRIM_400000_NS6detail17trampoline_kernelINS0_14default_configENS1_25partition_config_selectorILNS1_17partition_subalgoE8EhNS0_10empty_typeEbEEZZNS1_14partition_implILS5_8ELb0ES3_jPKhPS6_PKS6_NS0_5tupleIJPhS6_EEENSE_IJSB_SB_EEENS0_18inequality_wrapperIN6hipcub16HIPCUB_304000_NS8EqualityEEEPlJS6_EEE10hipError_tPvRmT3_T4_T5_T6_T7_T9_mT8_P12ihipStream_tbDpT10_ENKUlT_T0_E_clISt17integral_constantIbLb1EES16_IbLb0EEEEDaS12_S13_EUlS12_E_NS1_11comp_targetILNS1_3genE10ELNS1_11target_archE1200ELNS1_3gpuE4ELNS1_3repE0EEENS1_30default_config_static_selectorELNS0_4arch9wavefront6targetE1EEEvT1_,@function
_ZN7rocprim17ROCPRIM_400000_NS6detail17trampoline_kernelINS0_14default_configENS1_25partition_config_selectorILNS1_17partition_subalgoE8EhNS0_10empty_typeEbEEZZNS1_14partition_implILS5_8ELb0ES3_jPKhPS6_PKS6_NS0_5tupleIJPhS6_EEENSE_IJSB_SB_EEENS0_18inequality_wrapperIN6hipcub16HIPCUB_304000_NS8EqualityEEEPlJS6_EEE10hipError_tPvRmT3_T4_T5_T6_T7_T9_mT8_P12ihipStream_tbDpT10_ENKUlT_T0_E_clISt17integral_constantIbLb1EES16_IbLb0EEEEDaS12_S13_EUlS12_E_NS1_11comp_targetILNS1_3genE10ELNS1_11target_archE1200ELNS1_3gpuE4ELNS1_3repE0EEENS1_30default_config_static_selectorELNS0_4arch9wavefront6targetE1EEEvT1_: ; @_ZN7rocprim17ROCPRIM_400000_NS6detail17trampoline_kernelINS0_14default_configENS1_25partition_config_selectorILNS1_17partition_subalgoE8EhNS0_10empty_typeEbEEZZNS1_14partition_implILS5_8ELb0ES3_jPKhPS6_PKS6_NS0_5tupleIJPhS6_EEENSE_IJSB_SB_EEENS0_18inequality_wrapperIN6hipcub16HIPCUB_304000_NS8EqualityEEEPlJS6_EEE10hipError_tPvRmT3_T4_T5_T6_T7_T9_mT8_P12ihipStream_tbDpT10_ENKUlT_T0_E_clISt17integral_constantIbLb1EES16_IbLb0EEEEDaS12_S13_EUlS12_E_NS1_11comp_targetILNS1_3genE10ELNS1_11target_archE1200ELNS1_3gpuE4ELNS1_3repE0EEENS1_30default_config_static_selectorELNS0_4arch9wavefront6targetE1EEEvT1_
; %bb.0:
	.section	.rodata,"a",@progbits
	.p2align	6, 0x0
	.amdhsa_kernel _ZN7rocprim17ROCPRIM_400000_NS6detail17trampoline_kernelINS0_14default_configENS1_25partition_config_selectorILNS1_17partition_subalgoE8EhNS0_10empty_typeEbEEZZNS1_14partition_implILS5_8ELb0ES3_jPKhPS6_PKS6_NS0_5tupleIJPhS6_EEENSE_IJSB_SB_EEENS0_18inequality_wrapperIN6hipcub16HIPCUB_304000_NS8EqualityEEEPlJS6_EEE10hipError_tPvRmT3_T4_T5_T6_T7_T9_mT8_P12ihipStream_tbDpT10_ENKUlT_T0_E_clISt17integral_constantIbLb1EES16_IbLb0EEEEDaS12_S13_EUlS12_E_NS1_11comp_targetILNS1_3genE10ELNS1_11target_archE1200ELNS1_3gpuE4ELNS1_3repE0EEENS1_30default_config_static_selectorELNS0_4arch9wavefront6targetE1EEEvT1_
		.amdhsa_group_segment_fixed_size 0
		.amdhsa_private_segment_fixed_size 0
		.amdhsa_kernarg_size 112
		.amdhsa_user_sgpr_count 6
		.amdhsa_user_sgpr_private_segment_buffer 1
		.amdhsa_user_sgpr_dispatch_ptr 0
		.amdhsa_user_sgpr_queue_ptr 0
		.amdhsa_user_sgpr_kernarg_segment_ptr 1
		.amdhsa_user_sgpr_dispatch_id 0
		.amdhsa_user_sgpr_flat_scratch_init 0
		.amdhsa_user_sgpr_kernarg_preload_length 0
		.amdhsa_user_sgpr_kernarg_preload_offset 0
		.amdhsa_user_sgpr_private_segment_size 0
		.amdhsa_uses_dynamic_stack 0
		.amdhsa_system_sgpr_private_segment_wavefront_offset 0
		.amdhsa_system_sgpr_workgroup_id_x 1
		.amdhsa_system_sgpr_workgroup_id_y 0
		.amdhsa_system_sgpr_workgroup_id_z 0
		.amdhsa_system_sgpr_workgroup_info 0
		.amdhsa_system_vgpr_workitem_id 0
		.amdhsa_next_free_vgpr 1
		.amdhsa_next_free_sgpr 0
		.amdhsa_accum_offset 4
		.amdhsa_reserve_vcc 0
		.amdhsa_reserve_flat_scratch 0
		.amdhsa_float_round_mode_32 0
		.amdhsa_float_round_mode_16_64 0
		.amdhsa_float_denorm_mode_32 3
		.amdhsa_float_denorm_mode_16_64 3
		.amdhsa_dx10_clamp 1
		.amdhsa_ieee_mode 1
		.amdhsa_fp16_overflow 0
		.amdhsa_tg_split 0
		.amdhsa_exception_fp_ieee_invalid_op 0
		.amdhsa_exception_fp_denorm_src 0
		.amdhsa_exception_fp_ieee_div_zero 0
		.amdhsa_exception_fp_ieee_overflow 0
		.amdhsa_exception_fp_ieee_underflow 0
		.amdhsa_exception_fp_ieee_inexact 0
		.amdhsa_exception_int_div_zero 0
	.end_amdhsa_kernel
	.section	.text._ZN7rocprim17ROCPRIM_400000_NS6detail17trampoline_kernelINS0_14default_configENS1_25partition_config_selectorILNS1_17partition_subalgoE8EhNS0_10empty_typeEbEEZZNS1_14partition_implILS5_8ELb0ES3_jPKhPS6_PKS6_NS0_5tupleIJPhS6_EEENSE_IJSB_SB_EEENS0_18inequality_wrapperIN6hipcub16HIPCUB_304000_NS8EqualityEEEPlJS6_EEE10hipError_tPvRmT3_T4_T5_T6_T7_T9_mT8_P12ihipStream_tbDpT10_ENKUlT_T0_E_clISt17integral_constantIbLb1EES16_IbLb0EEEEDaS12_S13_EUlS12_E_NS1_11comp_targetILNS1_3genE10ELNS1_11target_archE1200ELNS1_3gpuE4ELNS1_3repE0EEENS1_30default_config_static_selectorELNS0_4arch9wavefront6targetE1EEEvT1_,"axG",@progbits,_ZN7rocprim17ROCPRIM_400000_NS6detail17trampoline_kernelINS0_14default_configENS1_25partition_config_selectorILNS1_17partition_subalgoE8EhNS0_10empty_typeEbEEZZNS1_14partition_implILS5_8ELb0ES3_jPKhPS6_PKS6_NS0_5tupleIJPhS6_EEENSE_IJSB_SB_EEENS0_18inequality_wrapperIN6hipcub16HIPCUB_304000_NS8EqualityEEEPlJS6_EEE10hipError_tPvRmT3_T4_T5_T6_T7_T9_mT8_P12ihipStream_tbDpT10_ENKUlT_T0_E_clISt17integral_constantIbLb1EES16_IbLb0EEEEDaS12_S13_EUlS12_E_NS1_11comp_targetILNS1_3genE10ELNS1_11target_archE1200ELNS1_3gpuE4ELNS1_3repE0EEENS1_30default_config_static_selectorELNS0_4arch9wavefront6targetE1EEEvT1_,comdat
.Lfunc_end155:
	.size	_ZN7rocprim17ROCPRIM_400000_NS6detail17trampoline_kernelINS0_14default_configENS1_25partition_config_selectorILNS1_17partition_subalgoE8EhNS0_10empty_typeEbEEZZNS1_14partition_implILS5_8ELb0ES3_jPKhPS6_PKS6_NS0_5tupleIJPhS6_EEENSE_IJSB_SB_EEENS0_18inequality_wrapperIN6hipcub16HIPCUB_304000_NS8EqualityEEEPlJS6_EEE10hipError_tPvRmT3_T4_T5_T6_T7_T9_mT8_P12ihipStream_tbDpT10_ENKUlT_T0_E_clISt17integral_constantIbLb1EES16_IbLb0EEEEDaS12_S13_EUlS12_E_NS1_11comp_targetILNS1_3genE10ELNS1_11target_archE1200ELNS1_3gpuE4ELNS1_3repE0EEENS1_30default_config_static_selectorELNS0_4arch9wavefront6targetE1EEEvT1_, .Lfunc_end155-_ZN7rocprim17ROCPRIM_400000_NS6detail17trampoline_kernelINS0_14default_configENS1_25partition_config_selectorILNS1_17partition_subalgoE8EhNS0_10empty_typeEbEEZZNS1_14partition_implILS5_8ELb0ES3_jPKhPS6_PKS6_NS0_5tupleIJPhS6_EEENSE_IJSB_SB_EEENS0_18inequality_wrapperIN6hipcub16HIPCUB_304000_NS8EqualityEEEPlJS6_EEE10hipError_tPvRmT3_T4_T5_T6_T7_T9_mT8_P12ihipStream_tbDpT10_ENKUlT_T0_E_clISt17integral_constantIbLb1EES16_IbLb0EEEEDaS12_S13_EUlS12_E_NS1_11comp_targetILNS1_3genE10ELNS1_11target_archE1200ELNS1_3gpuE4ELNS1_3repE0EEENS1_30default_config_static_selectorELNS0_4arch9wavefront6targetE1EEEvT1_
                                        ; -- End function
	.section	.AMDGPU.csdata,"",@progbits
; Kernel info:
; codeLenInByte = 0
; NumSgprs: 4
; NumVgprs: 0
; NumAgprs: 0
; TotalNumVgprs: 0
; ScratchSize: 0
; MemoryBound: 0
; FloatMode: 240
; IeeeMode: 1
; LDSByteSize: 0 bytes/workgroup (compile time only)
; SGPRBlocks: 0
; VGPRBlocks: 0
; NumSGPRsForWavesPerEU: 4
; NumVGPRsForWavesPerEU: 1
; AccumOffset: 4
; Occupancy: 8
; WaveLimiterHint : 0
; COMPUTE_PGM_RSRC2:SCRATCH_EN: 0
; COMPUTE_PGM_RSRC2:USER_SGPR: 6
; COMPUTE_PGM_RSRC2:TRAP_HANDLER: 0
; COMPUTE_PGM_RSRC2:TGID_X_EN: 1
; COMPUTE_PGM_RSRC2:TGID_Y_EN: 0
; COMPUTE_PGM_RSRC2:TGID_Z_EN: 0
; COMPUTE_PGM_RSRC2:TIDIG_COMP_CNT: 0
; COMPUTE_PGM_RSRC3_GFX90A:ACCUM_OFFSET: 0
; COMPUTE_PGM_RSRC3_GFX90A:TG_SPLIT: 0
	.section	.text._ZN7rocprim17ROCPRIM_400000_NS6detail17trampoline_kernelINS0_14default_configENS1_25partition_config_selectorILNS1_17partition_subalgoE8EhNS0_10empty_typeEbEEZZNS1_14partition_implILS5_8ELb0ES3_jPKhPS6_PKS6_NS0_5tupleIJPhS6_EEENSE_IJSB_SB_EEENS0_18inequality_wrapperIN6hipcub16HIPCUB_304000_NS8EqualityEEEPlJS6_EEE10hipError_tPvRmT3_T4_T5_T6_T7_T9_mT8_P12ihipStream_tbDpT10_ENKUlT_T0_E_clISt17integral_constantIbLb1EES16_IbLb0EEEEDaS12_S13_EUlS12_E_NS1_11comp_targetILNS1_3genE9ELNS1_11target_archE1100ELNS1_3gpuE3ELNS1_3repE0EEENS1_30default_config_static_selectorELNS0_4arch9wavefront6targetE1EEEvT1_,"axG",@progbits,_ZN7rocprim17ROCPRIM_400000_NS6detail17trampoline_kernelINS0_14default_configENS1_25partition_config_selectorILNS1_17partition_subalgoE8EhNS0_10empty_typeEbEEZZNS1_14partition_implILS5_8ELb0ES3_jPKhPS6_PKS6_NS0_5tupleIJPhS6_EEENSE_IJSB_SB_EEENS0_18inequality_wrapperIN6hipcub16HIPCUB_304000_NS8EqualityEEEPlJS6_EEE10hipError_tPvRmT3_T4_T5_T6_T7_T9_mT8_P12ihipStream_tbDpT10_ENKUlT_T0_E_clISt17integral_constantIbLb1EES16_IbLb0EEEEDaS12_S13_EUlS12_E_NS1_11comp_targetILNS1_3genE9ELNS1_11target_archE1100ELNS1_3gpuE3ELNS1_3repE0EEENS1_30default_config_static_selectorELNS0_4arch9wavefront6targetE1EEEvT1_,comdat
	.protected	_ZN7rocprim17ROCPRIM_400000_NS6detail17trampoline_kernelINS0_14default_configENS1_25partition_config_selectorILNS1_17partition_subalgoE8EhNS0_10empty_typeEbEEZZNS1_14partition_implILS5_8ELb0ES3_jPKhPS6_PKS6_NS0_5tupleIJPhS6_EEENSE_IJSB_SB_EEENS0_18inequality_wrapperIN6hipcub16HIPCUB_304000_NS8EqualityEEEPlJS6_EEE10hipError_tPvRmT3_T4_T5_T6_T7_T9_mT8_P12ihipStream_tbDpT10_ENKUlT_T0_E_clISt17integral_constantIbLb1EES16_IbLb0EEEEDaS12_S13_EUlS12_E_NS1_11comp_targetILNS1_3genE9ELNS1_11target_archE1100ELNS1_3gpuE3ELNS1_3repE0EEENS1_30default_config_static_selectorELNS0_4arch9wavefront6targetE1EEEvT1_ ; -- Begin function _ZN7rocprim17ROCPRIM_400000_NS6detail17trampoline_kernelINS0_14default_configENS1_25partition_config_selectorILNS1_17partition_subalgoE8EhNS0_10empty_typeEbEEZZNS1_14partition_implILS5_8ELb0ES3_jPKhPS6_PKS6_NS0_5tupleIJPhS6_EEENSE_IJSB_SB_EEENS0_18inequality_wrapperIN6hipcub16HIPCUB_304000_NS8EqualityEEEPlJS6_EEE10hipError_tPvRmT3_T4_T5_T6_T7_T9_mT8_P12ihipStream_tbDpT10_ENKUlT_T0_E_clISt17integral_constantIbLb1EES16_IbLb0EEEEDaS12_S13_EUlS12_E_NS1_11comp_targetILNS1_3genE9ELNS1_11target_archE1100ELNS1_3gpuE3ELNS1_3repE0EEENS1_30default_config_static_selectorELNS0_4arch9wavefront6targetE1EEEvT1_
	.globl	_ZN7rocprim17ROCPRIM_400000_NS6detail17trampoline_kernelINS0_14default_configENS1_25partition_config_selectorILNS1_17partition_subalgoE8EhNS0_10empty_typeEbEEZZNS1_14partition_implILS5_8ELb0ES3_jPKhPS6_PKS6_NS0_5tupleIJPhS6_EEENSE_IJSB_SB_EEENS0_18inequality_wrapperIN6hipcub16HIPCUB_304000_NS8EqualityEEEPlJS6_EEE10hipError_tPvRmT3_T4_T5_T6_T7_T9_mT8_P12ihipStream_tbDpT10_ENKUlT_T0_E_clISt17integral_constantIbLb1EES16_IbLb0EEEEDaS12_S13_EUlS12_E_NS1_11comp_targetILNS1_3genE9ELNS1_11target_archE1100ELNS1_3gpuE3ELNS1_3repE0EEENS1_30default_config_static_selectorELNS0_4arch9wavefront6targetE1EEEvT1_
	.p2align	8
	.type	_ZN7rocprim17ROCPRIM_400000_NS6detail17trampoline_kernelINS0_14default_configENS1_25partition_config_selectorILNS1_17partition_subalgoE8EhNS0_10empty_typeEbEEZZNS1_14partition_implILS5_8ELb0ES3_jPKhPS6_PKS6_NS0_5tupleIJPhS6_EEENSE_IJSB_SB_EEENS0_18inequality_wrapperIN6hipcub16HIPCUB_304000_NS8EqualityEEEPlJS6_EEE10hipError_tPvRmT3_T4_T5_T6_T7_T9_mT8_P12ihipStream_tbDpT10_ENKUlT_T0_E_clISt17integral_constantIbLb1EES16_IbLb0EEEEDaS12_S13_EUlS12_E_NS1_11comp_targetILNS1_3genE9ELNS1_11target_archE1100ELNS1_3gpuE3ELNS1_3repE0EEENS1_30default_config_static_selectorELNS0_4arch9wavefront6targetE1EEEvT1_,@function
_ZN7rocprim17ROCPRIM_400000_NS6detail17trampoline_kernelINS0_14default_configENS1_25partition_config_selectorILNS1_17partition_subalgoE8EhNS0_10empty_typeEbEEZZNS1_14partition_implILS5_8ELb0ES3_jPKhPS6_PKS6_NS0_5tupleIJPhS6_EEENSE_IJSB_SB_EEENS0_18inequality_wrapperIN6hipcub16HIPCUB_304000_NS8EqualityEEEPlJS6_EEE10hipError_tPvRmT3_T4_T5_T6_T7_T9_mT8_P12ihipStream_tbDpT10_ENKUlT_T0_E_clISt17integral_constantIbLb1EES16_IbLb0EEEEDaS12_S13_EUlS12_E_NS1_11comp_targetILNS1_3genE9ELNS1_11target_archE1100ELNS1_3gpuE3ELNS1_3repE0EEENS1_30default_config_static_selectorELNS0_4arch9wavefront6targetE1EEEvT1_: ; @_ZN7rocprim17ROCPRIM_400000_NS6detail17trampoline_kernelINS0_14default_configENS1_25partition_config_selectorILNS1_17partition_subalgoE8EhNS0_10empty_typeEbEEZZNS1_14partition_implILS5_8ELb0ES3_jPKhPS6_PKS6_NS0_5tupleIJPhS6_EEENSE_IJSB_SB_EEENS0_18inequality_wrapperIN6hipcub16HIPCUB_304000_NS8EqualityEEEPlJS6_EEE10hipError_tPvRmT3_T4_T5_T6_T7_T9_mT8_P12ihipStream_tbDpT10_ENKUlT_T0_E_clISt17integral_constantIbLb1EES16_IbLb0EEEEDaS12_S13_EUlS12_E_NS1_11comp_targetILNS1_3genE9ELNS1_11target_archE1100ELNS1_3gpuE3ELNS1_3repE0EEENS1_30default_config_static_selectorELNS0_4arch9wavefront6targetE1EEEvT1_
; %bb.0:
	.section	.rodata,"a",@progbits
	.p2align	6, 0x0
	.amdhsa_kernel _ZN7rocprim17ROCPRIM_400000_NS6detail17trampoline_kernelINS0_14default_configENS1_25partition_config_selectorILNS1_17partition_subalgoE8EhNS0_10empty_typeEbEEZZNS1_14partition_implILS5_8ELb0ES3_jPKhPS6_PKS6_NS0_5tupleIJPhS6_EEENSE_IJSB_SB_EEENS0_18inequality_wrapperIN6hipcub16HIPCUB_304000_NS8EqualityEEEPlJS6_EEE10hipError_tPvRmT3_T4_T5_T6_T7_T9_mT8_P12ihipStream_tbDpT10_ENKUlT_T0_E_clISt17integral_constantIbLb1EES16_IbLb0EEEEDaS12_S13_EUlS12_E_NS1_11comp_targetILNS1_3genE9ELNS1_11target_archE1100ELNS1_3gpuE3ELNS1_3repE0EEENS1_30default_config_static_selectorELNS0_4arch9wavefront6targetE1EEEvT1_
		.amdhsa_group_segment_fixed_size 0
		.amdhsa_private_segment_fixed_size 0
		.amdhsa_kernarg_size 112
		.amdhsa_user_sgpr_count 6
		.amdhsa_user_sgpr_private_segment_buffer 1
		.amdhsa_user_sgpr_dispatch_ptr 0
		.amdhsa_user_sgpr_queue_ptr 0
		.amdhsa_user_sgpr_kernarg_segment_ptr 1
		.amdhsa_user_sgpr_dispatch_id 0
		.amdhsa_user_sgpr_flat_scratch_init 0
		.amdhsa_user_sgpr_kernarg_preload_length 0
		.amdhsa_user_sgpr_kernarg_preload_offset 0
		.amdhsa_user_sgpr_private_segment_size 0
		.amdhsa_uses_dynamic_stack 0
		.amdhsa_system_sgpr_private_segment_wavefront_offset 0
		.amdhsa_system_sgpr_workgroup_id_x 1
		.amdhsa_system_sgpr_workgroup_id_y 0
		.amdhsa_system_sgpr_workgroup_id_z 0
		.amdhsa_system_sgpr_workgroup_info 0
		.amdhsa_system_vgpr_workitem_id 0
		.amdhsa_next_free_vgpr 1
		.amdhsa_next_free_sgpr 0
		.amdhsa_accum_offset 4
		.amdhsa_reserve_vcc 0
		.amdhsa_reserve_flat_scratch 0
		.amdhsa_float_round_mode_32 0
		.amdhsa_float_round_mode_16_64 0
		.amdhsa_float_denorm_mode_32 3
		.amdhsa_float_denorm_mode_16_64 3
		.amdhsa_dx10_clamp 1
		.amdhsa_ieee_mode 1
		.amdhsa_fp16_overflow 0
		.amdhsa_tg_split 0
		.amdhsa_exception_fp_ieee_invalid_op 0
		.amdhsa_exception_fp_denorm_src 0
		.amdhsa_exception_fp_ieee_div_zero 0
		.amdhsa_exception_fp_ieee_overflow 0
		.amdhsa_exception_fp_ieee_underflow 0
		.amdhsa_exception_fp_ieee_inexact 0
		.amdhsa_exception_int_div_zero 0
	.end_amdhsa_kernel
	.section	.text._ZN7rocprim17ROCPRIM_400000_NS6detail17trampoline_kernelINS0_14default_configENS1_25partition_config_selectorILNS1_17partition_subalgoE8EhNS0_10empty_typeEbEEZZNS1_14partition_implILS5_8ELb0ES3_jPKhPS6_PKS6_NS0_5tupleIJPhS6_EEENSE_IJSB_SB_EEENS0_18inequality_wrapperIN6hipcub16HIPCUB_304000_NS8EqualityEEEPlJS6_EEE10hipError_tPvRmT3_T4_T5_T6_T7_T9_mT8_P12ihipStream_tbDpT10_ENKUlT_T0_E_clISt17integral_constantIbLb1EES16_IbLb0EEEEDaS12_S13_EUlS12_E_NS1_11comp_targetILNS1_3genE9ELNS1_11target_archE1100ELNS1_3gpuE3ELNS1_3repE0EEENS1_30default_config_static_selectorELNS0_4arch9wavefront6targetE1EEEvT1_,"axG",@progbits,_ZN7rocprim17ROCPRIM_400000_NS6detail17trampoline_kernelINS0_14default_configENS1_25partition_config_selectorILNS1_17partition_subalgoE8EhNS0_10empty_typeEbEEZZNS1_14partition_implILS5_8ELb0ES3_jPKhPS6_PKS6_NS0_5tupleIJPhS6_EEENSE_IJSB_SB_EEENS0_18inequality_wrapperIN6hipcub16HIPCUB_304000_NS8EqualityEEEPlJS6_EEE10hipError_tPvRmT3_T4_T5_T6_T7_T9_mT8_P12ihipStream_tbDpT10_ENKUlT_T0_E_clISt17integral_constantIbLb1EES16_IbLb0EEEEDaS12_S13_EUlS12_E_NS1_11comp_targetILNS1_3genE9ELNS1_11target_archE1100ELNS1_3gpuE3ELNS1_3repE0EEENS1_30default_config_static_selectorELNS0_4arch9wavefront6targetE1EEEvT1_,comdat
.Lfunc_end156:
	.size	_ZN7rocprim17ROCPRIM_400000_NS6detail17trampoline_kernelINS0_14default_configENS1_25partition_config_selectorILNS1_17partition_subalgoE8EhNS0_10empty_typeEbEEZZNS1_14partition_implILS5_8ELb0ES3_jPKhPS6_PKS6_NS0_5tupleIJPhS6_EEENSE_IJSB_SB_EEENS0_18inequality_wrapperIN6hipcub16HIPCUB_304000_NS8EqualityEEEPlJS6_EEE10hipError_tPvRmT3_T4_T5_T6_T7_T9_mT8_P12ihipStream_tbDpT10_ENKUlT_T0_E_clISt17integral_constantIbLb1EES16_IbLb0EEEEDaS12_S13_EUlS12_E_NS1_11comp_targetILNS1_3genE9ELNS1_11target_archE1100ELNS1_3gpuE3ELNS1_3repE0EEENS1_30default_config_static_selectorELNS0_4arch9wavefront6targetE1EEEvT1_, .Lfunc_end156-_ZN7rocprim17ROCPRIM_400000_NS6detail17trampoline_kernelINS0_14default_configENS1_25partition_config_selectorILNS1_17partition_subalgoE8EhNS0_10empty_typeEbEEZZNS1_14partition_implILS5_8ELb0ES3_jPKhPS6_PKS6_NS0_5tupleIJPhS6_EEENSE_IJSB_SB_EEENS0_18inequality_wrapperIN6hipcub16HIPCUB_304000_NS8EqualityEEEPlJS6_EEE10hipError_tPvRmT3_T4_T5_T6_T7_T9_mT8_P12ihipStream_tbDpT10_ENKUlT_T0_E_clISt17integral_constantIbLb1EES16_IbLb0EEEEDaS12_S13_EUlS12_E_NS1_11comp_targetILNS1_3genE9ELNS1_11target_archE1100ELNS1_3gpuE3ELNS1_3repE0EEENS1_30default_config_static_selectorELNS0_4arch9wavefront6targetE1EEEvT1_
                                        ; -- End function
	.section	.AMDGPU.csdata,"",@progbits
; Kernel info:
; codeLenInByte = 0
; NumSgprs: 4
; NumVgprs: 0
; NumAgprs: 0
; TotalNumVgprs: 0
; ScratchSize: 0
; MemoryBound: 0
; FloatMode: 240
; IeeeMode: 1
; LDSByteSize: 0 bytes/workgroup (compile time only)
; SGPRBlocks: 0
; VGPRBlocks: 0
; NumSGPRsForWavesPerEU: 4
; NumVGPRsForWavesPerEU: 1
; AccumOffset: 4
; Occupancy: 8
; WaveLimiterHint : 0
; COMPUTE_PGM_RSRC2:SCRATCH_EN: 0
; COMPUTE_PGM_RSRC2:USER_SGPR: 6
; COMPUTE_PGM_RSRC2:TRAP_HANDLER: 0
; COMPUTE_PGM_RSRC2:TGID_X_EN: 1
; COMPUTE_PGM_RSRC2:TGID_Y_EN: 0
; COMPUTE_PGM_RSRC2:TGID_Z_EN: 0
; COMPUTE_PGM_RSRC2:TIDIG_COMP_CNT: 0
; COMPUTE_PGM_RSRC3_GFX90A:ACCUM_OFFSET: 0
; COMPUTE_PGM_RSRC3_GFX90A:TG_SPLIT: 0
	.section	.text._ZN7rocprim17ROCPRIM_400000_NS6detail17trampoline_kernelINS0_14default_configENS1_25partition_config_selectorILNS1_17partition_subalgoE8EhNS0_10empty_typeEbEEZZNS1_14partition_implILS5_8ELb0ES3_jPKhPS6_PKS6_NS0_5tupleIJPhS6_EEENSE_IJSB_SB_EEENS0_18inequality_wrapperIN6hipcub16HIPCUB_304000_NS8EqualityEEEPlJS6_EEE10hipError_tPvRmT3_T4_T5_T6_T7_T9_mT8_P12ihipStream_tbDpT10_ENKUlT_T0_E_clISt17integral_constantIbLb1EES16_IbLb0EEEEDaS12_S13_EUlS12_E_NS1_11comp_targetILNS1_3genE8ELNS1_11target_archE1030ELNS1_3gpuE2ELNS1_3repE0EEENS1_30default_config_static_selectorELNS0_4arch9wavefront6targetE1EEEvT1_,"axG",@progbits,_ZN7rocprim17ROCPRIM_400000_NS6detail17trampoline_kernelINS0_14default_configENS1_25partition_config_selectorILNS1_17partition_subalgoE8EhNS0_10empty_typeEbEEZZNS1_14partition_implILS5_8ELb0ES3_jPKhPS6_PKS6_NS0_5tupleIJPhS6_EEENSE_IJSB_SB_EEENS0_18inequality_wrapperIN6hipcub16HIPCUB_304000_NS8EqualityEEEPlJS6_EEE10hipError_tPvRmT3_T4_T5_T6_T7_T9_mT8_P12ihipStream_tbDpT10_ENKUlT_T0_E_clISt17integral_constantIbLb1EES16_IbLb0EEEEDaS12_S13_EUlS12_E_NS1_11comp_targetILNS1_3genE8ELNS1_11target_archE1030ELNS1_3gpuE2ELNS1_3repE0EEENS1_30default_config_static_selectorELNS0_4arch9wavefront6targetE1EEEvT1_,comdat
	.protected	_ZN7rocprim17ROCPRIM_400000_NS6detail17trampoline_kernelINS0_14default_configENS1_25partition_config_selectorILNS1_17partition_subalgoE8EhNS0_10empty_typeEbEEZZNS1_14partition_implILS5_8ELb0ES3_jPKhPS6_PKS6_NS0_5tupleIJPhS6_EEENSE_IJSB_SB_EEENS0_18inequality_wrapperIN6hipcub16HIPCUB_304000_NS8EqualityEEEPlJS6_EEE10hipError_tPvRmT3_T4_T5_T6_T7_T9_mT8_P12ihipStream_tbDpT10_ENKUlT_T0_E_clISt17integral_constantIbLb1EES16_IbLb0EEEEDaS12_S13_EUlS12_E_NS1_11comp_targetILNS1_3genE8ELNS1_11target_archE1030ELNS1_3gpuE2ELNS1_3repE0EEENS1_30default_config_static_selectorELNS0_4arch9wavefront6targetE1EEEvT1_ ; -- Begin function _ZN7rocprim17ROCPRIM_400000_NS6detail17trampoline_kernelINS0_14default_configENS1_25partition_config_selectorILNS1_17partition_subalgoE8EhNS0_10empty_typeEbEEZZNS1_14partition_implILS5_8ELb0ES3_jPKhPS6_PKS6_NS0_5tupleIJPhS6_EEENSE_IJSB_SB_EEENS0_18inequality_wrapperIN6hipcub16HIPCUB_304000_NS8EqualityEEEPlJS6_EEE10hipError_tPvRmT3_T4_T5_T6_T7_T9_mT8_P12ihipStream_tbDpT10_ENKUlT_T0_E_clISt17integral_constantIbLb1EES16_IbLb0EEEEDaS12_S13_EUlS12_E_NS1_11comp_targetILNS1_3genE8ELNS1_11target_archE1030ELNS1_3gpuE2ELNS1_3repE0EEENS1_30default_config_static_selectorELNS0_4arch9wavefront6targetE1EEEvT1_
	.globl	_ZN7rocprim17ROCPRIM_400000_NS6detail17trampoline_kernelINS0_14default_configENS1_25partition_config_selectorILNS1_17partition_subalgoE8EhNS0_10empty_typeEbEEZZNS1_14partition_implILS5_8ELb0ES3_jPKhPS6_PKS6_NS0_5tupleIJPhS6_EEENSE_IJSB_SB_EEENS0_18inequality_wrapperIN6hipcub16HIPCUB_304000_NS8EqualityEEEPlJS6_EEE10hipError_tPvRmT3_T4_T5_T6_T7_T9_mT8_P12ihipStream_tbDpT10_ENKUlT_T0_E_clISt17integral_constantIbLb1EES16_IbLb0EEEEDaS12_S13_EUlS12_E_NS1_11comp_targetILNS1_3genE8ELNS1_11target_archE1030ELNS1_3gpuE2ELNS1_3repE0EEENS1_30default_config_static_selectorELNS0_4arch9wavefront6targetE1EEEvT1_
	.p2align	8
	.type	_ZN7rocprim17ROCPRIM_400000_NS6detail17trampoline_kernelINS0_14default_configENS1_25partition_config_selectorILNS1_17partition_subalgoE8EhNS0_10empty_typeEbEEZZNS1_14partition_implILS5_8ELb0ES3_jPKhPS6_PKS6_NS0_5tupleIJPhS6_EEENSE_IJSB_SB_EEENS0_18inequality_wrapperIN6hipcub16HIPCUB_304000_NS8EqualityEEEPlJS6_EEE10hipError_tPvRmT3_T4_T5_T6_T7_T9_mT8_P12ihipStream_tbDpT10_ENKUlT_T0_E_clISt17integral_constantIbLb1EES16_IbLb0EEEEDaS12_S13_EUlS12_E_NS1_11comp_targetILNS1_3genE8ELNS1_11target_archE1030ELNS1_3gpuE2ELNS1_3repE0EEENS1_30default_config_static_selectorELNS0_4arch9wavefront6targetE1EEEvT1_,@function
_ZN7rocprim17ROCPRIM_400000_NS6detail17trampoline_kernelINS0_14default_configENS1_25partition_config_selectorILNS1_17partition_subalgoE8EhNS0_10empty_typeEbEEZZNS1_14partition_implILS5_8ELb0ES3_jPKhPS6_PKS6_NS0_5tupleIJPhS6_EEENSE_IJSB_SB_EEENS0_18inequality_wrapperIN6hipcub16HIPCUB_304000_NS8EqualityEEEPlJS6_EEE10hipError_tPvRmT3_T4_T5_T6_T7_T9_mT8_P12ihipStream_tbDpT10_ENKUlT_T0_E_clISt17integral_constantIbLb1EES16_IbLb0EEEEDaS12_S13_EUlS12_E_NS1_11comp_targetILNS1_3genE8ELNS1_11target_archE1030ELNS1_3gpuE2ELNS1_3repE0EEENS1_30default_config_static_selectorELNS0_4arch9wavefront6targetE1EEEvT1_: ; @_ZN7rocprim17ROCPRIM_400000_NS6detail17trampoline_kernelINS0_14default_configENS1_25partition_config_selectorILNS1_17partition_subalgoE8EhNS0_10empty_typeEbEEZZNS1_14partition_implILS5_8ELb0ES3_jPKhPS6_PKS6_NS0_5tupleIJPhS6_EEENSE_IJSB_SB_EEENS0_18inequality_wrapperIN6hipcub16HIPCUB_304000_NS8EqualityEEEPlJS6_EEE10hipError_tPvRmT3_T4_T5_T6_T7_T9_mT8_P12ihipStream_tbDpT10_ENKUlT_T0_E_clISt17integral_constantIbLb1EES16_IbLb0EEEEDaS12_S13_EUlS12_E_NS1_11comp_targetILNS1_3genE8ELNS1_11target_archE1030ELNS1_3gpuE2ELNS1_3repE0EEENS1_30default_config_static_selectorELNS0_4arch9wavefront6targetE1EEEvT1_
; %bb.0:
	.section	.rodata,"a",@progbits
	.p2align	6, 0x0
	.amdhsa_kernel _ZN7rocprim17ROCPRIM_400000_NS6detail17trampoline_kernelINS0_14default_configENS1_25partition_config_selectorILNS1_17partition_subalgoE8EhNS0_10empty_typeEbEEZZNS1_14partition_implILS5_8ELb0ES3_jPKhPS6_PKS6_NS0_5tupleIJPhS6_EEENSE_IJSB_SB_EEENS0_18inequality_wrapperIN6hipcub16HIPCUB_304000_NS8EqualityEEEPlJS6_EEE10hipError_tPvRmT3_T4_T5_T6_T7_T9_mT8_P12ihipStream_tbDpT10_ENKUlT_T0_E_clISt17integral_constantIbLb1EES16_IbLb0EEEEDaS12_S13_EUlS12_E_NS1_11comp_targetILNS1_3genE8ELNS1_11target_archE1030ELNS1_3gpuE2ELNS1_3repE0EEENS1_30default_config_static_selectorELNS0_4arch9wavefront6targetE1EEEvT1_
		.amdhsa_group_segment_fixed_size 0
		.amdhsa_private_segment_fixed_size 0
		.amdhsa_kernarg_size 112
		.amdhsa_user_sgpr_count 6
		.amdhsa_user_sgpr_private_segment_buffer 1
		.amdhsa_user_sgpr_dispatch_ptr 0
		.amdhsa_user_sgpr_queue_ptr 0
		.amdhsa_user_sgpr_kernarg_segment_ptr 1
		.amdhsa_user_sgpr_dispatch_id 0
		.amdhsa_user_sgpr_flat_scratch_init 0
		.amdhsa_user_sgpr_kernarg_preload_length 0
		.amdhsa_user_sgpr_kernarg_preload_offset 0
		.amdhsa_user_sgpr_private_segment_size 0
		.amdhsa_uses_dynamic_stack 0
		.amdhsa_system_sgpr_private_segment_wavefront_offset 0
		.amdhsa_system_sgpr_workgroup_id_x 1
		.amdhsa_system_sgpr_workgroup_id_y 0
		.amdhsa_system_sgpr_workgroup_id_z 0
		.amdhsa_system_sgpr_workgroup_info 0
		.amdhsa_system_vgpr_workitem_id 0
		.amdhsa_next_free_vgpr 1
		.amdhsa_next_free_sgpr 0
		.amdhsa_accum_offset 4
		.amdhsa_reserve_vcc 0
		.amdhsa_reserve_flat_scratch 0
		.amdhsa_float_round_mode_32 0
		.amdhsa_float_round_mode_16_64 0
		.amdhsa_float_denorm_mode_32 3
		.amdhsa_float_denorm_mode_16_64 3
		.amdhsa_dx10_clamp 1
		.amdhsa_ieee_mode 1
		.amdhsa_fp16_overflow 0
		.amdhsa_tg_split 0
		.amdhsa_exception_fp_ieee_invalid_op 0
		.amdhsa_exception_fp_denorm_src 0
		.amdhsa_exception_fp_ieee_div_zero 0
		.amdhsa_exception_fp_ieee_overflow 0
		.amdhsa_exception_fp_ieee_underflow 0
		.amdhsa_exception_fp_ieee_inexact 0
		.amdhsa_exception_int_div_zero 0
	.end_amdhsa_kernel
	.section	.text._ZN7rocprim17ROCPRIM_400000_NS6detail17trampoline_kernelINS0_14default_configENS1_25partition_config_selectorILNS1_17partition_subalgoE8EhNS0_10empty_typeEbEEZZNS1_14partition_implILS5_8ELb0ES3_jPKhPS6_PKS6_NS0_5tupleIJPhS6_EEENSE_IJSB_SB_EEENS0_18inequality_wrapperIN6hipcub16HIPCUB_304000_NS8EqualityEEEPlJS6_EEE10hipError_tPvRmT3_T4_T5_T6_T7_T9_mT8_P12ihipStream_tbDpT10_ENKUlT_T0_E_clISt17integral_constantIbLb1EES16_IbLb0EEEEDaS12_S13_EUlS12_E_NS1_11comp_targetILNS1_3genE8ELNS1_11target_archE1030ELNS1_3gpuE2ELNS1_3repE0EEENS1_30default_config_static_selectorELNS0_4arch9wavefront6targetE1EEEvT1_,"axG",@progbits,_ZN7rocprim17ROCPRIM_400000_NS6detail17trampoline_kernelINS0_14default_configENS1_25partition_config_selectorILNS1_17partition_subalgoE8EhNS0_10empty_typeEbEEZZNS1_14partition_implILS5_8ELb0ES3_jPKhPS6_PKS6_NS0_5tupleIJPhS6_EEENSE_IJSB_SB_EEENS0_18inequality_wrapperIN6hipcub16HIPCUB_304000_NS8EqualityEEEPlJS6_EEE10hipError_tPvRmT3_T4_T5_T6_T7_T9_mT8_P12ihipStream_tbDpT10_ENKUlT_T0_E_clISt17integral_constantIbLb1EES16_IbLb0EEEEDaS12_S13_EUlS12_E_NS1_11comp_targetILNS1_3genE8ELNS1_11target_archE1030ELNS1_3gpuE2ELNS1_3repE0EEENS1_30default_config_static_selectorELNS0_4arch9wavefront6targetE1EEEvT1_,comdat
.Lfunc_end157:
	.size	_ZN7rocprim17ROCPRIM_400000_NS6detail17trampoline_kernelINS0_14default_configENS1_25partition_config_selectorILNS1_17partition_subalgoE8EhNS0_10empty_typeEbEEZZNS1_14partition_implILS5_8ELb0ES3_jPKhPS6_PKS6_NS0_5tupleIJPhS6_EEENSE_IJSB_SB_EEENS0_18inequality_wrapperIN6hipcub16HIPCUB_304000_NS8EqualityEEEPlJS6_EEE10hipError_tPvRmT3_T4_T5_T6_T7_T9_mT8_P12ihipStream_tbDpT10_ENKUlT_T0_E_clISt17integral_constantIbLb1EES16_IbLb0EEEEDaS12_S13_EUlS12_E_NS1_11comp_targetILNS1_3genE8ELNS1_11target_archE1030ELNS1_3gpuE2ELNS1_3repE0EEENS1_30default_config_static_selectorELNS0_4arch9wavefront6targetE1EEEvT1_, .Lfunc_end157-_ZN7rocprim17ROCPRIM_400000_NS6detail17trampoline_kernelINS0_14default_configENS1_25partition_config_selectorILNS1_17partition_subalgoE8EhNS0_10empty_typeEbEEZZNS1_14partition_implILS5_8ELb0ES3_jPKhPS6_PKS6_NS0_5tupleIJPhS6_EEENSE_IJSB_SB_EEENS0_18inequality_wrapperIN6hipcub16HIPCUB_304000_NS8EqualityEEEPlJS6_EEE10hipError_tPvRmT3_T4_T5_T6_T7_T9_mT8_P12ihipStream_tbDpT10_ENKUlT_T0_E_clISt17integral_constantIbLb1EES16_IbLb0EEEEDaS12_S13_EUlS12_E_NS1_11comp_targetILNS1_3genE8ELNS1_11target_archE1030ELNS1_3gpuE2ELNS1_3repE0EEENS1_30default_config_static_selectorELNS0_4arch9wavefront6targetE1EEEvT1_
                                        ; -- End function
	.section	.AMDGPU.csdata,"",@progbits
; Kernel info:
; codeLenInByte = 0
; NumSgprs: 4
; NumVgprs: 0
; NumAgprs: 0
; TotalNumVgprs: 0
; ScratchSize: 0
; MemoryBound: 0
; FloatMode: 240
; IeeeMode: 1
; LDSByteSize: 0 bytes/workgroup (compile time only)
; SGPRBlocks: 0
; VGPRBlocks: 0
; NumSGPRsForWavesPerEU: 4
; NumVGPRsForWavesPerEU: 1
; AccumOffset: 4
; Occupancy: 8
; WaveLimiterHint : 0
; COMPUTE_PGM_RSRC2:SCRATCH_EN: 0
; COMPUTE_PGM_RSRC2:USER_SGPR: 6
; COMPUTE_PGM_RSRC2:TRAP_HANDLER: 0
; COMPUTE_PGM_RSRC2:TGID_X_EN: 1
; COMPUTE_PGM_RSRC2:TGID_Y_EN: 0
; COMPUTE_PGM_RSRC2:TGID_Z_EN: 0
; COMPUTE_PGM_RSRC2:TIDIG_COMP_CNT: 0
; COMPUTE_PGM_RSRC3_GFX90A:ACCUM_OFFSET: 0
; COMPUTE_PGM_RSRC3_GFX90A:TG_SPLIT: 0
	.section	.text._ZN7rocprim17ROCPRIM_400000_NS6detail17trampoline_kernelINS0_14default_configENS1_25partition_config_selectorILNS1_17partition_subalgoE8EhNS0_10empty_typeEbEEZZNS1_14partition_implILS5_8ELb0ES3_jPKhPS6_PKS6_NS0_5tupleIJPhS6_EEENSE_IJSB_SB_EEENS0_18inequality_wrapperIN6hipcub16HIPCUB_304000_NS8EqualityEEEPlJS6_EEE10hipError_tPvRmT3_T4_T5_T6_T7_T9_mT8_P12ihipStream_tbDpT10_ENKUlT_T0_E_clISt17integral_constantIbLb0EES16_IbLb1EEEEDaS12_S13_EUlS12_E_NS1_11comp_targetILNS1_3genE0ELNS1_11target_archE4294967295ELNS1_3gpuE0ELNS1_3repE0EEENS1_30default_config_static_selectorELNS0_4arch9wavefront6targetE1EEEvT1_,"axG",@progbits,_ZN7rocprim17ROCPRIM_400000_NS6detail17trampoline_kernelINS0_14default_configENS1_25partition_config_selectorILNS1_17partition_subalgoE8EhNS0_10empty_typeEbEEZZNS1_14partition_implILS5_8ELb0ES3_jPKhPS6_PKS6_NS0_5tupleIJPhS6_EEENSE_IJSB_SB_EEENS0_18inequality_wrapperIN6hipcub16HIPCUB_304000_NS8EqualityEEEPlJS6_EEE10hipError_tPvRmT3_T4_T5_T6_T7_T9_mT8_P12ihipStream_tbDpT10_ENKUlT_T0_E_clISt17integral_constantIbLb0EES16_IbLb1EEEEDaS12_S13_EUlS12_E_NS1_11comp_targetILNS1_3genE0ELNS1_11target_archE4294967295ELNS1_3gpuE0ELNS1_3repE0EEENS1_30default_config_static_selectorELNS0_4arch9wavefront6targetE1EEEvT1_,comdat
	.protected	_ZN7rocprim17ROCPRIM_400000_NS6detail17trampoline_kernelINS0_14default_configENS1_25partition_config_selectorILNS1_17partition_subalgoE8EhNS0_10empty_typeEbEEZZNS1_14partition_implILS5_8ELb0ES3_jPKhPS6_PKS6_NS0_5tupleIJPhS6_EEENSE_IJSB_SB_EEENS0_18inequality_wrapperIN6hipcub16HIPCUB_304000_NS8EqualityEEEPlJS6_EEE10hipError_tPvRmT3_T4_T5_T6_T7_T9_mT8_P12ihipStream_tbDpT10_ENKUlT_T0_E_clISt17integral_constantIbLb0EES16_IbLb1EEEEDaS12_S13_EUlS12_E_NS1_11comp_targetILNS1_3genE0ELNS1_11target_archE4294967295ELNS1_3gpuE0ELNS1_3repE0EEENS1_30default_config_static_selectorELNS0_4arch9wavefront6targetE1EEEvT1_ ; -- Begin function _ZN7rocprim17ROCPRIM_400000_NS6detail17trampoline_kernelINS0_14default_configENS1_25partition_config_selectorILNS1_17partition_subalgoE8EhNS0_10empty_typeEbEEZZNS1_14partition_implILS5_8ELb0ES3_jPKhPS6_PKS6_NS0_5tupleIJPhS6_EEENSE_IJSB_SB_EEENS0_18inequality_wrapperIN6hipcub16HIPCUB_304000_NS8EqualityEEEPlJS6_EEE10hipError_tPvRmT3_T4_T5_T6_T7_T9_mT8_P12ihipStream_tbDpT10_ENKUlT_T0_E_clISt17integral_constantIbLb0EES16_IbLb1EEEEDaS12_S13_EUlS12_E_NS1_11comp_targetILNS1_3genE0ELNS1_11target_archE4294967295ELNS1_3gpuE0ELNS1_3repE0EEENS1_30default_config_static_selectorELNS0_4arch9wavefront6targetE1EEEvT1_
	.globl	_ZN7rocprim17ROCPRIM_400000_NS6detail17trampoline_kernelINS0_14default_configENS1_25partition_config_selectorILNS1_17partition_subalgoE8EhNS0_10empty_typeEbEEZZNS1_14partition_implILS5_8ELb0ES3_jPKhPS6_PKS6_NS0_5tupleIJPhS6_EEENSE_IJSB_SB_EEENS0_18inequality_wrapperIN6hipcub16HIPCUB_304000_NS8EqualityEEEPlJS6_EEE10hipError_tPvRmT3_T4_T5_T6_T7_T9_mT8_P12ihipStream_tbDpT10_ENKUlT_T0_E_clISt17integral_constantIbLb0EES16_IbLb1EEEEDaS12_S13_EUlS12_E_NS1_11comp_targetILNS1_3genE0ELNS1_11target_archE4294967295ELNS1_3gpuE0ELNS1_3repE0EEENS1_30default_config_static_selectorELNS0_4arch9wavefront6targetE1EEEvT1_
	.p2align	8
	.type	_ZN7rocprim17ROCPRIM_400000_NS6detail17trampoline_kernelINS0_14default_configENS1_25partition_config_selectorILNS1_17partition_subalgoE8EhNS0_10empty_typeEbEEZZNS1_14partition_implILS5_8ELb0ES3_jPKhPS6_PKS6_NS0_5tupleIJPhS6_EEENSE_IJSB_SB_EEENS0_18inequality_wrapperIN6hipcub16HIPCUB_304000_NS8EqualityEEEPlJS6_EEE10hipError_tPvRmT3_T4_T5_T6_T7_T9_mT8_P12ihipStream_tbDpT10_ENKUlT_T0_E_clISt17integral_constantIbLb0EES16_IbLb1EEEEDaS12_S13_EUlS12_E_NS1_11comp_targetILNS1_3genE0ELNS1_11target_archE4294967295ELNS1_3gpuE0ELNS1_3repE0EEENS1_30default_config_static_selectorELNS0_4arch9wavefront6targetE1EEEvT1_,@function
_ZN7rocprim17ROCPRIM_400000_NS6detail17trampoline_kernelINS0_14default_configENS1_25partition_config_selectorILNS1_17partition_subalgoE8EhNS0_10empty_typeEbEEZZNS1_14partition_implILS5_8ELb0ES3_jPKhPS6_PKS6_NS0_5tupleIJPhS6_EEENSE_IJSB_SB_EEENS0_18inequality_wrapperIN6hipcub16HIPCUB_304000_NS8EqualityEEEPlJS6_EEE10hipError_tPvRmT3_T4_T5_T6_T7_T9_mT8_P12ihipStream_tbDpT10_ENKUlT_T0_E_clISt17integral_constantIbLb0EES16_IbLb1EEEEDaS12_S13_EUlS12_E_NS1_11comp_targetILNS1_3genE0ELNS1_11target_archE4294967295ELNS1_3gpuE0ELNS1_3repE0EEENS1_30default_config_static_selectorELNS0_4arch9wavefront6targetE1EEEvT1_: ; @_ZN7rocprim17ROCPRIM_400000_NS6detail17trampoline_kernelINS0_14default_configENS1_25partition_config_selectorILNS1_17partition_subalgoE8EhNS0_10empty_typeEbEEZZNS1_14partition_implILS5_8ELb0ES3_jPKhPS6_PKS6_NS0_5tupleIJPhS6_EEENSE_IJSB_SB_EEENS0_18inequality_wrapperIN6hipcub16HIPCUB_304000_NS8EqualityEEEPlJS6_EEE10hipError_tPvRmT3_T4_T5_T6_T7_T9_mT8_P12ihipStream_tbDpT10_ENKUlT_T0_E_clISt17integral_constantIbLb0EES16_IbLb1EEEEDaS12_S13_EUlS12_E_NS1_11comp_targetILNS1_3genE0ELNS1_11target_archE4294967295ELNS1_3gpuE0ELNS1_3repE0EEENS1_30default_config_static_selectorELNS0_4arch9wavefront6targetE1EEEvT1_
; %bb.0:
	.section	.rodata,"a",@progbits
	.p2align	6, 0x0
	.amdhsa_kernel _ZN7rocprim17ROCPRIM_400000_NS6detail17trampoline_kernelINS0_14default_configENS1_25partition_config_selectorILNS1_17partition_subalgoE8EhNS0_10empty_typeEbEEZZNS1_14partition_implILS5_8ELb0ES3_jPKhPS6_PKS6_NS0_5tupleIJPhS6_EEENSE_IJSB_SB_EEENS0_18inequality_wrapperIN6hipcub16HIPCUB_304000_NS8EqualityEEEPlJS6_EEE10hipError_tPvRmT3_T4_T5_T6_T7_T9_mT8_P12ihipStream_tbDpT10_ENKUlT_T0_E_clISt17integral_constantIbLb0EES16_IbLb1EEEEDaS12_S13_EUlS12_E_NS1_11comp_targetILNS1_3genE0ELNS1_11target_archE4294967295ELNS1_3gpuE0ELNS1_3repE0EEENS1_30default_config_static_selectorELNS0_4arch9wavefront6targetE1EEEvT1_
		.amdhsa_group_segment_fixed_size 0
		.amdhsa_private_segment_fixed_size 0
		.amdhsa_kernarg_size 128
		.amdhsa_user_sgpr_count 6
		.amdhsa_user_sgpr_private_segment_buffer 1
		.amdhsa_user_sgpr_dispatch_ptr 0
		.amdhsa_user_sgpr_queue_ptr 0
		.amdhsa_user_sgpr_kernarg_segment_ptr 1
		.amdhsa_user_sgpr_dispatch_id 0
		.amdhsa_user_sgpr_flat_scratch_init 0
		.amdhsa_user_sgpr_kernarg_preload_length 0
		.amdhsa_user_sgpr_kernarg_preload_offset 0
		.amdhsa_user_sgpr_private_segment_size 0
		.amdhsa_uses_dynamic_stack 0
		.amdhsa_system_sgpr_private_segment_wavefront_offset 0
		.amdhsa_system_sgpr_workgroup_id_x 1
		.amdhsa_system_sgpr_workgroup_id_y 0
		.amdhsa_system_sgpr_workgroup_id_z 0
		.amdhsa_system_sgpr_workgroup_info 0
		.amdhsa_system_vgpr_workitem_id 0
		.amdhsa_next_free_vgpr 1
		.amdhsa_next_free_sgpr 0
		.amdhsa_accum_offset 4
		.amdhsa_reserve_vcc 0
		.amdhsa_reserve_flat_scratch 0
		.amdhsa_float_round_mode_32 0
		.amdhsa_float_round_mode_16_64 0
		.amdhsa_float_denorm_mode_32 3
		.amdhsa_float_denorm_mode_16_64 3
		.amdhsa_dx10_clamp 1
		.amdhsa_ieee_mode 1
		.amdhsa_fp16_overflow 0
		.amdhsa_tg_split 0
		.amdhsa_exception_fp_ieee_invalid_op 0
		.amdhsa_exception_fp_denorm_src 0
		.amdhsa_exception_fp_ieee_div_zero 0
		.amdhsa_exception_fp_ieee_overflow 0
		.amdhsa_exception_fp_ieee_underflow 0
		.amdhsa_exception_fp_ieee_inexact 0
		.amdhsa_exception_int_div_zero 0
	.end_amdhsa_kernel
	.section	.text._ZN7rocprim17ROCPRIM_400000_NS6detail17trampoline_kernelINS0_14default_configENS1_25partition_config_selectorILNS1_17partition_subalgoE8EhNS0_10empty_typeEbEEZZNS1_14partition_implILS5_8ELb0ES3_jPKhPS6_PKS6_NS0_5tupleIJPhS6_EEENSE_IJSB_SB_EEENS0_18inequality_wrapperIN6hipcub16HIPCUB_304000_NS8EqualityEEEPlJS6_EEE10hipError_tPvRmT3_T4_T5_T6_T7_T9_mT8_P12ihipStream_tbDpT10_ENKUlT_T0_E_clISt17integral_constantIbLb0EES16_IbLb1EEEEDaS12_S13_EUlS12_E_NS1_11comp_targetILNS1_3genE0ELNS1_11target_archE4294967295ELNS1_3gpuE0ELNS1_3repE0EEENS1_30default_config_static_selectorELNS0_4arch9wavefront6targetE1EEEvT1_,"axG",@progbits,_ZN7rocprim17ROCPRIM_400000_NS6detail17trampoline_kernelINS0_14default_configENS1_25partition_config_selectorILNS1_17partition_subalgoE8EhNS0_10empty_typeEbEEZZNS1_14partition_implILS5_8ELb0ES3_jPKhPS6_PKS6_NS0_5tupleIJPhS6_EEENSE_IJSB_SB_EEENS0_18inequality_wrapperIN6hipcub16HIPCUB_304000_NS8EqualityEEEPlJS6_EEE10hipError_tPvRmT3_T4_T5_T6_T7_T9_mT8_P12ihipStream_tbDpT10_ENKUlT_T0_E_clISt17integral_constantIbLb0EES16_IbLb1EEEEDaS12_S13_EUlS12_E_NS1_11comp_targetILNS1_3genE0ELNS1_11target_archE4294967295ELNS1_3gpuE0ELNS1_3repE0EEENS1_30default_config_static_selectorELNS0_4arch9wavefront6targetE1EEEvT1_,comdat
.Lfunc_end158:
	.size	_ZN7rocprim17ROCPRIM_400000_NS6detail17trampoline_kernelINS0_14default_configENS1_25partition_config_selectorILNS1_17partition_subalgoE8EhNS0_10empty_typeEbEEZZNS1_14partition_implILS5_8ELb0ES3_jPKhPS6_PKS6_NS0_5tupleIJPhS6_EEENSE_IJSB_SB_EEENS0_18inequality_wrapperIN6hipcub16HIPCUB_304000_NS8EqualityEEEPlJS6_EEE10hipError_tPvRmT3_T4_T5_T6_T7_T9_mT8_P12ihipStream_tbDpT10_ENKUlT_T0_E_clISt17integral_constantIbLb0EES16_IbLb1EEEEDaS12_S13_EUlS12_E_NS1_11comp_targetILNS1_3genE0ELNS1_11target_archE4294967295ELNS1_3gpuE0ELNS1_3repE0EEENS1_30default_config_static_selectorELNS0_4arch9wavefront6targetE1EEEvT1_, .Lfunc_end158-_ZN7rocprim17ROCPRIM_400000_NS6detail17trampoline_kernelINS0_14default_configENS1_25partition_config_selectorILNS1_17partition_subalgoE8EhNS0_10empty_typeEbEEZZNS1_14partition_implILS5_8ELb0ES3_jPKhPS6_PKS6_NS0_5tupleIJPhS6_EEENSE_IJSB_SB_EEENS0_18inequality_wrapperIN6hipcub16HIPCUB_304000_NS8EqualityEEEPlJS6_EEE10hipError_tPvRmT3_T4_T5_T6_T7_T9_mT8_P12ihipStream_tbDpT10_ENKUlT_T0_E_clISt17integral_constantIbLb0EES16_IbLb1EEEEDaS12_S13_EUlS12_E_NS1_11comp_targetILNS1_3genE0ELNS1_11target_archE4294967295ELNS1_3gpuE0ELNS1_3repE0EEENS1_30default_config_static_selectorELNS0_4arch9wavefront6targetE1EEEvT1_
                                        ; -- End function
	.section	.AMDGPU.csdata,"",@progbits
; Kernel info:
; codeLenInByte = 0
; NumSgprs: 4
; NumVgprs: 0
; NumAgprs: 0
; TotalNumVgprs: 0
; ScratchSize: 0
; MemoryBound: 0
; FloatMode: 240
; IeeeMode: 1
; LDSByteSize: 0 bytes/workgroup (compile time only)
; SGPRBlocks: 0
; VGPRBlocks: 0
; NumSGPRsForWavesPerEU: 4
; NumVGPRsForWavesPerEU: 1
; AccumOffset: 4
; Occupancy: 8
; WaveLimiterHint : 0
; COMPUTE_PGM_RSRC2:SCRATCH_EN: 0
; COMPUTE_PGM_RSRC2:USER_SGPR: 6
; COMPUTE_PGM_RSRC2:TRAP_HANDLER: 0
; COMPUTE_PGM_RSRC2:TGID_X_EN: 1
; COMPUTE_PGM_RSRC2:TGID_Y_EN: 0
; COMPUTE_PGM_RSRC2:TGID_Z_EN: 0
; COMPUTE_PGM_RSRC2:TIDIG_COMP_CNT: 0
; COMPUTE_PGM_RSRC3_GFX90A:ACCUM_OFFSET: 0
; COMPUTE_PGM_RSRC3_GFX90A:TG_SPLIT: 0
	.section	.text._ZN7rocprim17ROCPRIM_400000_NS6detail17trampoline_kernelINS0_14default_configENS1_25partition_config_selectorILNS1_17partition_subalgoE8EhNS0_10empty_typeEbEEZZNS1_14partition_implILS5_8ELb0ES3_jPKhPS6_PKS6_NS0_5tupleIJPhS6_EEENSE_IJSB_SB_EEENS0_18inequality_wrapperIN6hipcub16HIPCUB_304000_NS8EqualityEEEPlJS6_EEE10hipError_tPvRmT3_T4_T5_T6_T7_T9_mT8_P12ihipStream_tbDpT10_ENKUlT_T0_E_clISt17integral_constantIbLb0EES16_IbLb1EEEEDaS12_S13_EUlS12_E_NS1_11comp_targetILNS1_3genE5ELNS1_11target_archE942ELNS1_3gpuE9ELNS1_3repE0EEENS1_30default_config_static_selectorELNS0_4arch9wavefront6targetE1EEEvT1_,"axG",@progbits,_ZN7rocprim17ROCPRIM_400000_NS6detail17trampoline_kernelINS0_14default_configENS1_25partition_config_selectorILNS1_17partition_subalgoE8EhNS0_10empty_typeEbEEZZNS1_14partition_implILS5_8ELb0ES3_jPKhPS6_PKS6_NS0_5tupleIJPhS6_EEENSE_IJSB_SB_EEENS0_18inequality_wrapperIN6hipcub16HIPCUB_304000_NS8EqualityEEEPlJS6_EEE10hipError_tPvRmT3_T4_T5_T6_T7_T9_mT8_P12ihipStream_tbDpT10_ENKUlT_T0_E_clISt17integral_constantIbLb0EES16_IbLb1EEEEDaS12_S13_EUlS12_E_NS1_11comp_targetILNS1_3genE5ELNS1_11target_archE942ELNS1_3gpuE9ELNS1_3repE0EEENS1_30default_config_static_selectorELNS0_4arch9wavefront6targetE1EEEvT1_,comdat
	.protected	_ZN7rocprim17ROCPRIM_400000_NS6detail17trampoline_kernelINS0_14default_configENS1_25partition_config_selectorILNS1_17partition_subalgoE8EhNS0_10empty_typeEbEEZZNS1_14partition_implILS5_8ELb0ES3_jPKhPS6_PKS6_NS0_5tupleIJPhS6_EEENSE_IJSB_SB_EEENS0_18inequality_wrapperIN6hipcub16HIPCUB_304000_NS8EqualityEEEPlJS6_EEE10hipError_tPvRmT3_T4_T5_T6_T7_T9_mT8_P12ihipStream_tbDpT10_ENKUlT_T0_E_clISt17integral_constantIbLb0EES16_IbLb1EEEEDaS12_S13_EUlS12_E_NS1_11comp_targetILNS1_3genE5ELNS1_11target_archE942ELNS1_3gpuE9ELNS1_3repE0EEENS1_30default_config_static_selectorELNS0_4arch9wavefront6targetE1EEEvT1_ ; -- Begin function _ZN7rocprim17ROCPRIM_400000_NS6detail17trampoline_kernelINS0_14default_configENS1_25partition_config_selectorILNS1_17partition_subalgoE8EhNS0_10empty_typeEbEEZZNS1_14partition_implILS5_8ELb0ES3_jPKhPS6_PKS6_NS0_5tupleIJPhS6_EEENSE_IJSB_SB_EEENS0_18inequality_wrapperIN6hipcub16HIPCUB_304000_NS8EqualityEEEPlJS6_EEE10hipError_tPvRmT3_T4_T5_T6_T7_T9_mT8_P12ihipStream_tbDpT10_ENKUlT_T0_E_clISt17integral_constantIbLb0EES16_IbLb1EEEEDaS12_S13_EUlS12_E_NS1_11comp_targetILNS1_3genE5ELNS1_11target_archE942ELNS1_3gpuE9ELNS1_3repE0EEENS1_30default_config_static_selectorELNS0_4arch9wavefront6targetE1EEEvT1_
	.globl	_ZN7rocprim17ROCPRIM_400000_NS6detail17trampoline_kernelINS0_14default_configENS1_25partition_config_selectorILNS1_17partition_subalgoE8EhNS0_10empty_typeEbEEZZNS1_14partition_implILS5_8ELb0ES3_jPKhPS6_PKS6_NS0_5tupleIJPhS6_EEENSE_IJSB_SB_EEENS0_18inequality_wrapperIN6hipcub16HIPCUB_304000_NS8EqualityEEEPlJS6_EEE10hipError_tPvRmT3_T4_T5_T6_T7_T9_mT8_P12ihipStream_tbDpT10_ENKUlT_T0_E_clISt17integral_constantIbLb0EES16_IbLb1EEEEDaS12_S13_EUlS12_E_NS1_11comp_targetILNS1_3genE5ELNS1_11target_archE942ELNS1_3gpuE9ELNS1_3repE0EEENS1_30default_config_static_selectorELNS0_4arch9wavefront6targetE1EEEvT1_
	.p2align	8
	.type	_ZN7rocprim17ROCPRIM_400000_NS6detail17trampoline_kernelINS0_14default_configENS1_25partition_config_selectorILNS1_17partition_subalgoE8EhNS0_10empty_typeEbEEZZNS1_14partition_implILS5_8ELb0ES3_jPKhPS6_PKS6_NS0_5tupleIJPhS6_EEENSE_IJSB_SB_EEENS0_18inequality_wrapperIN6hipcub16HIPCUB_304000_NS8EqualityEEEPlJS6_EEE10hipError_tPvRmT3_T4_T5_T6_T7_T9_mT8_P12ihipStream_tbDpT10_ENKUlT_T0_E_clISt17integral_constantIbLb0EES16_IbLb1EEEEDaS12_S13_EUlS12_E_NS1_11comp_targetILNS1_3genE5ELNS1_11target_archE942ELNS1_3gpuE9ELNS1_3repE0EEENS1_30default_config_static_selectorELNS0_4arch9wavefront6targetE1EEEvT1_,@function
_ZN7rocprim17ROCPRIM_400000_NS6detail17trampoline_kernelINS0_14default_configENS1_25partition_config_selectorILNS1_17partition_subalgoE8EhNS0_10empty_typeEbEEZZNS1_14partition_implILS5_8ELb0ES3_jPKhPS6_PKS6_NS0_5tupleIJPhS6_EEENSE_IJSB_SB_EEENS0_18inequality_wrapperIN6hipcub16HIPCUB_304000_NS8EqualityEEEPlJS6_EEE10hipError_tPvRmT3_T4_T5_T6_T7_T9_mT8_P12ihipStream_tbDpT10_ENKUlT_T0_E_clISt17integral_constantIbLb0EES16_IbLb1EEEEDaS12_S13_EUlS12_E_NS1_11comp_targetILNS1_3genE5ELNS1_11target_archE942ELNS1_3gpuE9ELNS1_3repE0EEENS1_30default_config_static_selectorELNS0_4arch9wavefront6targetE1EEEvT1_: ; @_ZN7rocprim17ROCPRIM_400000_NS6detail17trampoline_kernelINS0_14default_configENS1_25partition_config_selectorILNS1_17partition_subalgoE8EhNS0_10empty_typeEbEEZZNS1_14partition_implILS5_8ELb0ES3_jPKhPS6_PKS6_NS0_5tupleIJPhS6_EEENSE_IJSB_SB_EEENS0_18inequality_wrapperIN6hipcub16HIPCUB_304000_NS8EqualityEEEPlJS6_EEE10hipError_tPvRmT3_T4_T5_T6_T7_T9_mT8_P12ihipStream_tbDpT10_ENKUlT_T0_E_clISt17integral_constantIbLb0EES16_IbLb1EEEEDaS12_S13_EUlS12_E_NS1_11comp_targetILNS1_3genE5ELNS1_11target_archE942ELNS1_3gpuE9ELNS1_3repE0EEENS1_30default_config_static_selectorELNS0_4arch9wavefront6targetE1EEEvT1_
; %bb.0:
	.section	.rodata,"a",@progbits
	.p2align	6, 0x0
	.amdhsa_kernel _ZN7rocprim17ROCPRIM_400000_NS6detail17trampoline_kernelINS0_14default_configENS1_25partition_config_selectorILNS1_17partition_subalgoE8EhNS0_10empty_typeEbEEZZNS1_14partition_implILS5_8ELb0ES3_jPKhPS6_PKS6_NS0_5tupleIJPhS6_EEENSE_IJSB_SB_EEENS0_18inequality_wrapperIN6hipcub16HIPCUB_304000_NS8EqualityEEEPlJS6_EEE10hipError_tPvRmT3_T4_T5_T6_T7_T9_mT8_P12ihipStream_tbDpT10_ENKUlT_T0_E_clISt17integral_constantIbLb0EES16_IbLb1EEEEDaS12_S13_EUlS12_E_NS1_11comp_targetILNS1_3genE5ELNS1_11target_archE942ELNS1_3gpuE9ELNS1_3repE0EEENS1_30default_config_static_selectorELNS0_4arch9wavefront6targetE1EEEvT1_
		.amdhsa_group_segment_fixed_size 0
		.amdhsa_private_segment_fixed_size 0
		.amdhsa_kernarg_size 128
		.amdhsa_user_sgpr_count 6
		.amdhsa_user_sgpr_private_segment_buffer 1
		.amdhsa_user_sgpr_dispatch_ptr 0
		.amdhsa_user_sgpr_queue_ptr 0
		.amdhsa_user_sgpr_kernarg_segment_ptr 1
		.amdhsa_user_sgpr_dispatch_id 0
		.amdhsa_user_sgpr_flat_scratch_init 0
		.amdhsa_user_sgpr_kernarg_preload_length 0
		.amdhsa_user_sgpr_kernarg_preload_offset 0
		.amdhsa_user_sgpr_private_segment_size 0
		.amdhsa_uses_dynamic_stack 0
		.amdhsa_system_sgpr_private_segment_wavefront_offset 0
		.amdhsa_system_sgpr_workgroup_id_x 1
		.amdhsa_system_sgpr_workgroup_id_y 0
		.amdhsa_system_sgpr_workgroup_id_z 0
		.amdhsa_system_sgpr_workgroup_info 0
		.amdhsa_system_vgpr_workitem_id 0
		.amdhsa_next_free_vgpr 1
		.amdhsa_next_free_sgpr 0
		.amdhsa_accum_offset 4
		.amdhsa_reserve_vcc 0
		.amdhsa_reserve_flat_scratch 0
		.amdhsa_float_round_mode_32 0
		.amdhsa_float_round_mode_16_64 0
		.amdhsa_float_denorm_mode_32 3
		.amdhsa_float_denorm_mode_16_64 3
		.amdhsa_dx10_clamp 1
		.amdhsa_ieee_mode 1
		.amdhsa_fp16_overflow 0
		.amdhsa_tg_split 0
		.amdhsa_exception_fp_ieee_invalid_op 0
		.amdhsa_exception_fp_denorm_src 0
		.amdhsa_exception_fp_ieee_div_zero 0
		.amdhsa_exception_fp_ieee_overflow 0
		.amdhsa_exception_fp_ieee_underflow 0
		.amdhsa_exception_fp_ieee_inexact 0
		.amdhsa_exception_int_div_zero 0
	.end_amdhsa_kernel
	.section	.text._ZN7rocprim17ROCPRIM_400000_NS6detail17trampoline_kernelINS0_14default_configENS1_25partition_config_selectorILNS1_17partition_subalgoE8EhNS0_10empty_typeEbEEZZNS1_14partition_implILS5_8ELb0ES3_jPKhPS6_PKS6_NS0_5tupleIJPhS6_EEENSE_IJSB_SB_EEENS0_18inequality_wrapperIN6hipcub16HIPCUB_304000_NS8EqualityEEEPlJS6_EEE10hipError_tPvRmT3_T4_T5_T6_T7_T9_mT8_P12ihipStream_tbDpT10_ENKUlT_T0_E_clISt17integral_constantIbLb0EES16_IbLb1EEEEDaS12_S13_EUlS12_E_NS1_11comp_targetILNS1_3genE5ELNS1_11target_archE942ELNS1_3gpuE9ELNS1_3repE0EEENS1_30default_config_static_selectorELNS0_4arch9wavefront6targetE1EEEvT1_,"axG",@progbits,_ZN7rocprim17ROCPRIM_400000_NS6detail17trampoline_kernelINS0_14default_configENS1_25partition_config_selectorILNS1_17partition_subalgoE8EhNS0_10empty_typeEbEEZZNS1_14partition_implILS5_8ELb0ES3_jPKhPS6_PKS6_NS0_5tupleIJPhS6_EEENSE_IJSB_SB_EEENS0_18inequality_wrapperIN6hipcub16HIPCUB_304000_NS8EqualityEEEPlJS6_EEE10hipError_tPvRmT3_T4_T5_T6_T7_T9_mT8_P12ihipStream_tbDpT10_ENKUlT_T0_E_clISt17integral_constantIbLb0EES16_IbLb1EEEEDaS12_S13_EUlS12_E_NS1_11comp_targetILNS1_3genE5ELNS1_11target_archE942ELNS1_3gpuE9ELNS1_3repE0EEENS1_30default_config_static_selectorELNS0_4arch9wavefront6targetE1EEEvT1_,comdat
.Lfunc_end159:
	.size	_ZN7rocprim17ROCPRIM_400000_NS6detail17trampoline_kernelINS0_14default_configENS1_25partition_config_selectorILNS1_17partition_subalgoE8EhNS0_10empty_typeEbEEZZNS1_14partition_implILS5_8ELb0ES3_jPKhPS6_PKS6_NS0_5tupleIJPhS6_EEENSE_IJSB_SB_EEENS0_18inequality_wrapperIN6hipcub16HIPCUB_304000_NS8EqualityEEEPlJS6_EEE10hipError_tPvRmT3_T4_T5_T6_T7_T9_mT8_P12ihipStream_tbDpT10_ENKUlT_T0_E_clISt17integral_constantIbLb0EES16_IbLb1EEEEDaS12_S13_EUlS12_E_NS1_11comp_targetILNS1_3genE5ELNS1_11target_archE942ELNS1_3gpuE9ELNS1_3repE0EEENS1_30default_config_static_selectorELNS0_4arch9wavefront6targetE1EEEvT1_, .Lfunc_end159-_ZN7rocprim17ROCPRIM_400000_NS6detail17trampoline_kernelINS0_14default_configENS1_25partition_config_selectorILNS1_17partition_subalgoE8EhNS0_10empty_typeEbEEZZNS1_14partition_implILS5_8ELb0ES3_jPKhPS6_PKS6_NS0_5tupleIJPhS6_EEENSE_IJSB_SB_EEENS0_18inequality_wrapperIN6hipcub16HIPCUB_304000_NS8EqualityEEEPlJS6_EEE10hipError_tPvRmT3_T4_T5_T6_T7_T9_mT8_P12ihipStream_tbDpT10_ENKUlT_T0_E_clISt17integral_constantIbLb0EES16_IbLb1EEEEDaS12_S13_EUlS12_E_NS1_11comp_targetILNS1_3genE5ELNS1_11target_archE942ELNS1_3gpuE9ELNS1_3repE0EEENS1_30default_config_static_selectorELNS0_4arch9wavefront6targetE1EEEvT1_
                                        ; -- End function
	.section	.AMDGPU.csdata,"",@progbits
; Kernel info:
; codeLenInByte = 0
; NumSgprs: 4
; NumVgprs: 0
; NumAgprs: 0
; TotalNumVgprs: 0
; ScratchSize: 0
; MemoryBound: 0
; FloatMode: 240
; IeeeMode: 1
; LDSByteSize: 0 bytes/workgroup (compile time only)
; SGPRBlocks: 0
; VGPRBlocks: 0
; NumSGPRsForWavesPerEU: 4
; NumVGPRsForWavesPerEU: 1
; AccumOffset: 4
; Occupancy: 8
; WaveLimiterHint : 0
; COMPUTE_PGM_RSRC2:SCRATCH_EN: 0
; COMPUTE_PGM_RSRC2:USER_SGPR: 6
; COMPUTE_PGM_RSRC2:TRAP_HANDLER: 0
; COMPUTE_PGM_RSRC2:TGID_X_EN: 1
; COMPUTE_PGM_RSRC2:TGID_Y_EN: 0
; COMPUTE_PGM_RSRC2:TGID_Z_EN: 0
; COMPUTE_PGM_RSRC2:TIDIG_COMP_CNT: 0
; COMPUTE_PGM_RSRC3_GFX90A:ACCUM_OFFSET: 0
; COMPUTE_PGM_RSRC3_GFX90A:TG_SPLIT: 0
	.section	.text._ZN7rocprim17ROCPRIM_400000_NS6detail17trampoline_kernelINS0_14default_configENS1_25partition_config_selectorILNS1_17partition_subalgoE8EhNS0_10empty_typeEbEEZZNS1_14partition_implILS5_8ELb0ES3_jPKhPS6_PKS6_NS0_5tupleIJPhS6_EEENSE_IJSB_SB_EEENS0_18inequality_wrapperIN6hipcub16HIPCUB_304000_NS8EqualityEEEPlJS6_EEE10hipError_tPvRmT3_T4_T5_T6_T7_T9_mT8_P12ihipStream_tbDpT10_ENKUlT_T0_E_clISt17integral_constantIbLb0EES16_IbLb1EEEEDaS12_S13_EUlS12_E_NS1_11comp_targetILNS1_3genE4ELNS1_11target_archE910ELNS1_3gpuE8ELNS1_3repE0EEENS1_30default_config_static_selectorELNS0_4arch9wavefront6targetE1EEEvT1_,"axG",@progbits,_ZN7rocprim17ROCPRIM_400000_NS6detail17trampoline_kernelINS0_14default_configENS1_25partition_config_selectorILNS1_17partition_subalgoE8EhNS0_10empty_typeEbEEZZNS1_14partition_implILS5_8ELb0ES3_jPKhPS6_PKS6_NS0_5tupleIJPhS6_EEENSE_IJSB_SB_EEENS0_18inequality_wrapperIN6hipcub16HIPCUB_304000_NS8EqualityEEEPlJS6_EEE10hipError_tPvRmT3_T4_T5_T6_T7_T9_mT8_P12ihipStream_tbDpT10_ENKUlT_T0_E_clISt17integral_constantIbLb0EES16_IbLb1EEEEDaS12_S13_EUlS12_E_NS1_11comp_targetILNS1_3genE4ELNS1_11target_archE910ELNS1_3gpuE8ELNS1_3repE0EEENS1_30default_config_static_selectorELNS0_4arch9wavefront6targetE1EEEvT1_,comdat
	.protected	_ZN7rocprim17ROCPRIM_400000_NS6detail17trampoline_kernelINS0_14default_configENS1_25partition_config_selectorILNS1_17partition_subalgoE8EhNS0_10empty_typeEbEEZZNS1_14partition_implILS5_8ELb0ES3_jPKhPS6_PKS6_NS0_5tupleIJPhS6_EEENSE_IJSB_SB_EEENS0_18inequality_wrapperIN6hipcub16HIPCUB_304000_NS8EqualityEEEPlJS6_EEE10hipError_tPvRmT3_T4_T5_T6_T7_T9_mT8_P12ihipStream_tbDpT10_ENKUlT_T0_E_clISt17integral_constantIbLb0EES16_IbLb1EEEEDaS12_S13_EUlS12_E_NS1_11comp_targetILNS1_3genE4ELNS1_11target_archE910ELNS1_3gpuE8ELNS1_3repE0EEENS1_30default_config_static_selectorELNS0_4arch9wavefront6targetE1EEEvT1_ ; -- Begin function _ZN7rocprim17ROCPRIM_400000_NS6detail17trampoline_kernelINS0_14default_configENS1_25partition_config_selectorILNS1_17partition_subalgoE8EhNS0_10empty_typeEbEEZZNS1_14partition_implILS5_8ELb0ES3_jPKhPS6_PKS6_NS0_5tupleIJPhS6_EEENSE_IJSB_SB_EEENS0_18inequality_wrapperIN6hipcub16HIPCUB_304000_NS8EqualityEEEPlJS6_EEE10hipError_tPvRmT3_T4_T5_T6_T7_T9_mT8_P12ihipStream_tbDpT10_ENKUlT_T0_E_clISt17integral_constantIbLb0EES16_IbLb1EEEEDaS12_S13_EUlS12_E_NS1_11comp_targetILNS1_3genE4ELNS1_11target_archE910ELNS1_3gpuE8ELNS1_3repE0EEENS1_30default_config_static_selectorELNS0_4arch9wavefront6targetE1EEEvT1_
	.globl	_ZN7rocprim17ROCPRIM_400000_NS6detail17trampoline_kernelINS0_14default_configENS1_25partition_config_selectorILNS1_17partition_subalgoE8EhNS0_10empty_typeEbEEZZNS1_14partition_implILS5_8ELb0ES3_jPKhPS6_PKS6_NS0_5tupleIJPhS6_EEENSE_IJSB_SB_EEENS0_18inequality_wrapperIN6hipcub16HIPCUB_304000_NS8EqualityEEEPlJS6_EEE10hipError_tPvRmT3_T4_T5_T6_T7_T9_mT8_P12ihipStream_tbDpT10_ENKUlT_T0_E_clISt17integral_constantIbLb0EES16_IbLb1EEEEDaS12_S13_EUlS12_E_NS1_11comp_targetILNS1_3genE4ELNS1_11target_archE910ELNS1_3gpuE8ELNS1_3repE0EEENS1_30default_config_static_selectorELNS0_4arch9wavefront6targetE1EEEvT1_
	.p2align	8
	.type	_ZN7rocprim17ROCPRIM_400000_NS6detail17trampoline_kernelINS0_14default_configENS1_25partition_config_selectorILNS1_17partition_subalgoE8EhNS0_10empty_typeEbEEZZNS1_14partition_implILS5_8ELb0ES3_jPKhPS6_PKS6_NS0_5tupleIJPhS6_EEENSE_IJSB_SB_EEENS0_18inequality_wrapperIN6hipcub16HIPCUB_304000_NS8EqualityEEEPlJS6_EEE10hipError_tPvRmT3_T4_T5_T6_T7_T9_mT8_P12ihipStream_tbDpT10_ENKUlT_T0_E_clISt17integral_constantIbLb0EES16_IbLb1EEEEDaS12_S13_EUlS12_E_NS1_11comp_targetILNS1_3genE4ELNS1_11target_archE910ELNS1_3gpuE8ELNS1_3repE0EEENS1_30default_config_static_selectorELNS0_4arch9wavefront6targetE1EEEvT1_,@function
_ZN7rocprim17ROCPRIM_400000_NS6detail17trampoline_kernelINS0_14default_configENS1_25partition_config_selectorILNS1_17partition_subalgoE8EhNS0_10empty_typeEbEEZZNS1_14partition_implILS5_8ELb0ES3_jPKhPS6_PKS6_NS0_5tupleIJPhS6_EEENSE_IJSB_SB_EEENS0_18inequality_wrapperIN6hipcub16HIPCUB_304000_NS8EqualityEEEPlJS6_EEE10hipError_tPvRmT3_T4_T5_T6_T7_T9_mT8_P12ihipStream_tbDpT10_ENKUlT_T0_E_clISt17integral_constantIbLb0EES16_IbLb1EEEEDaS12_S13_EUlS12_E_NS1_11comp_targetILNS1_3genE4ELNS1_11target_archE910ELNS1_3gpuE8ELNS1_3repE0EEENS1_30default_config_static_selectorELNS0_4arch9wavefront6targetE1EEEvT1_: ; @_ZN7rocprim17ROCPRIM_400000_NS6detail17trampoline_kernelINS0_14default_configENS1_25partition_config_selectorILNS1_17partition_subalgoE8EhNS0_10empty_typeEbEEZZNS1_14partition_implILS5_8ELb0ES3_jPKhPS6_PKS6_NS0_5tupleIJPhS6_EEENSE_IJSB_SB_EEENS0_18inequality_wrapperIN6hipcub16HIPCUB_304000_NS8EqualityEEEPlJS6_EEE10hipError_tPvRmT3_T4_T5_T6_T7_T9_mT8_P12ihipStream_tbDpT10_ENKUlT_T0_E_clISt17integral_constantIbLb0EES16_IbLb1EEEEDaS12_S13_EUlS12_E_NS1_11comp_targetILNS1_3genE4ELNS1_11target_archE910ELNS1_3gpuE8ELNS1_3repE0EEENS1_30default_config_static_selectorELNS0_4arch9wavefront6targetE1EEEvT1_
; %bb.0:
	s_load_dwordx2 s[24:25], s[4:5], 0x28
	s_load_dwordx4 s[20:23], s[4:5], 0x40
	s_load_dwordx2 s[6:7], s[4:5], 0x50
	s_load_dwordx2 s[26:27], s[4:5], 0x60
	v_cmp_ne_u32_e64 s[2:3], 0, v0
	v_cmp_eq_u32_e64 s[0:1], 0, v0
	s_and_saveexec_b64 s[8:9], s[0:1]
	s_cbranch_execz .LBB160_4
; %bb.1:
	s_mov_b64 s[12:13], exec
	v_mbcnt_lo_u32_b32 v1, s12, 0
	v_mbcnt_hi_u32_b32 v1, s13, v1
	v_cmp_eq_u32_e32 vcc, 0, v1
                                        ; implicit-def: $vgpr2
	s_and_saveexec_b64 s[10:11], vcc
	s_cbranch_execz .LBB160_3
; %bb.2:
	s_load_dwordx2 s[14:15], s[4:5], 0x70
	s_bcnt1_i32_b64 s12, s[12:13]
	v_mov_b32_e32 v2, 0
	v_mov_b32_e32 v3, s12
	s_waitcnt lgkmcnt(0)
	global_atomic_add v2, v2, v3, s[14:15] glc
.LBB160_3:
	s_or_b64 exec, exec, s[10:11]
	s_waitcnt vmcnt(0)
	v_readfirstlane_b32 s10, v2
	v_add_u32_e32 v1, s10, v1
	v_mov_b32_e32 v2, 0
	ds_write_b32 v2, v1
.LBB160_4:
	s_or_b64 exec, exec, s[8:9]
	v_mov_b32_e32 v1, 0
	s_load_dwordx4 s[8:11], s[4:5], 0x8
	s_load_dword s14, s[4:5], 0x68
	s_waitcnt lgkmcnt(0)
	s_barrier
	ds_read_b32 v6, v1
	s_waitcnt lgkmcnt(0)
	s_barrier
	global_load_dwordx2 v[2:3], v1, s[22:23]
	s_add_u32 s8, s8, s10
	s_addc_u32 s4, s9, s11
	s_add_i32 s9, s14, -1
	v_mov_b32_e32 v5, s7
	s_lshl_b32 s7, s9, 12
	s_lshl_b32 s5, s14, 12
	s_add_i32 s7, s10, s7
	v_mov_b32_e32 v1, s4
	s_add_u32 s4, s10, s5
	v_mov_b32_e32 v4, s6
	s_addc_u32 s5, s11, 0
	v_readfirstlane_b32 s55, v6
	v_lshlrev_b32_e32 v6, 12, v6
	v_cmp_ge_u64_e32 vcc, s[4:5], v[4:5]
	s_cmp_eq_u32 s55, s9
	v_add_co_u32_e64 v10, s[4:5], s8, v6
	v_addc_co_u32_e64 v11, s[4:5], 0, v1, s[4:5]
	s_cselect_b64 s[18:19], -1, 0
	s_and_b64 s[4:5], vcc, s[18:19]
	s_xor_b64 s[22:23], s[4:5], -1
	s_mov_b64 s[12:13], -1
	s_and_b64 vcc, exec, s[22:23]
	s_waitcnt vmcnt(0)
	v_readfirstlane_b32 s33, v2
	v_readfirstlane_b32 s54, v3
	s_cbranch_vccz .LBB160_6
; %bb.5:
	v_readfirstlane_b32 s8, v10
	v_readfirstlane_b32 s9, v11
	s_nop 4
	global_load_ubyte v1, v0, s[8:9]
	global_load_ubyte v2, v0, s[8:9] offset:128
	global_load_ubyte v3, v0, s[8:9] offset:256
	;; [unrolled: 1-line block ×31, first 2 shown]
	s_mov_b64 s[12:13], 0
	s_waitcnt vmcnt(31)
	ds_write_b8 v0, v1
	s_waitcnt vmcnt(30)
	ds_write_b8 v0, v2 offset:132
	s_waitcnt vmcnt(29)
	ds_write_b8 v0, v3 offset:264
	;; [unrolled: 2-line block ×31, first 2 shown]
	s_waitcnt lgkmcnt(0)
	s_barrier
.LBB160_6:
	s_andn2_b64 vcc, exec, s[12:13]
	s_sub_i32 s56, s6, s7
	s_cbranch_vccnz .LBB160_72
; %bb.7:
	v_cmp_gt_u32_e32 vcc, s56, v0
                                        ; implicit-def: $vgpr1
	s_and_saveexec_b64 s[6:7], vcc
	s_cbranch_execz .LBB160_9
; %bb.8:
	v_readfirstlane_b32 s8, v10
	v_readfirstlane_b32 s9, v11
	s_nop 4
	global_load_ubyte v1, v0, s[8:9]
.LBB160_9:
	s_or_b64 exec, exec, s[6:7]
	v_or_b32_e32 v2, 0x80, v0
	v_cmp_gt_u32_e32 vcc, s56, v2
                                        ; implicit-def: $vgpr3
	s_and_saveexec_b64 s[6:7], vcc
	s_cbranch_execz .LBB160_11
; %bb.10:
	v_readfirstlane_b32 s8, v10
	v_readfirstlane_b32 s9, v11
	s_nop 4
	global_load_ubyte v3, v0, s[8:9] offset:128
.LBB160_11:
	s_or_b64 exec, exec, s[6:7]
	v_or_b32_e32 v4, 0x100, v0
	v_cmp_gt_u32_e32 vcc, s56, v4
                                        ; implicit-def: $vgpr5
	s_and_saveexec_b64 s[6:7], vcc
	s_cbranch_execz .LBB160_13
; %bb.12:
	v_readfirstlane_b32 s8, v10
	v_readfirstlane_b32 s9, v11
	s_nop 4
	global_load_ubyte v5, v0, s[8:9] offset:256
.LBB160_13:
	s_or_b64 exec, exec, s[6:7]
	v_or_b32_e32 v6, 0x180, v0
	v_cmp_gt_u32_e32 vcc, s56, v6
                                        ; implicit-def: $vgpr7
	s_and_saveexec_b64 s[6:7], vcc
	s_cbranch_execz .LBB160_15
; %bb.14:
	v_readfirstlane_b32 s8, v10
	v_readfirstlane_b32 s9, v11
	s_nop 4
	global_load_ubyte v7, v0, s[8:9] offset:384
.LBB160_15:
	s_or_b64 exec, exec, s[6:7]
	v_or_b32_e32 v8, 0x200, v0
	v_cmp_gt_u32_e32 vcc, s56, v8
                                        ; implicit-def: $vgpr9
	s_and_saveexec_b64 s[6:7], vcc
	s_cbranch_execz .LBB160_17
; %bb.16:
	v_readfirstlane_b32 s8, v10
	v_readfirstlane_b32 s9, v11
	s_nop 4
	global_load_ubyte v9, v0, s[8:9] offset:512
.LBB160_17:
	s_or_b64 exec, exec, s[6:7]
	v_or_b32_e32 v12, 0x280, v0
	v_cmp_gt_u32_e32 vcc, s56, v12
                                        ; implicit-def: $vgpr13
	s_and_saveexec_b64 s[6:7], vcc
	s_cbranch_execz .LBB160_19
; %bb.18:
	v_readfirstlane_b32 s8, v10
	v_readfirstlane_b32 s9, v11
	s_nop 4
	global_load_ubyte v13, v0, s[8:9] offset:640
.LBB160_19:
	s_or_b64 exec, exec, s[6:7]
	v_or_b32_e32 v14, 0x300, v0
	v_cmp_gt_u32_e32 vcc, s56, v14
                                        ; implicit-def: $vgpr15
	s_and_saveexec_b64 s[6:7], vcc
	s_cbranch_execz .LBB160_21
; %bb.20:
	v_readfirstlane_b32 s8, v10
	v_readfirstlane_b32 s9, v11
	s_nop 4
	global_load_ubyte v15, v0, s[8:9] offset:768
.LBB160_21:
	s_or_b64 exec, exec, s[6:7]
	v_or_b32_e32 v16, 0x380, v0
	v_cmp_gt_u32_e32 vcc, s56, v16
                                        ; implicit-def: $vgpr17
	s_and_saveexec_b64 s[6:7], vcc
	s_cbranch_execz .LBB160_23
; %bb.22:
	v_readfirstlane_b32 s8, v10
	v_readfirstlane_b32 s9, v11
	s_nop 4
	global_load_ubyte v17, v0, s[8:9] offset:896
.LBB160_23:
	s_or_b64 exec, exec, s[6:7]
	v_or_b32_e32 v18, 0x400, v0
	v_cmp_gt_u32_e32 vcc, s56, v18
                                        ; implicit-def: $vgpr19
	s_and_saveexec_b64 s[6:7], vcc
	s_cbranch_execz .LBB160_25
; %bb.24:
	v_readfirstlane_b32 s8, v10
	v_readfirstlane_b32 s9, v11
	s_nop 4
	global_load_ubyte v19, v0, s[8:9] offset:1024
.LBB160_25:
	s_or_b64 exec, exec, s[6:7]
	v_or_b32_e32 v20, 0x480, v0
	v_cmp_gt_u32_e32 vcc, s56, v20
                                        ; implicit-def: $vgpr21
	s_and_saveexec_b64 s[6:7], vcc
	s_cbranch_execz .LBB160_27
; %bb.26:
	v_readfirstlane_b32 s8, v10
	v_readfirstlane_b32 s9, v11
	s_nop 4
	global_load_ubyte v21, v0, s[8:9] offset:1152
.LBB160_27:
	s_or_b64 exec, exec, s[6:7]
	v_or_b32_e32 v22, 0x500, v0
	v_cmp_gt_u32_e32 vcc, s56, v22
                                        ; implicit-def: $vgpr23
	s_and_saveexec_b64 s[6:7], vcc
	s_cbranch_execz .LBB160_29
; %bb.28:
	v_readfirstlane_b32 s8, v10
	v_readfirstlane_b32 s9, v11
	s_nop 4
	global_load_ubyte v23, v0, s[8:9] offset:1280
.LBB160_29:
	s_or_b64 exec, exec, s[6:7]
	v_or_b32_e32 v24, 0x580, v0
	v_cmp_gt_u32_e32 vcc, s56, v24
                                        ; implicit-def: $vgpr25
	s_and_saveexec_b64 s[6:7], vcc
	s_cbranch_execz .LBB160_31
; %bb.30:
	v_readfirstlane_b32 s8, v10
	v_readfirstlane_b32 s9, v11
	s_nop 4
	global_load_ubyte v25, v0, s[8:9] offset:1408
.LBB160_31:
	s_or_b64 exec, exec, s[6:7]
	v_or_b32_e32 v26, 0x600, v0
	v_cmp_gt_u32_e32 vcc, s56, v26
                                        ; implicit-def: $vgpr27
	s_and_saveexec_b64 s[6:7], vcc
	s_cbranch_execz .LBB160_33
; %bb.32:
	v_readfirstlane_b32 s8, v10
	v_readfirstlane_b32 s9, v11
	s_nop 4
	global_load_ubyte v27, v0, s[8:9] offset:1536
.LBB160_33:
	s_or_b64 exec, exec, s[6:7]
	v_or_b32_e32 v28, 0x680, v0
	v_cmp_gt_u32_e32 vcc, s56, v28
                                        ; implicit-def: $vgpr29
	s_and_saveexec_b64 s[6:7], vcc
	s_cbranch_execz .LBB160_35
; %bb.34:
	v_readfirstlane_b32 s8, v10
	v_readfirstlane_b32 s9, v11
	s_nop 4
	global_load_ubyte v29, v0, s[8:9] offset:1664
.LBB160_35:
	s_or_b64 exec, exec, s[6:7]
	v_or_b32_e32 v30, 0x700, v0
	v_cmp_gt_u32_e32 vcc, s56, v30
                                        ; implicit-def: $vgpr31
	s_and_saveexec_b64 s[6:7], vcc
	s_cbranch_execz .LBB160_37
; %bb.36:
	v_readfirstlane_b32 s8, v10
	v_readfirstlane_b32 s9, v11
	s_nop 4
	global_load_ubyte v31, v0, s[8:9] offset:1792
.LBB160_37:
	s_or_b64 exec, exec, s[6:7]
	v_or_b32_e32 v32, 0x780, v0
	v_cmp_gt_u32_e32 vcc, s56, v32
                                        ; implicit-def: $vgpr33
	s_and_saveexec_b64 s[6:7], vcc
	s_cbranch_execz .LBB160_39
; %bb.38:
	v_readfirstlane_b32 s8, v10
	v_readfirstlane_b32 s9, v11
	s_nop 4
	global_load_ubyte v33, v0, s[8:9] offset:1920
.LBB160_39:
	s_or_b64 exec, exec, s[6:7]
	v_or_b32_e32 v34, 0x800, v0
	v_cmp_gt_u32_e32 vcc, s56, v34
                                        ; implicit-def: $vgpr35
	s_and_saveexec_b64 s[6:7], vcc
	s_cbranch_execz .LBB160_41
; %bb.40:
	v_readfirstlane_b32 s8, v10
	v_readfirstlane_b32 s9, v11
	s_nop 4
	global_load_ubyte v35, v0, s[8:9] offset:2048
.LBB160_41:
	s_or_b64 exec, exec, s[6:7]
	v_or_b32_e32 v36, 0x880, v0
	v_cmp_gt_u32_e32 vcc, s56, v36
                                        ; implicit-def: $vgpr37
	s_and_saveexec_b64 s[6:7], vcc
	s_cbranch_execz .LBB160_43
; %bb.42:
	v_readfirstlane_b32 s8, v10
	v_readfirstlane_b32 s9, v11
	s_nop 4
	global_load_ubyte v37, v0, s[8:9] offset:2176
.LBB160_43:
	s_or_b64 exec, exec, s[6:7]
	v_or_b32_e32 v38, 0x900, v0
	v_cmp_gt_u32_e32 vcc, s56, v38
                                        ; implicit-def: $vgpr39
	s_and_saveexec_b64 s[6:7], vcc
	s_cbranch_execz .LBB160_45
; %bb.44:
	v_readfirstlane_b32 s8, v10
	v_readfirstlane_b32 s9, v11
	s_nop 4
	global_load_ubyte v39, v0, s[8:9] offset:2304
.LBB160_45:
	s_or_b64 exec, exec, s[6:7]
	v_or_b32_e32 v40, 0x980, v0
	v_cmp_gt_u32_e32 vcc, s56, v40
                                        ; implicit-def: $vgpr41
	s_and_saveexec_b64 s[6:7], vcc
	s_cbranch_execz .LBB160_47
; %bb.46:
	v_readfirstlane_b32 s8, v10
	v_readfirstlane_b32 s9, v11
	s_nop 4
	global_load_ubyte v41, v0, s[8:9] offset:2432
.LBB160_47:
	s_or_b64 exec, exec, s[6:7]
	v_or_b32_e32 v42, 0xa00, v0
	v_cmp_gt_u32_e32 vcc, s56, v42
                                        ; implicit-def: $vgpr43
	s_and_saveexec_b64 s[6:7], vcc
	s_cbranch_execz .LBB160_49
; %bb.48:
	v_readfirstlane_b32 s8, v10
	v_readfirstlane_b32 s9, v11
	s_nop 4
	global_load_ubyte v43, v0, s[8:9] offset:2560
.LBB160_49:
	s_or_b64 exec, exec, s[6:7]
	v_or_b32_e32 v44, 0xa80, v0
	v_cmp_gt_u32_e32 vcc, s56, v44
                                        ; implicit-def: $vgpr45
	s_and_saveexec_b64 s[6:7], vcc
	s_cbranch_execz .LBB160_51
; %bb.50:
	v_readfirstlane_b32 s8, v10
	v_readfirstlane_b32 s9, v11
	s_nop 4
	global_load_ubyte v45, v0, s[8:9] offset:2688
.LBB160_51:
	s_or_b64 exec, exec, s[6:7]
	v_or_b32_e32 v46, 0xb00, v0
	v_cmp_gt_u32_e32 vcc, s56, v46
                                        ; implicit-def: $vgpr47
	s_and_saveexec_b64 s[6:7], vcc
	s_cbranch_execz .LBB160_53
; %bb.52:
	v_readfirstlane_b32 s8, v10
	v_readfirstlane_b32 s9, v11
	s_nop 4
	global_load_ubyte v47, v0, s[8:9] offset:2816
.LBB160_53:
	s_or_b64 exec, exec, s[6:7]
	v_or_b32_e32 v48, 0xb80, v0
	v_cmp_gt_u32_e32 vcc, s56, v48
                                        ; implicit-def: $vgpr49
	s_and_saveexec_b64 s[6:7], vcc
	s_cbranch_execz .LBB160_55
; %bb.54:
	v_readfirstlane_b32 s8, v10
	v_readfirstlane_b32 s9, v11
	s_nop 4
	global_load_ubyte v49, v0, s[8:9] offset:2944
.LBB160_55:
	s_or_b64 exec, exec, s[6:7]
	v_or_b32_e32 v50, 0xc00, v0
	v_cmp_gt_u32_e32 vcc, s56, v50
                                        ; implicit-def: $vgpr51
	s_and_saveexec_b64 s[6:7], vcc
	s_cbranch_execz .LBB160_57
; %bb.56:
	v_readfirstlane_b32 s8, v10
	v_readfirstlane_b32 s9, v11
	s_nop 4
	global_load_ubyte v51, v0, s[8:9] offset:3072
.LBB160_57:
	s_or_b64 exec, exec, s[6:7]
	v_or_b32_e32 v52, 0xc80, v0
	v_cmp_gt_u32_e32 vcc, s56, v52
                                        ; implicit-def: $vgpr53
	s_and_saveexec_b64 s[6:7], vcc
	s_cbranch_execz .LBB160_59
; %bb.58:
	v_readfirstlane_b32 s8, v10
	v_readfirstlane_b32 s9, v11
	s_nop 4
	global_load_ubyte v53, v0, s[8:9] offset:3200
.LBB160_59:
	s_or_b64 exec, exec, s[6:7]
	v_or_b32_e32 v54, 0xd00, v0
	v_cmp_gt_u32_e32 vcc, s56, v54
                                        ; implicit-def: $vgpr55
	s_and_saveexec_b64 s[6:7], vcc
	s_cbranch_execz .LBB160_61
; %bb.60:
	v_readfirstlane_b32 s8, v10
	v_readfirstlane_b32 s9, v11
	s_nop 4
	global_load_ubyte v55, v0, s[8:9] offset:3328
.LBB160_61:
	s_or_b64 exec, exec, s[6:7]
	v_or_b32_e32 v56, 0xd80, v0
	v_cmp_gt_u32_e32 vcc, s56, v56
                                        ; implicit-def: $vgpr57
	s_and_saveexec_b64 s[6:7], vcc
	s_cbranch_execz .LBB160_63
; %bb.62:
	v_readfirstlane_b32 s8, v10
	v_readfirstlane_b32 s9, v11
	s_nop 4
	global_load_ubyte v57, v0, s[8:9] offset:3456
.LBB160_63:
	s_or_b64 exec, exec, s[6:7]
	v_or_b32_e32 v58, 0xe00, v0
	v_cmp_gt_u32_e32 vcc, s56, v58
                                        ; implicit-def: $vgpr59
	s_and_saveexec_b64 s[6:7], vcc
	s_cbranch_execz .LBB160_65
; %bb.64:
	v_readfirstlane_b32 s8, v10
	v_readfirstlane_b32 s9, v11
	s_nop 4
	global_load_ubyte v59, v0, s[8:9] offset:3584
.LBB160_65:
	s_or_b64 exec, exec, s[6:7]
	v_or_b32_e32 v60, 0xe80, v0
	v_cmp_gt_u32_e32 vcc, s56, v60
                                        ; implicit-def: $vgpr61
	s_and_saveexec_b64 s[6:7], vcc
	s_cbranch_execz .LBB160_67
; %bb.66:
	v_readfirstlane_b32 s8, v10
	v_readfirstlane_b32 s9, v11
	s_nop 4
	global_load_ubyte v61, v0, s[8:9] offset:3712
.LBB160_67:
	s_or_b64 exec, exec, s[6:7]
	v_or_b32_e32 v62, 0xf00, v0
	v_cmp_gt_u32_e32 vcc, s56, v62
                                        ; implicit-def: $vgpr63
	s_and_saveexec_b64 s[6:7], vcc
	s_cbranch_execz .LBB160_69
; %bb.68:
	v_readfirstlane_b32 s8, v10
	v_readfirstlane_b32 s9, v11
	s_nop 4
	global_load_ubyte v63, v0, s[8:9] offset:3840
.LBB160_69:
	s_or_b64 exec, exec, s[6:7]
	v_or_b32_e32 v64, 0xf80, v0
	v_cmp_gt_u32_e32 vcc, s56, v64
                                        ; implicit-def: $vgpr65
	s_and_saveexec_b64 s[6:7], vcc
	s_cbranch_execz .LBB160_71
; %bb.70:
	v_readfirstlane_b32 s8, v10
	v_readfirstlane_b32 s9, v11
	s_nop 4
	global_load_ubyte v65, v0, s[8:9] offset:3968
.LBB160_71:
	s_or_b64 exec, exec, s[6:7]
	s_waitcnt vmcnt(0)
	ds_write_b8 v0, v1
	v_lshrrev_b32_e32 v1, 5, v2
	v_and_b32_e32 v1, 4, v1
	v_add_u32_e32 v1, v0, v1
	ds_write_b8 v1, v3 offset:128
	v_lshrrev_b32_e32 v1, 5, v4
	v_and_b32_e32 v1, 12, v1
	v_add_u32_e32 v1, v0, v1
	ds_write_b8 v1, v5 offset:256
	;; [unrolled: 4-line block ×31, first 2 shown]
	s_waitcnt lgkmcnt(0)
	s_barrier
.LBB160_72:
	v_lshlrev_b32_e32 v12, 5, v0
	v_and_b32_e32 v1, 0x7c, v0
	v_add_u32_e32 v1, v1, v12
	ds_read2_b32 v[2:3], v1 offset0:6 offset1:7
	ds_read2_b32 v[8:9], v1 offset1:1
	ds_read2_b32 v[6:7], v1 offset0:2 offset1:3
	ds_read2_b32 v[4:5], v1 offset0:4 offset1:5
	s_cmp_lg_u32 s55, 0
	s_cselect_b64 s[16:17], -1, 0
	s_cmp_lg_u64 s[10:11], 0
	s_cselect_b64 s[8:9], -1, 0
	s_or_b64 s[8:9], s[8:9], s[16:17]
	s_waitcnt lgkmcnt(3)
	v_lshrrev_b32_e32 v24, 8, v2
	v_lshrrev_b32_e32 v23, 16, v2
	v_lshrrev_b32_e32 v22, 24, v2
	v_lshrrev_b32_e32 v21, 8, v3
	v_lshrrev_b32_e32 v20, 16, v3
	v_lshrrev_b32_e32 v1, 24, v3
	s_waitcnt lgkmcnt(2)
	v_lshrrev_b32_e32 v49, 8, v8
	v_lshrrev_b32_e32 v47, 16, v8
	v_lshrrev_b32_e32 v46, 24, v8
	v_lshrrev_b32_e32 v44, 8, v9
	v_lshrrev_b32_e32 v42, 16, v9
	v_lshrrev_b32_e32 v41, 24, v9
	s_waitcnt lgkmcnt(1)
	v_lshrrev_b32_e32 v39, 8, v6
	v_lshrrev_b32_e32 v37, 16, v6
	v_lshrrev_b32_e32 v36, 24, v6
	v_lshrrev_b32_e32 v34, 8, v7
	v_lshrrev_b32_e32 v32, 16, v7
	v_lshrrev_b32_e32 v31, 24, v7
	s_waitcnt lgkmcnt(0)
	v_lshrrev_b32_e32 v30, 8, v4
	v_lshrrev_b32_e32 v29, 16, v4
	v_lshrrev_b32_e32 v28, 24, v4
	v_lshrrev_b32_e32 v27, 8, v5
	v_lshrrev_b32_e32 v26, 16, v5
	v_lshrrev_b32_e32 v25, 24, v5
	s_mov_b64 s[6:7], 0
	s_and_b64 vcc, exec, s[8:9]
	s_barrier
	s_cbranch_vccz .LBB160_77
; %bb.73:
	global_load_ubyte v10, v[10:11], off offset:-1
	s_and_b64 vcc, exec, s[22:23]
	ds_write_b8 v0, v1
	s_cbranch_vccz .LBB160_79
; %bb.74:
	s_waitcnt vmcnt(0)
	v_mov_b32_e32 v11, v10
	s_waitcnt lgkmcnt(0)
	s_barrier
	s_and_saveexec_b64 s[6:7], s[2:3]
	s_cbranch_execz .LBB160_76
; %bb.75:
	v_add_u32_e32 v11, -1, v0
	ds_read_u8 v11, v11
.LBB160_76:
	s_or_b64 exec, exec, s[6:7]
	v_cmp_ne_u16_sdwa s[6:7], v20, v1 src0_sel:BYTE_0 src1_sel:DWORD
	v_cndmask_b32_e64 v33, 0, 1, s[6:7]
	v_cmp_ne_u16_sdwa s[6:7], v21, v20 src0_sel:BYTE_0 src1_sel:BYTE_0
	v_cndmask_b32_e64 v35, 0, 1, s[6:7]
	v_cmp_ne_u16_sdwa s[6:7], v3, v21 src0_sel:BYTE_0 src1_sel:BYTE_0
	v_cndmask_b32_e64 v38, 0, 1, s[6:7]
	v_cmp_ne_u16_sdwa s[6:7], v22, v3 src0_sel:DWORD src1_sel:BYTE_0
	v_cndmask_b32_e64 v40, 0, 1, s[6:7]
	v_cmp_ne_u16_sdwa s[6:7], v23, v22 src0_sel:BYTE_0 src1_sel:DWORD
	v_cndmask_b32_e64 v43, 0, 1, s[6:7]
	v_cmp_ne_u16_sdwa s[6:7], v24, v23 src0_sel:BYTE_0 src1_sel:BYTE_0
	v_cndmask_b32_e64 v45, 0, 1, s[6:7]
	v_cmp_ne_u16_sdwa s[6:7], v2, v24 src0_sel:BYTE_0 src1_sel:BYTE_0
	v_cndmask_b32_e64 v48, 0, 1, s[6:7]
	v_cmp_ne_u16_sdwa s[6:7], v25, v2 src0_sel:DWORD src1_sel:BYTE_0
	v_cndmask_b32_e64 v50, 0, 1, s[6:7]
	;; [unrolled: 8-line block ×7, first 2 shown]
	v_cmp_ne_u16_sdwa s[6:7], v47, v46 src0_sel:BYTE_0 src1_sel:DWORD
	v_cndmask_b32_e64 v71, 0, 1, s[6:7]
	v_cmp_ne_u16_sdwa s[6:7], v49, v47 src0_sel:BYTE_0 src1_sel:BYTE_0
	v_cndmask_b32_e64 v72, 0, 1, s[6:7]
	v_cmp_ne_u16_sdwa s[6:7], v8, v49 src0_sel:BYTE_0 src1_sel:BYTE_0
	v_cndmask_b32_e64 v73, 0, 1, s[6:7]
	s_waitcnt lgkmcnt(0)
	v_cmp_ne_u16_sdwa s[8:9], v11, v8 src0_sel:BYTE_0 src1_sel:BYTE_0
	s_branch .LBB160_83
.LBB160_77:
                                        ; implicit-def: $sgpr8_sgpr9
                                        ; implicit-def: $vgpr73
                                        ; implicit-def: $vgpr72
                                        ; implicit-def: $vgpr71
                                        ; implicit-def: $vgpr70
                                        ; implicit-def: $vgpr69
                                        ; implicit-def: $vgpr68
                                        ; implicit-def: $vgpr67
                                        ; implicit-def: $vgpr66
                                        ; implicit-def: $vgpr65
                                        ; implicit-def: $vgpr64
                                        ; implicit-def: $vgpr63
                                        ; implicit-def: $vgpr62
                                        ; implicit-def: $vgpr61
                                        ; implicit-def: $vgpr60
                                        ; implicit-def: $vgpr59
                                        ; implicit-def: $vgpr58
                                        ; implicit-def: $vgpr57
                                        ; implicit-def: $vgpr56
                                        ; implicit-def: $vgpr55
                                        ; implicit-def: $vgpr54
                                        ; implicit-def: $vgpr53
                                        ; implicit-def: $vgpr52
                                        ; implicit-def: $vgpr51
                                        ; implicit-def: $vgpr50
                                        ; implicit-def: $vgpr48
                                        ; implicit-def: $vgpr45
                                        ; implicit-def: $vgpr43
                                        ; implicit-def: $vgpr40
                                        ; implicit-def: $vgpr38
                                        ; implicit-def: $vgpr35
                                        ; implicit-def: $vgpr33
	s_branch .LBB160_84
.LBB160_78:
                                        ; implicit-def: $sgpr12
	v_mov_b32_e32 v74, s12
	s_and_saveexec_b64 s[2:3], s[6:7]
	s_cbranch_execnz .LBB160_92
	s_branch .LBB160_93
.LBB160_79:
                                        ; implicit-def: $sgpr8_sgpr9
                                        ; implicit-def: $vgpr73
                                        ; implicit-def: $vgpr72
                                        ; implicit-def: $vgpr71
                                        ; implicit-def: $vgpr70
                                        ; implicit-def: $vgpr69
                                        ; implicit-def: $vgpr68
                                        ; implicit-def: $vgpr67
                                        ; implicit-def: $vgpr66
                                        ; implicit-def: $vgpr65
                                        ; implicit-def: $vgpr64
                                        ; implicit-def: $vgpr63
                                        ; implicit-def: $vgpr62
                                        ; implicit-def: $vgpr61
                                        ; implicit-def: $vgpr60
                                        ; implicit-def: $vgpr59
                                        ; implicit-def: $vgpr58
                                        ; implicit-def: $vgpr57
                                        ; implicit-def: $vgpr56
                                        ; implicit-def: $vgpr55
                                        ; implicit-def: $vgpr54
                                        ; implicit-def: $vgpr53
                                        ; implicit-def: $vgpr52
                                        ; implicit-def: $vgpr51
                                        ; implicit-def: $vgpr50
                                        ; implicit-def: $vgpr48
                                        ; implicit-def: $vgpr45
                                        ; implicit-def: $vgpr43
                                        ; implicit-def: $vgpr40
                                        ; implicit-def: $vgpr38
                                        ; implicit-def: $vgpr35
                                        ; implicit-def: $vgpr33
	s_cbranch_execz .LBB160_83
; %bb.80:
	s_waitcnt lgkmcnt(0)
	s_barrier
	s_and_saveexec_b64 s[6:7], s[2:3]
	s_cbranch_execz .LBB160_82
; %bb.81:
	s_waitcnt vmcnt(0)
	v_add_u32_e32 v10, -1, v0
	ds_read_u8 v10, v10
.LBB160_82:
	s_or_b64 exec, exec, s[6:7]
	v_or_b32_e32 v11, 31, v12
	v_cmp_gt_u32_e32 vcc, s56, v11
	v_cmp_ne_u16_sdwa s[6:7], v20, v1 src0_sel:BYTE_0 src1_sel:BYTE_0
	s_and_b64 s[6:7], vcc, s[6:7]
	v_or_b32_e32 v11, 30, v12
	v_cndmask_b32_e64 v33, 0, 1, s[6:7]
	v_cmp_gt_u32_e32 vcc, s56, v11
	v_cmp_ne_u16_sdwa s[6:7], v21, v20 src0_sel:BYTE_0 src1_sel:BYTE_0
	s_and_b64 s[6:7], vcc, s[6:7]
	v_or_b32_e32 v11, 29, v12
	v_cndmask_b32_e64 v35, 0, 1, s[6:7]
	;; [unrolled: 5-line block ×30, first 2 shown]
	v_cmp_gt_u32_e32 vcc, s56, v11
	v_cmp_ne_u16_sdwa s[6:7], v8, v49 src0_sel:BYTE_0 src1_sel:BYTE_0
	s_and_b64 s[6:7], vcc, s[6:7]
	v_cndmask_b32_e64 v73, 0, 1, s[6:7]
	v_cmp_gt_u32_e32 vcc, s56, v12
	s_waitcnt vmcnt(0) lgkmcnt(0)
	v_cmp_ne_u16_sdwa s[6:7], v10, v8 src0_sel:BYTE_0 src1_sel:BYTE_0
	s_and_b64 s[8:9], vcc, s[6:7]
.LBB160_83:
	s_mov_b64 s[6:7], -1
	s_cbranch_execnz .LBB160_78
.LBB160_84:
	s_and_b64 vcc, exec, s[22:23]
	v_cmp_ne_u16_sdwa s[50:51], v21, v20 src0_sel:BYTE_0 src1_sel:BYTE_0
	v_cmp_ne_u16_sdwa s[52:53], v3, v21 src0_sel:BYTE_0 src1_sel:BYTE_0
	;; [unrolled: 1-line block ×16, first 2 shown]
	ds_write_b8 v0, v1
	s_cbranch_vccz .LBB160_88
; %bb.85:
	v_cndmask_b32_e64 v35, 0, 1, s[50:51]
	v_cmp_ne_u16_sdwa s[50:51], v22, v3 src0_sel:DWORD src1_sel:BYTE_0
	v_cndmask_b32_e64 v45, 0, 1, s[46:47]
	v_cmp_ne_u16_sdwa s[46:47], v25, v2 src0_sel:DWORD src1_sel:BYTE_0
	;; [unrolled: 2-line block ×7, first 2 shown]
	v_cmp_ne_u16_sdwa s[58:59], v20, v1 src0_sel:BYTE_0 src1_sel:DWORD
	v_cndmask_b32_e64 v40, 0, 1, s[50:51]
	v_cmp_ne_u16_sdwa s[50:51], v23, v22 src0_sel:BYTE_0 src1_sel:DWORD
	v_cndmask_b32_e64 v50, 0, 1, s[46:47]
	;; [unrolled: 2-line block ×8, first 2 shown]
	v_cndmask_b32_e64 v38, 0, 1, s[52:53]
	v_cndmask_b32_e64 v43, 0, 1, s[50:51]
	;; [unrolled: 1-line block ×16, first 2 shown]
	s_waitcnt lgkmcnt(0)
	s_barrier
	s_waitcnt lgkmcnt(0)
                                        ; implicit-def: $sgpr8_sgpr9
	s_and_saveexec_b64 s[10:11], s[2:3]
	s_xor_b64 s[10:11], exec, s[10:11]
	s_cbranch_execz .LBB160_87
; %bb.86:
	s_waitcnt vmcnt(0)
	v_add_u32_e32 v10, -1, v0
	ds_read_u8 v10, v10
	s_or_b64 s[6:7], s[6:7], exec
	s_waitcnt lgkmcnt(0)
	v_cmp_ne_u16_sdwa s[8:9], v10, v8 src0_sel:DWORD src1_sel:BYTE_0
	s_and_b64 s[8:9], s[8:9], exec
.LBB160_87:
	s_or_b64 exec, exec, s[10:11]
	s_mov_b32 s12, 1
	s_branch .LBB160_91
.LBB160_88:
                                        ; implicit-def: $sgpr8_sgpr9
                                        ; implicit-def: $vgpr73
                                        ; implicit-def: $vgpr72
                                        ; implicit-def: $vgpr71
                                        ; implicit-def: $vgpr70
                                        ; implicit-def: $vgpr69
                                        ; implicit-def: $vgpr68
                                        ; implicit-def: $vgpr67
                                        ; implicit-def: $vgpr66
                                        ; implicit-def: $vgpr65
                                        ; implicit-def: $vgpr64
                                        ; implicit-def: $vgpr63
                                        ; implicit-def: $vgpr62
                                        ; implicit-def: $vgpr61
                                        ; implicit-def: $vgpr60
                                        ; implicit-def: $vgpr59
                                        ; implicit-def: $vgpr58
                                        ; implicit-def: $vgpr57
                                        ; implicit-def: $vgpr56
                                        ; implicit-def: $vgpr55
                                        ; implicit-def: $vgpr54
                                        ; implicit-def: $vgpr53
                                        ; implicit-def: $vgpr52
                                        ; implicit-def: $vgpr51
                                        ; implicit-def: $vgpr50
                                        ; implicit-def: $vgpr48
                                        ; implicit-def: $vgpr45
                                        ; implicit-def: $vgpr43
                                        ; implicit-def: $vgpr40
                                        ; implicit-def: $vgpr38
                                        ; implicit-def: $vgpr35
                                        ; implicit-def: $vgpr33
                                        ; implicit-def: $sgpr12
	s_cbranch_execz .LBB160_91
; %bb.89:
	s_waitcnt vmcnt(0)
	v_or_b32_e32 v10, 31, v12
	v_cmp_gt_u32_e32 vcc, s56, v10
	v_cmp_ne_u16_sdwa s[8:9], v20, v1 src0_sel:BYTE_0 src1_sel:BYTE_0
	s_and_b64 s[8:9], vcc, s[8:9]
	v_or_b32_e32 v10, 30, v12
	v_cndmask_b32_e64 v33, 0, 1, s[8:9]
	v_cmp_gt_u32_e32 vcc, s56, v10
	v_cmp_ne_u16_sdwa s[8:9], v21, v20 src0_sel:BYTE_0 src1_sel:BYTE_0
	s_and_b64 s[8:9], vcc, s[8:9]
	v_or_b32_e32 v10, 29, v12
	v_cndmask_b32_e64 v35, 0, 1, s[8:9]
	v_cmp_gt_u32_e32 vcc, s56, v10
	v_cmp_ne_u16_sdwa s[8:9], v3, v21 src0_sel:BYTE_0 src1_sel:BYTE_0
	s_and_b64 s[8:9], vcc, s[8:9]
	v_or_b32_e32 v10, 28, v12
	v_cndmask_b32_e64 v38, 0, 1, s[8:9]
	v_cmp_gt_u32_e32 vcc, s56, v10
	v_cmp_ne_u16_sdwa s[8:9], v22, v3 src0_sel:BYTE_0 src1_sel:BYTE_0
	s_and_b64 s[8:9], vcc, s[8:9]
	v_or_b32_e32 v10, 27, v12
	v_cndmask_b32_e64 v40, 0, 1, s[8:9]
	v_cmp_gt_u32_e32 vcc, s56, v10
	v_cmp_ne_u16_sdwa s[8:9], v23, v22 src0_sel:BYTE_0 src1_sel:BYTE_0
	s_and_b64 s[8:9], vcc, s[8:9]
	v_or_b32_e32 v10, 26, v12
	v_cndmask_b32_e64 v43, 0, 1, s[8:9]
	v_cmp_gt_u32_e32 vcc, s56, v10
	v_cmp_ne_u16_sdwa s[8:9], v24, v23 src0_sel:BYTE_0 src1_sel:BYTE_0
	s_and_b64 s[8:9], vcc, s[8:9]
	v_or_b32_e32 v10, 25, v12
	v_cndmask_b32_e64 v45, 0, 1, s[8:9]
	v_cmp_gt_u32_e32 vcc, s56, v10
	v_cmp_ne_u16_sdwa s[8:9], v2, v24 src0_sel:BYTE_0 src1_sel:BYTE_0
	s_and_b64 s[8:9], vcc, s[8:9]
	v_or_b32_e32 v10, 24, v12
	v_cndmask_b32_e64 v48, 0, 1, s[8:9]
	v_cmp_gt_u32_e32 vcc, s56, v10
	v_cmp_ne_u16_sdwa s[8:9], v25, v2 src0_sel:BYTE_0 src1_sel:BYTE_0
	s_and_b64 s[8:9], vcc, s[8:9]
	v_or_b32_e32 v10, 23, v12
	v_cndmask_b32_e64 v50, 0, 1, s[8:9]
	v_cmp_gt_u32_e32 vcc, s56, v10
	v_cmp_ne_u16_sdwa s[8:9], v26, v25 src0_sel:BYTE_0 src1_sel:BYTE_0
	s_and_b64 s[8:9], vcc, s[8:9]
	v_or_b32_e32 v10, 22, v12
	v_cndmask_b32_e64 v51, 0, 1, s[8:9]
	v_cmp_gt_u32_e32 vcc, s56, v10
	v_cmp_ne_u16_sdwa s[8:9], v27, v26 src0_sel:BYTE_0 src1_sel:BYTE_0
	s_and_b64 s[8:9], vcc, s[8:9]
	v_or_b32_e32 v10, 21, v12
	v_cndmask_b32_e64 v52, 0, 1, s[8:9]
	v_cmp_gt_u32_e32 vcc, s56, v10
	v_cmp_ne_u16_sdwa s[8:9], v5, v27 src0_sel:BYTE_0 src1_sel:BYTE_0
	s_and_b64 s[8:9], vcc, s[8:9]
	v_or_b32_e32 v10, 20, v12
	v_cndmask_b32_e64 v53, 0, 1, s[8:9]
	v_cmp_gt_u32_e32 vcc, s56, v10
	v_cmp_ne_u16_sdwa s[8:9], v28, v5 src0_sel:BYTE_0 src1_sel:BYTE_0
	s_and_b64 s[8:9], vcc, s[8:9]
	v_or_b32_e32 v10, 19, v12
	v_cndmask_b32_e64 v54, 0, 1, s[8:9]
	v_cmp_gt_u32_e32 vcc, s56, v10
	v_cmp_ne_u16_sdwa s[8:9], v29, v28 src0_sel:BYTE_0 src1_sel:BYTE_0
	s_and_b64 s[8:9], vcc, s[8:9]
	v_or_b32_e32 v10, 18, v12
	v_cndmask_b32_e64 v55, 0, 1, s[8:9]
	v_cmp_gt_u32_e32 vcc, s56, v10
	v_cmp_ne_u16_sdwa s[8:9], v30, v29 src0_sel:BYTE_0 src1_sel:BYTE_0
	s_and_b64 s[8:9], vcc, s[8:9]
	v_or_b32_e32 v10, 17, v12
	v_cndmask_b32_e64 v56, 0, 1, s[8:9]
	v_cmp_gt_u32_e32 vcc, s56, v10
	v_cmp_ne_u16_sdwa s[8:9], v4, v30 src0_sel:BYTE_0 src1_sel:BYTE_0
	s_and_b64 s[8:9], vcc, s[8:9]
	v_or_b32_e32 v10, 16, v12
	v_cndmask_b32_e64 v57, 0, 1, s[8:9]
	v_cmp_gt_u32_e32 vcc, s56, v10
	v_cmp_ne_u16_sdwa s[8:9], v31, v4 src0_sel:BYTE_0 src1_sel:BYTE_0
	s_and_b64 s[8:9], vcc, s[8:9]
	v_or_b32_e32 v10, 15, v12
	v_cndmask_b32_e64 v58, 0, 1, s[8:9]
	v_cmp_gt_u32_e32 vcc, s56, v10
	v_cmp_ne_u16_sdwa s[8:9], v32, v31 src0_sel:BYTE_0 src1_sel:BYTE_0
	s_and_b64 s[8:9], vcc, s[8:9]
	v_or_b32_e32 v10, 14, v12
	v_cndmask_b32_e64 v59, 0, 1, s[8:9]
	v_cmp_gt_u32_e32 vcc, s56, v10
	v_cmp_ne_u16_sdwa s[8:9], v34, v32 src0_sel:BYTE_0 src1_sel:BYTE_0
	s_and_b64 s[8:9], vcc, s[8:9]
	v_or_b32_e32 v10, 13, v12
	v_cndmask_b32_e64 v60, 0, 1, s[8:9]
	v_cmp_gt_u32_e32 vcc, s56, v10
	v_cmp_ne_u16_sdwa s[8:9], v7, v34 src0_sel:BYTE_0 src1_sel:BYTE_0
	s_and_b64 s[8:9], vcc, s[8:9]
	v_or_b32_e32 v10, 12, v12
	v_cndmask_b32_e64 v61, 0, 1, s[8:9]
	v_cmp_gt_u32_e32 vcc, s56, v10
	v_cmp_ne_u16_sdwa s[8:9], v36, v7 src0_sel:BYTE_0 src1_sel:BYTE_0
	s_and_b64 s[8:9], vcc, s[8:9]
	v_or_b32_e32 v10, 11, v12
	v_cndmask_b32_e64 v62, 0, 1, s[8:9]
	v_cmp_gt_u32_e32 vcc, s56, v10
	v_cmp_ne_u16_sdwa s[8:9], v37, v36 src0_sel:BYTE_0 src1_sel:BYTE_0
	s_and_b64 s[8:9], vcc, s[8:9]
	v_or_b32_e32 v10, 10, v12
	v_cndmask_b32_e64 v63, 0, 1, s[8:9]
	v_cmp_gt_u32_e32 vcc, s56, v10
	v_cmp_ne_u16_sdwa s[8:9], v39, v37 src0_sel:BYTE_0 src1_sel:BYTE_0
	s_and_b64 s[8:9], vcc, s[8:9]
	v_or_b32_e32 v10, 9, v12
	v_cndmask_b32_e64 v64, 0, 1, s[8:9]
	v_cmp_gt_u32_e32 vcc, s56, v10
	v_cmp_ne_u16_sdwa s[8:9], v6, v39 src0_sel:BYTE_0 src1_sel:BYTE_0
	s_and_b64 s[8:9], vcc, s[8:9]
	v_or_b32_e32 v10, 8, v12
	v_cndmask_b32_e64 v65, 0, 1, s[8:9]
	v_cmp_gt_u32_e32 vcc, s56, v10
	v_cmp_ne_u16_sdwa s[8:9], v41, v6 src0_sel:BYTE_0 src1_sel:BYTE_0
	s_and_b64 s[8:9], vcc, s[8:9]
	v_or_b32_e32 v10, 7, v12
	v_cndmask_b32_e64 v66, 0, 1, s[8:9]
	v_cmp_gt_u32_e32 vcc, s56, v10
	v_cmp_ne_u16_sdwa s[8:9], v42, v41 src0_sel:BYTE_0 src1_sel:BYTE_0
	s_and_b64 s[8:9], vcc, s[8:9]
	v_or_b32_e32 v10, 6, v12
	v_cndmask_b32_e64 v67, 0, 1, s[8:9]
	v_cmp_gt_u32_e32 vcc, s56, v10
	v_cmp_ne_u16_sdwa s[8:9], v44, v42 src0_sel:BYTE_0 src1_sel:BYTE_0
	s_and_b64 s[8:9], vcc, s[8:9]
	v_or_b32_e32 v10, 5, v12
	v_cndmask_b32_e64 v68, 0, 1, s[8:9]
	v_cmp_gt_u32_e32 vcc, s56, v10
	v_cmp_ne_u16_sdwa s[8:9], v9, v44 src0_sel:BYTE_0 src1_sel:BYTE_0
	s_and_b64 s[8:9], vcc, s[8:9]
	v_or_b32_e32 v10, 4, v12
	v_cndmask_b32_e64 v69, 0, 1, s[8:9]
	v_cmp_gt_u32_e32 vcc, s56, v10
	v_cmp_ne_u16_sdwa s[8:9], v46, v9 src0_sel:BYTE_0 src1_sel:BYTE_0
	s_and_b64 s[8:9], vcc, s[8:9]
	v_or_b32_e32 v10, 3, v12
	v_cndmask_b32_e64 v70, 0, 1, s[8:9]
	v_cmp_gt_u32_e32 vcc, s56, v10
	v_cmp_ne_u16_sdwa s[8:9], v47, v46 src0_sel:BYTE_0 src1_sel:BYTE_0
	s_and_b64 s[8:9], vcc, s[8:9]
	v_or_b32_e32 v10, 2, v12
	v_cndmask_b32_e64 v71, 0, 1, s[8:9]
	v_cmp_gt_u32_e32 vcc, s56, v10
	v_cmp_ne_u16_sdwa s[8:9], v49, v47 src0_sel:BYTE_0 src1_sel:BYTE_0
	s_and_b64 s[8:9], vcc, s[8:9]
	v_or_b32_e32 v10, 1, v12
	v_cndmask_b32_e64 v72, 0, 1, s[8:9]
	v_cmp_gt_u32_e32 vcc, s56, v10
	v_cmp_ne_u16_sdwa s[8:9], v8, v49 src0_sel:BYTE_0 src1_sel:BYTE_0
	s_and_b64 s[8:9], vcc, s[8:9]
	s_mov_b32 s12, 1
	v_cndmask_b32_e64 v73, 0, 1, s[8:9]
	s_waitcnt lgkmcnt(0)
	s_barrier
	s_waitcnt lgkmcnt(0)
                                        ; implicit-def: $sgpr8_sgpr9
	s_and_saveexec_b64 s[10:11], s[2:3]
	s_cbranch_execz .LBB160_313
; %bb.90:
	v_add_u32_e32 v10, -1, v0
	ds_read_u8 v10, v10
	v_cmp_gt_u32_e32 vcc, s56, v12
	s_or_b64 s[6:7], s[6:7], exec
	s_waitcnt lgkmcnt(0)
	v_and_b32_e32 v10, 0xff, v10
	v_cmp_ne_u16_sdwa s[2:3], v10, v8 src0_sel:DWORD src1_sel:BYTE_0
	s_and_b64 s[2:3], vcc, s[2:3]
	s_and_b64 s[8:9], s[2:3], exec
	s_or_b64 exec, exec, s[10:11]
.LBB160_91:
	v_mov_b32_e32 v74, s12
	s_and_saveexec_b64 s[2:3], s[6:7]
.LBB160_92:
	v_cndmask_b32_e64 v74, 0, 1, s[8:9]
.LBB160_93:
	s_or_b64 exec, exec, s[2:3]
	s_andn2_b64 vcc, exec, s[4:5]
	s_cbranch_vccnz .LBB160_95
; %bb.94:
	v_cmp_gt_u32_e32 vcc, s56, v12
	s_waitcnt vmcnt(0)
	v_or_b32_e32 v10, 1, v12
	v_cndmask_b32_e32 v74, 0, v74, vcc
	v_cmp_gt_u32_e32 vcc, s56, v10
	v_or_b32_e32 v10, 2, v12
	v_cndmask_b32_e32 v73, 0, v73, vcc
	v_cmp_gt_u32_e32 vcc, s56, v10
	;; [unrolled: 3-line block ×31, first 2 shown]
	v_cndmask_b32_e32 v33, 0, v33, vcc
.LBB160_95:
	s_waitcnt vmcnt(0)
	v_mbcnt_lo_u32_b32 v10, -1, 0
	v_mbcnt_hi_u32_b32 v85, -1, v10
	v_and_b32_e32 v10, 15, v85
	v_cmp_eq_u32_e64 s[12:13], 0, v10
	v_cmp_lt_u32_e64 s[10:11], 1, v10
	v_cmp_lt_u32_e64 s[8:9], 3, v10
	;; [unrolled: 1-line block ×3, first 2 shown]
	v_and_b32_e32 v10, 16, v85
	v_cmp_eq_u32_e64 s[4:5], 0, v10
	v_or_b32_e32 v10, 63, v0
	v_and_b32_e32 v113, 0xff, v40
	v_and_b32_e32 v114, 0xff, v38
	v_cmp_eq_u32_e64 s[2:3], v10, v0
	v_add_u32_sdwa v10, v35, v33 dst_sel:DWORD dst_unused:UNUSED_PAD src0_sel:BYTE_0 src1_sel:BYTE_0
	v_and_b32_e32 v111, 0xff, v45
	v_and_b32_e32 v112, 0xff, v43
	v_add3_u32 v10, v10, v114, v113
	v_and_b32_e32 v109, 0xff, v50
	v_and_b32_e32 v110, 0xff, v48
	v_add3_u32 v10, v10, v112, v111
	;; [unrolled: 3-line block ×12, first 2 shown]
	v_add3_u32 v10, v10, v76, v75
	v_and_b32_e32 v86, 0xff, v72
	v_and_b32_e32 v87, 0xff, v71
	v_add3_u32 v10, v10, v87, v86
	v_and_b32_e32 v88, 0xff, v74
	v_and_b32_e32 v89, 0xff, v73
	v_add3_u32 v91, v10, v89, v88
	v_cmp_lt_u32_e64 s[14:15], 31, v85
	s_and_b64 vcc, exec, s[16:17]
	v_lshrrev_b32_e32 v90, 6, v0
	s_waitcnt lgkmcnt(0)
	s_barrier
	s_cbranch_vccz .LBB160_122
; %bb.96:
	v_mov_b32_dpp v10, v91 row_shr:1 row_mask:0xf bank_mask:0xf
	v_cndmask_b32_e64 v10, v10, 0, s[12:13]
	v_add_u32_e32 v10, v10, v91
	s_nop 1
	v_mov_b32_dpp v11, v10 row_shr:2 row_mask:0xf bank_mask:0xf
	v_cndmask_b32_e64 v11, 0, v11, s[10:11]
	v_add_u32_e32 v10, v10, v11
	s_nop 1
	;; [unrolled: 4-line block ×4, first 2 shown]
	v_mov_b32_dpp v11, v10 row_bcast:15 row_mask:0xf bank_mask:0xf
	v_cndmask_b32_e64 v11, v11, 0, s[4:5]
	v_add_u32_e32 v10, v10, v11
	s_nop 1
	v_mov_b32_dpp v11, v10 row_bcast:31 row_mask:0xf bank_mask:0xf
	v_cndmask_b32_e64 v11, 0, v11, s[14:15]
	v_add_u32_e32 v10, v10, v11
	s_and_saveexec_b64 s[16:17], s[2:3]
	s_cbranch_execz .LBB160_98
; %bb.97:
	v_lshlrev_b32_e32 v11, 2, v90
	ds_write_b32 v11, v10
.LBB160_98:
	s_or_b64 exec, exec, s[16:17]
	v_cmp_gt_u32_e32 vcc, 2, v0
	s_waitcnt lgkmcnt(0)
	s_barrier
	s_and_saveexec_b64 s[16:17], vcc
	s_cbranch_execz .LBB160_100
; %bb.99:
	v_lshlrev_b32_e32 v11, 2, v0
	ds_read_b32 v12, v11
	v_bfe_i32 v13, v85, 0, 1
	s_waitcnt lgkmcnt(0)
	v_mov_b32_dpp v14, v12 row_shr:1 row_mask:0xf bank_mask:0xf
	v_and_b32_e32 v13, v13, v14
	v_add_u32_e32 v12, v13, v12
	ds_write_b32 v11, v12
.LBB160_100:
	s_or_b64 exec, exec, s[16:17]
	v_cmp_gt_u32_e32 vcc, 64, v0
	v_cmp_lt_u32_e64 s[16:17], 63, v0
	s_waitcnt lgkmcnt(0)
	s_barrier
	s_waitcnt lgkmcnt(0)
                                        ; implicit-def: $vgpr92
	s_and_saveexec_b64 s[28:29], s[16:17]
	s_cbranch_execz .LBB160_102
; %bb.101:
	v_lshl_add_u32 v11, v90, 2, -4
	ds_read_b32 v92, v11
	s_waitcnt lgkmcnt(0)
	v_add_u32_e32 v10, v92, v10
.LBB160_102:
	s_or_b64 exec, exec, s[28:29]
	v_add_u32_e32 v11, -1, v85
	v_and_b32_e32 v12, 64, v85
	v_cmp_lt_i32_e64 s[16:17], v11, v12
	v_cndmask_b32_e64 v11, v11, v85, s[16:17]
	v_lshlrev_b32_e32 v11, 2, v11
	ds_bpermute_b32 v93, v11, v10
	v_cmp_eq_u32_e64 s[16:17], 0, v85
	s_and_saveexec_b64 s[28:29], vcc
	s_cbranch_execz .LBB160_121
; %bb.103:
	v_mov_b32_e32 v17, 0
	ds_read_b32 v10, v17 offset:4
	s_and_saveexec_b64 s[30:31], s[16:17]
	s_cbranch_execz .LBB160_105
; %bb.104:
	s_add_i32 s34, s55, 64
	s_mov_b32 s35, 0
	s_lshl_b64 s[34:35], s[34:35], 3
	s_add_u32 s34, s26, s34
	v_mov_b32_e32 v11, 1
	s_addc_u32 s35, s27, s35
	s_waitcnt lgkmcnt(0)
	global_store_dwordx2 v17, v[10:11], s[34:35]
.LBB160_105:
	s_or_b64 exec, exec, s[30:31]
	v_xad_u32 v12, v85, -1, s55
	v_add_u32_e32 v16, 64, v12
	v_lshlrev_b64 v[14:15], 3, v[16:17]
	v_mov_b32_e32 v11, s27
	v_add_co_u32_e32 v18, vcc, s26, v14
	v_addc_co_u32_e32 v19, vcc, v11, v15, vcc
	global_load_dwordx2 v[14:15], v[18:19], off glc
	s_waitcnt vmcnt(0)
	v_cmp_eq_u16_sdwa s[34:35], v15, v17 src0_sel:BYTE_0 src1_sel:DWORD
	s_and_saveexec_b64 s[30:31], s[34:35]
	s_cbranch_execz .LBB160_109
; %bb.106:
	s_mov_b64 s[34:35], 0
	v_mov_b32_e32 v11, 0
.LBB160_107:                            ; =>This Inner Loop Header: Depth=1
	global_load_dwordx2 v[14:15], v[18:19], off glc
	s_waitcnt vmcnt(0)
	v_cmp_ne_u16_sdwa s[36:37], v15, v11 src0_sel:BYTE_0 src1_sel:DWORD
	s_or_b64 s[34:35], s[36:37], s[34:35]
	s_andn2_b64 exec, exec, s[34:35]
	s_cbranch_execnz .LBB160_107
; %bb.108:
	s_or_b64 exec, exec, s[34:35]
.LBB160_109:
	s_or_b64 exec, exec, s[30:31]
	v_and_b32_e32 v95, 63, v85
	v_mov_b32_e32 v94, 2
	v_cmp_ne_u32_e32 vcc, 63, v95
	v_cmp_eq_u16_sdwa s[30:31], v15, v94 src0_sel:BYTE_0 src1_sel:DWORD
	v_lshlrev_b64 v[16:17], v85, -1
	v_addc_co_u32_e32 v18, vcc, 0, v85, vcc
	v_and_b32_e32 v11, s31, v17
	v_lshlrev_b32_e32 v96, 2, v18
	v_or_b32_e32 v11, 0x80000000, v11
	ds_bpermute_b32 v18, v96, v14
	v_and_b32_e32 v13, s30, v16
	v_ffbl_b32_e32 v11, v11
	v_add_u32_e32 v11, 32, v11
	v_ffbl_b32_e32 v13, v13
	v_min_u32_e32 v11, v13, v11
	v_cmp_lt_u32_e32 vcc, v95, v11
	s_waitcnt lgkmcnt(0)
	v_cndmask_b32_e32 v13, 0, v18, vcc
	v_cmp_gt_u32_e32 vcc, 62, v95
	v_add_u32_e32 v13, v13, v14
	v_cndmask_b32_e64 v14, 0, 1, vcc
	v_lshlrev_b32_e32 v14, 1, v14
	v_add_lshl_u32 v97, v14, v85, 2
	ds_bpermute_b32 v14, v97, v13
	v_add_u32_e32 v98, 2, v95
	v_cmp_le_u32_e32 vcc, v98, v11
	v_add_u32_e32 v116, 4, v95
	v_add_u32_e32 v118, 8, v95
	s_waitcnt lgkmcnt(0)
	v_cndmask_b32_e32 v14, 0, v14, vcc
	v_cmp_gt_u32_e32 vcc, 60, v95
	v_add_u32_e32 v13, v13, v14
	v_cndmask_b32_e64 v14, 0, 1, vcc
	v_lshlrev_b32_e32 v14, 2, v14
	v_add_lshl_u32 v115, v14, v85, 2
	ds_bpermute_b32 v14, v115, v13
	v_cmp_le_u32_e32 vcc, v116, v11
	v_add_u32_e32 v120, 16, v95
	v_add_u32_e32 v122, 32, v95
	s_waitcnt lgkmcnt(0)
	v_cndmask_b32_e32 v14, 0, v14, vcc
	v_cmp_gt_u32_e32 vcc, 56, v95
	v_add_u32_e32 v13, v13, v14
	v_cndmask_b32_e64 v14, 0, 1, vcc
	v_lshlrev_b32_e32 v14, 3, v14
	v_add_lshl_u32 v117, v14, v85, 2
	ds_bpermute_b32 v14, v117, v13
	v_cmp_le_u32_e32 vcc, v118, v11
	s_waitcnt lgkmcnt(0)
	v_cndmask_b32_e32 v14, 0, v14, vcc
	v_cmp_gt_u32_e32 vcc, 48, v95
	v_add_u32_e32 v13, v13, v14
	v_cndmask_b32_e64 v14, 0, 1, vcc
	v_lshlrev_b32_e32 v14, 4, v14
	v_add_lshl_u32 v119, v14, v85, 2
	ds_bpermute_b32 v14, v119, v13
	v_cmp_le_u32_e32 vcc, v120, v11
	;; [unrolled: 9-line block ×3, first 2 shown]
	s_waitcnt lgkmcnt(0)
	v_cndmask_b32_e32 v11, 0, v14, vcc
	v_add_u32_e32 v14, v13, v11
	v_mov_b32_e32 v13, 0
	s_branch .LBB160_111
.LBB160_110:                            ;   in Loop: Header=BB160_111 Depth=1
	s_or_b64 exec, exec, s[30:31]
	v_cmp_eq_u16_sdwa s[30:31], v15, v94 src0_sel:BYTE_0 src1_sel:DWORD
	v_and_b32_e32 v18, s31, v17
	v_or_b32_e32 v18, 0x80000000, v18
	ds_bpermute_b32 v123, v96, v14
	v_and_b32_e32 v19, s30, v16
	v_ffbl_b32_e32 v18, v18
	v_add_u32_e32 v18, 32, v18
	v_ffbl_b32_e32 v19, v19
	v_min_u32_e32 v18, v19, v18
	v_cmp_lt_u32_e32 vcc, v95, v18
	s_waitcnt lgkmcnt(0)
	v_cndmask_b32_e32 v19, 0, v123, vcc
	v_add_u32_e32 v14, v19, v14
	ds_bpermute_b32 v19, v97, v14
	v_cmp_le_u32_e32 vcc, v98, v18
	v_subrev_u32_e32 v12, 64, v12
	s_waitcnt lgkmcnt(0)
	v_cndmask_b32_e32 v19, 0, v19, vcc
	v_add_u32_e32 v14, v14, v19
	ds_bpermute_b32 v19, v115, v14
	v_cmp_le_u32_e32 vcc, v116, v18
	s_waitcnt lgkmcnt(0)
	v_cndmask_b32_e32 v19, 0, v19, vcc
	v_add_u32_e32 v14, v14, v19
	ds_bpermute_b32 v19, v117, v14
	v_cmp_le_u32_e32 vcc, v118, v18
	s_waitcnt lgkmcnt(0)
	v_cndmask_b32_e32 v19, 0, v19, vcc
	v_add_u32_e32 v14, v14, v19
	ds_bpermute_b32 v19, v119, v14
	v_cmp_le_u32_e32 vcc, v120, v18
	s_waitcnt lgkmcnt(0)
	v_cndmask_b32_e32 v19, 0, v19, vcc
	v_add_u32_e32 v14, v14, v19
	ds_bpermute_b32 v19, v121, v14
	v_cmp_le_u32_e32 vcc, v122, v18
	s_waitcnt lgkmcnt(0)
	v_cndmask_b32_e32 v18, 0, v19, vcc
	v_add3_u32 v14, v18, v11, v14
.LBB160_111:                            ; =>This Loop Header: Depth=1
                                        ;     Child Loop BB160_114 Depth 2
	v_cmp_ne_u16_sdwa s[30:31], v15, v94 src0_sel:BYTE_0 src1_sel:DWORD
	v_cndmask_b32_e64 v11, 0, 1, s[30:31]
	;;#ASMSTART
	;;#ASMEND
	v_cmp_ne_u32_e32 vcc, 0, v11
	s_cmp_lg_u64 vcc, exec
	v_mov_b32_e32 v11, v14
	s_cbranch_scc1 .LBB160_116
; %bb.112:                              ;   in Loop: Header=BB160_111 Depth=1
	v_lshlrev_b64 v[14:15], 3, v[12:13]
	v_mov_b32_e32 v19, s27
	v_add_co_u32_e32 v18, vcc, s26, v14
	v_addc_co_u32_e32 v19, vcc, v19, v15, vcc
	global_load_dwordx2 v[14:15], v[18:19], off glc
	s_waitcnt vmcnt(0)
	v_cmp_eq_u16_sdwa s[34:35], v15, v13 src0_sel:BYTE_0 src1_sel:DWORD
	s_and_saveexec_b64 s[30:31], s[34:35]
	s_cbranch_execz .LBB160_110
; %bb.113:                              ;   in Loop: Header=BB160_111 Depth=1
	s_mov_b64 s[34:35], 0
.LBB160_114:                            ;   Parent Loop BB160_111 Depth=1
                                        ; =>  This Inner Loop Header: Depth=2
	global_load_dwordx2 v[14:15], v[18:19], off glc
	s_waitcnt vmcnt(0)
	v_cmp_ne_u16_sdwa s[36:37], v15, v13 src0_sel:BYTE_0 src1_sel:DWORD
	s_or_b64 s[34:35], s[36:37], s[34:35]
	s_andn2_b64 exec, exec, s[34:35]
	s_cbranch_execnz .LBB160_114
; %bb.115:                              ;   in Loop: Header=BB160_111 Depth=1
	s_or_b64 exec, exec, s[34:35]
	s_branch .LBB160_110
.LBB160_116:                            ;   in Loop: Header=BB160_111 Depth=1
                                        ; implicit-def: $vgpr14
                                        ; implicit-def: $vgpr15
	s_cbranch_execz .LBB160_111
; %bb.117:
	s_and_saveexec_b64 s[30:31], s[16:17]
	s_cbranch_execz .LBB160_119
; %bb.118:
	s_add_i32 s34, s55, 64
	s_mov_b32 s35, 0
	s_lshl_b64 s[34:35], s[34:35], 3
	s_add_u32 s34, s26, s34
	v_add_u32_e32 v12, v11, v10
	v_mov_b32_e32 v13, 2
	s_addc_u32 s35, s27, s35
	v_mov_b32_e32 v14, 0
	global_store_dwordx2 v14, v[12:13], s[34:35]
	ds_write_b64 v14, v[10:11] offset:4224
.LBB160_119:
	s_or_b64 exec, exec, s[30:31]
	s_and_b64 exec, exec, s[0:1]
	s_cbranch_execz .LBB160_121
; %bb.120:
	v_mov_b32_e32 v10, 0
	ds_write_b32 v10, v11 offset:4
.LBB160_121:
	s_or_b64 exec, exec, s[28:29]
	v_mov_b32_e32 v10, 0
	s_waitcnt lgkmcnt(0)
	s_barrier
	ds_read_b32 v11, v10 offset:4
	s_waitcnt lgkmcnt(0)
	s_barrier
	ds_read_b64 v[16:17], v10 offset:4224
	v_cndmask_b32_e64 v10, v93, v92, s[16:17]
	v_cndmask_b32_e64 v10, v10, 0, s[0:1]
	v_add_u32_e32 v95, v11, v10
	s_branch .LBB160_132
.LBB160_122:
                                        ; implicit-def: $vgpr17
                                        ; implicit-def: $vgpr95
	s_cbranch_execz .LBB160_132
; %bb.123:
	v_mov_b32_dpp v10, v91 row_shr:1 row_mask:0xf bank_mask:0xf
	v_cndmask_b32_e64 v10, v10, 0, s[12:13]
	v_add_u32_e32 v10, v10, v91
	s_nop 1
	v_mov_b32_dpp v11, v10 row_shr:2 row_mask:0xf bank_mask:0xf
	v_cndmask_b32_e64 v11, 0, v11, s[10:11]
	v_add_u32_e32 v10, v10, v11
	s_nop 1
	;; [unrolled: 4-line block ×4, first 2 shown]
	v_mov_b32_dpp v11, v10 row_bcast:15 row_mask:0xf bank_mask:0xf
	v_cndmask_b32_e64 v11, v11, 0, s[4:5]
	v_add_u32_e32 v10, v10, v11
	s_nop 1
	v_mov_b32_dpp v11, v10 row_bcast:31 row_mask:0xf bank_mask:0xf
	v_cndmask_b32_e64 v11, 0, v11, s[14:15]
	v_add_u32_e32 v10, v10, v11
	s_and_saveexec_b64 s[4:5], s[2:3]
	s_cbranch_execz .LBB160_125
; %bb.124:
	v_lshlrev_b32_e32 v11, 2, v90
	ds_write_b32 v11, v10
.LBB160_125:
	s_or_b64 exec, exec, s[4:5]
	v_cmp_gt_u32_e32 vcc, 2, v0
	s_waitcnt lgkmcnt(0)
	s_barrier
	s_and_saveexec_b64 s[2:3], vcc
	s_cbranch_execz .LBB160_127
; %bb.126:
	v_lshlrev_b32_e32 v11, 2, v0
	ds_read_b32 v12, v11
	v_bfe_i32 v13, v85, 0, 1
	s_waitcnt lgkmcnt(0)
	v_mov_b32_dpp v14, v12 row_shr:1 row_mask:0xf bank_mask:0xf
	v_and_b32_e32 v13, v13, v14
	v_add_u32_e32 v12, v13, v12
	ds_write_b32 v11, v12
.LBB160_127:
	s_or_b64 exec, exec, s[2:3]
	v_cmp_lt_u32_e32 vcc, 63, v0
	v_mov_b32_e32 v12, 0
	v_mov_b32_e32 v11, 0
	s_waitcnt lgkmcnt(0)
	s_barrier
	s_and_saveexec_b64 s[2:3], vcc
	s_cbranch_execz .LBB160_129
; %bb.128:
	v_lshl_add_u32 v11, v90, 2, -4
	ds_read_b32 v11, v11
.LBB160_129:
	s_or_b64 exec, exec, s[2:3]
	v_add_u32_e32 v13, -1, v85
	v_and_b32_e32 v14, 64, v85
	v_cmp_lt_i32_e32 vcc, v13, v14
	v_cndmask_b32_e32 v13, v13, v85, vcc
	s_waitcnt lgkmcnt(0)
	v_add_u32_e32 v10, v11, v10
	v_lshlrev_b32_e32 v13, 2, v13
	ds_bpermute_b32 v10, v13, v10
	ds_read_b32 v16, v12 offset:4
	s_and_saveexec_b64 s[2:3], s[0:1]
	s_cbranch_execz .LBB160_131
; %bb.130:
	v_mov_b32_e32 v12, 0
	v_mov_b32_e32 v17, 2
	s_waitcnt lgkmcnt(0)
	global_store_dwordx2 v12, v[16:17], s[26:27] offset:512
.LBB160_131:
	s_or_b64 exec, exec, s[2:3]
	v_cmp_eq_u32_e32 vcc, 0, v85
	s_waitcnt lgkmcnt(1)
	v_cndmask_b32_e32 v10, v10, v11, vcc
	v_mov_b32_e32 v17, 0
	v_cndmask_b32_e64 v95, v10, 0, s[0:1]
	s_waitcnt lgkmcnt(0)
	s_barrier
.LBB160_132:
	v_add_u32_e32 v98, v95, v88
	v_add_u32_e32 v97, v98, v89
	;; [unrolled: 1-line block ×29, first 2 shown]
	s_movk_i32 s2, 0x81
	v_add_u32_e32 v11, v12, v114
	s_waitcnt lgkmcnt(0)
	v_cmp_gt_u32_e32 vcc, s2, v16
	v_add_u32_sdwa v10, v11, v35 dst_sel:DWORD dst_unused:UNUSED_PAD src0_sel:DWORD src1_sel:BYTE_0
	s_mov_b64 s[2:3], -1
	s_cbranch_vccnz .LBB160_136
; %bb.133:
	s_and_b64 vcc, exec, s[2:3]
	s_cbranch_vccnz .LBB160_233
.LBB160_134:
	s_and_b64 s[0:1], s[0:1], s[18:19]
	s_and_saveexec_b64 s[2:3], s[0:1]
	s_cbranch_execnz .LBB160_312
.LBB160_135:
	s_endpgm
.LBB160_136:
	v_add_u32_e32 v99, v17, v16
	v_cmp_lt_u32_e32 vcc, v95, v99
	s_or_b64 s[4:5], s[22:23], vcc
	s_and_saveexec_b64 s[2:3], s[4:5]
	s_cbranch_execz .LBB160_139
; %bb.137:
	v_and_b32_e32 v100, 1, v74
	v_cmp_eq_u32_e32 vcc, 1, v100
	s_and_b64 exec, exec, vcc
	s_cbranch_execz .LBB160_139
; %bb.138:
	s_add_u32 s4, s24, s33
	s_addc_u32 s5, s25, s54
	global_store_byte v95, v8, s[4:5]
.LBB160_139:
	s_or_b64 exec, exec, s[2:3]
	v_cmp_lt_u32_e32 vcc, v98, v99
	s_or_b64 s[4:5], s[22:23], vcc
	s_and_saveexec_b64 s[2:3], s[4:5]
	s_cbranch_execz .LBB160_142
; %bb.140:
	v_and_b32_e32 v100, 1, v73
	v_cmp_eq_u32_e32 vcc, 1, v100
	s_and_b64 exec, exec, vcc
	s_cbranch_execz .LBB160_142
; %bb.141:
	s_add_u32 s4, s24, s33
	s_addc_u32 s5, s25, s54
	global_store_byte v98, v49, s[4:5]
.LBB160_142:
	s_or_b64 exec, exec, s[2:3]
	;; [unrolled: 15-line block ×32, first 2 shown]
	s_branch .LBB160_134
.LBB160_233:
	v_and_b32_e32 v74, 1, v74
	v_cmp_eq_u32_e32 vcc, 1, v74
	s_and_saveexec_b64 s[2:3], vcc
	s_cbranch_execz .LBB160_235
; %bb.234:
	v_sub_u32_e32 v74, v95, v17
	ds_write_b8 v74, v8
.LBB160_235:
	s_or_b64 exec, exec, s[2:3]
	v_and_b32_e32 v8, 1, v73
	v_cmp_eq_u32_e32 vcc, 1, v8
	s_and_saveexec_b64 s[2:3], vcc
	s_cbranch_execz .LBB160_237
; %bb.236:
	v_sub_u32_e32 v8, v98, v17
	ds_write_b8 v8, v49
.LBB160_237:
	s_or_b64 exec, exec, s[2:3]
	;; [unrolled: 9-line block ×32, first 2 shown]
	v_cmp_lt_u32_e32 vcc, v0, v16
	s_waitcnt lgkmcnt(0)
	s_barrier
	s_and_saveexec_b64 s[4:5], vcc
	s_cbranch_execz .LBB160_311
; %bb.298:
	v_mov_b32_e32 v1, s25
	v_add_co_u32_e32 v2, vcc, s24, v17
	v_addc_co_u32_e32 v1, vcc, 0, v1, vcc
	v_mov_b32_e32 v3, s54
	v_add_co_u32_e32 v18, vcc, s33, v2
	v_addc_co_u32_e32 v19, vcc, v1, v3, vcc
	v_xad_u32 v1, v0, -1, v16
	s_movk_i32 s2, 0xb80
	v_cmp_gt_u32_e32 vcc, s2, v1
	s_movk_i32 s2, 0xb7f
	v_cmp_lt_u32_e64 s[2:3], s2, v1
	s_and_saveexec_b64 s[6:7], s[2:3]
	s_cbranch_execz .LBB160_308
; %bb.299:
	v_sub_u32_e32 v2, v0, v16
	v_or_b32_e32 v2, 0x7f, v2
	v_cmp_ge_u32_e64 s[2:3], v2, v0
	s_mov_b64 s[10:11], -1
	s_and_saveexec_b64 s[8:9], s[2:3]
	s_cbranch_execz .LBB160_307
; %bb.300:
	v_lshrrev_b32_e32 v20, 7, v1
	v_or_b32_e32 v7, 0x380, v0
	v_or_b32_e32 v6, 0x300, v0
	;; [unrolled: 1-line block ×7, first 2 shown]
	v_add_u32_e32 v21, -7, v20
	v_pk_mov_b32 v[14:15], v[6:7], v[6:7] op_sel:[0,1]
	v_cmp_lt_u32_e64 s[2:3], 7, v21
	v_mov_b32_e32 v22, 0
	v_pk_mov_b32 v[12:13], v[4:5], v[4:5] op_sel:[0,1]
	v_pk_mov_b32 v[10:11], v[2:3], v[2:3] op_sel:[0,1]
	;; [unrolled: 1-line block ×3, first 2 shown]
	s_and_saveexec_b64 s[10:11], s[2:3]
	s_cbranch_execz .LBB160_304
; %bb.301:
	v_lshrrev_b32_e32 v8, 3, v21
	v_add_u32_e32 v8, 1, v8
	v_and_b32_e32 v22, 0x3ffffffe, v8
	v_pk_mov_b32 v[14:15], v[6:7], v[6:7] op_sel:[0,1]
	s_mov_b32 s14, 0
	s_mov_b64 s[12:13], 0
	v_mov_b32_e32 v23, v0
	v_pk_mov_b32 v[12:13], v[4:5], v[4:5] op_sel:[0,1]
	v_pk_mov_b32 v[10:11], v[2:3], v[2:3] op_sel:[0,1]
	;; [unrolled: 1-line block ×3, first 2 shown]
.LBB160_302:                            ; =>This Inner Loop Header: Depth=1
	v_add_co_u32_e64 v2, s[2:3], v18, v8
	v_addc_co_u32_e64 v3, s[2:3], 0, v19, s[2:3]
	v_add_co_u32_e64 v4, s[2:3], v18, v9
	v_addc_co_u32_e64 v5, s[2:3], 0, v19, s[2:3]
	;; [unrolled: 2-line block ×8, first 2 shown]
	v_add_u32_e32 v34, 0x400, v8
	v_add_co_u32_e64 v34, s[2:3], v18, v34
	v_add_u32_e32 v36, 0x400, v9
	v_addc_co_u32_e64 v35, s[2:3], 0, v19, s[2:3]
	v_add_co_u32_e64 v36, s[2:3], v18, v36
	v_add_u32_e32 v38, 0x400, v10
	v_addc_co_u32_e64 v37, s[2:3], 0, v19, s[2:3]
	;; [unrolled: 3-line block ×6, first 2 shown]
	v_add_co_u32_e64 v46, s[2:3], v18, v46
	ds_read_u8 v50, v23
	ds_read_u8 v51, v23 offset:128
	ds_read_u8 v52, v23 offset:256
	;; [unrolled: 1-line block ×7, first 2 shown]
	v_add_u32_e32 v1, 0x400, v15
	ds_read_u8 v58, v23 offset:1024
	ds_read_u8 v59, v23 offset:1152
	;; [unrolled: 1-line block ×8, first 2 shown]
	v_addc_co_u32_e64 v47, s[2:3], 0, v19, s[2:3]
	v_add_co_u32_e64 v48, s[2:3], v18, v1
	v_add_u32_e32 v22, -2, v22
	v_addc_co_u32_e64 v49, s[2:3], 0, v19, s[2:3]
	s_add_i32 s14, s14, 16
	v_cmp_eq_u32_e64 s[2:3], 0, v22
	v_add_u32_e32 v15, 0x800, v15
	v_add_u32_e32 v14, 0x800, v14
	;; [unrolled: 1-line block ×9, first 2 shown]
	v_mov_b32_e32 v1, s14
	s_or_b64 s[12:13], s[2:3], s[12:13]
	s_waitcnt lgkmcnt(14)
	global_store_byte v[2:3], v50, off
	global_store_byte v[4:5], v51, off
	s_waitcnt lgkmcnt(13)
	global_store_byte v[6:7], v52, off
	s_waitcnt lgkmcnt(12)
	;; [unrolled: 2-line block ×14, first 2 shown]
	global_store_byte v[48:49], v65, off
	s_andn2_b64 exec, exec, s[12:13]
	s_cbranch_execnz .LBB160_302
; %bb.303:
	s_or_b64 exec, exec, s[12:13]
	v_lshlrev_b32_e32 v22, 7, v1
.LBB160_304:
	s_or_b64 exec, exec, s[10:11]
	v_and_b32_e32 v1, 8, v21
	v_cmp_eq_u32_e64 s[2:3], 0, v1
	s_and_saveexec_b64 s[10:11], s[2:3]
	s_cbranch_execz .LBB160_306
; %bb.305:
	v_add_co_u32_e64 v2, s[2:3], v18, v8
	v_addc_co_u32_e64 v3, s[2:3], 0, v19, s[2:3]
	v_add_co_u32_e64 v4, s[2:3], v18, v9
	v_addc_co_u32_e64 v5, s[2:3], 0, v19, s[2:3]
	;; [unrolled: 2-line block ×4, first 2 shown]
	v_add_co_u32_e64 v10, s[2:3], v18, v12
	v_or_b32_e32 v1, v0, v22
	v_addc_co_u32_e64 v11, s[2:3], 0, v19, s[2:3]
	ds_read_u8 v21, v1
	ds_read_u8 v24, v1 offset:128
	ds_read_u8 v25, v1 offset:256
	;; [unrolled: 1-line block ×7, first 2 shown]
	v_add_co_u32_e64 v12, s[2:3], v18, v13
	v_addc_co_u32_e64 v13, s[2:3], 0, v19, s[2:3]
	v_add_co_u32_e64 v22, s[2:3], v18, v14
	v_addc_co_u32_e64 v23, s[2:3], 0, v19, s[2:3]
	;; [unrolled: 2-line block ×3, first 2 shown]
	s_waitcnt lgkmcnt(7)
	global_store_byte v[2:3], v21, off
	s_waitcnt lgkmcnt(6)
	global_store_byte v[4:5], v24, off
	;; [unrolled: 2-line block ×8, first 2 shown]
.LBB160_306:
	s_or_b64 exec, exec, s[10:11]
	v_add_u32_e32 v1, 1, v20
	v_and_b32_e32 v2, 0x3fffff8, v1
	v_cmp_ne_u32_e64 s[2:3], v1, v2
	v_lshl_or_b32 v0, v2, 7, v0
	s_orn2_b64 s[10:11], s[2:3], exec
.LBB160_307:
	s_or_b64 exec, exec, s[8:9]
	s_andn2_b64 s[2:3], vcc, exec
	s_and_b64 s[8:9], s[10:11], exec
	s_or_b64 vcc, s[2:3], s[8:9]
.LBB160_308:
	s_or_b64 exec, exec, s[6:7]
	s_and_b64 exec, exec, vcc
	s_cbranch_execz .LBB160_311
; %bb.309:
	s_mov_b64 s[2:3], 0
.LBB160_310:                            ; =>This Inner Loop Header: Depth=1
	ds_read_u8 v1, v0
	v_readfirstlane_b32 s6, v18
	v_readfirstlane_b32 s7, v19
	s_waitcnt lgkmcnt(0)
	s_nop 3
	global_store_byte v0, v1, s[6:7]
	v_add_u32_e32 v0, 0x80, v0
	v_cmp_ge_u32_e32 vcc, v0, v16
	s_or_b64 s[2:3], vcc, s[2:3]
	s_andn2_b64 exec, exec, s[2:3]
	s_cbranch_execnz .LBB160_310
.LBB160_311:
	s_or_b64 exec, exec, s[4:5]
	s_and_b64 s[0:1], s[0:1], s[18:19]
	s_and_saveexec_b64 s[2:3], s[0:1]
	s_cbranch_execz .LBB160_135
.LBB160_312:
	v_mov_b32_e32 v0, s54
	v_add_co_u32_e32 v1, vcc, s33, v16
	v_addc_co_u32_e32 v3, vcc, 0, v0, vcc
	v_add_co_u32_e32 v0, vcc, v1, v17
	v_mov_b32_e32 v2, 0
	v_addc_co_u32_e32 v1, vcc, 0, v3, vcc
	global_store_dwordx2 v2, v[0:1], s[20:21]
	s_endpgm
.LBB160_313:
	s_or_b64 exec, exec, s[10:11]
	v_mov_b32_e32 v74, s12
	s_and_saveexec_b64 s[2:3], s[6:7]
	s_cbranch_execnz .LBB160_92
	s_branch .LBB160_93
	.section	.rodata,"a",@progbits
	.p2align	6, 0x0
	.amdhsa_kernel _ZN7rocprim17ROCPRIM_400000_NS6detail17trampoline_kernelINS0_14default_configENS1_25partition_config_selectorILNS1_17partition_subalgoE8EhNS0_10empty_typeEbEEZZNS1_14partition_implILS5_8ELb0ES3_jPKhPS6_PKS6_NS0_5tupleIJPhS6_EEENSE_IJSB_SB_EEENS0_18inequality_wrapperIN6hipcub16HIPCUB_304000_NS8EqualityEEEPlJS6_EEE10hipError_tPvRmT3_T4_T5_T6_T7_T9_mT8_P12ihipStream_tbDpT10_ENKUlT_T0_E_clISt17integral_constantIbLb0EES16_IbLb1EEEEDaS12_S13_EUlS12_E_NS1_11comp_targetILNS1_3genE4ELNS1_11target_archE910ELNS1_3gpuE8ELNS1_3repE0EEENS1_30default_config_static_selectorELNS0_4arch9wavefront6targetE1EEEvT1_
		.amdhsa_group_segment_fixed_size 4232
		.amdhsa_private_segment_fixed_size 0
		.amdhsa_kernarg_size 128
		.amdhsa_user_sgpr_count 6
		.amdhsa_user_sgpr_private_segment_buffer 1
		.amdhsa_user_sgpr_dispatch_ptr 0
		.amdhsa_user_sgpr_queue_ptr 0
		.amdhsa_user_sgpr_kernarg_segment_ptr 1
		.amdhsa_user_sgpr_dispatch_id 0
		.amdhsa_user_sgpr_flat_scratch_init 0
		.amdhsa_user_sgpr_kernarg_preload_length 0
		.amdhsa_user_sgpr_kernarg_preload_offset 0
		.amdhsa_user_sgpr_private_segment_size 0
		.amdhsa_uses_dynamic_stack 0
		.amdhsa_system_sgpr_private_segment_wavefront_offset 0
		.amdhsa_system_sgpr_workgroup_id_x 1
		.amdhsa_system_sgpr_workgroup_id_y 0
		.amdhsa_system_sgpr_workgroup_id_z 0
		.amdhsa_system_sgpr_workgroup_info 0
		.amdhsa_system_vgpr_workitem_id 0
		.amdhsa_next_free_vgpr 124
		.amdhsa_next_free_sgpr 60
		.amdhsa_accum_offset 124
		.amdhsa_reserve_vcc 1
		.amdhsa_reserve_flat_scratch 0
		.amdhsa_float_round_mode_32 0
		.amdhsa_float_round_mode_16_64 0
		.amdhsa_float_denorm_mode_32 3
		.amdhsa_float_denorm_mode_16_64 3
		.amdhsa_dx10_clamp 1
		.amdhsa_ieee_mode 1
		.amdhsa_fp16_overflow 0
		.amdhsa_tg_split 0
		.amdhsa_exception_fp_ieee_invalid_op 0
		.amdhsa_exception_fp_denorm_src 0
		.amdhsa_exception_fp_ieee_div_zero 0
		.amdhsa_exception_fp_ieee_overflow 0
		.amdhsa_exception_fp_ieee_underflow 0
		.amdhsa_exception_fp_ieee_inexact 0
		.amdhsa_exception_int_div_zero 0
	.end_amdhsa_kernel
	.section	.text._ZN7rocprim17ROCPRIM_400000_NS6detail17trampoline_kernelINS0_14default_configENS1_25partition_config_selectorILNS1_17partition_subalgoE8EhNS0_10empty_typeEbEEZZNS1_14partition_implILS5_8ELb0ES3_jPKhPS6_PKS6_NS0_5tupleIJPhS6_EEENSE_IJSB_SB_EEENS0_18inequality_wrapperIN6hipcub16HIPCUB_304000_NS8EqualityEEEPlJS6_EEE10hipError_tPvRmT3_T4_T5_T6_T7_T9_mT8_P12ihipStream_tbDpT10_ENKUlT_T0_E_clISt17integral_constantIbLb0EES16_IbLb1EEEEDaS12_S13_EUlS12_E_NS1_11comp_targetILNS1_3genE4ELNS1_11target_archE910ELNS1_3gpuE8ELNS1_3repE0EEENS1_30default_config_static_selectorELNS0_4arch9wavefront6targetE1EEEvT1_,"axG",@progbits,_ZN7rocprim17ROCPRIM_400000_NS6detail17trampoline_kernelINS0_14default_configENS1_25partition_config_selectorILNS1_17partition_subalgoE8EhNS0_10empty_typeEbEEZZNS1_14partition_implILS5_8ELb0ES3_jPKhPS6_PKS6_NS0_5tupleIJPhS6_EEENSE_IJSB_SB_EEENS0_18inequality_wrapperIN6hipcub16HIPCUB_304000_NS8EqualityEEEPlJS6_EEE10hipError_tPvRmT3_T4_T5_T6_T7_T9_mT8_P12ihipStream_tbDpT10_ENKUlT_T0_E_clISt17integral_constantIbLb0EES16_IbLb1EEEEDaS12_S13_EUlS12_E_NS1_11comp_targetILNS1_3genE4ELNS1_11target_archE910ELNS1_3gpuE8ELNS1_3repE0EEENS1_30default_config_static_selectorELNS0_4arch9wavefront6targetE1EEEvT1_,comdat
.Lfunc_end160:
	.size	_ZN7rocprim17ROCPRIM_400000_NS6detail17trampoline_kernelINS0_14default_configENS1_25partition_config_selectorILNS1_17partition_subalgoE8EhNS0_10empty_typeEbEEZZNS1_14partition_implILS5_8ELb0ES3_jPKhPS6_PKS6_NS0_5tupleIJPhS6_EEENSE_IJSB_SB_EEENS0_18inequality_wrapperIN6hipcub16HIPCUB_304000_NS8EqualityEEEPlJS6_EEE10hipError_tPvRmT3_T4_T5_T6_T7_T9_mT8_P12ihipStream_tbDpT10_ENKUlT_T0_E_clISt17integral_constantIbLb0EES16_IbLb1EEEEDaS12_S13_EUlS12_E_NS1_11comp_targetILNS1_3genE4ELNS1_11target_archE910ELNS1_3gpuE8ELNS1_3repE0EEENS1_30default_config_static_selectorELNS0_4arch9wavefront6targetE1EEEvT1_, .Lfunc_end160-_ZN7rocprim17ROCPRIM_400000_NS6detail17trampoline_kernelINS0_14default_configENS1_25partition_config_selectorILNS1_17partition_subalgoE8EhNS0_10empty_typeEbEEZZNS1_14partition_implILS5_8ELb0ES3_jPKhPS6_PKS6_NS0_5tupleIJPhS6_EEENSE_IJSB_SB_EEENS0_18inequality_wrapperIN6hipcub16HIPCUB_304000_NS8EqualityEEEPlJS6_EEE10hipError_tPvRmT3_T4_T5_T6_T7_T9_mT8_P12ihipStream_tbDpT10_ENKUlT_T0_E_clISt17integral_constantIbLb0EES16_IbLb1EEEEDaS12_S13_EUlS12_E_NS1_11comp_targetILNS1_3genE4ELNS1_11target_archE910ELNS1_3gpuE8ELNS1_3repE0EEENS1_30default_config_static_selectorELNS0_4arch9wavefront6targetE1EEEvT1_
                                        ; -- End function
	.section	.AMDGPU.csdata,"",@progbits
; Kernel info:
; codeLenInByte = 13404
; NumSgprs: 64
; NumVgprs: 124
; NumAgprs: 0
; TotalNumVgprs: 124
; ScratchSize: 0
; MemoryBound: 0
; FloatMode: 240
; IeeeMode: 1
; LDSByteSize: 4232 bytes/workgroup (compile time only)
; SGPRBlocks: 7
; VGPRBlocks: 15
; NumSGPRsForWavesPerEU: 64
; NumVGPRsForWavesPerEU: 124
; AccumOffset: 124
; Occupancy: 4
; WaveLimiterHint : 1
; COMPUTE_PGM_RSRC2:SCRATCH_EN: 0
; COMPUTE_PGM_RSRC2:USER_SGPR: 6
; COMPUTE_PGM_RSRC2:TRAP_HANDLER: 0
; COMPUTE_PGM_RSRC2:TGID_X_EN: 1
; COMPUTE_PGM_RSRC2:TGID_Y_EN: 0
; COMPUTE_PGM_RSRC2:TGID_Z_EN: 0
; COMPUTE_PGM_RSRC2:TIDIG_COMP_CNT: 0
; COMPUTE_PGM_RSRC3_GFX90A:ACCUM_OFFSET: 30
; COMPUTE_PGM_RSRC3_GFX90A:TG_SPLIT: 0
	.section	.text._ZN7rocprim17ROCPRIM_400000_NS6detail17trampoline_kernelINS0_14default_configENS1_25partition_config_selectorILNS1_17partition_subalgoE8EhNS0_10empty_typeEbEEZZNS1_14partition_implILS5_8ELb0ES3_jPKhPS6_PKS6_NS0_5tupleIJPhS6_EEENSE_IJSB_SB_EEENS0_18inequality_wrapperIN6hipcub16HIPCUB_304000_NS8EqualityEEEPlJS6_EEE10hipError_tPvRmT3_T4_T5_T6_T7_T9_mT8_P12ihipStream_tbDpT10_ENKUlT_T0_E_clISt17integral_constantIbLb0EES16_IbLb1EEEEDaS12_S13_EUlS12_E_NS1_11comp_targetILNS1_3genE3ELNS1_11target_archE908ELNS1_3gpuE7ELNS1_3repE0EEENS1_30default_config_static_selectorELNS0_4arch9wavefront6targetE1EEEvT1_,"axG",@progbits,_ZN7rocprim17ROCPRIM_400000_NS6detail17trampoline_kernelINS0_14default_configENS1_25partition_config_selectorILNS1_17partition_subalgoE8EhNS0_10empty_typeEbEEZZNS1_14partition_implILS5_8ELb0ES3_jPKhPS6_PKS6_NS0_5tupleIJPhS6_EEENSE_IJSB_SB_EEENS0_18inequality_wrapperIN6hipcub16HIPCUB_304000_NS8EqualityEEEPlJS6_EEE10hipError_tPvRmT3_T4_T5_T6_T7_T9_mT8_P12ihipStream_tbDpT10_ENKUlT_T0_E_clISt17integral_constantIbLb0EES16_IbLb1EEEEDaS12_S13_EUlS12_E_NS1_11comp_targetILNS1_3genE3ELNS1_11target_archE908ELNS1_3gpuE7ELNS1_3repE0EEENS1_30default_config_static_selectorELNS0_4arch9wavefront6targetE1EEEvT1_,comdat
	.protected	_ZN7rocprim17ROCPRIM_400000_NS6detail17trampoline_kernelINS0_14default_configENS1_25partition_config_selectorILNS1_17partition_subalgoE8EhNS0_10empty_typeEbEEZZNS1_14partition_implILS5_8ELb0ES3_jPKhPS6_PKS6_NS0_5tupleIJPhS6_EEENSE_IJSB_SB_EEENS0_18inequality_wrapperIN6hipcub16HIPCUB_304000_NS8EqualityEEEPlJS6_EEE10hipError_tPvRmT3_T4_T5_T6_T7_T9_mT8_P12ihipStream_tbDpT10_ENKUlT_T0_E_clISt17integral_constantIbLb0EES16_IbLb1EEEEDaS12_S13_EUlS12_E_NS1_11comp_targetILNS1_3genE3ELNS1_11target_archE908ELNS1_3gpuE7ELNS1_3repE0EEENS1_30default_config_static_selectorELNS0_4arch9wavefront6targetE1EEEvT1_ ; -- Begin function _ZN7rocprim17ROCPRIM_400000_NS6detail17trampoline_kernelINS0_14default_configENS1_25partition_config_selectorILNS1_17partition_subalgoE8EhNS0_10empty_typeEbEEZZNS1_14partition_implILS5_8ELb0ES3_jPKhPS6_PKS6_NS0_5tupleIJPhS6_EEENSE_IJSB_SB_EEENS0_18inequality_wrapperIN6hipcub16HIPCUB_304000_NS8EqualityEEEPlJS6_EEE10hipError_tPvRmT3_T4_T5_T6_T7_T9_mT8_P12ihipStream_tbDpT10_ENKUlT_T0_E_clISt17integral_constantIbLb0EES16_IbLb1EEEEDaS12_S13_EUlS12_E_NS1_11comp_targetILNS1_3genE3ELNS1_11target_archE908ELNS1_3gpuE7ELNS1_3repE0EEENS1_30default_config_static_selectorELNS0_4arch9wavefront6targetE1EEEvT1_
	.globl	_ZN7rocprim17ROCPRIM_400000_NS6detail17trampoline_kernelINS0_14default_configENS1_25partition_config_selectorILNS1_17partition_subalgoE8EhNS0_10empty_typeEbEEZZNS1_14partition_implILS5_8ELb0ES3_jPKhPS6_PKS6_NS0_5tupleIJPhS6_EEENSE_IJSB_SB_EEENS0_18inequality_wrapperIN6hipcub16HIPCUB_304000_NS8EqualityEEEPlJS6_EEE10hipError_tPvRmT3_T4_T5_T6_T7_T9_mT8_P12ihipStream_tbDpT10_ENKUlT_T0_E_clISt17integral_constantIbLb0EES16_IbLb1EEEEDaS12_S13_EUlS12_E_NS1_11comp_targetILNS1_3genE3ELNS1_11target_archE908ELNS1_3gpuE7ELNS1_3repE0EEENS1_30default_config_static_selectorELNS0_4arch9wavefront6targetE1EEEvT1_
	.p2align	8
	.type	_ZN7rocprim17ROCPRIM_400000_NS6detail17trampoline_kernelINS0_14default_configENS1_25partition_config_selectorILNS1_17partition_subalgoE8EhNS0_10empty_typeEbEEZZNS1_14partition_implILS5_8ELb0ES3_jPKhPS6_PKS6_NS0_5tupleIJPhS6_EEENSE_IJSB_SB_EEENS0_18inequality_wrapperIN6hipcub16HIPCUB_304000_NS8EqualityEEEPlJS6_EEE10hipError_tPvRmT3_T4_T5_T6_T7_T9_mT8_P12ihipStream_tbDpT10_ENKUlT_T0_E_clISt17integral_constantIbLb0EES16_IbLb1EEEEDaS12_S13_EUlS12_E_NS1_11comp_targetILNS1_3genE3ELNS1_11target_archE908ELNS1_3gpuE7ELNS1_3repE0EEENS1_30default_config_static_selectorELNS0_4arch9wavefront6targetE1EEEvT1_,@function
_ZN7rocprim17ROCPRIM_400000_NS6detail17trampoline_kernelINS0_14default_configENS1_25partition_config_selectorILNS1_17partition_subalgoE8EhNS0_10empty_typeEbEEZZNS1_14partition_implILS5_8ELb0ES3_jPKhPS6_PKS6_NS0_5tupleIJPhS6_EEENSE_IJSB_SB_EEENS0_18inequality_wrapperIN6hipcub16HIPCUB_304000_NS8EqualityEEEPlJS6_EEE10hipError_tPvRmT3_T4_T5_T6_T7_T9_mT8_P12ihipStream_tbDpT10_ENKUlT_T0_E_clISt17integral_constantIbLb0EES16_IbLb1EEEEDaS12_S13_EUlS12_E_NS1_11comp_targetILNS1_3genE3ELNS1_11target_archE908ELNS1_3gpuE7ELNS1_3repE0EEENS1_30default_config_static_selectorELNS0_4arch9wavefront6targetE1EEEvT1_: ; @_ZN7rocprim17ROCPRIM_400000_NS6detail17trampoline_kernelINS0_14default_configENS1_25partition_config_selectorILNS1_17partition_subalgoE8EhNS0_10empty_typeEbEEZZNS1_14partition_implILS5_8ELb0ES3_jPKhPS6_PKS6_NS0_5tupleIJPhS6_EEENSE_IJSB_SB_EEENS0_18inequality_wrapperIN6hipcub16HIPCUB_304000_NS8EqualityEEEPlJS6_EEE10hipError_tPvRmT3_T4_T5_T6_T7_T9_mT8_P12ihipStream_tbDpT10_ENKUlT_T0_E_clISt17integral_constantIbLb0EES16_IbLb1EEEEDaS12_S13_EUlS12_E_NS1_11comp_targetILNS1_3genE3ELNS1_11target_archE908ELNS1_3gpuE7ELNS1_3repE0EEENS1_30default_config_static_selectorELNS0_4arch9wavefront6targetE1EEEvT1_
; %bb.0:
	.section	.rodata,"a",@progbits
	.p2align	6, 0x0
	.amdhsa_kernel _ZN7rocprim17ROCPRIM_400000_NS6detail17trampoline_kernelINS0_14default_configENS1_25partition_config_selectorILNS1_17partition_subalgoE8EhNS0_10empty_typeEbEEZZNS1_14partition_implILS5_8ELb0ES3_jPKhPS6_PKS6_NS0_5tupleIJPhS6_EEENSE_IJSB_SB_EEENS0_18inequality_wrapperIN6hipcub16HIPCUB_304000_NS8EqualityEEEPlJS6_EEE10hipError_tPvRmT3_T4_T5_T6_T7_T9_mT8_P12ihipStream_tbDpT10_ENKUlT_T0_E_clISt17integral_constantIbLb0EES16_IbLb1EEEEDaS12_S13_EUlS12_E_NS1_11comp_targetILNS1_3genE3ELNS1_11target_archE908ELNS1_3gpuE7ELNS1_3repE0EEENS1_30default_config_static_selectorELNS0_4arch9wavefront6targetE1EEEvT1_
		.amdhsa_group_segment_fixed_size 0
		.amdhsa_private_segment_fixed_size 0
		.amdhsa_kernarg_size 128
		.amdhsa_user_sgpr_count 6
		.amdhsa_user_sgpr_private_segment_buffer 1
		.amdhsa_user_sgpr_dispatch_ptr 0
		.amdhsa_user_sgpr_queue_ptr 0
		.amdhsa_user_sgpr_kernarg_segment_ptr 1
		.amdhsa_user_sgpr_dispatch_id 0
		.amdhsa_user_sgpr_flat_scratch_init 0
		.amdhsa_user_sgpr_kernarg_preload_length 0
		.amdhsa_user_sgpr_kernarg_preload_offset 0
		.amdhsa_user_sgpr_private_segment_size 0
		.amdhsa_uses_dynamic_stack 0
		.amdhsa_system_sgpr_private_segment_wavefront_offset 0
		.amdhsa_system_sgpr_workgroup_id_x 1
		.amdhsa_system_sgpr_workgroup_id_y 0
		.amdhsa_system_sgpr_workgroup_id_z 0
		.amdhsa_system_sgpr_workgroup_info 0
		.amdhsa_system_vgpr_workitem_id 0
		.amdhsa_next_free_vgpr 1
		.amdhsa_next_free_sgpr 0
		.amdhsa_accum_offset 4
		.amdhsa_reserve_vcc 0
		.amdhsa_reserve_flat_scratch 0
		.amdhsa_float_round_mode_32 0
		.amdhsa_float_round_mode_16_64 0
		.amdhsa_float_denorm_mode_32 3
		.amdhsa_float_denorm_mode_16_64 3
		.amdhsa_dx10_clamp 1
		.amdhsa_ieee_mode 1
		.amdhsa_fp16_overflow 0
		.amdhsa_tg_split 0
		.amdhsa_exception_fp_ieee_invalid_op 0
		.amdhsa_exception_fp_denorm_src 0
		.amdhsa_exception_fp_ieee_div_zero 0
		.amdhsa_exception_fp_ieee_overflow 0
		.amdhsa_exception_fp_ieee_underflow 0
		.amdhsa_exception_fp_ieee_inexact 0
		.amdhsa_exception_int_div_zero 0
	.end_amdhsa_kernel
	.section	.text._ZN7rocprim17ROCPRIM_400000_NS6detail17trampoline_kernelINS0_14default_configENS1_25partition_config_selectorILNS1_17partition_subalgoE8EhNS0_10empty_typeEbEEZZNS1_14partition_implILS5_8ELb0ES3_jPKhPS6_PKS6_NS0_5tupleIJPhS6_EEENSE_IJSB_SB_EEENS0_18inequality_wrapperIN6hipcub16HIPCUB_304000_NS8EqualityEEEPlJS6_EEE10hipError_tPvRmT3_T4_T5_T6_T7_T9_mT8_P12ihipStream_tbDpT10_ENKUlT_T0_E_clISt17integral_constantIbLb0EES16_IbLb1EEEEDaS12_S13_EUlS12_E_NS1_11comp_targetILNS1_3genE3ELNS1_11target_archE908ELNS1_3gpuE7ELNS1_3repE0EEENS1_30default_config_static_selectorELNS0_4arch9wavefront6targetE1EEEvT1_,"axG",@progbits,_ZN7rocprim17ROCPRIM_400000_NS6detail17trampoline_kernelINS0_14default_configENS1_25partition_config_selectorILNS1_17partition_subalgoE8EhNS0_10empty_typeEbEEZZNS1_14partition_implILS5_8ELb0ES3_jPKhPS6_PKS6_NS0_5tupleIJPhS6_EEENSE_IJSB_SB_EEENS0_18inequality_wrapperIN6hipcub16HIPCUB_304000_NS8EqualityEEEPlJS6_EEE10hipError_tPvRmT3_T4_T5_T6_T7_T9_mT8_P12ihipStream_tbDpT10_ENKUlT_T0_E_clISt17integral_constantIbLb0EES16_IbLb1EEEEDaS12_S13_EUlS12_E_NS1_11comp_targetILNS1_3genE3ELNS1_11target_archE908ELNS1_3gpuE7ELNS1_3repE0EEENS1_30default_config_static_selectorELNS0_4arch9wavefront6targetE1EEEvT1_,comdat
.Lfunc_end161:
	.size	_ZN7rocprim17ROCPRIM_400000_NS6detail17trampoline_kernelINS0_14default_configENS1_25partition_config_selectorILNS1_17partition_subalgoE8EhNS0_10empty_typeEbEEZZNS1_14partition_implILS5_8ELb0ES3_jPKhPS6_PKS6_NS0_5tupleIJPhS6_EEENSE_IJSB_SB_EEENS0_18inequality_wrapperIN6hipcub16HIPCUB_304000_NS8EqualityEEEPlJS6_EEE10hipError_tPvRmT3_T4_T5_T6_T7_T9_mT8_P12ihipStream_tbDpT10_ENKUlT_T0_E_clISt17integral_constantIbLb0EES16_IbLb1EEEEDaS12_S13_EUlS12_E_NS1_11comp_targetILNS1_3genE3ELNS1_11target_archE908ELNS1_3gpuE7ELNS1_3repE0EEENS1_30default_config_static_selectorELNS0_4arch9wavefront6targetE1EEEvT1_, .Lfunc_end161-_ZN7rocprim17ROCPRIM_400000_NS6detail17trampoline_kernelINS0_14default_configENS1_25partition_config_selectorILNS1_17partition_subalgoE8EhNS0_10empty_typeEbEEZZNS1_14partition_implILS5_8ELb0ES3_jPKhPS6_PKS6_NS0_5tupleIJPhS6_EEENSE_IJSB_SB_EEENS0_18inequality_wrapperIN6hipcub16HIPCUB_304000_NS8EqualityEEEPlJS6_EEE10hipError_tPvRmT3_T4_T5_T6_T7_T9_mT8_P12ihipStream_tbDpT10_ENKUlT_T0_E_clISt17integral_constantIbLb0EES16_IbLb1EEEEDaS12_S13_EUlS12_E_NS1_11comp_targetILNS1_3genE3ELNS1_11target_archE908ELNS1_3gpuE7ELNS1_3repE0EEENS1_30default_config_static_selectorELNS0_4arch9wavefront6targetE1EEEvT1_
                                        ; -- End function
	.section	.AMDGPU.csdata,"",@progbits
; Kernel info:
; codeLenInByte = 0
; NumSgprs: 4
; NumVgprs: 0
; NumAgprs: 0
; TotalNumVgprs: 0
; ScratchSize: 0
; MemoryBound: 0
; FloatMode: 240
; IeeeMode: 1
; LDSByteSize: 0 bytes/workgroup (compile time only)
; SGPRBlocks: 0
; VGPRBlocks: 0
; NumSGPRsForWavesPerEU: 4
; NumVGPRsForWavesPerEU: 1
; AccumOffset: 4
; Occupancy: 8
; WaveLimiterHint : 0
; COMPUTE_PGM_RSRC2:SCRATCH_EN: 0
; COMPUTE_PGM_RSRC2:USER_SGPR: 6
; COMPUTE_PGM_RSRC2:TRAP_HANDLER: 0
; COMPUTE_PGM_RSRC2:TGID_X_EN: 1
; COMPUTE_PGM_RSRC2:TGID_Y_EN: 0
; COMPUTE_PGM_RSRC2:TGID_Z_EN: 0
; COMPUTE_PGM_RSRC2:TIDIG_COMP_CNT: 0
; COMPUTE_PGM_RSRC3_GFX90A:ACCUM_OFFSET: 0
; COMPUTE_PGM_RSRC3_GFX90A:TG_SPLIT: 0
	.section	.text._ZN7rocprim17ROCPRIM_400000_NS6detail17trampoline_kernelINS0_14default_configENS1_25partition_config_selectorILNS1_17partition_subalgoE8EhNS0_10empty_typeEbEEZZNS1_14partition_implILS5_8ELb0ES3_jPKhPS6_PKS6_NS0_5tupleIJPhS6_EEENSE_IJSB_SB_EEENS0_18inequality_wrapperIN6hipcub16HIPCUB_304000_NS8EqualityEEEPlJS6_EEE10hipError_tPvRmT3_T4_T5_T6_T7_T9_mT8_P12ihipStream_tbDpT10_ENKUlT_T0_E_clISt17integral_constantIbLb0EES16_IbLb1EEEEDaS12_S13_EUlS12_E_NS1_11comp_targetILNS1_3genE2ELNS1_11target_archE906ELNS1_3gpuE6ELNS1_3repE0EEENS1_30default_config_static_selectorELNS0_4arch9wavefront6targetE1EEEvT1_,"axG",@progbits,_ZN7rocprim17ROCPRIM_400000_NS6detail17trampoline_kernelINS0_14default_configENS1_25partition_config_selectorILNS1_17partition_subalgoE8EhNS0_10empty_typeEbEEZZNS1_14partition_implILS5_8ELb0ES3_jPKhPS6_PKS6_NS0_5tupleIJPhS6_EEENSE_IJSB_SB_EEENS0_18inequality_wrapperIN6hipcub16HIPCUB_304000_NS8EqualityEEEPlJS6_EEE10hipError_tPvRmT3_T4_T5_T6_T7_T9_mT8_P12ihipStream_tbDpT10_ENKUlT_T0_E_clISt17integral_constantIbLb0EES16_IbLb1EEEEDaS12_S13_EUlS12_E_NS1_11comp_targetILNS1_3genE2ELNS1_11target_archE906ELNS1_3gpuE6ELNS1_3repE0EEENS1_30default_config_static_selectorELNS0_4arch9wavefront6targetE1EEEvT1_,comdat
	.protected	_ZN7rocprim17ROCPRIM_400000_NS6detail17trampoline_kernelINS0_14default_configENS1_25partition_config_selectorILNS1_17partition_subalgoE8EhNS0_10empty_typeEbEEZZNS1_14partition_implILS5_8ELb0ES3_jPKhPS6_PKS6_NS0_5tupleIJPhS6_EEENSE_IJSB_SB_EEENS0_18inequality_wrapperIN6hipcub16HIPCUB_304000_NS8EqualityEEEPlJS6_EEE10hipError_tPvRmT3_T4_T5_T6_T7_T9_mT8_P12ihipStream_tbDpT10_ENKUlT_T0_E_clISt17integral_constantIbLb0EES16_IbLb1EEEEDaS12_S13_EUlS12_E_NS1_11comp_targetILNS1_3genE2ELNS1_11target_archE906ELNS1_3gpuE6ELNS1_3repE0EEENS1_30default_config_static_selectorELNS0_4arch9wavefront6targetE1EEEvT1_ ; -- Begin function _ZN7rocprim17ROCPRIM_400000_NS6detail17trampoline_kernelINS0_14default_configENS1_25partition_config_selectorILNS1_17partition_subalgoE8EhNS0_10empty_typeEbEEZZNS1_14partition_implILS5_8ELb0ES3_jPKhPS6_PKS6_NS0_5tupleIJPhS6_EEENSE_IJSB_SB_EEENS0_18inequality_wrapperIN6hipcub16HIPCUB_304000_NS8EqualityEEEPlJS6_EEE10hipError_tPvRmT3_T4_T5_T6_T7_T9_mT8_P12ihipStream_tbDpT10_ENKUlT_T0_E_clISt17integral_constantIbLb0EES16_IbLb1EEEEDaS12_S13_EUlS12_E_NS1_11comp_targetILNS1_3genE2ELNS1_11target_archE906ELNS1_3gpuE6ELNS1_3repE0EEENS1_30default_config_static_selectorELNS0_4arch9wavefront6targetE1EEEvT1_
	.globl	_ZN7rocprim17ROCPRIM_400000_NS6detail17trampoline_kernelINS0_14default_configENS1_25partition_config_selectorILNS1_17partition_subalgoE8EhNS0_10empty_typeEbEEZZNS1_14partition_implILS5_8ELb0ES3_jPKhPS6_PKS6_NS0_5tupleIJPhS6_EEENSE_IJSB_SB_EEENS0_18inequality_wrapperIN6hipcub16HIPCUB_304000_NS8EqualityEEEPlJS6_EEE10hipError_tPvRmT3_T4_T5_T6_T7_T9_mT8_P12ihipStream_tbDpT10_ENKUlT_T0_E_clISt17integral_constantIbLb0EES16_IbLb1EEEEDaS12_S13_EUlS12_E_NS1_11comp_targetILNS1_3genE2ELNS1_11target_archE906ELNS1_3gpuE6ELNS1_3repE0EEENS1_30default_config_static_selectorELNS0_4arch9wavefront6targetE1EEEvT1_
	.p2align	8
	.type	_ZN7rocprim17ROCPRIM_400000_NS6detail17trampoline_kernelINS0_14default_configENS1_25partition_config_selectorILNS1_17partition_subalgoE8EhNS0_10empty_typeEbEEZZNS1_14partition_implILS5_8ELb0ES3_jPKhPS6_PKS6_NS0_5tupleIJPhS6_EEENSE_IJSB_SB_EEENS0_18inequality_wrapperIN6hipcub16HIPCUB_304000_NS8EqualityEEEPlJS6_EEE10hipError_tPvRmT3_T4_T5_T6_T7_T9_mT8_P12ihipStream_tbDpT10_ENKUlT_T0_E_clISt17integral_constantIbLb0EES16_IbLb1EEEEDaS12_S13_EUlS12_E_NS1_11comp_targetILNS1_3genE2ELNS1_11target_archE906ELNS1_3gpuE6ELNS1_3repE0EEENS1_30default_config_static_selectorELNS0_4arch9wavefront6targetE1EEEvT1_,@function
_ZN7rocprim17ROCPRIM_400000_NS6detail17trampoline_kernelINS0_14default_configENS1_25partition_config_selectorILNS1_17partition_subalgoE8EhNS0_10empty_typeEbEEZZNS1_14partition_implILS5_8ELb0ES3_jPKhPS6_PKS6_NS0_5tupleIJPhS6_EEENSE_IJSB_SB_EEENS0_18inequality_wrapperIN6hipcub16HIPCUB_304000_NS8EqualityEEEPlJS6_EEE10hipError_tPvRmT3_T4_T5_T6_T7_T9_mT8_P12ihipStream_tbDpT10_ENKUlT_T0_E_clISt17integral_constantIbLb0EES16_IbLb1EEEEDaS12_S13_EUlS12_E_NS1_11comp_targetILNS1_3genE2ELNS1_11target_archE906ELNS1_3gpuE6ELNS1_3repE0EEENS1_30default_config_static_selectorELNS0_4arch9wavefront6targetE1EEEvT1_: ; @_ZN7rocprim17ROCPRIM_400000_NS6detail17trampoline_kernelINS0_14default_configENS1_25partition_config_selectorILNS1_17partition_subalgoE8EhNS0_10empty_typeEbEEZZNS1_14partition_implILS5_8ELb0ES3_jPKhPS6_PKS6_NS0_5tupleIJPhS6_EEENSE_IJSB_SB_EEENS0_18inequality_wrapperIN6hipcub16HIPCUB_304000_NS8EqualityEEEPlJS6_EEE10hipError_tPvRmT3_T4_T5_T6_T7_T9_mT8_P12ihipStream_tbDpT10_ENKUlT_T0_E_clISt17integral_constantIbLb0EES16_IbLb1EEEEDaS12_S13_EUlS12_E_NS1_11comp_targetILNS1_3genE2ELNS1_11target_archE906ELNS1_3gpuE6ELNS1_3repE0EEENS1_30default_config_static_selectorELNS0_4arch9wavefront6targetE1EEEvT1_
; %bb.0:
	.section	.rodata,"a",@progbits
	.p2align	6, 0x0
	.amdhsa_kernel _ZN7rocprim17ROCPRIM_400000_NS6detail17trampoline_kernelINS0_14default_configENS1_25partition_config_selectorILNS1_17partition_subalgoE8EhNS0_10empty_typeEbEEZZNS1_14partition_implILS5_8ELb0ES3_jPKhPS6_PKS6_NS0_5tupleIJPhS6_EEENSE_IJSB_SB_EEENS0_18inequality_wrapperIN6hipcub16HIPCUB_304000_NS8EqualityEEEPlJS6_EEE10hipError_tPvRmT3_T4_T5_T6_T7_T9_mT8_P12ihipStream_tbDpT10_ENKUlT_T0_E_clISt17integral_constantIbLb0EES16_IbLb1EEEEDaS12_S13_EUlS12_E_NS1_11comp_targetILNS1_3genE2ELNS1_11target_archE906ELNS1_3gpuE6ELNS1_3repE0EEENS1_30default_config_static_selectorELNS0_4arch9wavefront6targetE1EEEvT1_
		.amdhsa_group_segment_fixed_size 0
		.amdhsa_private_segment_fixed_size 0
		.amdhsa_kernarg_size 128
		.amdhsa_user_sgpr_count 6
		.amdhsa_user_sgpr_private_segment_buffer 1
		.amdhsa_user_sgpr_dispatch_ptr 0
		.amdhsa_user_sgpr_queue_ptr 0
		.amdhsa_user_sgpr_kernarg_segment_ptr 1
		.amdhsa_user_sgpr_dispatch_id 0
		.amdhsa_user_sgpr_flat_scratch_init 0
		.amdhsa_user_sgpr_kernarg_preload_length 0
		.amdhsa_user_sgpr_kernarg_preload_offset 0
		.amdhsa_user_sgpr_private_segment_size 0
		.amdhsa_uses_dynamic_stack 0
		.amdhsa_system_sgpr_private_segment_wavefront_offset 0
		.amdhsa_system_sgpr_workgroup_id_x 1
		.amdhsa_system_sgpr_workgroup_id_y 0
		.amdhsa_system_sgpr_workgroup_id_z 0
		.amdhsa_system_sgpr_workgroup_info 0
		.amdhsa_system_vgpr_workitem_id 0
		.amdhsa_next_free_vgpr 1
		.amdhsa_next_free_sgpr 0
		.amdhsa_accum_offset 4
		.amdhsa_reserve_vcc 0
		.amdhsa_reserve_flat_scratch 0
		.amdhsa_float_round_mode_32 0
		.amdhsa_float_round_mode_16_64 0
		.amdhsa_float_denorm_mode_32 3
		.amdhsa_float_denorm_mode_16_64 3
		.amdhsa_dx10_clamp 1
		.amdhsa_ieee_mode 1
		.amdhsa_fp16_overflow 0
		.amdhsa_tg_split 0
		.amdhsa_exception_fp_ieee_invalid_op 0
		.amdhsa_exception_fp_denorm_src 0
		.amdhsa_exception_fp_ieee_div_zero 0
		.amdhsa_exception_fp_ieee_overflow 0
		.amdhsa_exception_fp_ieee_underflow 0
		.amdhsa_exception_fp_ieee_inexact 0
		.amdhsa_exception_int_div_zero 0
	.end_amdhsa_kernel
	.section	.text._ZN7rocprim17ROCPRIM_400000_NS6detail17trampoline_kernelINS0_14default_configENS1_25partition_config_selectorILNS1_17partition_subalgoE8EhNS0_10empty_typeEbEEZZNS1_14partition_implILS5_8ELb0ES3_jPKhPS6_PKS6_NS0_5tupleIJPhS6_EEENSE_IJSB_SB_EEENS0_18inequality_wrapperIN6hipcub16HIPCUB_304000_NS8EqualityEEEPlJS6_EEE10hipError_tPvRmT3_T4_T5_T6_T7_T9_mT8_P12ihipStream_tbDpT10_ENKUlT_T0_E_clISt17integral_constantIbLb0EES16_IbLb1EEEEDaS12_S13_EUlS12_E_NS1_11comp_targetILNS1_3genE2ELNS1_11target_archE906ELNS1_3gpuE6ELNS1_3repE0EEENS1_30default_config_static_selectorELNS0_4arch9wavefront6targetE1EEEvT1_,"axG",@progbits,_ZN7rocprim17ROCPRIM_400000_NS6detail17trampoline_kernelINS0_14default_configENS1_25partition_config_selectorILNS1_17partition_subalgoE8EhNS0_10empty_typeEbEEZZNS1_14partition_implILS5_8ELb0ES3_jPKhPS6_PKS6_NS0_5tupleIJPhS6_EEENSE_IJSB_SB_EEENS0_18inequality_wrapperIN6hipcub16HIPCUB_304000_NS8EqualityEEEPlJS6_EEE10hipError_tPvRmT3_T4_T5_T6_T7_T9_mT8_P12ihipStream_tbDpT10_ENKUlT_T0_E_clISt17integral_constantIbLb0EES16_IbLb1EEEEDaS12_S13_EUlS12_E_NS1_11comp_targetILNS1_3genE2ELNS1_11target_archE906ELNS1_3gpuE6ELNS1_3repE0EEENS1_30default_config_static_selectorELNS0_4arch9wavefront6targetE1EEEvT1_,comdat
.Lfunc_end162:
	.size	_ZN7rocprim17ROCPRIM_400000_NS6detail17trampoline_kernelINS0_14default_configENS1_25partition_config_selectorILNS1_17partition_subalgoE8EhNS0_10empty_typeEbEEZZNS1_14partition_implILS5_8ELb0ES3_jPKhPS6_PKS6_NS0_5tupleIJPhS6_EEENSE_IJSB_SB_EEENS0_18inequality_wrapperIN6hipcub16HIPCUB_304000_NS8EqualityEEEPlJS6_EEE10hipError_tPvRmT3_T4_T5_T6_T7_T9_mT8_P12ihipStream_tbDpT10_ENKUlT_T0_E_clISt17integral_constantIbLb0EES16_IbLb1EEEEDaS12_S13_EUlS12_E_NS1_11comp_targetILNS1_3genE2ELNS1_11target_archE906ELNS1_3gpuE6ELNS1_3repE0EEENS1_30default_config_static_selectorELNS0_4arch9wavefront6targetE1EEEvT1_, .Lfunc_end162-_ZN7rocprim17ROCPRIM_400000_NS6detail17trampoline_kernelINS0_14default_configENS1_25partition_config_selectorILNS1_17partition_subalgoE8EhNS0_10empty_typeEbEEZZNS1_14partition_implILS5_8ELb0ES3_jPKhPS6_PKS6_NS0_5tupleIJPhS6_EEENSE_IJSB_SB_EEENS0_18inequality_wrapperIN6hipcub16HIPCUB_304000_NS8EqualityEEEPlJS6_EEE10hipError_tPvRmT3_T4_T5_T6_T7_T9_mT8_P12ihipStream_tbDpT10_ENKUlT_T0_E_clISt17integral_constantIbLb0EES16_IbLb1EEEEDaS12_S13_EUlS12_E_NS1_11comp_targetILNS1_3genE2ELNS1_11target_archE906ELNS1_3gpuE6ELNS1_3repE0EEENS1_30default_config_static_selectorELNS0_4arch9wavefront6targetE1EEEvT1_
                                        ; -- End function
	.section	.AMDGPU.csdata,"",@progbits
; Kernel info:
; codeLenInByte = 0
; NumSgprs: 4
; NumVgprs: 0
; NumAgprs: 0
; TotalNumVgprs: 0
; ScratchSize: 0
; MemoryBound: 0
; FloatMode: 240
; IeeeMode: 1
; LDSByteSize: 0 bytes/workgroup (compile time only)
; SGPRBlocks: 0
; VGPRBlocks: 0
; NumSGPRsForWavesPerEU: 4
; NumVGPRsForWavesPerEU: 1
; AccumOffset: 4
; Occupancy: 8
; WaveLimiterHint : 0
; COMPUTE_PGM_RSRC2:SCRATCH_EN: 0
; COMPUTE_PGM_RSRC2:USER_SGPR: 6
; COMPUTE_PGM_RSRC2:TRAP_HANDLER: 0
; COMPUTE_PGM_RSRC2:TGID_X_EN: 1
; COMPUTE_PGM_RSRC2:TGID_Y_EN: 0
; COMPUTE_PGM_RSRC2:TGID_Z_EN: 0
; COMPUTE_PGM_RSRC2:TIDIG_COMP_CNT: 0
; COMPUTE_PGM_RSRC3_GFX90A:ACCUM_OFFSET: 0
; COMPUTE_PGM_RSRC3_GFX90A:TG_SPLIT: 0
	.section	.text._ZN7rocprim17ROCPRIM_400000_NS6detail17trampoline_kernelINS0_14default_configENS1_25partition_config_selectorILNS1_17partition_subalgoE8EhNS0_10empty_typeEbEEZZNS1_14partition_implILS5_8ELb0ES3_jPKhPS6_PKS6_NS0_5tupleIJPhS6_EEENSE_IJSB_SB_EEENS0_18inequality_wrapperIN6hipcub16HIPCUB_304000_NS8EqualityEEEPlJS6_EEE10hipError_tPvRmT3_T4_T5_T6_T7_T9_mT8_P12ihipStream_tbDpT10_ENKUlT_T0_E_clISt17integral_constantIbLb0EES16_IbLb1EEEEDaS12_S13_EUlS12_E_NS1_11comp_targetILNS1_3genE10ELNS1_11target_archE1200ELNS1_3gpuE4ELNS1_3repE0EEENS1_30default_config_static_selectorELNS0_4arch9wavefront6targetE1EEEvT1_,"axG",@progbits,_ZN7rocprim17ROCPRIM_400000_NS6detail17trampoline_kernelINS0_14default_configENS1_25partition_config_selectorILNS1_17partition_subalgoE8EhNS0_10empty_typeEbEEZZNS1_14partition_implILS5_8ELb0ES3_jPKhPS6_PKS6_NS0_5tupleIJPhS6_EEENSE_IJSB_SB_EEENS0_18inequality_wrapperIN6hipcub16HIPCUB_304000_NS8EqualityEEEPlJS6_EEE10hipError_tPvRmT3_T4_T5_T6_T7_T9_mT8_P12ihipStream_tbDpT10_ENKUlT_T0_E_clISt17integral_constantIbLb0EES16_IbLb1EEEEDaS12_S13_EUlS12_E_NS1_11comp_targetILNS1_3genE10ELNS1_11target_archE1200ELNS1_3gpuE4ELNS1_3repE0EEENS1_30default_config_static_selectorELNS0_4arch9wavefront6targetE1EEEvT1_,comdat
	.protected	_ZN7rocprim17ROCPRIM_400000_NS6detail17trampoline_kernelINS0_14default_configENS1_25partition_config_selectorILNS1_17partition_subalgoE8EhNS0_10empty_typeEbEEZZNS1_14partition_implILS5_8ELb0ES3_jPKhPS6_PKS6_NS0_5tupleIJPhS6_EEENSE_IJSB_SB_EEENS0_18inequality_wrapperIN6hipcub16HIPCUB_304000_NS8EqualityEEEPlJS6_EEE10hipError_tPvRmT3_T4_T5_T6_T7_T9_mT8_P12ihipStream_tbDpT10_ENKUlT_T0_E_clISt17integral_constantIbLb0EES16_IbLb1EEEEDaS12_S13_EUlS12_E_NS1_11comp_targetILNS1_3genE10ELNS1_11target_archE1200ELNS1_3gpuE4ELNS1_3repE0EEENS1_30default_config_static_selectorELNS0_4arch9wavefront6targetE1EEEvT1_ ; -- Begin function _ZN7rocprim17ROCPRIM_400000_NS6detail17trampoline_kernelINS0_14default_configENS1_25partition_config_selectorILNS1_17partition_subalgoE8EhNS0_10empty_typeEbEEZZNS1_14partition_implILS5_8ELb0ES3_jPKhPS6_PKS6_NS0_5tupleIJPhS6_EEENSE_IJSB_SB_EEENS0_18inequality_wrapperIN6hipcub16HIPCUB_304000_NS8EqualityEEEPlJS6_EEE10hipError_tPvRmT3_T4_T5_T6_T7_T9_mT8_P12ihipStream_tbDpT10_ENKUlT_T0_E_clISt17integral_constantIbLb0EES16_IbLb1EEEEDaS12_S13_EUlS12_E_NS1_11comp_targetILNS1_3genE10ELNS1_11target_archE1200ELNS1_3gpuE4ELNS1_3repE0EEENS1_30default_config_static_selectorELNS0_4arch9wavefront6targetE1EEEvT1_
	.globl	_ZN7rocprim17ROCPRIM_400000_NS6detail17trampoline_kernelINS0_14default_configENS1_25partition_config_selectorILNS1_17partition_subalgoE8EhNS0_10empty_typeEbEEZZNS1_14partition_implILS5_8ELb0ES3_jPKhPS6_PKS6_NS0_5tupleIJPhS6_EEENSE_IJSB_SB_EEENS0_18inequality_wrapperIN6hipcub16HIPCUB_304000_NS8EqualityEEEPlJS6_EEE10hipError_tPvRmT3_T4_T5_T6_T7_T9_mT8_P12ihipStream_tbDpT10_ENKUlT_T0_E_clISt17integral_constantIbLb0EES16_IbLb1EEEEDaS12_S13_EUlS12_E_NS1_11comp_targetILNS1_3genE10ELNS1_11target_archE1200ELNS1_3gpuE4ELNS1_3repE0EEENS1_30default_config_static_selectorELNS0_4arch9wavefront6targetE1EEEvT1_
	.p2align	8
	.type	_ZN7rocprim17ROCPRIM_400000_NS6detail17trampoline_kernelINS0_14default_configENS1_25partition_config_selectorILNS1_17partition_subalgoE8EhNS0_10empty_typeEbEEZZNS1_14partition_implILS5_8ELb0ES3_jPKhPS6_PKS6_NS0_5tupleIJPhS6_EEENSE_IJSB_SB_EEENS0_18inequality_wrapperIN6hipcub16HIPCUB_304000_NS8EqualityEEEPlJS6_EEE10hipError_tPvRmT3_T4_T5_T6_T7_T9_mT8_P12ihipStream_tbDpT10_ENKUlT_T0_E_clISt17integral_constantIbLb0EES16_IbLb1EEEEDaS12_S13_EUlS12_E_NS1_11comp_targetILNS1_3genE10ELNS1_11target_archE1200ELNS1_3gpuE4ELNS1_3repE0EEENS1_30default_config_static_selectorELNS0_4arch9wavefront6targetE1EEEvT1_,@function
_ZN7rocprim17ROCPRIM_400000_NS6detail17trampoline_kernelINS0_14default_configENS1_25partition_config_selectorILNS1_17partition_subalgoE8EhNS0_10empty_typeEbEEZZNS1_14partition_implILS5_8ELb0ES3_jPKhPS6_PKS6_NS0_5tupleIJPhS6_EEENSE_IJSB_SB_EEENS0_18inequality_wrapperIN6hipcub16HIPCUB_304000_NS8EqualityEEEPlJS6_EEE10hipError_tPvRmT3_T4_T5_T6_T7_T9_mT8_P12ihipStream_tbDpT10_ENKUlT_T0_E_clISt17integral_constantIbLb0EES16_IbLb1EEEEDaS12_S13_EUlS12_E_NS1_11comp_targetILNS1_3genE10ELNS1_11target_archE1200ELNS1_3gpuE4ELNS1_3repE0EEENS1_30default_config_static_selectorELNS0_4arch9wavefront6targetE1EEEvT1_: ; @_ZN7rocprim17ROCPRIM_400000_NS6detail17trampoline_kernelINS0_14default_configENS1_25partition_config_selectorILNS1_17partition_subalgoE8EhNS0_10empty_typeEbEEZZNS1_14partition_implILS5_8ELb0ES3_jPKhPS6_PKS6_NS0_5tupleIJPhS6_EEENSE_IJSB_SB_EEENS0_18inequality_wrapperIN6hipcub16HIPCUB_304000_NS8EqualityEEEPlJS6_EEE10hipError_tPvRmT3_T4_T5_T6_T7_T9_mT8_P12ihipStream_tbDpT10_ENKUlT_T0_E_clISt17integral_constantIbLb0EES16_IbLb1EEEEDaS12_S13_EUlS12_E_NS1_11comp_targetILNS1_3genE10ELNS1_11target_archE1200ELNS1_3gpuE4ELNS1_3repE0EEENS1_30default_config_static_selectorELNS0_4arch9wavefront6targetE1EEEvT1_
; %bb.0:
	.section	.rodata,"a",@progbits
	.p2align	6, 0x0
	.amdhsa_kernel _ZN7rocprim17ROCPRIM_400000_NS6detail17trampoline_kernelINS0_14default_configENS1_25partition_config_selectorILNS1_17partition_subalgoE8EhNS0_10empty_typeEbEEZZNS1_14partition_implILS5_8ELb0ES3_jPKhPS6_PKS6_NS0_5tupleIJPhS6_EEENSE_IJSB_SB_EEENS0_18inequality_wrapperIN6hipcub16HIPCUB_304000_NS8EqualityEEEPlJS6_EEE10hipError_tPvRmT3_T4_T5_T6_T7_T9_mT8_P12ihipStream_tbDpT10_ENKUlT_T0_E_clISt17integral_constantIbLb0EES16_IbLb1EEEEDaS12_S13_EUlS12_E_NS1_11comp_targetILNS1_3genE10ELNS1_11target_archE1200ELNS1_3gpuE4ELNS1_3repE0EEENS1_30default_config_static_selectorELNS0_4arch9wavefront6targetE1EEEvT1_
		.amdhsa_group_segment_fixed_size 0
		.amdhsa_private_segment_fixed_size 0
		.amdhsa_kernarg_size 128
		.amdhsa_user_sgpr_count 6
		.amdhsa_user_sgpr_private_segment_buffer 1
		.amdhsa_user_sgpr_dispatch_ptr 0
		.amdhsa_user_sgpr_queue_ptr 0
		.amdhsa_user_sgpr_kernarg_segment_ptr 1
		.amdhsa_user_sgpr_dispatch_id 0
		.amdhsa_user_sgpr_flat_scratch_init 0
		.amdhsa_user_sgpr_kernarg_preload_length 0
		.amdhsa_user_sgpr_kernarg_preload_offset 0
		.amdhsa_user_sgpr_private_segment_size 0
		.amdhsa_uses_dynamic_stack 0
		.amdhsa_system_sgpr_private_segment_wavefront_offset 0
		.amdhsa_system_sgpr_workgroup_id_x 1
		.amdhsa_system_sgpr_workgroup_id_y 0
		.amdhsa_system_sgpr_workgroup_id_z 0
		.amdhsa_system_sgpr_workgroup_info 0
		.amdhsa_system_vgpr_workitem_id 0
		.amdhsa_next_free_vgpr 1
		.amdhsa_next_free_sgpr 0
		.amdhsa_accum_offset 4
		.amdhsa_reserve_vcc 0
		.amdhsa_reserve_flat_scratch 0
		.amdhsa_float_round_mode_32 0
		.amdhsa_float_round_mode_16_64 0
		.amdhsa_float_denorm_mode_32 3
		.amdhsa_float_denorm_mode_16_64 3
		.amdhsa_dx10_clamp 1
		.amdhsa_ieee_mode 1
		.amdhsa_fp16_overflow 0
		.amdhsa_tg_split 0
		.amdhsa_exception_fp_ieee_invalid_op 0
		.amdhsa_exception_fp_denorm_src 0
		.amdhsa_exception_fp_ieee_div_zero 0
		.amdhsa_exception_fp_ieee_overflow 0
		.amdhsa_exception_fp_ieee_underflow 0
		.amdhsa_exception_fp_ieee_inexact 0
		.amdhsa_exception_int_div_zero 0
	.end_amdhsa_kernel
	.section	.text._ZN7rocprim17ROCPRIM_400000_NS6detail17trampoline_kernelINS0_14default_configENS1_25partition_config_selectorILNS1_17partition_subalgoE8EhNS0_10empty_typeEbEEZZNS1_14partition_implILS5_8ELb0ES3_jPKhPS6_PKS6_NS0_5tupleIJPhS6_EEENSE_IJSB_SB_EEENS0_18inequality_wrapperIN6hipcub16HIPCUB_304000_NS8EqualityEEEPlJS6_EEE10hipError_tPvRmT3_T4_T5_T6_T7_T9_mT8_P12ihipStream_tbDpT10_ENKUlT_T0_E_clISt17integral_constantIbLb0EES16_IbLb1EEEEDaS12_S13_EUlS12_E_NS1_11comp_targetILNS1_3genE10ELNS1_11target_archE1200ELNS1_3gpuE4ELNS1_3repE0EEENS1_30default_config_static_selectorELNS0_4arch9wavefront6targetE1EEEvT1_,"axG",@progbits,_ZN7rocprim17ROCPRIM_400000_NS6detail17trampoline_kernelINS0_14default_configENS1_25partition_config_selectorILNS1_17partition_subalgoE8EhNS0_10empty_typeEbEEZZNS1_14partition_implILS5_8ELb0ES3_jPKhPS6_PKS6_NS0_5tupleIJPhS6_EEENSE_IJSB_SB_EEENS0_18inequality_wrapperIN6hipcub16HIPCUB_304000_NS8EqualityEEEPlJS6_EEE10hipError_tPvRmT3_T4_T5_T6_T7_T9_mT8_P12ihipStream_tbDpT10_ENKUlT_T0_E_clISt17integral_constantIbLb0EES16_IbLb1EEEEDaS12_S13_EUlS12_E_NS1_11comp_targetILNS1_3genE10ELNS1_11target_archE1200ELNS1_3gpuE4ELNS1_3repE0EEENS1_30default_config_static_selectorELNS0_4arch9wavefront6targetE1EEEvT1_,comdat
.Lfunc_end163:
	.size	_ZN7rocprim17ROCPRIM_400000_NS6detail17trampoline_kernelINS0_14default_configENS1_25partition_config_selectorILNS1_17partition_subalgoE8EhNS0_10empty_typeEbEEZZNS1_14partition_implILS5_8ELb0ES3_jPKhPS6_PKS6_NS0_5tupleIJPhS6_EEENSE_IJSB_SB_EEENS0_18inequality_wrapperIN6hipcub16HIPCUB_304000_NS8EqualityEEEPlJS6_EEE10hipError_tPvRmT3_T4_T5_T6_T7_T9_mT8_P12ihipStream_tbDpT10_ENKUlT_T0_E_clISt17integral_constantIbLb0EES16_IbLb1EEEEDaS12_S13_EUlS12_E_NS1_11comp_targetILNS1_3genE10ELNS1_11target_archE1200ELNS1_3gpuE4ELNS1_3repE0EEENS1_30default_config_static_selectorELNS0_4arch9wavefront6targetE1EEEvT1_, .Lfunc_end163-_ZN7rocprim17ROCPRIM_400000_NS6detail17trampoline_kernelINS0_14default_configENS1_25partition_config_selectorILNS1_17partition_subalgoE8EhNS0_10empty_typeEbEEZZNS1_14partition_implILS5_8ELb0ES3_jPKhPS6_PKS6_NS0_5tupleIJPhS6_EEENSE_IJSB_SB_EEENS0_18inequality_wrapperIN6hipcub16HIPCUB_304000_NS8EqualityEEEPlJS6_EEE10hipError_tPvRmT3_T4_T5_T6_T7_T9_mT8_P12ihipStream_tbDpT10_ENKUlT_T0_E_clISt17integral_constantIbLb0EES16_IbLb1EEEEDaS12_S13_EUlS12_E_NS1_11comp_targetILNS1_3genE10ELNS1_11target_archE1200ELNS1_3gpuE4ELNS1_3repE0EEENS1_30default_config_static_selectorELNS0_4arch9wavefront6targetE1EEEvT1_
                                        ; -- End function
	.section	.AMDGPU.csdata,"",@progbits
; Kernel info:
; codeLenInByte = 0
; NumSgprs: 4
; NumVgprs: 0
; NumAgprs: 0
; TotalNumVgprs: 0
; ScratchSize: 0
; MemoryBound: 0
; FloatMode: 240
; IeeeMode: 1
; LDSByteSize: 0 bytes/workgroup (compile time only)
; SGPRBlocks: 0
; VGPRBlocks: 0
; NumSGPRsForWavesPerEU: 4
; NumVGPRsForWavesPerEU: 1
; AccumOffset: 4
; Occupancy: 8
; WaveLimiterHint : 0
; COMPUTE_PGM_RSRC2:SCRATCH_EN: 0
; COMPUTE_PGM_RSRC2:USER_SGPR: 6
; COMPUTE_PGM_RSRC2:TRAP_HANDLER: 0
; COMPUTE_PGM_RSRC2:TGID_X_EN: 1
; COMPUTE_PGM_RSRC2:TGID_Y_EN: 0
; COMPUTE_PGM_RSRC2:TGID_Z_EN: 0
; COMPUTE_PGM_RSRC2:TIDIG_COMP_CNT: 0
; COMPUTE_PGM_RSRC3_GFX90A:ACCUM_OFFSET: 0
; COMPUTE_PGM_RSRC3_GFX90A:TG_SPLIT: 0
	.section	.text._ZN7rocprim17ROCPRIM_400000_NS6detail17trampoline_kernelINS0_14default_configENS1_25partition_config_selectorILNS1_17partition_subalgoE8EhNS0_10empty_typeEbEEZZNS1_14partition_implILS5_8ELb0ES3_jPKhPS6_PKS6_NS0_5tupleIJPhS6_EEENSE_IJSB_SB_EEENS0_18inequality_wrapperIN6hipcub16HIPCUB_304000_NS8EqualityEEEPlJS6_EEE10hipError_tPvRmT3_T4_T5_T6_T7_T9_mT8_P12ihipStream_tbDpT10_ENKUlT_T0_E_clISt17integral_constantIbLb0EES16_IbLb1EEEEDaS12_S13_EUlS12_E_NS1_11comp_targetILNS1_3genE9ELNS1_11target_archE1100ELNS1_3gpuE3ELNS1_3repE0EEENS1_30default_config_static_selectorELNS0_4arch9wavefront6targetE1EEEvT1_,"axG",@progbits,_ZN7rocprim17ROCPRIM_400000_NS6detail17trampoline_kernelINS0_14default_configENS1_25partition_config_selectorILNS1_17partition_subalgoE8EhNS0_10empty_typeEbEEZZNS1_14partition_implILS5_8ELb0ES3_jPKhPS6_PKS6_NS0_5tupleIJPhS6_EEENSE_IJSB_SB_EEENS0_18inequality_wrapperIN6hipcub16HIPCUB_304000_NS8EqualityEEEPlJS6_EEE10hipError_tPvRmT3_T4_T5_T6_T7_T9_mT8_P12ihipStream_tbDpT10_ENKUlT_T0_E_clISt17integral_constantIbLb0EES16_IbLb1EEEEDaS12_S13_EUlS12_E_NS1_11comp_targetILNS1_3genE9ELNS1_11target_archE1100ELNS1_3gpuE3ELNS1_3repE0EEENS1_30default_config_static_selectorELNS0_4arch9wavefront6targetE1EEEvT1_,comdat
	.protected	_ZN7rocprim17ROCPRIM_400000_NS6detail17trampoline_kernelINS0_14default_configENS1_25partition_config_selectorILNS1_17partition_subalgoE8EhNS0_10empty_typeEbEEZZNS1_14partition_implILS5_8ELb0ES3_jPKhPS6_PKS6_NS0_5tupleIJPhS6_EEENSE_IJSB_SB_EEENS0_18inequality_wrapperIN6hipcub16HIPCUB_304000_NS8EqualityEEEPlJS6_EEE10hipError_tPvRmT3_T4_T5_T6_T7_T9_mT8_P12ihipStream_tbDpT10_ENKUlT_T0_E_clISt17integral_constantIbLb0EES16_IbLb1EEEEDaS12_S13_EUlS12_E_NS1_11comp_targetILNS1_3genE9ELNS1_11target_archE1100ELNS1_3gpuE3ELNS1_3repE0EEENS1_30default_config_static_selectorELNS0_4arch9wavefront6targetE1EEEvT1_ ; -- Begin function _ZN7rocprim17ROCPRIM_400000_NS6detail17trampoline_kernelINS0_14default_configENS1_25partition_config_selectorILNS1_17partition_subalgoE8EhNS0_10empty_typeEbEEZZNS1_14partition_implILS5_8ELb0ES3_jPKhPS6_PKS6_NS0_5tupleIJPhS6_EEENSE_IJSB_SB_EEENS0_18inequality_wrapperIN6hipcub16HIPCUB_304000_NS8EqualityEEEPlJS6_EEE10hipError_tPvRmT3_T4_T5_T6_T7_T9_mT8_P12ihipStream_tbDpT10_ENKUlT_T0_E_clISt17integral_constantIbLb0EES16_IbLb1EEEEDaS12_S13_EUlS12_E_NS1_11comp_targetILNS1_3genE9ELNS1_11target_archE1100ELNS1_3gpuE3ELNS1_3repE0EEENS1_30default_config_static_selectorELNS0_4arch9wavefront6targetE1EEEvT1_
	.globl	_ZN7rocprim17ROCPRIM_400000_NS6detail17trampoline_kernelINS0_14default_configENS1_25partition_config_selectorILNS1_17partition_subalgoE8EhNS0_10empty_typeEbEEZZNS1_14partition_implILS5_8ELb0ES3_jPKhPS6_PKS6_NS0_5tupleIJPhS6_EEENSE_IJSB_SB_EEENS0_18inequality_wrapperIN6hipcub16HIPCUB_304000_NS8EqualityEEEPlJS6_EEE10hipError_tPvRmT3_T4_T5_T6_T7_T9_mT8_P12ihipStream_tbDpT10_ENKUlT_T0_E_clISt17integral_constantIbLb0EES16_IbLb1EEEEDaS12_S13_EUlS12_E_NS1_11comp_targetILNS1_3genE9ELNS1_11target_archE1100ELNS1_3gpuE3ELNS1_3repE0EEENS1_30default_config_static_selectorELNS0_4arch9wavefront6targetE1EEEvT1_
	.p2align	8
	.type	_ZN7rocprim17ROCPRIM_400000_NS6detail17trampoline_kernelINS0_14default_configENS1_25partition_config_selectorILNS1_17partition_subalgoE8EhNS0_10empty_typeEbEEZZNS1_14partition_implILS5_8ELb0ES3_jPKhPS6_PKS6_NS0_5tupleIJPhS6_EEENSE_IJSB_SB_EEENS0_18inequality_wrapperIN6hipcub16HIPCUB_304000_NS8EqualityEEEPlJS6_EEE10hipError_tPvRmT3_T4_T5_T6_T7_T9_mT8_P12ihipStream_tbDpT10_ENKUlT_T0_E_clISt17integral_constantIbLb0EES16_IbLb1EEEEDaS12_S13_EUlS12_E_NS1_11comp_targetILNS1_3genE9ELNS1_11target_archE1100ELNS1_3gpuE3ELNS1_3repE0EEENS1_30default_config_static_selectorELNS0_4arch9wavefront6targetE1EEEvT1_,@function
_ZN7rocprim17ROCPRIM_400000_NS6detail17trampoline_kernelINS0_14default_configENS1_25partition_config_selectorILNS1_17partition_subalgoE8EhNS0_10empty_typeEbEEZZNS1_14partition_implILS5_8ELb0ES3_jPKhPS6_PKS6_NS0_5tupleIJPhS6_EEENSE_IJSB_SB_EEENS0_18inequality_wrapperIN6hipcub16HIPCUB_304000_NS8EqualityEEEPlJS6_EEE10hipError_tPvRmT3_T4_T5_T6_T7_T9_mT8_P12ihipStream_tbDpT10_ENKUlT_T0_E_clISt17integral_constantIbLb0EES16_IbLb1EEEEDaS12_S13_EUlS12_E_NS1_11comp_targetILNS1_3genE9ELNS1_11target_archE1100ELNS1_3gpuE3ELNS1_3repE0EEENS1_30default_config_static_selectorELNS0_4arch9wavefront6targetE1EEEvT1_: ; @_ZN7rocprim17ROCPRIM_400000_NS6detail17trampoline_kernelINS0_14default_configENS1_25partition_config_selectorILNS1_17partition_subalgoE8EhNS0_10empty_typeEbEEZZNS1_14partition_implILS5_8ELb0ES3_jPKhPS6_PKS6_NS0_5tupleIJPhS6_EEENSE_IJSB_SB_EEENS0_18inequality_wrapperIN6hipcub16HIPCUB_304000_NS8EqualityEEEPlJS6_EEE10hipError_tPvRmT3_T4_T5_T6_T7_T9_mT8_P12ihipStream_tbDpT10_ENKUlT_T0_E_clISt17integral_constantIbLb0EES16_IbLb1EEEEDaS12_S13_EUlS12_E_NS1_11comp_targetILNS1_3genE9ELNS1_11target_archE1100ELNS1_3gpuE3ELNS1_3repE0EEENS1_30default_config_static_selectorELNS0_4arch9wavefront6targetE1EEEvT1_
; %bb.0:
	.section	.rodata,"a",@progbits
	.p2align	6, 0x0
	.amdhsa_kernel _ZN7rocprim17ROCPRIM_400000_NS6detail17trampoline_kernelINS0_14default_configENS1_25partition_config_selectorILNS1_17partition_subalgoE8EhNS0_10empty_typeEbEEZZNS1_14partition_implILS5_8ELb0ES3_jPKhPS6_PKS6_NS0_5tupleIJPhS6_EEENSE_IJSB_SB_EEENS0_18inequality_wrapperIN6hipcub16HIPCUB_304000_NS8EqualityEEEPlJS6_EEE10hipError_tPvRmT3_T4_T5_T6_T7_T9_mT8_P12ihipStream_tbDpT10_ENKUlT_T0_E_clISt17integral_constantIbLb0EES16_IbLb1EEEEDaS12_S13_EUlS12_E_NS1_11comp_targetILNS1_3genE9ELNS1_11target_archE1100ELNS1_3gpuE3ELNS1_3repE0EEENS1_30default_config_static_selectorELNS0_4arch9wavefront6targetE1EEEvT1_
		.amdhsa_group_segment_fixed_size 0
		.amdhsa_private_segment_fixed_size 0
		.amdhsa_kernarg_size 128
		.amdhsa_user_sgpr_count 6
		.amdhsa_user_sgpr_private_segment_buffer 1
		.amdhsa_user_sgpr_dispatch_ptr 0
		.amdhsa_user_sgpr_queue_ptr 0
		.amdhsa_user_sgpr_kernarg_segment_ptr 1
		.amdhsa_user_sgpr_dispatch_id 0
		.amdhsa_user_sgpr_flat_scratch_init 0
		.amdhsa_user_sgpr_kernarg_preload_length 0
		.amdhsa_user_sgpr_kernarg_preload_offset 0
		.amdhsa_user_sgpr_private_segment_size 0
		.amdhsa_uses_dynamic_stack 0
		.amdhsa_system_sgpr_private_segment_wavefront_offset 0
		.amdhsa_system_sgpr_workgroup_id_x 1
		.amdhsa_system_sgpr_workgroup_id_y 0
		.amdhsa_system_sgpr_workgroup_id_z 0
		.amdhsa_system_sgpr_workgroup_info 0
		.amdhsa_system_vgpr_workitem_id 0
		.amdhsa_next_free_vgpr 1
		.amdhsa_next_free_sgpr 0
		.amdhsa_accum_offset 4
		.amdhsa_reserve_vcc 0
		.amdhsa_reserve_flat_scratch 0
		.amdhsa_float_round_mode_32 0
		.amdhsa_float_round_mode_16_64 0
		.amdhsa_float_denorm_mode_32 3
		.amdhsa_float_denorm_mode_16_64 3
		.amdhsa_dx10_clamp 1
		.amdhsa_ieee_mode 1
		.amdhsa_fp16_overflow 0
		.amdhsa_tg_split 0
		.amdhsa_exception_fp_ieee_invalid_op 0
		.amdhsa_exception_fp_denorm_src 0
		.amdhsa_exception_fp_ieee_div_zero 0
		.amdhsa_exception_fp_ieee_overflow 0
		.amdhsa_exception_fp_ieee_underflow 0
		.amdhsa_exception_fp_ieee_inexact 0
		.amdhsa_exception_int_div_zero 0
	.end_amdhsa_kernel
	.section	.text._ZN7rocprim17ROCPRIM_400000_NS6detail17trampoline_kernelINS0_14default_configENS1_25partition_config_selectorILNS1_17partition_subalgoE8EhNS0_10empty_typeEbEEZZNS1_14partition_implILS5_8ELb0ES3_jPKhPS6_PKS6_NS0_5tupleIJPhS6_EEENSE_IJSB_SB_EEENS0_18inequality_wrapperIN6hipcub16HIPCUB_304000_NS8EqualityEEEPlJS6_EEE10hipError_tPvRmT3_T4_T5_T6_T7_T9_mT8_P12ihipStream_tbDpT10_ENKUlT_T0_E_clISt17integral_constantIbLb0EES16_IbLb1EEEEDaS12_S13_EUlS12_E_NS1_11comp_targetILNS1_3genE9ELNS1_11target_archE1100ELNS1_3gpuE3ELNS1_3repE0EEENS1_30default_config_static_selectorELNS0_4arch9wavefront6targetE1EEEvT1_,"axG",@progbits,_ZN7rocprim17ROCPRIM_400000_NS6detail17trampoline_kernelINS0_14default_configENS1_25partition_config_selectorILNS1_17partition_subalgoE8EhNS0_10empty_typeEbEEZZNS1_14partition_implILS5_8ELb0ES3_jPKhPS6_PKS6_NS0_5tupleIJPhS6_EEENSE_IJSB_SB_EEENS0_18inequality_wrapperIN6hipcub16HIPCUB_304000_NS8EqualityEEEPlJS6_EEE10hipError_tPvRmT3_T4_T5_T6_T7_T9_mT8_P12ihipStream_tbDpT10_ENKUlT_T0_E_clISt17integral_constantIbLb0EES16_IbLb1EEEEDaS12_S13_EUlS12_E_NS1_11comp_targetILNS1_3genE9ELNS1_11target_archE1100ELNS1_3gpuE3ELNS1_3repE0EEENS1_30default_config_static_selectorELNS0_4arch9wavefront6targetE1EEEvT1_,comdat
.Lfunc_end164:
	.size	_ZN7rocprim17ROCPRIM_400000_NS6detail17trampoline_kernelINS0_14default_configENS1_25partition_config_selectorILNS1_17partition_subalgoE8EhNS0_10empty_typeEbEEZZNS1_14partition_implILS5_8ELb0ES3_jPKhPS6_PKS6_NS0_5tupleIJPhS6_EEENSE_IJSB_SB_EEENS0_18inequality_wrapperIN6hipcub16HIPCUB_304000_NS8EqualityEEEPlJS6_EEE10hipError_tPvRmT3_T4_T5_T6_T7_T9_mT8_P12ihipStream_tbDpT10_ENKUlT_T0_E_clISt17integral_constantIbLb0EES16_IbLb1EEEEDaS12_S13_EUlS12_E_NS1_11comp_targetILNS1_3genE9ELNS1_11target_archE1100ELNS1_3gpuE3ELNS1_3repE0EEENS1_30default_config_static_selectorELNS0_4arch9wavefront6targetE1EEEvT1_, .Lfunc_end164-_ZN7rocprim17ROCPRIM_400000_NS6detail17trampoline_kernelINS0_14default_configENS1_25partition_config_selectorILNS1_17partition_subalgoE8EhNS0_10empty_typeEbEEZZNS1_14partition_implILS5_8ELb0ES3_jPKhPS6_PKS6_NS0_5tupleIJPhS6_EEENSE_IJSB_SB_EEENS0_18inequality_wrapperIN6hipcub16HIPCUB_304000_NS8EqualityEEEPlJS6_EEE10hipError_tPvRmT3_T4_T5_T6_T7_T9_mT8_P12ihipStream_tbDpT10_ENKUlT_T0_E_clISt17integral_constantIbLb0EES16_IbLb1EEEEDaS12_S13_EUlS12_E_NS1_11comp_targetILNS1_3genE9ELNS1_11target_archE1100ELNS1_3gpuE3ELNS1_3repE0EEENS1_30default_config_static_selectorELNS0_4arch9wavefront6targetE1EEEvT1_
                                        ; -- End function
	.section	.AMDGPU.csdata,"",@progbits
; Kernel info:
; codeLenInByte = 0
; NumSgprs: 4
; NumVgprs: 0
; NumAgprs: 0
; TotalNumVgprs: 0
; ScratchSize: 0
; MemoryBound: 0
; FloatMode: 240
; IeeeMode: 1
; LDSByteSize: 0 bytes/workgroup (compile time only)
; SGPRBlocks: 0
; VGPRBlocks: 0
; NumSGPRsForWavesPerEU: 4
; NumVGPRsForWavesPerEU: 1
; AccumOffset: 4
; Occupancy: 8
; WaveLimiterHint : 0
; COMPUTE_PGM_RSRC2:SCRATCH_EN: 0
; COMPUTE_PGM_RSRC2:USER_SGPR: 6
; COMPUTE_PGM_RSRC2:TRAP_HANDLER: 0
; COMPUTE_PGM_RSRC2:TGID_X_EN: 1
; COMPUTE_PGM_RSRC2:TGID_Y_EN: 0
; COMPUTE_PGM_RSRC2:TGID_Z_EN: 0
; COMPUTE_PGM_RSRC2:TIDIG_COMP_CNT: 0
; COMPUTE_PGM_RSRC3_GFX90A:ACCUM_OFFSET: 0
; COMPUTE_PGM_RSRC3_GFX90A:TG_SPLIT: 0
	.section	.text._ZN7rocprim17ROCPRIM_400000_NS6detail17trampoline_kernelINS0_14default_configENS1_25partition_config_selectorILNS1_17partition_subalgoE8EhNS0_10empty_typeEbEEZZNS1_14partition_implILS5_8ELb0ES3_jPKhPS6_PKS6_NS0_5tupleIJPhS6_EEENSE_IJSB_SB_EEENS0_18inequality_wrapperIN6hipcub16HIPCUB_304000_NS8EqualityEEEPlJS6_EEE10hipError_tPvRmT3_T4_T5_T6_T7_T9_mT8_P12ihipStream_tbDpT10_ENKUlT_T0_E_clISt17integral_constantIbLb0EES16_IbLb1EEEEDaS12_S13_EUlS12_E_NS1_11comp_targetILNS1_3genE8ELNS1_11target_archE1030ELNS1_3gpuE2ELNS1_3repE0EEENS1_30default_config_static_selectorELNS0_4arch9wavefront6targetE1EEEvT1_,"axG",@progbits,_ZN7rocprim17ROCPRIM_400000_NS6detail17trampoline_kernelINS0_14default_configENS1_25partition_config_selectorILNS1_17partition_subalgoE8EhNS0_10empty_typeEbEEZZNS1_14partition_implILS5_8ELb0ES3_jPKhPS6_PKS6_NS0_5tupleIJPhS6_EEENSE_IJSB_SB_EEENS0_18inequality_wrapperIN6hipcub16HIPCUB_304000_NS8EqualityEEEPlJS6_EEE10hipError_tPvRmT3_T4_T5_T6_T7_T9_mT8_P12ihipStream_tbDpT10_ENKUlT_T0_E_clISt17integral_constantIbLb0EES16_IbLb1EEEEDaS12_S13_EUlS12_E_NS1_11comp_targetILNS1_3genE8ELNS1_11target_archE1030ELNS1_3gpuE2ELNS1_3repE0EEENS1_30default_config_static_selectorELNS0_4arch9wavefront6targetE1EEEvT1_,comdat
	.protected	_ZN7rocprim17ROCPRIM_400000_NS6detail17trampoline_kernelINS0_14default_configENS1_25partition_config_selectorILNS1_17partition_subalgoE8EhNS0_10empty_typeEbEEZZNS1_14partition_implILS5_8ELb0ES3_jPKhPS6_PKS6_NS0_5tupleIJPhS6_EEENSE_IJSB_SB_EEENS0_18inequality_wrapperIN6hipcub16HIPCUB_304000_NS8EqualityEEEPlJS6_EEE10hipError_tPvRmT3_T4_T5_T6_T7_T9_mT8_P12ihipStream_tbDpT10_ENKUlT_T0_E_clISt17integral_constantIbLb0EES16_IbLb1EEEEDaS12_S13_EUlS12_E_NS1_11comp_targetILNS1_3genE8ELNS1_11target_archE1030ELNS1_3gpuE2ELNS1_3repE0EEENS1_30default_config_static_selectorELNS0_4arch9wavefront6targetE1EEEvT1_ ; -- Begin function _ZN7rocprim17ROCPRIM_400000_NS6detail17trampoline_kernelINS0_14default_configENS1_25partition_config_selectorILNS1_17partition_subalgoE8EhNS0_10empty_typeEbEEZZNS1_14partition_implILS5_8ELb0ES3_jPKhPS6_PKS6_NS0_5tupleIJPhS6_EEENSE_IJSB_SB_EEENS0_18inequality_wrapperIN6hipcub16HIPCUB_304000_NS8EqualityEEEPlJS6_EEE10hipError_tPvRmT3_T4_T5_T6_T7_T9_mT8_P12ihipStream_tbDpT10_ENKUlT_T0_E_clISt17integral_constantIbLb0EES16_IbLb1EEEEDaS12_S13_EUlS12_E_NS1_11comp_targetILNS1_3genE8ELNS1_11target_archE1030ELNS1_3gpuE2ELNS1_3repE0EEENS1_30default_config_static_selectorELNS0_4arch9wavefront6targetE1EEEvT1_
	.globl	_ZN7rocprim17ROCPRIM_400000_NS6detail17trampoline_kernelINS0_14default_configENS1_25partition_config_selectorILNS1_17partition_subalgoE8EhNS0_10empty_typeEbEEZZNS1_14partition_implILS5_8ELb0ES3_jPKhPS6_PKS6_NS0_5tupleIJPhS6_EEENSE_IJSB_SB_EEENS0_18inequality_wrapperIN6hipcub16HIPCUB_304000_NS8EqualityEEEPlJS6_EEE10hipError_tPvRmT3_T4_T5_T6_T7_T9_mT8_P12ihipStream_tbDpT10_ENKUlT_T0_E_clISt17integral_constantIbLb0EES16_IbLb1EEEEDaS12_S13_EUlS12_E_NS1_11comp_targetILNS1_3genE8ELNS1_11target_archE1030ELNS1_3gpuE2ELNS1_3repE0EEENS1_30default_config_static_selectorELNS0_4arch9wavefront6targetE1EEEvT1_
	.p2align	8
	.type	_ZN7rocprim17ROCPRIM_400000_NS6detail17trampoline_kernelINS0_14default_configENS1_25partition_config_selectorILNS1_17partition_subalgoE8EhNS0_10empty_typeEbEEZZNS1_14partition_implILS5_8ELb0ES3_jPKhPS6_PKS6_NS0_5tupleIJPhS6_EEENSE_IJSB_SB_EEENS0_18inequality_wrapperIN6hipcub16HIPCUB_304000_NS8EqualityEEEPlJS6_EEE10hipError_tPvRmT3_T4_T5_T6_T7_T9_mT8_P12ihipStream_tbDpT10_ENKUlT_T0_E_clISt17integral_constantIbLb0EES16_IbLb1EEEEDaS12_S13_EUlS12_E_NS1_11comp_targetILNS1_3genE8ELNS1_11target_archE1030ELNS1_3gpuE2ELNS1_3repE0EEENS1_30default_config_static_selectorELNS0_4arch9wavefront6targetE1EEEvT1_,@function
_ZN7rocprim17ROCPRIM_400000_NS6detail17trampoline_kernelINS0_14default_configENS1_25partition_config_selectorILNS1_17partition_subalgoE8EhNS0_10empty_typeEbEEZZNS1_14partition_implILS5_8ELb0ES3_jPKhPS6_PKS6_NS0_5tupleIJPhS6_EEENSE_IJSB_SB_EEENS0_18inequality_wrapperIN6hipcub16HIPCUB_304000_NS8EqualityEEEPlJS6_EEE10hipError_tPvRmT3_T4_T5_T6_T7_T9_mT8_P12ihipStream_tbDpT10_ENKUlT_T0_E_clISt17integral_constantIbLb0EES16_IbLb1EEEEDaS12_S13_EUlS12_E_NS1_11comp_targetILNS1_3genE8ELNS1_11target_archE1030ELNS1_3gpuE2ELNS1_3repE0EEENS1_30default_config_static_selectorELNS0_4arch9wavefront6targetE1EEEvT1_: ; @_ZN7rocprim17ROCPRIM_400000_NS6detail17trampoline_kernelINS0_14default_configENS1_25partition_config_selectorILNS1_17partition_subalgoE8EhNS0_10empty_typeEbEEZZNS1_14partition_implILS5_8ELb0ES3_jPKhPS6_PKS6_NS0_5tupleIJPhS6_EEENSE_IJSB_SB_EEENS0_18inequality_wrapperIN6hipcub16HIPCUB_304000_NS8EqualityEEEPlJS6_EEE10hipError_tPvRmT3_T4_T5_T6_T7_T9_mT8_P12ihipStream_tbDpT10_ENKUlT_T0_E_clISt17integral_constantIbLb0EES16_IbLb1EEEEDaS12_S13_EUlS12_E_NS1_11comp_targetILNS1_3genE8ELNS1_11target_archE1030ELNS1_3gpuE2ELNS1_3repE0EEENS1_30default_config_static_selectorELNS0_4arch9wavefront6targetE1EEEvT1_
; %bb.0:
	.section	.rodata,"a",@progbits
	.p2align	6, 0x0
	.amdhsa_kernel _ZN7rocprim17ROCPRIM_400000_NS6detail17trampoline_kernelINS0_14default_configENS1_25partition_config_selectorILNS1_17partition_subalgoE8EhNS0_10empty_typeEbEEZZNS1_14partition_implILS5_8ELb0ES3_jPKhPS6_PKS6_NS0_5tupleIJPhS6_EEENSE_IJSB_SB_EEENS0_18inequality_wrapperIN6hipcub16HIPCUB_304000_NS8EqualityEEEPlJS6_EEE10hipError_tPvRmT3_T4_T5_T6_T7_T9_mT8_P12ihipStream_tbDpT10_ENKUlT_T0_E_clISt17integral_constantIbLb0EES16_IbLb1EEEEDaS12_S13_EUlS12_E_NS1_11comp_targetILNS1_3genE8ELNS1_11target_archE1030ELNS1_3gpuE2ELNS1_3repE0EEENS1_30default_config_static_selectorELNS0_4arch9wavefront6targetE1EEEvT1_
		.amdhsa_group_segment_fixed_size 0
		.amdhsa_private_segment_fixed_size 0
		.amdhsa_kernarg_size 128
		.amdhsa_user_sgpr_count 6
		.amdhsa_user_sgpr_private_segment_buffer 1
		.amdhsa_user_sgpr_dispatch_ptr 0
		.amdhsa_user_sgpr_queue_ptr 0
		.amdhsa_user_sgpr_kernarg_segment_ptr 1
		.amdhsa_user_sgpr_dispatch_id 0
		.amdhsa_user_sgpr_flat_scratch_init 0
		.amdhsa_user_sgpr_kernarg_preload_length 0
		.amdhsa_user_sgpr_kernarg_preload_offset 0
		.amdhsa_user_sgpr_private_segment_size 0
		.amdhsa_uses_dynamic_stack 0
		.amdhsa_system_sgpr_private_segment_wavefront_offset 0
		.amdhsa_system_sgpr_workgroup_id_x 1
		.amdhsa_system_sgpr_workgroup_id_y 0
		.amdhsa_system_sgpr_workgroup_id_z 0
		.amdhsa_system_sgpr_workgroup_info 0
		.amdhsa_system_vgpr_workitem_id 0
		.amdhsa_next_free_vgpr 1
		.amdhsa_next_free_sgpr 0
		.amdhsa_accum_offset 4
		.amdhsa_reserve_vcc 0
		.amdhsa_reserve_flat_scratch 0
		.amdhsa_float_round_mode_32 0
		.amdhsa_float_round_mode_16_64 0
		.amdhsa_float_denorm_mode_32 3
		.amdhsa_float_denorm_mode_16_64 3
		.amdhsa_dx10_clamp 1
		.amdhsa_ieee_mode 1
		.amdhsa_fp16_overflow 0
		.amdhsa_tg_split 0
		.amdhsa_exception_fp_ieee_invalid_op 0
		.amdhsa_exception_fp_denorm_src 0
		.amdhsa_exception_fp_ieee_div_zero 0
		.amdhsa_exception_fp_ieee_overflow 0
		.amdhsa_exception_fp_ieee_underflow 0
		.amdhsa_exception_fp_ieee_inexact 0
		.amdhsa_exception_int_div_zero 0
	.end_amdhsa_kernel
	.section	.text._ZN7rocprim17ROCPRIM_400000_NS6detail17trampoline_kernelINS0_14default_configENS1_25partition_config_selectorILNS1_17partition_subalgoE8EhNS0_10empty_typeEbEEZZNS1_14partition_implILS5_8ELb0ES3_jPKhPS6_PKS6_NS0_5tupleIJPhS6_EEENSE_IJSB_SB_EEENS0_18inequality_wrapperIN6hipcub16HIPCUB_304000_NS8EqualityEEEPlJS6_EEE10hipError_tPvRmT3_T4_T5_T6_T7_T9_mT8_P12ihipStream_tbDpT10_ENKUlT_T0_E_clISt17integral_constantIbLb0EES16_IbLb1EEEEDaS12_S13_EUlS12_E_NS1_11comp_targetILNS1_3genE8ELNS1_11target_archE1030ELNS1_3gpuE2ELNS1_3repE0EEENS1_30default_config_static_selectorELNS0_4arch9wavefront6targetE1EEEvT1_,"axG",@progbits,_ZN7rocprim17ROCPRIM_400000_NS6detail17trampoline_kernelINS0_14default_configENS1_25partition_config_selectorILNS1_17partition_subalgoE8EhNS0_10empty_typeEbEEZZNS1_14partition_implILS5_8ELb0ES3_jPKhPS6_PKS6_NS0_5tupleIJPhS6_EEENSE_IJSB_SB_EEENS0_18inequality_wrapperIN6hipcub16HIPCUB_304000_NS8EqualityEEEPlJS6_EEE10hipError_tPvRmT3_T4_T5_T6_T7_T9_mT8_P12ihipStream_tbDpT10_ENKUlT_T0_E_clISt17integral_constantIbLb0EES16_IbLb1EEEEDaS12_S13_EUlS12_E_NS1_11comp_targetILNS1_3genE8ELNS1_11target_archE1030ELNS1_3gpuE2ELNS1_3repE0EEENS1_30default_config_static_selectorELNS0_4arch9wavefront6targetE1EEEvT1_,comdat
.Lfunc_end165:
	.size	_ZN7rocprim17ROCPRIM_400000_NS6detail17trampoline_kernelINS0_14default_configENS1_25partition_config_selectorILNS1_17partition_subalgoE8EhNS0_10empty_typeEbEEZZNS1_14partition_implILS5_8ELb0ES3_jPKhPS6_PKS6_NS0_5tupleIJPhS6_EEENSE_IJSB_SB_EEENS0_18inequality_wrapperIN6hipcub16HIPCUB_304000_NS8EqualityEEEPlJS6_EEE10hipError_tPvRmT3_T4_T5_T6_T7_T9_mT8_P12ihipStream_tbDpT10_ENKUlT_T0_E_clISt17integral_constantIbLb0EES16_IbLb1EEEEDaS12_S13_EUlS12_E_NS1_11comp_targetILNS1_3genE8ELNS1_11target_archE1030ELNS1_3gpuE2ELNS1_3repE0EEENS1_30default_config_static_selectorELNS0_4arch9wavefront6targetE1EEEvT1_, .Lfunc_end165-_ZN7rocprim17ROCPRIM_400000_NS6detail17trampoline_kernelINS0_14default_configENS1_25partition_config_selectorILNS1_17partition_subalgoE8EhNS0_10empty_typeEbEEZZNS1_14partition_implILS5_8ELb0ES3_jPKhPS6_PKS6_NS0_5tupleIJPhS6_EEENSE_IJSB_SB_EEENS0_18inequality_wrapperIN6hipcub16HIPCUB_304000_NS8EqualityEEEPlJS6_EEE10hipError_tPvRmT3_T4_T5_T6_T7_T9_mT8_P12ihipStream_tbDpT10_ENKUlT_T0_E_clISt17integral_constantIbLb0EES16_IbLb1EEEEDaS12_S13_EUlS12_E_NS1_11comp_targetILNS1_3genE8ELNS1_11target_archE1030ELNS1_3gpuE2ELNS1_3repE0EEENS1_30default_config_static_selectorELNS0_4arch9wavefront6targetE1EEEvT1_
                                        ; -- End function
	.section	.AMDGPU.csdata,"",@progbits
; Kernel info:
; codeLenInByte = 0
; NumSgprs: 4
; NumVgprs: 0
; NumAgprs: 0
; TotalNumVgprs: 0
; ScratchSize: 0
; MemoryBound: 0
; FloatMode: 240
; IeeeMode: 1
; LDSByteSize: 0 bytes/workgroup (compile time only)
; SGPRBlocks: 0
; VGPRBlocks: 0
; NumSGPRsForWavesPerEU: 4
; NumVGPRsForWavesPerEU: 1
; AccumOffset: 4
; Occupancy: 8
; WaveLimiterHint : 0
; COMPUTE_PGM_RSRC2:SCRATCH_EN: 0
; COMPUTE_PGM_RSRC2:USER_SGPR: 6
; COMPUTE_PGM_RSRC2:TRAP_HANDLER: 0
; COMPUTE_PGM_RSRC2:TGID_X_EN: 1
; COMPUTE_PGM_RSRC2:TGID_Y_EN: 0
; COMPUTE_PGM_RSRC2:TGID_Z_EN: 0
; COMPUTE_PGM_RSRC2:TIDIG_COMP_CNT: 0
; COMPUTE_PGM_RSRC3_GFX90A:ACCUM_OFFSET: 0
; COMPUTE_PGM_RSRC3_GFX90A:TG_SPLIT: 0
	.section	.text._ZN7rocprim17ROCPRIM_400000_NS6detail17trampoline_kernelINS0_14default_configENS1_33run_length_encode_config_selectorIhjNS0_4plusIjEEEEZZNS1_33reduce_by_key_impl_wrapped_configILNS1_25lookback_scan_determinismE0ES3_S7_PKhNS0_17constant_iteratorIjlEEPhPlSF_S6_NS0_8equal_toIhEEEE10hipError_tPvRmT2_T3_mT4_T5_T6_T7_T8_P12ihipStream_tbENKUlT_T0_E_clISt17integral_constantIbLb0EESZ_EEDaSU_SV_EUlSU_E_NS1_11comp_targetILNS1_3genE0ELNS1_11target_archE4294967295ELNS1_3gpuE0ELNS1_3repE0EEENS1_30default_config_static_selectorELNS0_4arch9wavefront6targetE1EEEvT1_,"axG",@progbits,_ZN7rocprim17ROCPRIM_400000_NS6detail17trampoline_kernelINS0_14default_configENS1_33run_length_encode_config_selectorIhjNS0_4plusIjEEEEZZNS1_33reduce_by_key_impl_wrapped_configILNS1_25lookback_scan_determinismE0ES3_S7_PKhNS0_17constant_iteratorIjlEEPhPlSF_S6_NS0_8equal_toIhEEEE10hipError_tPvRmT2_T3_mT4_T5_T6_T7_T8_P12ihipStream_tbENKUlT_T0_E_clISt17integral_constantIbLb0EESZ_EEDaSU_SV_EUlSU_E_NS1_11comp_targetILNS1_3genE0ELNS1_11target_archE4294967295ELNS1_3gpuE0ELNS1_3repE0EEENS1_30default_config_static_selectorELNS0_4arch9wavefront6targetE1EEEvT1_,comdat
	.protected	_ZN7rocprim17ROCPRIM_400000_NS6detail17trampoline_kernelINS0_14default_configENS1_33run_length_encode_config_selectorIhjNS0_4plusIjEEEEZZNS1_33reduce_by_key_impl_wrapped_configILNS1_25lookback_scan_determinismE0ES3_S7_PKhNS0_17constant_iteratorIjlEEPhPlSF_S6_NS0_8equal_toIhEEEE10hipError_tPvRmT2_T3_mT4_T5_T6_T7_T8_P12ihipStream_tbENKUlT_T0_E_clISt17integral_constantIbLb0EESZ_EEDaSU_SV_EUlSU_E_NS1_11comp_targetILNS1_3genE0ELNS1_11target_archE4294967295ELNS1_3gpuE0ELNS1_3repE0EEENS1_30default_config_static_selectorELNS0_4arch9wavefront6targetE1EEEvT1_ ; -- Begin function _ZN7rocprim17ROCPRIM_400000_NS6detail17trampoline_kernelINS0_14default_configENS1_33run_length_encode_config_selectorIhjNS0_4plusIjEEEEZZNS1_33reduce_by_key_impl_wrapped_configILNS1_25lookback_scan_determinismE0ES3_S7_PKhNS0_17constant_iteratorIjlEEPhPlSF_S6_NS0_8equal_toIhEEEE10hipError_tPvRmT2_T3_mT4_T5_T6_T7_T8_P12ihipStream_tbENKUlT_T0_E_clISt17integral_constantIbLb0EESZ_EEDaSU_SV_EUlSU_E_NS1_11comp_targetILNS1_3genE0ELNS1_11target_archE4294967295ELNS1_3gpuE0ELNS1_3repE0EEENS1_30default_config_static_selectorELNS0_4arch9wavefront6targetE1EEEvT1_
	.globl	_ZN7rocprim17ROCPRIM_400000_NS6detail17trampoline_kernelINS0_14default_configENS1_33run_length_encode_config_selectorIhjNS0_4plusIjEEEEZZNS1_33reduce_by_key_impl_wrapped_configILNS1_25lookback_scan_determinismE0ES3_S7_PKhNS0_17constant_iteratorIjlEEPhPlSF_S6_NS0_8equal_toIhEEEE10hipError_tPvRmT2_T3_mT4_T5_T6_T7_T8_P12ihipStream_tbENKUlT_T0_E_clISt17integral_constantIbLb0EESZ_EEDaSU_SV_EUlSU_E_NS1_11comp_targetILNS1_3genE0ELNS1_11target_archE4294967295ELNS1_3gpuE0ELNS1_3repE0EEENS1_30default_config_static_selectorELNS0_4arch9wavefront6targetE1EEEvT1_
	.p2align	8
	.type	_ZN7rocprim17ROCPRIM_400000_NS6detail17trampoline_kernelINS0_14default_configENS1_33run_length_encode_config_selectorIhjNS0_4plusIjEEEEZZNS1_33reduce_by_key_impl_wrapped_configILNS1_25lookback_scan_determinismE0ES3_S7_PKhNS0_17constant_iteratorIjlEEPhPlSF_S6_NS0_8equal_toIhEEEE10hipError_tPvRmT2_T3_mT4_T5_T6_T7_T8_P12ihipStream_tbENKUlT_T0_E_clISt17integral_constantIbLb0EESZ_EEDaSU_SV_EUlSU_E_NS1_11comp_targetILNS1_3genE0ELNS1_11target_archE4294967295ELNS1_3gpuE0ELNS1_3repE0EEENS1_30default_config_static_selectorELNS0_4arch9wavefront6targetE1EEEvT1_,@function
_ZN7rocprim17ROCPRIM_400000_NS6detail17trampoline_kernelINS0_14default_configENS1_33run_length_encode_config_selectorIhjNS0_4plusIjEEEEZZNS1_33reduce_by_key_impl_wrapped_configILNS1_25lookback_scan_determinismE0ES3_S7_PKhNS0_17constant_iteratorIjlEEPhPlSF_S6_NS0_8equal_toIhEEEE10hipError_tPvRmT2_T3_mT4_T5_T6_T7_T8_P12ihipStream_tbENKUlT_T0_E_clISt17integral_constantIbLb0EESZ_EEDaSU_SV_EUlSU_E_NS1_11comp_targetILNS1_3genE0ELNS1_11target_archE4294967295ELNS1_3gpuE0ELNS1_3repE0EEENS1_30default_config_static_selectorELNS0_4arch9wavefront6targetE1EEEvT1_: ; @_ZN7rocprim17ROCPRIM_400000_NS6detail17trampoline_kernelINS0_14default_configENS1_33run_length_encode_config_selectorIhjNS0_4plusIjEEEEZZNS1_33reduce_by_key_impl_wrapped_configILNS1_25lookback_scan_determinismE0ES3_S7_PKhNS0_17constant_iteratorIjlEEPhPlSF_S6_NS0_8equal_toIhEEEE10hipError_tPvRmT2_T3_mT4_T5_T6_T7_T8_P12ihipStream_tbENKUlT_T0_E_clISt17integral_constantIbLb0EESZ_EEDaSU_SV_EUlSU_E_NS1_11comp_targetILNS1_3genE0ELNS1_11target_archE4294967295ELNS1_3gpuE0ELNS1_3repE0EEENS1_30default_config_static_selectorELNS0_4arch9wavefront6targetE1EEEvT1_
; %bb.0:
	.section	.rodata,"a",@progbits
	.p2align	6, 0x0
	.amdhsa_kernel _ZN7rocprim17ROCPRIM_400000_NS6detail17trampoline_kernelINS0_14default_configENS1_33run_length_encode_config_selectorIhjNS0_4plusIjEEEEZZNS1_33reduce_by_key_impl_wrapped_configILNS1_25lookback_scan_determinismE0ES3_S7_PKhNS0_17constant_iteratorIjlEEPhPlSF_S6_NS0_8equal_toIhEEEE10hipError_tPvRmT2_T3_mT4_T5_T6_T7_T8_P12ihipStream_tbENKUlT_T0_E_clISt17integral_constantIbLb0EESZ_EEDaSU_SV_EUlSU_E_NS1_11comp_targetILNS1_3genE0ELNS1_11target_archE4294967295ELNS1_3gpuE0ELNS1_3repE0EEENS1_30default_config_static_selectorELNS0_4arch9wavefront6targetE1EEEvT1_
		.amdhsa_group_segment_fixed_size 0
		.amdhsa_private_segment_fixed_size 0
		.amdhsa_kernarg_size 128
		.amdhsa_user_sgpr_count 6
		.amdhsa_user_sgpr_private_segment_buffer 1
		.amdhsa_user_sgpr_dispatch_ptr 0
		.amdhsa_user_sgpr_queue_ptr 0
		.amdhsa_user_sgpr_kernarg_segment_ptr 1
		.amdhsa_user_sgpr_dispatch_id 0
		.amdhsa_user_sgpr_flat_scratch_init 0
		.amdhsa_user_sgpr_kernarg_preload_length 0
		.amdhsa_user_sgpr_kernarg_preload_offset 0
		.amdhsa_user_sgpr_private_segment_size 0
		.amdhsa_uses_dynamic_stack 0
		.amdhsa_system_sgpr_private_segment_wavefront_offset 0
		.amdhsa_system_sgpr_workgroup_id_x 1
		.amdhsa_system_sgpr_workgroup_id_y 0
		.amdhsa_system_sgpr_workgroup_id_z 0
		.amdhsa_system_sgpr_workgroup_info 0
		.amdhsa_system_vgpr_workitem_id 0
		.amdhsa_next_free_vgpr 1
		.amdhsa_next_free_sgpr 0
		.amdhsa_accum_offset 4
		.amdhsa_reserve_vcc 0
		.amdhsa_reserve_flat_scratch 0
		.amdhsa_float_round_mode_32 0
		.amdhsa_float_round_mode_16_64 0
		.amdhsa_float_denorm_mode_32 3
		.amdhsa_float_denorm_mode_16_64 3
		.amdhsa_dx10_clamp 1
		.amdhsa_ieee_mode 1
		.amdhsa_fp16_overflow 0
		.amdhsa_tg_split 0
		.amdhsa_exception_fp_ieee_invalid_op 0
		.amdhsa_exception_fp_denorm_src 0
		.amdhsa_exception_fp_ieee_div_zero 0
		.amdhsa_exception_fp_ieee_overflow 0
		.amdhsa_exception_fp_ieee_underflow 0
		.amdhsa_exception_fp_ieee_inexact 0
		.amdhsa_exception_int_div_zero 0
	.end_amdhsa_kernel
	.section	.text._ZN7rocprim17ROCPRIM_400000_NS6detail17trampoline_kernelINS0_14default_configENS1_33run_length_encode_config_selectorIhjNS0_4plusIjEEEEZZNS1_33reduce_by_key_impl_wrapped_configILNS1_25lookback_scan_determinismE0ES3_S7_PKhNS0_17constant_iteratorIjlEEPhPlSF_S6_NS0_8equal_toIhEEEE10hipError_tPvRmT2_T3_mT4_T5_T6_T7_T8_P12ihipStream_tbENKUlT_T0_E_clISt17integral_constantIbLb0EESZ_EEDaSU_SV_EUlSU_E_NS1_11comp_targetILNS1_3genE0ELNS1_11target_archE4294967295ELNS1_3gpuE0ELNS1_3repE0EEENS1_30default_config_static_selectorELNS0_4arch9wavefront6targetE1EEEvT1_,"axG",@progbits,_ZN7rocprim17ROCPRIM_400000_NS6detail17trampoline_kernelINS0_14default_configENS1_33run_length_encode_config_selectorIhjNS0_4plusIjEEEEZZNS1_33reduce_by_key_impl_wrapped_configILNS1_25lookback_scan_determinismE0ES3_S7_PKhNS0_17constant_iteratorIjlEEPhPlSF_S6_NS0_8equal_toIhEEEE10hipError_tPvRmT2_T3_mT4_T5_T6_T7_T8_P12ihipStream_tbENKUlT_T0_E_clISt17integral_constantIbLb0EESZ_EEDaSU_SV_EUlSU_E_NS1_11comp_targetILNS1_3genE0ELNS1_11target_archE4294967295ELNS1_3gpuE0ELNS1_3repE0EEENS1_30default_config_static_selectorELNS0_4arch9wavefront6targetE1EEEvT1_,comdat
.Lfunc_end166:
	.size	_ZN7rocprim17ROCPRIM_400000_NS6detail17trampoline_kernelINS0_14default_configENS1_33run_length_encode_config_selectorIhjNS0_4plusIjEEEEZZNS1_33reduce_by_key_impl_wrapped_configILNS1_25lookback_scan_determinismE0ES3_S7_PKhNS0_17constant_iteratorIjlEEPhPlSF_S6_NS0_8equal_toIhEEEE10hipError_tPvRmT2_T3_mT4_T5_T6_T7_T8_P12ihipStream_tbENKUlT_T0_E_clISt17integral_constantIbLb0EESZ_EEDaSU_SV_EUlSU_E_NS1_11comp_targetILNS1_3genE0ELNS1_11target_archE4294967295ELNS1_3gpuE0ELNS1_3repE0EEENS1_30default_config_static_selectorELNS0_4arch9wavefront6targetE1EEEvT1_, .Lfunc_end166-_ZN7rocprim17ROCPRIM_400000_NS6detail17trampoline_kernelINS0_14default_configENS1_33run_length_encode_config_selectorIhjNS0_4plusIjEEEEZZNS1_33reduce_by_key_impl_wrapped_configILNS1_25lookback_scan_determinismE0ES3_S7_PKhNS0_17constant_iteratorIjlEEPhPlSF_S6_NS0_8equal_toIhEEEE10hipError_tPvRmT2_T3_mT4_T5_T6_T7_T8_P12ihipStream_tbENKUlT_T0_E_clISt17integral_constantIbLb0EESZ_EEDaSU_SV_EUlSU_E_NS1_11comp_targetILNS1_3genE0ELNS1_11target_archE4294967295ELNS1_3gpuE0ELNS1_3repE0EEENS1_30default_config_static_selectorELNS0_4arch9wavefront6targetE1EEEvT1_
                                        ; -- End function
	.section	.AMDGPU.csdata,"",@progbits
; Kernel info:
; codeLenInByte = 0
; NumSgprs: 4
; NumVgprs: 0
; NumAgprs: 0
; TotalNumVgprs: 0
; ScratchSize: 0
; MemoryBound: 0
; FloatMode: 240
; IeeeMode: 1
; LDSByteSize: 0 bytes/workgroup (compile time only)
; SGPRBlocks: 0
; VGPRBlocks: 0
; NumSGPRsForWavesPerEU: 4
; NumVGPRsForWavesPerEU: 1
; AccumOffset: 4
; Occupancy: 8
; WaveLimiterHint : 0
; COMPUTE_PGM_RSRC2:SCRATCH_EN: 0
; COMPUTE_PGM_RSRC2:USER_SGPR: 6
; COMPUTE_PGM_RSRC2:TRAP_HANDLER: 0
; COMPUTE_PGM_RSRC2:TGID_X_EN: 1
; COMPUTE_PGM_RSRC2:TGID_Y_EN: 0
; COMPUTE_PGM_RSRC2:TGID_Z_EN: 0
; COMPUTE_PGM_RSRC2:TIDIG_COMP_CNT: 0
; COMPUTE_PGM_RSRC3_GFX90A:ACCUM_OFFSET: 0
; COMPUTE_PGM_RSRC3_GFX90A:TG_SPLIT: 0
	.section	.text._ZN7rocprim17ROCPRIM_400000_NS6detail17trampoline_kernelINS0_14default_configENS1_33run_length_encode_config_selectorIhjNS0_4plusIjEEEEZZNS1_33reduce_by_key_impl_wrapped_configILNS1_25lookback_scan_determinismE0ES3_S7_PKhNS0_17constant_iteratorIjlEEPhPlSF_S6_NS0_8equal_toIhEEEE10hipError_tPvRmT2_T3_mT4_T5_T6_T7_T8_P12ihipStream_tbENKUlT_T0_E_clISt17integral_constantIbLb0EESZ_EEDaSU_SV_EUlSU_E_NS1_11comp_targetILNS1_3genE5ELNS1_11target_archE942ELNS1_3gpuE9ELNS1_3repE0EEENS1_30default_config_static_selectorELNS0_4arch9wavefront6targetE1EEEvT1_,"axG",@progbits,_ZN7rocprim17ROCPRIM_400000_NS6detail17trampoline_kernelINS0_14default_configENS1_33run_length_encode_config_selectorIhjNS0_4plusIjEEEEZZNS1_33reduce_by_key_impl_wrapped_configILNS1_25lookback_scan_determinismE0ES3_S7_PKhNS0_17constant_iteratorIjlEEPhPlSF_S6_NS0_8equal_toIhEEEE10hipError_tPvRmT2_T3_mT4_T5_T6_T7_T8_P12ihipStream_tbENKUlT_T0_E_clISt17integral_constantIbLb0EESZ_EEDaSU_SV_EUlSU_E_NS1_11comp_targetILNS1_3genE5ELNS1_11target_archE942ELNS1_3gpuE9ELNS1_3repE0EEENS1_30default_config_static_selectorELNS0_4arch9wavefront6targetE1EEEvT1_,comdat
	.protected	_ZN7rocprim17ROCPRIM_400000_NS6detail17trampoline_kernelINS0_14default_configENS1_33run_length_encode_config_selectorIhjNS0_4plusIjEEEEZZNS1_33reduce_by_key_impl_wrapped_configILNS1_25lookback_scan_determinismE0ES3_S7_PKhNS0_17constant_iteratorIjlEEPhPlSF_S6_NS0_8equal_toIhEEEE10hipError_tPvRmT2_T3_mT4_T5_T6_T7_T8_P12ihipStream_tbENKUlT_T0_E_clISt17integral_constantIbLb0EESZ_EEDaSU_SV_EUlSU_E_NS1_11comp_targetILNS1_3genE5ELNS1_11target_archE942ELNS1_3gpuE9ELNS1_3repE0EEENS1_30default_config_static_selectorELNS0_4arch9wavefront6targetE1EEEvT1_ ; -- Begin function _ZN7rocprim17ROCPRIM_400000_NS6detail17trampoline_kernelINS0_14default_configENS1_33run_length_encode_config_selectorIhjNS0_4plusIjEEEEZZNS1_33reduce_by_key_impl_wrapped_configILNS1_25lookback_scan_determinismE0ES3_S7_PKhNS0_17constant_iteratorIjlEEPhPlSF_S6_NS0_8equal_toIhEEEE10hipError_tPvRmT2_T3_mT4_T5_T6_T7_T8_P12ihipStream_tbENKUlT_T0_E_clISt17integral_constantIbLb0EESZ_EEDaSU_SV_EUlSU_E_NS1_11comp_targetILNS1_3genE5ELNS1_11target_archE942ELNS1_3gpuE9ELNS1_3repE0EEENS1_30default_config_static_selectorELNS0_4arch9wavefront6targetE1EEEvT1_
	.globl	_ZN7rocprim17ROCPRIM_400000_NS6detail17trampoline_kernelINS0_14default_configENS1_33run_length_encode_config_selectorIhjNS0_4plusIjEEEEZZNS1_33reduce_by_key_impl_wrapped_configILNS1_25lookback_scan_determinismE0ES3_S7_PKhNS0_17constant_iteratorIjlEEPhPlSF_S6_NS0_8equal_toIhEEEE10hipError_tPvRmT2_T3_mT4_T5_T6_T7_T8_P12ihipStream_tbENKUlT_T0_E_clISt17integral_constantIbLb0EESZ_EEDaSU_SV_EUlSU_E_NS1_11comp_targetILNS1_3genE5ELNS1_11target_archE942ELNS1_3gpuE9ELNS1_3repE0EEENS1_30default_config_static_selectorELNS0_4arch9wavefront6targetE1EEEvT1_
	.p2align	8
	.type	_ZN7rocprim17ROCPRIM_400000_NS6detail17trampoline_kernelINS0_14default_configENS1_33run_length_encode_config_selectorIhjNS0_4plusIjEEEEZZNS1_33reduce_by_key_impl_wrapped_configILNS1_25lookback_scan_determinismE0ES3_S7_PKhNS0_17constant_iteratorIjlEEPhPlSF_S6_NS0_8equal_toIhEEEE10hipError_tPvRmT2_T3_mT4_T5_T6_T7_T8_P12ihipStream_tbENKUlT_T0_E_clISt17integral_constantIbLb0EESZ_EEDaSU_SV_EUlSU_E_NS1_11comp_targetILNS1_3genE5ELNS1_11target_archE942ELNS1_3gpuE9ELNS1_3repE0EEENS1_30default_config_static_selectorELNS0_4arch9wavefront6targetE1EEEvT1_,@function
_ZN7rocprim17ROCPRIM_400000_NS6detail17trampoline_kernelINS0_14default_configENS1_33run_length_encode_config_selectorIhjNS0_4plusIjEEEEZZNS1_33reduce_by_key_impl_wrapped_configILNS1_25lookback_scan_determinismE0ES3_S7_PKhNS0_17constant_iteratorIjlEEPhPlSF_S6_NS0_8equal_toIhEEEE10hipError_tPvRmT2_T3_mT4_T5_T6_T7_T8_P12ihipStream_tbENKUlT_T0_E_clISt17integral_constantIbLb0EESZ_EEDaSU_SV_EUlSU_E_NS1_11comp_targetILNS1_3genE5ELNS1_11target_archE942ELNS1_3gpuE9ELNS1_3repE0EEENS1_30default_config_static_selectorELNS0_4arch9wavefront6targetE1EEEvT1_: ; @_ZN7rocprim17ROCPRIM_400000_NS6detail17trampoline_kernelINS0_14default_configENS1_33run_length_encode_config_selectorIhjNS0_4plusIjEEEEZZNS1_33reduce_by_key_impl_wrapped_configILNS1_25lookback_scan_determinismE0ES3_S7_PKhNS0_17constant_iteratorIjlEEPhPlSF_S6_NS0_8equal_toIhEEEE10hipError_tPvRmT2_T3_mT4_T5_T6_T7_T8_P12ihipStream_tbENKUlT_T0_E_clISt17integral_constantIbLb0EESZ_EEDaSU_SV_EUlSU_E_NS1_11comp_targetILNS1_3genE5ELNS1_11target_archE942ELNS1_3gpuE9ELNS1_3repE0EEENS1_30default_config_static_selectorELNS0_4arch9wavefront6targetE1EEEvT1_
; %bb.0:
	.section	.rodata,"a",@progbits
	.p2align	6, 0x0
	.amdhsa_kernel _ZN7rocprim17ROCPRIM_400000_NS6detail17trampoline_kernelINS0_14default_configENS1_33run_length_encode_config_selectorIhjNS0_4plusIjEEEEZZNS1_33reduce_by_key_impl_wrapped_configILNS1_25lookback_scan_determinismE0ES3_S7_PKhNS0_17constant_iteratorIjlEEPhPlSF_S6_NS0_8equal_toIhEEEE10hipError_tPvRmT2_T3_mT4_T5_T6_T7_T8_P12ihipStream_tbENKUlT_T0_E_clISt17integral_constantIbLb0EESZ_EEDaSU_SV_EUlSU_E_NS1_11comp_targetILNS1_3genE5ELNS1_11target_archE942ELNS1_3gpuE9ELNS1_3repE0EEENS1_30default_config_static_selectorELNS0_4arch9wavefront6targetE1EEEvT1_
		.amdhsa_group_segment_fixed_size 0
		.amdhsa_private_segment_fixed_size 0
		.amdhsa_kernarg_size 128
		.amdhsa_user_sgpr_count 6
		.amdhsa_user_sgpr_private_segment_buffer 1
		.amdhsa_user_sgpr_dispatch_ptr 0
		.amdhsa_user_sgpr_queue_ptr 0
		.amdhsa_user_sgpr_kernarg_segment_ptr 1
		.amdhsa_user_sgpr_dispatch_id 0
		.amdhsa_user_sgpr_flat_scratch_init 0
		.amdhsa_user_sgpr_kernarg_preload_length 0
		.amdhsa_user_sgpr_kernarg_preload_offset 0
		.amdhsa_user_sgpr_private_segment_size 0
		.amdhsa_uses_dynamic_stack 0
		.amdhsa_system_sgpr_private_segment_wavefront_offset 0
		.amdhsa_system_sgpr_workgroup_id_x 1
		.amdhsa_system_sgpr_workgroup_id_y 0
		.amdhsa_system_sgpr_workgroup_id_z 0
		.amdhsa_system_sgpr_workgroup_info 0
		.amdhsa_system_vgpr_workitem_id 0
		.amdhsa_next_free_vgpr 1
		.amdhsa_next_free_sgpr 0
		.amdhsa_accum_offset 4
		.amdhsa_reserve_vcc 0
		.amdhsa_reserve_flat_scratch 0
		.amdhsa_float_round_mode_32 0
		.amdhsa_float_round_mode_16_64 0
		.amdhsa_float_denorm_mode_32 3
		.amdhsa_float_denorm_mode_16_64 3
		.amdhsa_dx10_clamp 1
		.amdhsa_ieee_mode 1
		.amdhsa_fp16_overflow 0
		.amdhsa_tg_split 0
		.amdhsa_exception_fp_ieee_invalid_op 0
		.amdhsa_exception_fp_denorm_src 0
		.amdhsa_exception_fp_ieee_div_zero 0
		.amdhsa_exception_fp_ieee_overflow 0
		.amdhsa_exception_fp_ieee_underflow 0
		.amdhsa_exception_fp_ieee_inexact 0
		.amdhsa_exception_int_div_zero 0
	.end_amdhsa_kernel
	.section	.text._ZN7rocprim17ROCPRIM_400000_NS6detail17trampoline_kernelINS0_14default_configENS1_33run_length_encode_config_selectorIhjNS0_4plusIjEEEEZZNS1_33reduce_by_key_impl_wrapped_configILNS1_25lookback_scan_determinismE0ES3_S7_PKhNS0_17constant_iteratorIjlEEPhPlSF_S6_NS0_8equal_toIhEEEE10hipError_tPvRmT2_T3_mT4_T5_T6_T7_T8_P12ihipStream_tbENKUlT_T0_E_clISt17integral_constantIbLb0EESZ_EEDaSU_SV_EUlSU_E_NS1_11comp_targetILNS1_3genE5ELNS1_11target_archE942ELNS1_3gpuE9ELNS1_3repE0EEENS1_30default_config_static_selectorELNS0_4arch9wavefront6targetE1EEEvT1_,"axG",@progbits,_ZN7rocprim17ROCPRIM_400000_NS6detail17trampoline_kernelINS0_14default_configENS1_33run_length_encode_config_selectorIhjNS0_4plusIjEEEEZZNS1_33reduce_by_key_impl_wrapped_configILNS1_25lookback_scan_determinismE0ES3_S7_PKhNS0_17constant_iteratorIjlEEPhPlSF_S6_NS0_8equal_toIhEEEE10hipError_tPvRmT2_T3_mT4_T5_T6_T7_T8_P12ihipStream_tbENKUlT_T0_E_clISt17integral_constantIbLb0EESZ_EEDaSU_SV_EUlSU_E_NS1_11comp_targetILNS1_3genE5ELNS1_11target_archE942ELNS1_3gpuE9ELNS1_3repE0EEENS1_30default_config_static_selectorELNS0_4arch9wavefront6targetE1EEEvT1_,comdat
.Lfunc_end167:
	.size	_ZN7rocprim17ROCPRIM_400000_NS6detail17trampoline_kernelINS0_14default_configENS1_33run_length_encode_config_selectorIhjNS0_4plusIjEEEEZZNS1_33reduce_by_key_impl_wrapped_configILNS1_25lookback_scan_determinismE0ES3_S7_PKhNS0_17constant_iteratorIjlEEPhPlSF_S6_NS0_8equal_toIhEEEE10hipError_tPvRmT2_T3_mT4_T5_T6_T7_T8_P12ihipStream_tbENKUlT_T0_E_clISt17integral_constantIbLb0EESZ_EEDaSU_SV_EUlSU_E_NS1_11comp_targetILNS1_3genE5ELNS1_11target_archE942ELNS1_3gpuE9ELNS1_3repE0EEENS1_30default_config_static_selectorELNS0_4arch9wavefront6targetE1EEEvT1_, .Lfunc_end167-_ZN7rocprim17ROCPRIM_400000_NS6detail17trampoline_kernelINS0_14default_configENS1_33run_length_encode_config_selectorIhjNS0_4plusIjEEEEZZNS1_33reduce_by_key_impl_wrapped_configILNS1_25lookback_scan_determinismE0ES3_S7_PKhNS0_17constant_iteratorIjlEEPhPlSF_S6_NS0_8equal_toIhEEEE10hipError_tPvRmT2_T3_mT4_T5_T6_T7_T8_P12ihipStream_tbENKUlT_T0_E_clISt17integral_constantIbLb0EESZ_EEDaSU_SV_EUlSU_E_NS1_11comp_targetILNS1_3genE5ELNS1_11target_archE942ELNS1_3gpuE9ELNS1_3repE0EEENS1_30default_config_static_selectorELNS0_4arch9wavefront6targetE1EEEvT1_
                                        ; -- End function
	.section	.AMDGPU.csdata,"",@progbits
; Kernel info:
; codeLenInByte = 0
; NumSgprs: 4
; NumVgprs: 0
; NumAgprs: 0
; TotalNumVgprs: 0
; ScratchSize: 0
; MemoryBound: 0
; FloatMode: 240
; IeeeMode: 1
; LDSByteSize: 0 bytes/workgroup (compile time only)
; SGPRBlocks: 0
; VGPRBlocks: 0
; NumSGPRsForWavesPerEU: 4
; NumVGPRsForWavesPerEU: 1
; AccumOffset: 4
; Occupancy: 8
; WaveLimiterHint : 0
; COMPUTE_PGM_RSRC2:SCRATCH_EN: 0
; COMPUTE_PGM_RSRC2:USER_SGPR: 6
; COMPUTE_PGM_RSRC2:TRAP_HANDLER: 0
; COMPUTE_PGM_RSRC2:TGID_X_EN: 1
; COMPUTE_PGM_RSRC2:TGID_Y_EN: 0
; COMPUTE_PGM_RSRC2:TGID_Z_EN: 0
; COMPUTE_PGM_RSRC2:TIDIG_COMP_CNT: 0
; COMPUTE_PGM_RSRC3_GFX90A:ACCUM_OFFSET: 0
; COMPUTE_PGM_RSRC3_GFX90A:TG_SPLIT: 0
	.section	.text._ZN7rocprim17ROCPRIM_400000_NS6detail17trampoline_kernelINS0_14default_configENS1_33run_length_encode_config_selectorIhjNS0_4plusIjEEEEZZNS1_33reduce_by_key_impl_wrapped_configILNS1_25lookback_scan_determinismE0ES3_S7_PKhNS0_17constant_iteratorIjlEEPhPlSF_S6_NS0_8equal_toIhEEEE10hipError_tPvRmT2_T3_mT4_T5_T6_T7_T8_P12ihipStream_tbENKUlT_T0_E_clISt17integral_constantIbLb0EESZ_EEDaSU_SV_EUlSU_E_NS1_11comp_targetILNS1_3genE4ELNS1_11target_archE910ELNS1_3gpuE8ELNS1_3repE0EEENS1_30default_config_static_selectorELNS0_4arch9wavefront6targetE1EEEvT1_,"axG",@progbits,_ZN7rocprim17ROCPRIM_400000_NS6detail17trampoline_kernelINS0_14default_configENS1_33run_length_encode_config_selectorIhjNS0_4plusIjEEEEZZNS1_33reduce_by_key_impl_wrapped_configILNS1_25lookback_scan_determinismE0ES3_S7_PKhNS0_17constant_iteratorIjlEEPhPlSF_S6_NS0_8equal_toIhEEEE10hipError_tPvRmT2_T3_mT4_T5_T6_T7_T8_P12ihipStream_tbENKUlT_T0_E_clISt17integral_constantIbLb0EESZ_EEDaSU_SV_EUlSU_E_NS1_11comp_targetILNS1_3genE4ELNS1_11target_archE910ELNS1_3gpuE8ELNS1_3repE0EEENS1_30default_config_static_selectorELNS0_4arch9wavefront6targetE1EEEvT1_,comdat
	.protected	_ZN7rocprim17ROCPRIM_400000_NS6detail17trampoline_kernelINS0_14default_configENS1_33run_length_encode_config_selectorIhjNS0_4plusIjEEEEZZNS1_33reduce_by_key_impl_wrapped_configILNS1_25lookback_scan_determinismE0ES3_S7_PKhNS0_17constant_iteratorIjlEEPhPlSF_S6_NS0_8equal_toIhEEEE10hipError_tPvRmT2_T3_mT4_T5_T6_T7_T8_P12ihipStream_tbENKUlT_T0_E_clISt17integral_constantIbLb0EESZ_EEDaSU_SV_EUlSU_E_NS1_11comp_targetILNS1_3genE4ELNS1_11target_archE910ELNS1_3gpuE8ELNS1_3repE0EEENS1_30default_config_static_selectorELNS0_4arch9wavefront6targetE1EEEvT1_ ; -- Begin function _ZN7rocprim17ROCPRIM_400000_NS6detail17trampoline_kernelINS0_14default_configENS1_33run_length_encode_config_selectorIhjNS0_4plusIjEEEEZZNS1_33reduce_by_key_impl_wrapped_configILNS1_25lookback_scan_determinismE0ES3_S7_PKhNS0_17constant_iteratorIjlEEPhPlSF_S6_NS0_8equal_toIhEEEE10hipError_tPvRmT2_T3_mT4_T5_T6_T7_T8_P12ihipStream_tbENKUlT_T0_E_clISt17integral_constantIbLb0EESZ_EEDaSU_SV_EUlSU_E_NS1_11comp_targetILNS1_3genE4ELNS1_11target_archE910ELNS1_3gpuE8ELNS1_3repE0EEENS1_30default_config_static_selectorELNS0_4arch9wavefront6targetE1EEEvT1_
	.globl	_ZN7rocprim17ROCPRIM_400000_NS6detail17trampoline_kernelINS0_14default_configENS1_33run_length_encode_config_selectorIhjNS0_4plusIjEEEEZZNS1_33reduce_by_key_impl_wrapped_configILNS1_25lookback_scan_determinismE0ES3_S7_PKhNS0_17constant_iteratorIjlEEPhPlSF_S6_NS0_8equal_toIhEEEE10hipError_tPvRmT2_T3_mT4_T5_T6_T7_T8_P12ihipStream_tbENKUlT_T0_E_clISt17integral_constantIbLb0EESZ_EEDaSU_SV_EUlSU_E_NS1_11comp_targetILNS1_3genE4ELNS1_11target_archE910ELNS1_3gpuE8ELNS1_3repE0EEENS1_30default_config_static_selectorELNS0_4arch9wavefront6targetE1EEEvT1_
	.p2align	8
	.type	_ZN7rocprim17ROCPRIM_400000_NS6detail17trampoline_kernelINS0_14default_configENS1_33run_length_encode_config_selectorIhjNS0_4plusIjEEEEZZNS1_33reduce_by_key_impl_wrapped_configILNS1_25lookback_scan_determinismE0ES3_S7_PKhNS0_17constant_iteratorIjlEEPhPlSF_S6_NS0_8equal_toIhEEEE10hipError_tPvRmT2_T3_mT4_T5_T6_T7_T8_P12ihipStream_tbENKUlT_T0_E_clISt17integral_constantIbLb0EESZ_EEDaSU_SV_EUlSU_E_NS1_11comp_targetILNS1_3genE4ELNS1_11target_archE910ELNS1_3gpuE8ELNS1_3repE0EEENS1_30default_config_static_selectorELNS0_4arch9wavefront6targetE1EEEvT1_,@function
_ZN7rocprim17ROCPRIM_400000_NS6detail17trampoline_kernelINS0_14default_configENS1_33run_length_encode_config_selectorIhjNS0_4plusIjEEEEZZNS1_33reduce_by_key_impl_wrapped_configILNS1_25lookback_scan_determinismE0ES3_S7_PKhNS0_17constant_iteratorIjlEEPhPlSF_S6_NS0_8equal_toIhEEEE10hipError_tPvRmT2_T3_mT4_T5_T6_T7_T8_P12ihipStream_tbENKUlT_T0_E_clISt17integral_constantIbLb0EESZ_EEDaSU_SV_EUlSU_E_NS1_11comp_targetILNS1_3genE4ELNS1_11target_archE910ELNS1_3gpuE8ELNS1_3repE0EEENS1_30default_config_static_selectorELNS0_4arch9wavefront6targetE1EEEvT1_: ; @_ZN7rocprim17ROCPRIM_400000_NS6detail17trampoline_kernelINS0_14default_configENS1_33run_length_encode_config_selectorIhjNS0_4plusIjEEEEZZNS1_33reduce_by_key_impl_wrapped_configILNS1_25lookback_scan_determinismE0ES3_S7_PKhNS0_17constant_iteratorIjlEEPhPlSF_S6_NS0_8equal_toIhEEEE10hipError_tPvRmT2_T3_mT4_T5_T6_T7_T8_P12ihipStream_tbENKUlT_T0_E_clISt17integral_constantIbLb0EESZ_EEDaSU_SV_EUlSU_E_NS1_11comp_targetILNS1_3genE4ELNS1_11target_archE910ELNS1_3gpuE8ELNS1_3repE0EEENS1_30default_config_static_selectorELNS0_4arch9wavefront6targetE1EEEvT1_
; %bb.0:
	s_load_dwordx8 s[36:43], s[4:5], 0x40
	s_load_dwordx4 s[0:3], s[4:5], 0x0
	s_load_dword s7, s[4:5], 0x10
	s_load_dwordx4 s[44:47], s[4:5], 0x60
	s_mov_b64 s[12:13], -1
	s_waitcnt lgkmcnt(0)
	s_mul_i32 s8, s40, s39
	s_mul_hi_u32 s9, s40, s38
	s_add_i32 s8, s9, s8
	s_mul_i32 s9, s41, s38
	s_add_i32 s8, s8, s9
	s_add_u32 s0, s0, s2
	s_addc_u32 s1, s1, s3
	s_mul_i32 s2, s6, 0xf00
	s_add_u32 s2, s0, s2
	s_mul_i32 s9, s40, s38
	s_addc_u32 s3, s1, 0
	s_add_u32 s0, s9, s6
	s_addc_u32 s1, s8, 0
	s_add_u32 s8, s42, -1
	s_addc_u32 s9, s43, -1
	s_cmp_eq_u64 s[0:1], s[8:9]
	s_cselect_b64 s[34:35], -1, 0
	s_cmp_lg_u64 s[0:1], s[8:9]
	s_cselect_b64 s[10:11], -1, 0
	s_mul_i32 s33, s8, 0xfffff100
	s_and_b64 vcc, exec, s[34:35]
	v_mad_u32_u24 v2, v0, 14, v0
	s_cbranch_vccnz .LBB168_2
; %bb.1:
	global_load_ubyte v1, v0, s[2:3]
	global_load_ubyte v3, v0, s[2:3] offset:256
	global_load_ubyte v4, v0, s[2:3] offset:512
	;; [unrolled: 1-line block ×14, first 2 shown]
	s_mov_b64 s[8:9], -1
	s_waitcnt vmcnt(14)
	ds_write_b8 v0, v1
	s_waitcnt vmcnt(13)
	ds_write_b8 v0, v3 offset:256
	s_waitcnt vmcnt(12)
	ds_write_b8 v0, v4 offset:512
	;; [unrolled: 2-line block ×14, first 2 shown]
	s_waitcnt lgkmcnt(0)
	s_barrier
	ds_read_b96 v[8:10], v2
	ds_read_u8 v55, v2 offset:12
	ds_read_u8 v11, v2 offset:13
	;; [unrolled: 1-line block ×3, first 2 shown]
	s_waitcnt lgkmcnt(3)
	v_lshrrev_b32_e32 v67, 8, v8
	v_lshrrev_b32_e32 v65, 16, v8
	;; [unrolled: 1-line block ×9, first 2 shown]
	s_add_i32 s33, s33, s44
	s_cbranch_execz .LBB168_3
	s_branch .LBB168_34
.LBB168_2:
	s_mov_b64 s[8:9], 0
                                        ; implicit-def: $vgpr8
                                        ; implicit-def: $vgpr67
                                        ; implicit-def: $vgpr65
                                        ; implicit-def: $vgpr63
                                        ; implicit-def: $vgpr61
                                        ; implicit-def: $vgpr60
                                        ; implicit-def: $vgpr59
                                        ; implicit-def: $vgpr58
                                        ; implicit-def: $vgpr57
                                        ; implicit-def: $vgpr56
                                        ; implicit-def: $vgpr55
                                        ; implicit-def: $vgpr11
                                        ; implicit-def: $vgpr1
	s_add_i32 s33, s33, s44
	s_andn2_b64 vcc, exec, s[12:13]
	s_cbranch_vccnz .LBB168_34
.LBB168_3:
	v_cmp_gt_u32_e32 vcc, s33, v0
                                        ; implicit-def: $vgpr1
	s_and_saveexec_b64 s[8:9], vcc
	s_cbranch_execz .LBB168_5
; %bb.4:
	s_waitcnt lgkmcnt(0)
	global_load_ubyte v1, v0, s[2:3]
.LBB168_5:
	s_or_b64 exec, exec, s[8:9]
	v_or_b32_e32 v3, 0x100, v0
	v_cmp_gt_u32_e32 vcc, s33, v3
                                        ; implicit-def: $vgpr3
	s_and_saveexec_b64 s[8:9], vcc
	s_cbranch_execz .LBB168_7
; %bb.6:
	global_load_ubyte v3, v0, s[2:3] offset:256
.LBB168_7:
	s_or_b64 exec, exec, s[8:9]
	v_or_b32_e32 v4, 0x200, v0
	v_cmp_gt_u32_e32 vcc, s33, v4
                                        ; implicit-def: $vgpr4
	s_and_saveexec_b64 s[8:9], vcc
	s_cbranch_execz .LBB168_9
; %bb.8:
	global_load_ubyte v4, v0, s[2:3] offset:512
.LBB168_9:
	s_or_b64 exec, exec, s[8:9]
	v_or_b32_e32 v5, 0x300, v0
	v_cmp_gt_u32_e32 vcc, s33, v5
                                        ; implicit-def: $vgpr5
	s_and_saveexec_b64 s[8:9], vcc
	s_cbranch_execz .LBB168_11
; %bb.10:
	global_load_ubyte v5, v0, s[2:3] offset:768
.LBB168_11:
	s_or_b64 exec, exec, s[8:9]
	v_or_b32_e32 v6, 0x400, v0
	v_cmp_gt_u32_e32 vcc, s33, v6
                                        ; implicit-def: $vgpr6
	s_and_saveexec_b64 s[8:9], vcc
	s_cbranch_execz .LBB168_13
; %bb.12:
	global_load_ubyte v6, v0, s[2:3] offset:1024
.LBB168_13:
	s_or_b64 exec, exec, s[8:9]
	v_or_b32_e32 v7, 0x500, v0
	v_cmp_gt_u32_e32 vcc, s33, v7
                                        ; implicit-def: $vgpr7
	s_and_saveexec_b64 s[8:9], vcc
	s_cbranch_execz .LBB168_15
; %bb.14:
	global_load_ubyte v7, v0, s[2:3] offset:1280
.LBB168_15:
	s_or_b64 exec, exec, s[8:9]
	v_or_b32_e32 v8, 0x600, v0
	v_cmp_gt_u32_e32 vcc, s33, v8
                                        ; implicit-def: $vgpr8
	s_and_saveexec_b64 s[8:9], vcc
	s_cbranch_execz .LBB168_17
; %bb.16:
	global_load_ubyte v8, v0, s[2:3] offset:1536
.LBB168_17:
	s_or_b64 exec, exec, s[8:9]
	v_or_b32_e32 v9, 0x700, v0
	v_cmp_gt_u32_e32 vcc, s33, v9
                                        ; implicit-def: $vgpr9
	s_and_saveexec_b64 s[8:9], vcc
	s_cbranch_execz .LBB168_19
; %bb.18:
	global_load_ubyte v9, v0, s[2:3] offset:1792
.LBB168_19:
	s_or_b64 exec, exec, s[8:9]
	v_or_b32_e32 v10, 0x800, v0
	v_cmp_gt_u32_e32 vcc, s33, v10
                                        ; implicit-def: $vgpr10
	s_and_saveexec_b64 s[8:9], vcc
	s_cbranch_execz .LBB168_21
; %bb.20:
	global_load_ubyte v10, v0, s[2:3] offset:2048
.LBB168_21:
	s_or_b64 exec, exec, s[8:9]
	s_waitcnt lgkmcnt(1)
	v_or_b32_e32 v11, 0x900, v0
	v_cmp_gt_u32_e32 vcc, s33, v11
                                        ; implicit-def: $vgpr11
	s_and_saveexec_b64 s[8:9], vcc
	s_cbranch_execz .LBB168_23
; %bb.22:
	global_load_ubyte v11, v0, s[2:3] offset:2304
.LBB168_23:
	s_or_b64 exec, exec, s[8:9]
	v_or_b32_e32 v12, 0xa00, v0
	v_cmp_gt_u32_e32 vcc, s33, v12
                                        ; implicit-def: $vgpr12
	s_and_saveexec_b64 s[8:9], vcc
	s_cbranch_execz .LBB168_25
; %bb.24:
	global_load_ubyte v12, v0, s[2:3] offset:2560
.LBB168_25:
	s_or_b64 exec, exec, s[8:9]
	v_or_b32_e32 v13, 0xb00, v0
	v_cmp_gt_u32_e32 vcc, s33, v13
                                        ; implicit-def: $vgpr13
	s_and_saveexec_b64 s[8:9], vcc
	s_cbranch_execz .LBB168_27
; %bb.26:
	global_load_ubyte v13, v0, s[2:3] offset:2816
.LBB168_27:
	s_or_b64 exec, exec, s[8:9]
	v_or_b32_e32 v14, 0xc00, v0
	v_cmp_gt_u32_e32 vcc, s33, v14
                                        ; implicit-def: $vgpr14
	s_and_saveexec_b64 s[8:9], vcc
	s_cbranch_execz .LBB168_29
; %bb.28:
	global_load_ubyte v14, v0, s[2:3] offset:3072
.LBB168_29:
	s_or_b64 exec, exec, s[8:9]
	v_or_b32_e32 v15, 0xd00, v0
	v_cmp_gt_u32_e32 vcc, s33, v15
                                        ; implicit-def: $vgpr15
	s_and_saveexec_b64 s[8:9], vcc
	s_cbranch_execz .LBB168_31
; %bb.30:
	global_load_ubyte v15, v0, s[2:3] offset:3328
.LBB168_31:
	s_or_b64 exec, exec, s[8:9]
	v_or_b32_e32 v16, 0xe00, v0
	v_cmp_gt_u32_e32 vcc, s33, v16
                                        ; implicit-def: $vgpr16
	s_and_saveexec_b64 s[8:9], vcc
	s_cbranch_execz .LBB168_33
; %bb.32:
	global_load_ubyte v16, v0, s[2:3] offset:3584
.LBB168_33:
	s_or_b64 exec, exec, s[8:9]
	s_waitcnt vmcnt(0) lgkmcnt(0)
	ds_write_b8 v0, v1
	ds_write_b8 v0, v3 offset:256
	ds_write_b8 v0, v4 offset:512
	;; [unrolled: 1-line block ×14, first 2 shown]
	s_waitcnt lgkmcnt(0)
	s_barrier
	ds_read_b96 v[8:10], v2
	ds_read_u8 v55, v2 offset:12
	ds_read_u8 v11, v2 offset:13
	;; [unrolled: 1-line block ×3, first 2 shown]
	v_mad_u32_u24 v2, v0, 15, 14
	s_waitcnt lgkmcnt(3)
	v_lshrrev_b32_e32 v67, 8, v8
	v_lshrrev_b32_e32 v65, 16, v8
	;; [unrolled: 1-line block ×9, first 2 shown]
	v_cmp_gt_u32_e64 s[8:9], s33, v2
.LBB168_34:
	v_mov_b32_e32 v52, s7
                                        ; implicit-def: $vgpr53
	s_and_saveexec_b64 s[12:13], s[8:9]
; %bb.35:
	v_mov_b32_e32 v53, s7
; %bb.36:
	s_or_b64 exec, exec, s[12:13]
	s_load_dwordx2 s[50:51], s[4:5], 0x70
	s_cmp_eq_u64 s[0:1], 0
	s_cselect_b64 s[48:49], -1, 0
	s_cmp_lg_u64 s[0:1], 0
	s_mov_b64 s[8:9], 0
	s_cselect_b64 s[12:13], -1, 0
	s_and_b64 vcc, exec, s[10:11]
	s_waitcnt lgkmcnt(0)
	s_barrier
	s_cbranch_vccz .LBB168_42
; %bb.37:
	s_and_b64 vcc, exec, s[12:13]
	s_cbranch_vccz .LBB168_43
; %bb.38:
	v_mov_b32_e32 v2, 0
	global_load_ubyte v2, v2, s[2:3] offset:-1
	v_cmp_ne_u16_sdwa s[8:9], v11, v1 src0_sel:BYTE_0 src1_sel:BYTE_0
	v_cmp_ne_u16_sdwa s[10:11], v55, v11 src0_sel:BYTE_0 src1_sel:BYTE_0
	;; [unrolled: 1-line block ×14, first 2 shown]
	v_cmp_ne_u32_e32 vcc, 0, v0
	ds_write_b8 v0, v1
	s_waitcnt lgkmcnt(0)
	s_barrier
	s_and_saveexec_b64 s[54:55], vcc
	s_cbranch_execz .LBB168_40
; %bb.39:
	s_waitcnt vmcnt(0)
	v_add_u32_e32 v2, -1, v0
	ds_read_u8 v2, v2
.LBB168_40:
	s_or_b64 exec, exec, s[54:55]
	s_waitcnt vmcnt(0) lgkmcnt(0)
	v_and_b32_e32 v2, 0xff, v2
	v_cndmask_b32_e64 v62, 0, 1, s[8:9]
	v_cndmask_b32_e64 v64, 0, 1, s[10:11]
	;; [unrolled: 1-line block ×14, first 2 shown]
	v_cmp_ne_u16_sdwa s[10:11], v2, v8 src0_sel:DWORD src1_sel:BYTE_0
	s_mov_b64 s[8:9], -1
.LBB168_41:
                                        ; implicit-def: $sgpr7
	s_branch .LBB168_55
.LBB168_42:
                                        ; implicit-def: $sgpr10_sgpr11
                                        ; implicit-def: $vgpr62
                                        ; implicit-def: $vgpr64
                                        ; implicit-def: $vgpr66
                                        ; implicit-def: $vgpr68
                                        ; implicit-def: $vgpr69
                                        ; implicit-def: $vgpr70
                                        ; implicit-def: $vgpr71
                                        ; implicit-def: $vgpr21
                                        ; implicit-def: $vgpr72
                                        ; implicit-def: $vgpr73
                                        ; implicit-def: $vgpr74
                                        ; implicit-def: $vgpr75
                                        ; implicit-def: $vgpr76
                                        ; implicit-def: $vgpr77
                                        ; implicit-def: $sgpr7
	s_cbranch_execnz .LBB168_47
	s_branch .LBB168_55
.LBB168_43:
                                        ; implicit-def: $sgpr10_sgpr11
                                        ; implicit-def: $vgpr62
                                        ; implicit-def: $vgpr64
                                        ; implicit-def: $vgpr66
                                        ; implicit-def: $vgpr68
                                        ; implicit-def: $vgpr69
                                        ; implicit-def: $vgpr70
                                        ; implicit-def: $vgpr71
                                        ; implicit-def: $vgpr21
                                        ; implicit-def: $vgpr72
                                        ; implicit-def: $vgpr73
                                        ; implicit-def: $vgpr74
                                        ; implicit-def: $vgpr75
                                        ; implicit-def: $vgpr76
                                        ; implicit-def: $vgpr77
	s_cbranch_execz .LBB168_41
; %bb.44:
	v_cmp_ne_u16_sdwa s[10:11], v11, v1 src0_sel:BYTE_0 src1_sel:BYTE_0
	v_cndmask_b32_e64 v62, 0, 1, s[10:11]
	v_cmp_ne_u16_sdwa s[10:11], v55, v11 src0_sel:BYTE_0 src1_sel:BYTE_0
	v_cndmask_b32_e64 v64, 0, 1, s[10:11]
	;; [unrolled: 2-line block ×14, first 2 shown]
	v_cmp_ne_u32_e32 vcc, 0, v0
	ds_write_b8 v0, v1
	s_waitcnt lgkmcnt(0)
	s_barrier
	s_waitcnt lgkmcnt(0)
                                        ; implicit-def: $sgpr10_sgpr11
	s_and_saveexec_b64 s[14:15], vcc
	s_xor_b64 s[14:15], exec, s[14:15]
	s_cbranch_execz .LBB168_46
; %bb.45:
	v_add_u32_e32 v2, -1, v0
	ds_read_u8 v2, v2
	s_or_b64 s[8:9], s[8:9], exec
	s_waitcnt lgkmcnt(0)
	v_cmp_ne_u16_sdwa s[10:11], v2, v8 src0_sel:DWORD src1_sel:BYTE_0
	s_and_b64 s[10:11], s[10:11], exec
.LBB168_46:
	s_or_b64 exec, exec, s[14:15]
	s_mov_b32 s7, 1
	s_branch .LBB168_55
.LBB168_47:
	s_mul_hi_u32 s7, s0, 0xfffff100
	s_mulk_i32 s1, 0xf100
	s_sub_i32 s7, s7, s0
	s_add_i32 s7, s7, s1
	s_mulk_i32 s0, 0xf100
	s_add_u32 s14, s0, s44
	s_addc_u32 s15, s7, s45
	s_and_b64 vcc, exec, s[12:13]
	v_mad_u32_u24 v2, v0, 15, 14
	v_cmp_ne_u16_sdwa s[52:53], v11, v1 src0_sel:BYTE_0 src1_sel:BYTE_0
	v_mad_u32_u24 v32, v0, 15, 13
	v_cmp_ne_u16_sdwa s[44:45], v55, v11 src0_sel:BYTE_0 src1_sel:BYTE_0
	;; [unrolled: 2-line block ×14, first 2 shown]
	v_cmp_ne_u32_e64 s[0:1], 0, v0
	s_cbranch_vccz .LBB168_52
; %bb.48:
	v_mov_b32_e32 v3, 0
	global_load_ubyte v36, v3, s[2:3] offset:-1
	v_cmp_gt_u64_e32 vcc, s[14:15], v[2:3]
	v_mov_b32_e32 v33, v3
	s_and_b64 s[2:3], vcc, s[52:53]
	v_cmp_gt_u64_e32 vcc, s[14:15], v[32:33]
	v_mov_b32_e32 v31, v3
	s_and_b64 s[8:9], vcc, s[44:45]
	;; [unrolled: 3-line block ×13, first 2 shown]
	v_cmp_gt_u64_e32 vcc, s[14:15], v[4:5]
	v_mul_u32_u24_e32 v34, 15, v0
	s_and_b64 s[12:13], vcc, s[12:13]
	ds_write_b8 v0, v1
	s_waitcnt lgkmcnt(0)
	s_barrier
	s_and_saveexec_b64 s[44:45], s[0:1]
	s_cbranch_execz .LBB168_50
; %bb.49:
	v_add_u32_e32 v5, -1, v0
	s_waitcnt vmcnt(0)
	ds_read_u8 v36, v5
.LBB168_50:
	s_or_b64 exec, exec, s[44:45]
	v_mov_b32_e32 v35, v3
	s_waitcnt vmcnt(0) lgkmcnt(0)
	v_and_b32_e32 v3, 0xff, v36
	v_cmp_gt_u64_e32 vcc, s[14:15], v[34:35]
	v_cmp_ne_u16_sdwa s[0:1], v3, v8 src0_sel:DWORD src1_sel:BYTE_0
	v_cndmask_b32_e64 v62, 0, 1, s[2:3]
	v_cndmask_b32_e64 v64, 0, 1, s[8:9]
	;; [unrolled: 1-line block ×14, first 2 shown]
	s_and_b64 s[10:11], vcc, s[0:1]
	s_mov_b64 s[8:9], -1
.LBB168_51:
                                        ; implicit-def: $sgpr7
	v_mov_b32_e32 v78, s7
	s_and_saveexec_b64 s[0:1], s[8:9]
	s_cbranch_execnz .LBB168_56
	s_branch .LBB168_57
.LBB168_52:
                                        ; implicit-def: $sgpr10_sgpr11
                                        ; implicit-def: $vgpr62
                                        ; implicit-def: $vgpr64
                                        ; implicit-def: $vgpr66
                                        ; implicit-def: $vgpr68
                                        ; implicit-def: $vgpr69
                                        ; implicit-def: $vgpr70
                                        ; implicit-def: $vgpr71
                                        ; implicit-def: $vgpr21
                                        ; implicit-def: $vgpr72
                                        ; implicit-def: $vgpr73
                                        ; implicit-def: $vgpr74
                                        ; implicit-def: $vgpr75
                                        ; implicit-def: $vgpr76
                                        ; implicit-def: $vgpr77
	s_cbranch_execz .LBB168_51
; %bb.53:
	v_mov_b32_e32 v3, 0
	v_cmp_gt_u64_e32 vcc, s[14:15], v[2:3]
	v_cmp_ne_u16_sdwa s[0:1], v11, v1 src0_sel:BYTE_0 src1_sel:BYTE_0
	s_and_b64 s[0:1], vcc, s[0:1]
	v_mov_b32_e32 v33, v3
	v_cndmask_b32_e64 v62, 0, 1, s[0:1]
	v_cmp_gt_u64_e32 vcc, s[14:15], v[32:33]
	v_cmp_ne_u16_sdwa s[0:1], v55, v11 src0_sel:BYTE_0 src1_sel:BYTE_0
	s_and_b64 s[0:1], vcc, s[0:1]
	v_mov_b32_e32 v31, v3
	v_cndmask_b32_e64 v64, 0, 1, s[0:1]
	;; [unrolled: 5-line block ×13, first 2 shown]
	v_cmp_gt_u64_e32 vcc, s[14:15], v[4:5]
	v_cmp_ne_u16_sdwa s[0:1], v8, v67 src0_sel:BYTE_0 src1_sel:BYTE_0
	s_and_b64 s[0:1], vcc, s[0:1]
	s_mov_b32 s7, 1
	v_cndmask_b32_e64 v77, 0, 1, s[0:1]
	v_cmp_ne_u32_e32 vcc, 0, v0
	ds_write_b8 v0, v1
	s_waitcnt lgkmcnt(0)
	s_barrier
	s_waitcnt lgkmcnt(0)
                                        ; implicit-def: $sgpr10_sgpr11
	s_and_saveexec_b64 s[0:1], vcc
	s_cbranch_execz .LBB168_147
; %bb.54:
	v_add_u32_e32 v2, -1, v0
	ds_read_u8 v4, v2
	v_mul_u32_u24_e32 v2, 15, v0
	v_cmp_gt_u64_e32 vcc, s[14:15], v[2:3]
	s_or_b64 s[8:9], s[8:9], exec
	s_waitcnt lgkmcnt(0)
	v_and_b32_e32 v2, 0xff, v4
	v_cmp_ne_u16_sdwa s[2:3], v2, v8 src0_sel:DWORD src1_sel:BYTE_0
	s_and_b64 s[2:3], vcc, s[2:3]
	s_and_b64 s[10:11], s[2:3], exec
	s_or_b64 exec, exec, s[0:1]
.LBB168_55:
	v_mov_b32_e32 v78, s7
	s_and_saveexec_b64 s[0:1], s[8:9]
.LBB168_56:
	v_cndmask_b32_e64 v78, 0, 1, s[10:11]
.LBB168_57:
	s_or_b64 exec, exec, s[0:1]
	s_load_dwordx4 s[40:43], s[4:5], 0x20
	s_load_dwordx2 s[44:45], s[4:5], 0x30
	s_cmp_eq_u64 s[38:39], 0
	v_add3_u32 v2, v77, v78, v76
	s_cselect_b64 s[38:39], -1, 0
	s_cmp_lg_u32 s6, 0
	v_cmp_eq_u32_e64 s[24:25], 0, v77
	v_cmp_eq_u32_e64 s[22:23], 0, v76
	v_cmp_eq_u32_e64 s[20:21], 0, v75
	v_add3_u32 v81, v2, v75, v74
	v_cmp_eq_u32_e64 s[18:19], 0, v74
	v_cmp_eq_u32_e64 s[16:17], 0, v73
	;; [unrolled: 1-line block ×10, first 2 shown]
	v_cmp_eq_u32_e32 vcc, 0, v62
	v_mbcnt_lo_u32_b32 v80, -1, 0
	v_lshrrev_b32_e32 v54, 6, v0
	v_or_b32_e32 v79, 63, v0
	s_cbranch_scc0 .LBB168_84
; %bb.58:
	v_cndmask_b32_e64 v2, 0, v52, s[24:25]
	v_add_u32_e32 v2, v2, v52
	v_cndmask_b32_e64 v2, 0, v2, s[22:23]
	v_add_u32_e32 v2, v2, v52
	;; [unrolled: 2-line block ×11, first 2 shown]
	v_cndmask_b32_e64 v2, 0, v2, s[2:3]
	v_add3_u32 v3, v81, v73, v72
	v_add_u32_e32 v2, v2, v52
	v_add3_u32 v3, v3, v21, v71
	v_cndmask_b32_e64 v2, 0, v2, s[0:1]
	v_add3_u32 v3, v3, v70, v69
	v_add_u32_e32 v2, v2, v52
	v_add3_u32 v3, v3, v68, v66
	v_cndmask_b32_e32 v2, 0, v2, vcc
	v_add3_u32 v3, v3, v64, v62
	v_add_u32_e32 v2, v2, v53
	v_mbcnt_hi_u32_b32 v15, -1, v80
	v_and_b32_e32 v4, 15, v15
	v_mov_b32_dpp v6, v2 row_shr:1 row_mask:0xf bank_mask:0xf
	v_cmp_eq_u32_e32 vcc, 0, v3
	v_mov_b32_dpp v5, v3 row_shr:1 row_mask:0xf bank_mask:0xf
	v_cndmask_b32_e32 v6, 0, v6, vcc
	v_cmp_eq_u32_e32 vcc, 0, v4
	v_cndmask_b32_e64 v5, v5, 0, vcc
	v_add_u32_e32 v3, v5, v3
	v_cndmask_b32_e64 v5, v6, 0, vcc
	v_add_u32_e32 v2, v5, v2
	v_cmp_eq_u32_e32 vcc, 0, v3
	v_mov_b32_dpp v5, v3 row_shr:2 row_mask:0xf bank_mask:0xf
	v_cmp_lt_u32_e64 s[26:27], 1, v4
	v_mov_b32_dpp v6, v2 row_shr:2 row_mask:0xf bank_mask:0xf
	v_cndmask_b32_e64 v5, 0, v5, s[26:27]
	s_and_b64 vcc, s[26:27], vcc
	v_cndmask_b32_e32 v6, 0, v6, vcc
	v_add_u32_e32 v3, v3, v5
	v_add_u32_e32 v2, v6, v2
	v_cmp_eq_u32_e32 vcc, 0, v3
	v_mov_b32_dpp v5, v3 row_shr:4 row_mask:0xf bank_mask:0xf
	v_cmp_lt_u32_e64 s[26:27], 3, v4
	v_mov_b32_dpp v6, v2 row_shr:4 row_mask:0xf bank_mask:0xf
	v_cndmask_b32_e64 v5, 0, v5, s[26:27]
	s_and_b64 vcc, s[26:27], vcc
	v_cndmask_b32_e32 v6, 0, v6, vcc
	v_add_u32_e32 v3, v5, v3
	v_add_u32_e32 v2, v2, v6
	v_cmp_eq_u32_e32 vcc, 0, v3
	v_cmp_lt_u32_e64 s[26:27], 7, v4
	v_mov_b32_dpp v5, v3 row_shr:8 row_mask:0xf bank_mask:0xf
	v_mov_b32_dpp v6, v2 row_shr:8 row_mask:0xf bank_mask:0xf
	s_and_b64 vcc, s[26:27], vcc
	v_cndmask_b32_e64 v4, 0, v5, s[26:27]
	v_cndmask_b32_e32 v5, 0, v6, vcc
	v_add_u32_e32 v2, v5, v2
	v_add_u32_e32 v3, v4, v3
	v_bfe_i32 v6, v15, 4, 1
	v_mov_b32_dpp v5, v2 row_bcast:15 row_mask:0xf bank_mask:0xf
	v_mov_b32_dpp v4, v3 row_bcast:15 row_mask:0xf bank_mask:0xf
	v_cmp_eq_u32_e32 vcc, 0, v3
	v_cndmask_b32_e32 v5, 0, v5, vcc
	v_and_b32_e32 v4, v6, v4
	v_add_u32_e32 v3, v4, v3
	v_and_b32_e32 v4, v6, v5
	v_add_u32_e32 v4, v4, v2
	v_mov_b32_dpp v2, v3 row_bcast:31 row_mask:0xf bank_mask:0xf
	v_cmp_eq_u32_e32 vcc, 0, v3
	v_cmp_lt_u32_e64 s[26:27], 31, v15
	v_mov_b32_dpp v5, v4 row_bcast:31 row_mask:0xf bank_mask:0xf
	v_cndmask_b32_e64 v2, 0, v2, s[26:27]
	s_and_b64 vcc, s[26:27], vcc
	v_add_u32_e32 v2, v2, v3
	v_cndmask_b32_e32 v3, 0, v5, vcc
	v_add_u32_e32 v3, v3, v4
	v_cmp_eq_u32_e32 vcc, v79, v0
	v_lshlrev_b32_e32 v4, 3, v54
	s_and_saveexec_b64 s[26:27], vcc
	s_cbranch_execz .LBB168_60
; %bb.59:
	ds_write_b64 v4, v[2:3] offset:528
.LBB168_60:
	s_or_b64 exec, exec, s[26:27]
	v_cmp_gt_u32_e32 vcc, 4, v0
	s_waitcnt lgkmcnt(0)
	s_barrier
	s_and_saveexec_b64 s[30:31], vcc
	s_cbranch_execz .LBB168_62
; %bb.61:
	v_lshlrev_b32_e32 v5, 3, v0
	ds_read_b64 v[6:7], v5 offset:528
	v_and_b32_e32 v12, 3, v15
	v_cmp_lt_u32_e64 s[26:27], 1, v12
	s_waitcnt lgkmcnt(0)
	v_mov_b32_dpp v14, v7 row_shr:1 row_mask:0xf bank_mask:0xf
	v_cmp_eq_u32_e32 vcc, 0, v6
	v_mov_b32_dpp v13, v6 row_shr:1 row_mask:0xf bank_mask:0xf
	v_cndmask_b32_e32 v14, 0, v14, vcc
	v_cmp_eq_u32_e32 vcc, 0, v12
	v_cndmask_b32_e64 v13, v13, 0, vcc
	v_add_u32_e32 v6, v13, v6
	v_cndmask_b32_e64 v13, v14, 0, vcc
	v_add_u32_e32 v7, v13, v7
	v_cmp_eq_u32_e32 vcc, 0, v6
	v_mov_b32_dpp v13, v6 row_shr:2 row_mask:0xf bank_mask:0xf
	v_mov_b32_dpp v14, v7 row_shr:2 row_mask:0xf bank_mask:0xf
	v_cndmask_b32_e64 v12, 0, v13, s[26:27]
	s_and_b64 vcc, s[26:27], vcc
	v_add_u32_e32 v6, v12, v6
	v_cndmask_b32_e32 v12, 0, v14, vcc
	v_add_u32_e32 v7, v12, v7
	ds_write_b64 v5, v[6:7] offset:528
.LBB168_62:
	s_or_b64 exec, exec, s[30:31]
	v_cmp_gt_u32_e32 vcc, 64, v0
	v_cmp_lt_u32_e64 s[26:27], 63, v0
	v_mov_b32_e32 v12, 0
	v_mov_b32_e32 v13, 0
	s_waitcnt lgkmcnt(0)
	s_barrier
	s_and_saveexec_b64 s[30:31], s[26:27]
	s_cbranch_execz .LBB168_64
; %bb.63:
	ds_read_b64 v[12:13], v4 offset:520
	v_cmp_eq_u32_e64 s[26:27], 0, v2
	s_waitcnt lgkmcnt(0)
	v_add_u32_e32 v4, v12, v2
	v_cndmask_b32_e64 v2, 0, v13, s[26:27]
	v_add_u32_e32 v3, v2, v3
	v_mov_b32_e32 v2, v4
.LBB168_64:
	s_or_b64 exec, exec, s[30:31]
	v_add_u32_e32 v4, -1, v15
	v_and_b32_e32 v5, 64, v15
	v_cmp_lt_i32_e64 s[26:27], v4, v5
	v_cndmask_b32_e64 v4, v4, v15, s[26:27]
	v_lshlrev_b32_e32 v4, 2, v4
	ds_bpermute_b32 v20, v4, v2
	ds_bpermute_b32 v22, v4, v3
	v_cmp_eq_u32_e64 s[26:27], 0, v15
	s_and_saveexec_b64 s[52:53], vcc
	s_cbranch_execz .LBB168_83
; %bb.65:
	v_mov_b32_e32 v7, 0
	ds_read_b64 v[2:3], v7 offset:552
	s_waitcnt lgkmcnt(0)
	v_readfirstlane_b32 s7, v2
	v_readfirstlane_b32 s56, v3
	s_and_saveexec_b64 s[30:31], s[26:27]
	s_cbranch_execz .LBB168_67
; %bb.66:
	s_add_i32 s54, s6, 64
	s_mov_b32 s55, 0
	s_lshl_b64 s[58:59], s[54:55], 4
	s_add_u32 s58, s36, s58
	s_addc_u32 s59, s37, s59
	s_and_b32 s61, s56, 0xff000000
	s_mov_b32 s60, s55
	s_and_b32 s63, s56, 0xff0000
	s_mov_b32 s62, s55
	s_or_b64 s[60:61], s[62:63], s[60:61]
	s_and_b32 s63, s56, 0xff00
	s_or_b64 s[60:61], s[60:61], s[62:63]
	s_and_b32 s63, s56, 0xff
	s_or_b64 s[54:55], s[60:61], s[62:63]
	v_mov_b32_e32 v4, s7
	v_mov_b32_e32 v5, s55
	;; [unrolled: 1-line block ×3, first 2 shown]
	v_pk_mov_b32 v[2:3], s[58:59], s[58:59] op_sel:[0,1]
	;;#ASMSTART
	global_store_dwordx4 v[2:3], v[4:7] off	
s_waitcnt vmcnt(0)
	;;#ASMEND
.LBB168_67:
	s_or_b64 exec, exec, s[30:31]
	v_xad_u32 v14, v15, -1, s6
	v_add_u32_e32 v6, 64, v14
	v_lshlrev_b64 v[2:3], 4, v[6:7]
	v_mov_b32_e32 v4, s37
	v_add_co_u32_e32 v16, vcc, s36, v2
	v_addc_co_u32_e32 v17, vcc, v4, v3, vcc
	;;#ASMSTART
	global_load_dwordx4 v[2:5], v[16:17] off glc	
s_waitcnt vmcnt(0)
	;;#ASMEND
	v_and_b32_e32 v5, 0xff, v3
	v_and_b32_e32 v6, 0xff00, v3
	v_or3_b32 v5, 0, v5, v6
	v_or3_b32 v2, v2, 0, 0
	v_and_b32_e32 v6, 0xff000000, v3
	v_and_b32_e32 v3, 0xff0000, v3
	v_or3_b32 v3, v5, v3, v6
	v_or3_b32 v2, v2, 0, 0
	v_cmp_eq_u16_sdwa s[54:55], v4, v7 src0_sel:BYTE_0 src1_sel:DWORD
	s_and_saveexec_b64 s[30:31], s[54:55]
	s_cbranch_execz .LBB168_71
; %bb.68:
	s_mov_b64 s[54:55], 0
	v_mov_b32_e32 v6, 0
.LBB168_69:                             ; =>This Inner Loop Header: Depth=1
	;;#ASMSTART
	global_load_dwordx4 v[2:5], v[16:17] off glc	
s_waitcnt vmcnt(0)
	;;#ASMEND
	v_cmp_ne_u16_sdwa s[58:59], v4, v6 src0_sel:BYTE_0 src1_sel:DWORD
	s_or_b64 s[54:55], s[58:59], s[54:55]
	s_andn2_b64 exec, exec, s[54:55]
	s_cbranch_execnz .LBB168_69
; %bb.70:
	s_or_b64 exec, exec, s[54:55]
.LBB168_71:
	s_or_b64 exec, exec, s[30:31]
	v_mov_b32_e32 v23, 2
	v_cmp_eq_u16_sdwa s[30:31], v4, v23 src0_sel:BYTE_0 src1_sel:DWORD
	v_lshlrev_b64 v[16:17], v15, -1
	v_and_b32_e32 v5, s31, v17
	v_and_b32_e32 v24, 63, v15
	v_or_b32_e32 v5, 0x80000000, v5
	v_cmp_ne_u32_e32 vcc, 63, v24
	v_and_b32_e32 v6, s30, v16
	v_ffbl_b32_e32 v5, v5
	v_addc_co_u32_e32 v7, vcc, 0, v15, vcc
	v_add_u32_e32 v5, 32, v5
	v_ffbl_b32_e32 v6, v6
	v_lshlrev_b32_e32 v25, 2, v7
	v_min_u32_e32 v5, v6, v5
	ds_bpermute_b32 v6, v25, v3
	v_cmp_eq_u32_e32 vcc, 0, v2
	v_cmp_lt_u32_e64 s[30:31], v24, v5
	ds_bpermute_b32 v7, v25, v2
	s_and_b64 vcc, s[30:31], vcc
	s_waitcnt lgkmcnt(1)
	v_cndmask_b32_e32 v6, 0, v6, vcc
	v_cmp_gt_u32_e32 vcc, 62, v24
	v_add_u32_e32 v3, v6, v3
	v_cndmask_b32_e64 v6, 0, 1, vcc
	v_lshlrev_b32_e32 v6, 1, v6
	v_add_lshl_u32 v26, v6, v15, 2
	s_waitcnt lgkmcnt(0)
	v_cndmask_b32_e64 v7, 0, v7, s[30:31]
	ds_bpermute_b32 v6, v26, v3
	v_add_u32_e32 v2, v7, v2
	ds_bpermute_b32 v7, v26, v2
	v_add_u32_e32 v27, 2, v24
	v_cmp_eq_u32_e32 vcc, 0, v2
	s_waitcnt lgkmcnt(1)
	v_cndmask_b32_e32 v6, 0, v6, vcc
	v_cmp_gt_u32_e32 vcc, v27, v5
	v_cndmask_b32_e64 v6, v6, 0, vcc
	v_add_u32_e32 v3, v6, v3
	s_waitcnt lgkmcnt(0)
	v_cndmask_b32_e64 v6, v7, 0, vcc
	v_cmp_gt_u32_e32 vcc, 60, v24
	v_cndmask_b32_e64 v7, 0, 1, vcc
	v_lshlrev_b32_e32 v7, 2, v7
	v_add_lshl_u32 v28, v7, v15, 2
	ds_bpermute_b32 v7, v28, v3
	v_add_u32_e32 v2, v2, v6
	ds_bpermute_b32 v6, v28, v2
	v_add_u32_e32 v29, 4, v24
	v_cmp_eq_u32_e32 vcc, 0, v2
	s_waitcnt lgkmcnt(1)
	v_cndmask_b32_e32 v7, 0, v7, vcc
	v_cmp_gt_u32_e32 vcc, v29, v5
	v_cndmask_b32_e64 v7, v7, 0, vcc
	s_waitcnt lgkmcnt(0)
	v_cndmask_b32_e64 v6, v6, 0, vcc
	v_cmp_gt_u32_e32 vcc, 56, v24
	v_add_u32_e32 v3, v3, v7
	v_cndmask_b32_e64 v7, 0, 1, vcc
	v_lshlrev_b32_e32 v7, 3, v7
	v_add_lshl_u32 v30, v7, v15, 2
	ds_bpermute_b32 v7, v30, v3
	v_add_u32_e32 v2, v2, v6
	ds_bpermute_b32 v6, v30, v2
	v_add_u32_e32 v31, 8, v24
	v_cmp_eq_u32_e32 vcc, 0, v2
	s_waitcnt lgkmcnt(1)
	v_cndmask_b32_e32 v7, 0, v7, vcc
	v_cmp_gt_u32_e32 vcc, v31, v5
	v_cndmask_b32_e64 v7, v7, 0, vcc
	s_waitcnt lgkmcnt(0)
	v_cndmask_b32_e64 v6, v6, 0, vcc
	v_cmp_gt_u32_e32 vcc, 48, v24
	v_add_u32_e32 v3, v3, v7
	;; [unrolled: 16-line block ×3, first 2 shown]
	v_cndmask_b32_e64 v7, 0, 1, vcc
	v_lshlrev_b32_e32 v7, 5, v7
	v_add_lshl_u32 v34, v7, v15, 2
	ds_bpermute_b32 v7, v34, v3
	v_add_u32_e32 v2, v2, v6
	ds_bpermute_b32 v6, v34, v2
	v_add_u32_e32 v35, 32, v24
	v_cmp_eq_u32_e32 vcc, 0, v2
	s_waitcnt lgkmcnt(1)
	v_cndmask_b32_e32 v7, 0, v7, vcc
	v_cmp_gt_u32_e32 vcc, v35, v5
	v_cndmask_b32_e64 v5, v7, 0, vcc
	v_add_u32_e32 v3, v5, v3
	s_waitcnt lgkmcnt(0)
	v_cndmask_b32_e64 v5, v6, 0, vcc
	v_add_u32_e32 v2, v5, v2
	v_mov_b32_e32 v15, 0
	s_branch .LBB168_73
.LBB168_72:                             ;   in Loop: Header=BB168_73 Depth=1
	s_or_b64 exec, exec, s[30:31]
	v_cmp_eq_u16_sdwa s[30:31], v4, v23 src0_sel:BYTE_0 src1_sel:DWORD
	v_and_b32_e32 v5, s31, v17
	v_or_b32_e32 v5, 0x80000000, v5
	v_and_b32_e32 v18, s30, v16
	v_ffbl_b32_e32 v5, v5
	v_add_u32_e32 v5, 32, v5
	v_ffbl_b32_e32 v18, v18
	v_min_u32_e32 v5, v18, v5
	ds_bpermute_b32 v18, v25, v3
	v_cmp_eq_u32_e32 vcc, 0, v2
	v_cmp_lt_u32_e64 s[30:31], v24, v5
	ds_bpermute_b32 v19, v25, v2
	s_and_b64 vcc, s[30:31], vcc
	s_waitcnt lgkmcnt(1)
	v_cndmask_b32_e32 v18, 0, v18, vcc
	v_add_u32_e32 v3, v18, v3
	ds_bpermute_b32 v18, v26, v3
	s_waitcnt lgkmcnt(1)
	v_cndmask_b32_e64 v19, 0, v19, s[30:31]
	v_add_u32_e32 v2, v19, v2
	v_cmp_eq_u32_e32 vcc, 0, v2
	ds_bpermute_b32 v19, v26, v2
	s_waitcnt lgkmcnt(1)
	v_cndmask_b32_e32 v18, 0, v18, vcc
	v_cmp_gt_u32_e32 vcc, v27, v5
	v_cndmask_b32_e64 v18, v18, 0, vcc
	v_add_u32_e32 v3, v18, v3
	ds_bpermute_b32 v18, v28, v3
	s_waitcnt lgkmcnt(1)
	v_cndmask_b32_e64 v19, v19, 0, vcc
	v_add_u32_e32 v2, v2, v19
	v_cmp_eq_u32_e32 vcc, 0, v2
	ds_bpermute_b32 v19, v28, v2
	s_waitcnt lgkmcnt(1)
	v_cndmask_b32_e32 v18, 0, v18, vcc
	v_cmp_gt_u32_e32 vcc, v29, v5
	v_cndmask_b32_e64 v18, v18, 0, vcc
	v_add_u32_e32 v3, v3, v18
	ds_bpermute_b32 v18, v30, v3
	s_waitcnt lgkmcnt(1)
	v_cndmask_b32_e64 v19, v19, 0, vcc
	v_add_u32_e32 v2, v2, v19
	ds_bpermute_b32 v19, v30, v2
	v_cmp_eq_u32_e32 vcc, 0, v2
	s_waitcnt lgkmcnt(1)
	v_cndmask_b32_e32 v18, 0, v18, vcc
	v_cmp_gt_u32_e32 vcc, v31, v5
	v_cndmask_b32_e64 v18, v18, 0, vcc
	v_add_u32_e32 v3, v3, v18
	ds_bpermute_b32 v18, v32, v3
	s_waitcnt lgkmcnt(1)
	v_cndmask_b32_e64 v19, v19, 0, vcc
	v_add_u32_e32 v2, v2, v19
	ds_bpermute_b32 v19, v32, v2
	v_cmp_eq_u32_e32 vcc, 0, v2
	;; [unrolled: 11-line block ×3, first 2 shown]
	s_waitcnt lgkmcnt(1)
	v_cndmask_b32_e32 v18, 0, v18, vcc
	v_cmp_gt_u32_e32 vcc, v35, v5
	v_cndmask_b32_e64 v5, v18, 0, vcc
	v_add_u32_e32 v3, v5, v3
	s_waitcnt lgkmcnt(0)
	v_cndmask_b32_e64 v5, v19, 0, vcc
	v_cmp_eq_u32_e32 vcc, 0, v6
	v_cndmask_b32_e32 v3, 0, v3, vcc
	v_subrev_u32_e32 v14, 64, v14
	v_add3_u32 v2, v2, v6, v5
	v_add_u32_e32 v3, v3, v7
.LBB168_73:                             ; =>This Loop Header: Depth=1
                                        ;     Child Loop BB168_76 Depth 2
	v_cmp_ne_u16_sdwa s[30:31], v4, v23 src0_sel:BYTE_0 src1_sel:DWORD
	v_mov_b32_e32 v7, v3
	v_cndmask_b32_e64 v3, 0, 1, s[30:31]
	;;#ASMSTART
	;;#ASMEND
	v_cmp_ne_u32_e32 vcc, 0, v3
	s_cmp_lg_u64 vcc, exec
	v_mov_b32_e32 v6, v2
	s_cbranch_scc1 .LBB168_78
; %bb.74:                               ;   in Loop: Header=BB168_73 Depth=1
	v_lshlrev_b64 v[2:3], 4, v[14:15]
	v_mov_b32_e32 v4, s37
	v_add_co_u32_e32 v18, vcc, s36, v2
	v_addc_co_u32_e32 v19, vcc, v4, v3, vcc
	;;#ASMSTART
	global_load_dwordx4 v[2:5], v[18:19] off glc	
s_waitcnt vmcnt(0)
	;;#ASMEND
	v_and_b32_e32 v5, 0xff, v3
	v_and_b32_e32 v36, 0xff00, v3
	v_or3_b32 v5, 0, v5, v36
	v_or3_b32 v2, v2, 0, 0
	v_and_b32_e32 v36, 0xff000000, v3
	v_and_b32_e32 v3, 0xff0000, v3
	v_or3_b32 v3, v5, v3, v36
	v_or3_b32 v2, v2, 0, 0
	v_cmp_eq_u16_sdwa s[54:55], v4, v15 src0_sel:BYTE_0 src1_sel:DWORD
	s_and_saveexec_b64 s[30:31], s[54:55]
	s_cbranch_execz .LBB168_72
; %bb.75:                               ;   in Loop: Header=BB168_73 Depth=1
	s_mov_b64 s[54:55], 0
.LBB168_76:                             ;   Parent Loop BB168_73 Depth=1
                                        ; =>  This Inner Loop Header: Depth=2
	;;#ASMSTART
	global_load_dwordx4 v[2:5], v[18:19] off glc	
s_waitcnt vmcnt(0)
	;;#ASMEND
	v_cmp_ne_u16_sdwa s[58:59], v4, v15 src0_sel:BYTE_0 src1_sel:DWORD
	s_or_b64 s[54:55], s[58:59], s[54:55]
	s_andn2_b64 exec, exec, s[54:55]
	s_cbranch_execnz .LBB168_76
; %bb.77:                               ;   in Loop: Header=BB168_73 Depth=1
	s_or_b64 exec, exec, s[54:55]
	s_branch .LBB168_72
.LBB168_78:                             ;   in Loop: Header=BB168_73 Depth=1
                                        ; implicit-def: $vgpr3
                                        ; implicit-def: $vgpr2
                                        ; implicit-def: $vgpr4
	s_cbranch_execz .LBB168_73
; %bb.79:
	s_and_saveexec_b64 s[30:31], s[26:27]
	s_cbranch_execz .LBB168_81
; %bb.80:
	s_cmp_eq_u32 s7, 0
	s_cselect_b64 vcc, -1, 0
	s_mov_b32 s55, 0
	v_cndmask_b32_e32 v2, 0, v7, vcc
	s_add_i32 s54, s6, 64
	v_add_u32_e32 v2, s56, v2
	s_lshl_b64 s[54:55], s[54:55], 4
	s_add_u32 s54, s36, s54
	v_and_b32_e32 v3, 0xff000000, v2
	v_and_b32_e32 v4, 0xff0000, v2
	s_addc_u32 s55, s37, s55
	v_or_b32_e32 v3, v4, v3
	v_and_b32_e32 v4, 0xff00, v2
	v_and_b32_e32 v2, 0xff, v2
	v_add_u32_e32 v14, s7, v6
	v_mov_b32_e32 v17, 0
	v_or3_b32 v15, v3, v4, v2
	v_mov_b32_e32 v16, 2
	v_pk_mov_b32 v[2:3], s[54:55], s[54:55] op_sel:[0,1]
	;;#ASMSTART
	global_store_dwordx4 v[2:3], v[14:17] off	
s_waitcnt vmcnt(0)
	;;#ASMEND
	v_mov_b32_e32 v4, s7
	v_mov_b32_e32 v5, s56
	ds_write_b128 v17, v[4:7] offset:512
.LBB168_81:
	s_or_b64 exec, exec, s[30:31]
	v_cmp_eq_u32_e32 vcc, 0, v0
	s_and_b64 exec, exec, vcc
	s_cbranch_execz .LBB168_83
; %bb.82:
	v_mov_b32_e32 v2, 0
	ds_write_b64 v2, v[6:7] offset:552
.LBB168_83:
	s_or_b64 exec, exec, s[52:53]
	v_mov_b32_e32 v4, 0
	s_waitcnt lgkmcnt(0)
	s_barrier
	ds_read_b64 v[2:3], v4 offset:552
	v_cndmask_b32_e64 v6, v20, v12, s[26:27]
	v_cmp_eq_u32_e32 vcc, 0, v6
	v_cndmask_b32_e64 v5, v22, v13, s[26:27]
	s_waitcnt lgkmcnt(0)
	v_cndmask_b32_e32 v7, 0, v3, vcc
	v_add_u32_e32 v5, v7, v5
	v_cmp_eq_u32_e32 vcc, 0, v0
	v_cndmask_b32_e32 v51, v5, v3, vcc
	v_cndmask_b32_e64 v3, v6, 0, vcc
	v_cmp_eq_u32_e32 vcc, 0, v78
	v_add_u32_e32 v50, v2, v3
	v_cndmask_b32_e32 v2, 0, v51, vcc
	v_add_u32_e32 v49, v2, v52
	v_cndmask_b32_e64 v2, 0, v49, s[24:25]
	v_add_u32_e32 v47, v2, v52
	v_cndmask_b32_e64 v2, 0, v47, s[22:23]
	;; [unrolled: 2-line block ×7, first 2 shown]
	v_add_u32_e32 v48, v50, v78
	v_add_u32_e32 v35, v2, v52
	v_add_u32_e32 v46, v48, v77
	v_cndmask_b32_e64 v2, 0, v35, s[10:11]
	v_add_u32_e32 v44, v46, v76
	v_add_u32_e32 v33, v2, v52
	v_add_u32_e32 v42, v44, v75
	v_cndmask_b32_e64 v2, 0, v33, s[8:9]
	;; [unrolled: 4-line block ×3, first 2 shown]
	v_add_u32_e32 v36, v38, v72
	v_add_u32_e32 v29, v2, v52
	s_barrier
	ds_read_b128 v[16:19], v4 offset:512
	v_add_u32_e32 v34, v36, v21
	v_cndmask_b32_e64 v2, 0, v29, s[4:5]
	v_add_u32_e32 v32, v34, v71
	v_add_u32_e32 v27, v2, v52
	;; [unrolled: 1-line block ×3, first 2 shown]
	v_cndmask_b32_e64 v2, 0, v27, s[2:3]
	v_add_u32_e32 v28, v30, v69
	v_add_u32_e32 v23, v2, v52
	v_add_u32_e32 v26, v28, v68
	v_cndmask_b32_e64 v2, 0, v23, s[0:1]
	s_waitcnt lgkmcnt(0)
	v_cmp_eq_u32_e32 vcc, 0, v16
	v_add_u32_e32 v22, v26, v66
	v_add_u32_e32 v25, v2, v52
	v_cndmask_b32_e32 v2, 0, v19, vcc
	v_add_u32_e32 v24, v22, v64
	v_add_u32_e32 v20, v2, v17
	s_branch .LBB168_96
.LBB168_84:
                                        ; implicit-def: $vgpr16
                                        ; implicit-def: $vgpr20
                                        ; implicit-def: $vgpr24_vgpr25
                                        ; implicit-def: $vgpr22_vgpr23
                                        ; implicit-def: $vgpr26_vgpr27
                                        ; implicit-def: $vgpr28_vgpr29
                                        ; implicit-def: $vgpr50_vgpr51
                                        ; implicit-def: $vgpr48_vgpr49
                                        ; implicit-def: $vgpr46_vgpr47
                                        ; implicit-def: $vgpr44_vgpr45
                                        ; implicit-def: $vgpr42_vgpr43
                                        ; implicit-def: $vgpr40_vgpr41
                                        ; implicit-def: $vgpr38_vgpr39
                                        ; implicit-def: $vgpr36_vgpr37
                                        ; implicit-def: $vgpr34_vgpr35
                                        ; implicit-def: $vgpr32_vgpr33
                                        ; implicit-def: $vgpr30_vgpr31
	s_cbranch_execz .LBB168_96
; %bb.85:
	s_and_b64 s[0:1], s[38:39], exec
	s_cselect_b32 s1, 0, s51
	s_cselect_b32 s0, 0, s50
	s_cmp_eq_u64 s[0:1], 0
	v_mov_b32_e32 v6, v52
	s_cbranch_scc1 .LBB168_87
; %bb.86:
	v_mov_b32_e32 v2, 0
	global_load_dword v6, v2, s[0:1]
.LBB168_87:
	v_cmp_eq_u32_e64 s[0:1], 0, v77
	v_cndmask_b32_e64 v2, 0, v52, s[0:1]
	v_add_u32_e32 v2, v2, v52
	v_cmp_eq_u32_e64 s[2:3], 0, v76
	v_cndmask_b32_e64 v2, 0, v2, s[2:3]
	v_add_u32_e32 v2, v2, v52
	v_cmp_eq_u32_e64 s[4:5], 0, v75
	v_cndmask_b32_e64 v2, 0, v2, s[4:5]
	v_add_u32_e32 v2, v2, v52
	v_cmp_eq_u32_e64 s[6:7], 0, v74
	v_cndmask_b32_e64 v2, 0, v2, s[6:7]
	v_add_u32_e32 v2, v2, v52
	v_cmp_eq_u32_e64 s[8:9], 0, v73
	v_cndmask_b32_e64 v2, 0, v2, s[8:9]
	v_add_u32_e32 v2, v2, v52
	v_cmp_eq_u32_e64 s[10:11], 0, v72
	v_cndmask_b32_e64 v2, 0, v2, s[10:11]
	v_add_u32_e32 v2, v2, v52
	v_cmp_eq_u32_e64 s[12:13], 0, v21
	v_cndmask_b32_e64 v2, 0, v2, s[12:13]
	v_add_u32_e32 v2, v2, v52
	v_cmp_eq_u32_e64 s[14:15], 0, v71
	v_cndmask_b32_e64 v2, 0, v2, s[14:15]
	v_add_u32_e32 v2, v2, v52
	v_cmp_eq_u32_e64 s[16:17], 0, v70
	v_cndmask_b32_e64 v2, 0, v2, s[16:17]
	v_add_u32_e32 v2, v2, v52
	v_cmp_eq_u32_e64 s[18:19], 0, v69
	v_cndmask_b32_e64 v2, 0, v2, s[18:19]
	v_add_u32_e32 v2, v2, v52
	v_cmp_eq_u32_e64 s[20:21], 0, v68
	v_cndmask_b32_e64 v2, 0, v2, s[20:21]
	v_add_u32_e32 v2, v2, v52
	v_cmp_eq_u32_e64 s[22:23], 0, v66
	v_cndmask_b32_e64 v2, 0, v2, s[22:23]
	v_add3_u32 v3, v81, v73, v72
	v_add_u32_e32 v2, v2, v52
	v_cmp_eq_u32_e32 vcc, 0, v64
	v_add3_u32 v3, v3, v21, v71
	v_cndmask_b32_e32 v2, 0, v2, vcc
	v_add3_u32 v3, v3, v70, v69
	v_add_u32_e32 v2, v2, v52
	v_cmp_eq_u32_e64 s[24:25], 0, v62
	v_add3_u32 v3, v3, v68, v66
	v_cndmask_b32_e64 v2, 0, v2, s[24:25]
	v_add3_u32 v3, v3, v64, v62
	v_add_u32_e32 v2, v2, v53
	v_mbcnt_hi_u32_b32 v7, -1, v80
	v_and_b32_e32 v4, 15, v7
	v_mov_b32_dpp v12, v2 row_shr:1 row_mask:0xf bank_mask:0xf
	v_cmp_eq_u32_e64 s[24:25], 0, v3
	v_mov_b32_dpp v5, v3 row_shr:1 row_mask:0xf bank_mask:0xf
	v_cndmask_b32_e64 v12, 0, v12, s[24:25]
	v_cmp_eq_u32_e64 s[24:25], 0, v4
	v_cndmask_b32_e64 v5, v5, 0, s[24:25]
	v_add_u32_e32 v3, v5, v3
	v_cndmask_b32_e64 v5, v12, 0, s[24:25]
	v_add_u32_e32 v2, v5, v2
	v_cmp_eq_u32_e64 s[24:25], 0, v3
	v_mov_b32_dpp v5, v3 row_shr:2 row_mask:0xf bank_mask:0xf
	v_cmp_lt_u32_e64 s[26:27], 1, v4
	v_mov_b32_dpp v12, v2 row_shr:2 row_mask:0xf bank_mask:0xf
	v_cndmask_b32_e64 v5, 0, v5, s[26:27]
	s_and_b64 s[24:25], s[26:27], s[24:25]
	v_cndmask_b32_e64 v12, 0, v12, s[24:25]
	v_add_u32_e32 v3, v3, v5
	v_add_u32_e32 v2, v12, v2
	v_cmp_eq_u32_e64 s[24:25], 0, v3
	v_mov_b32_dpp v5, v3 row_shr:4 row_mask:0xf bank_mask:0xf
	v_cmp_lt_u32_e64 s[26:27], 3, v4
	v_mov_b32_dpp v12, v2 row_shr:4 row_mask:0xf bank_mask:0xf
	v_cndmask_b32_e64 v5, 0, v5, s[26:27]
	s_and_b64 s[24:25], s[26:27], s[24:25]
	v_cndmask_b32_e64 v12, 0, v12, s[24:25]
	v_add_u32_e32 v3, v5, v3
	v_add_u32_e32 v2, v2, v12
	v_cmp_eq_u32_e64 s[24:25], 0, v3
	v_cmp_lt_u32_e64 s[26:27], 7, v4
	v_mov_b32_dpp v5, v3 row_shr:8 row_mask:0xf bank_mask:0xf
	v_mov_b32_dpp v12, v2 row_shr:8 row_mask:0xf bank_mask:0xf
	s_and_b64 s[24:25], s[26:27], s[24:25]
	v_cndmask_b32_e64 v4, 0, v5, s[26:27]
	v_cndmask_b32_e64 v5, 0, v12, s[24:25]
	v_add_u32_e32 v2, v5, v2
	v_add_u32_e32 v3, v4, v3
	v_bfe_i32 v12, v7, 4, 1
	v_mov_b32_dpp v5, v2 row_bcast:15 row_mask:0xf bank_mask:0xf
	v_mov_b32_dpp v4, v3 row_bcast:15 row_mask:0xf bank_mask:0xf
	v_cmp_eq_u32_e64 s[24:25], 0, v3
	v_cndmask_b32_e64 v5, 0, v5, s[24:25]
	v_and_b32_e32 v4, v12, v4
	v_add_u32_e32 v3, v4, v3
	v_and_b32_e32 v4, v12, v5
	v_add_u32_e32 v4, v4, v2
	v_mov_b32_dpp v2, v3 row_bcast:31 row_mask:0xf bank_mask:0xf
	v_cmp_eq_u32_e64 s[24:25], 0, v3
	v_cmp_lt_u32_e64 s[26:27], 31, v7
	v_mov_b32_dpp v5, v4 row_bcast:31 row_mask:0xf bank_mask:0xf
	v_cndmask_b32_e64 v2, 0, v2, s[26:27]
	s_and_b64 s[24:25], s[26:27], s[24:25]
	v_add_u32_e32 v2, v2, v3
	v_cndmask_b32_e64 v3, 0, v5, s[24:25]
	v_add_u32_e32 v3, v3, v4
	v_cmp_eq_u32_e64 s[24:25], v79, v0
	v_lshlrev_b32_e32 v5, 3, v54
	s_and_saveexec_b64 s[26:27], s[24:25]
	s_cbranch_execz .LBB168_89
; %bb.88:
	ds_write_b64 v5, v[2:3] offset:528
.LBB168_89:
	s_or_b64 exec, exec, s[26:27]
	v_cmp_gt_u32_e64 s[24:25], 4, v0
	s_waitcnt lgkmcnt(0)
	s_barrier
	s_and_saveexec_b64 s[28:29], s[24:25]
	s_cbranch_execz .LBB168_91
; %bb.90:
	v_lshlrev_b32_e32 v4, 3, v0
	ds_read_b64 v[12:13], v4 offset:528
	v_and_b32_e32 v14, 3, v7
	v_cmp_lt_u32_e64 s[26:27], 1, v14
	s_waitcnt lgkmcnt(0)
	v_mov_b32_dpp v16, v13 row_shr:1 row_mask:0xf bank_mask:0xf
	v_cmp_eq_u32_e64 s[24:25], 0, v12
	v_mov_b32_dpp v15, v12 row_shr:1 row_mask:0xf bank_mask:0xf
	v_cndmask_b32_e64 v16, 0, v16, s[24:25]
	v_cmp_eq_u32_e64 s[24:25], 0, v14
	v_cndmask_b32_e64 v15, v15, 0, s[24:25]
	v_add_u32_e32 v12, v15, v12
	v_cndmask_b32_e64 v15, v16, 0, s[24:25]
	v_add_u32_e32 v13, v15, v13
	v_cmp_eq_u32_e64 s[24:25], 0, v12
	v_mov_b32_dpp v15, v12 row_shr:2 row_mask:0xf bank_mask:0xf
	v_mov_b32_dpp v16, v13 row_shr:2 row_mask:0xf bank_mask:0xf
	v_cndmask_b32_e64 v14, 0, v15, s[26:27]
	s_and_b64 s[24:25], s[26:27], s[24:25]
	v_add_u32_e32 v12, v14, v12
	v_cndmask_b32_e64 v14, 0, v16, s[24:25]
	v_add_u32_e32 v13, v14, v13
	ds_write_b64 v4, v[12:13] offset:528
.LBB168_91:
	s_or_b64 exec, exec, s[28:29]
	v_cmp_lt_u32_e64 s[24:25], 63, v0
	v_mov_b32_e32 v12, 0
	v_mov_b32_e32 v4, 0
	s_waitcnt vmcnt(0)
	v_mov_b32_e32 v13, v6
	s_waitcnt lgkmcnt(0)
	s_barrier
	s_and_saveexec_b64 s[26:27], s[24:25]
	s_cbranch_execz .LBB168_93
; %bb.92:
	ds_read_b64 v[4:5], v5 offset:520
	s_waitcnt lgkmcnt(0)
	v_cmp_eq_u32_e64 s[24:25], 0, v4
	v_cndmask_b32_e64 v13, 0, v6, s[24:25]
	v_add_u32_e32 v13, v13, v5
.LBB168_93:
	s_or_b64 exec, exec, s[26:27]
	v_cmp_eq_u32_e64 s[24:25], 0, v2
	v_add_u32_e32 v5, v4, v2
	v_cndmask_b32_e64 v2, 0, v13, s[24:25]
	v_add_u32_e32 v2, v2, v3
	v_add_u32_e32 v3, -1, v7
	v_and_b32_e32 v14, 64, v7
	v_cmp_lt_i32_e64 s[24:25], v3, v14
	v_cndmask_b32_e64 v3, v3, v7, s[24:25]
	v_lshlrev_b32_e32 v3, 2, v3
	ds_bpermute_b32 v5, v3, v5
	ds_bpermute_b32 v2, v3, v2
	v_cmp_eq_u32_e64 s[24:25], 0, v7
	v_cmp_eq_u32_e64 s[26:27], 0, v78
	ds_read_b64 v[16:17], v12 offset:552
	s_waitcnt lgkmcnt(2)
	v_cndmask_b32_e64 v3, v5, v4, s[24:25]
	s_waitcnt lgkmcnt(1)
	v_cndmask_b32_e64 v2, v2, v13, s[24:25]
	v_cmp_eq_u32_e64 s[24:25], 0, v0
	v_cndmask_b32_e64 v51, v2, v6, s[24:25]
	v_cndmask_b32_e64 v2, 0, v51, s[26:27]
	v_add_u32_e32 v49, v2, v52
	v_cndmask_b32_e64 v2, 0, v49, s[0:1]
	v_add_u32_e32 v47, v2, v52
	;; [unrolled: 2-line block ×7, first 2 shown]
	v_cndmask_b32_e64 v50, v3, 0, s[24:25]
	v_cndmask_b32_e64 v2, 0, v37, s[12:13]
	v_add_u32_e32 v48, v50, v78
	v_add_u32_e32 v35, v2, v52
	v_add_u32_e32 v46, v48, v77
	v_cndmask_b32_e64 v2, 0, v35, s[14:15]
	v_add_u32_e32 v44, v46, v76
	v_add_u32_e32 v33, v2, v52
	v_add_u32_e32 v42, v44, v75
	;; [unrolled: 4-line block ×6, first 2 shown]
	v_cndmask_b32_e32 v2, 0, v23, vcc
	s_waitcnt lgkmcnt(0)
	v_cmp_eq_u32_e32 vcc, 0, v16
	v_add_u32_e32 v22, v26, v66
	v_add_u32_e32 v25, v2, v52
	v_cndmask_b32_e32 v2, 0, v6, vcc
	v_add_u32_e32 v24, v22, v64
	v_add_u32_e32 v20, v2, v17
	s_and_saveexec_b64 s[0:1], s[24:25]
	s_cbranch_execz .LBB168_95
; %bb.94:
	s_add_u32 s2, s36, 0x400
	v_and_b32_e32 v2, 0xff000000, v20
	v_and_b32_e32 v3, 0xff0000, v20
	s_addc_u32 s3, s37, 0
	v_or_b32_e32 v2, v3, v2
	v_and_b32_e32 v3, 0xff00, v20
	v_and_b32_e32 v4, 0xff, v20
	v_mov_b32_e32 v19, 0
	v_or3_b32 v17, v2, v3, v4
	v_mov_b32_e32 v18, 2
	v_pk_mov_b32 v[2:3], s[2:3], s[2:3] op_sel:[0,1]
	;;#ASMSTART
	global_store_dwordx4 v[2:3], v[16:19] off	
s_waitcnt vmcnt(0)
	;;#ASMEND
.LBB168_95:
	s_or_b64 exec, exec, s[0:1]
	v_mov_b32_e32 v18, 0
.LBB168_96:
	s_and_b64 s[0:1], s[38:39], exec
	s_cselect_b32 s1, 0, s47
	s_cselect_b32 s0, 0, s46
	s_cmp_eq_u64 s[0:1], 0
	v_pk_mov_b32 v[52:53], 0, 0
	s_waitcnt lgkmcnt(0)
	s_barrier
	s_cbranch_scc1 .LBB168_98
; %bb.97:
	v_mov_b32_e32 v2, 0
	global_load_dwordx2 v[52:53], v2, s[0:1]
.LBB168_98:
	v_mov_b32_e32 v2, s41
	s_waitcnt vmcnt(0)
	v_add_co_u32_e32 v3, vcc, s40, v52
	v_addc_co_u32_e32 v2, vcc, v2, v53, vcc
	v_add_co_u32_e32 v54, vcc, v3, v18
	v_addc_co_u32_e32 v17, vcc, 0, v2, vcc
	v_cmp_eq_u32_e32 vcc, 0, v78
	v_cndmask_b32_e64 v2, 1, 2, vcc
	v_cmp_eq_u32_e32 vcc, 0, v77
	v_cndmask_b32_e64 v3, 1, 2, vcc
	v_cmp_eq_u32_e32 vcc, 0, v76
	v_and_b32_e32 v2, v3, v2
	v_cndmask_b32_e64 v3, 1, 2, vcc
	v_cmp_eq_u32_e32 vcc, 0, v75
	v_and_b32_e32 v2, v2, v3
	v_cndmask_b32_e64 v3, 1, 2, vcc
	v_cmp_eq_u32_e32 vcc, 0, v74
	v_and_b32_e32 v2, v2, v3
	v_cndmask_b32_e64 v3, 1, 2, vcc
	v_cmp_eq_u32_e32 vcc, 0, v73
	v_and_b32_e32 v2, v2, v3
	v_cndmask_b32_e64 v3, 1, 2, vcc
	v_cmp_eq_u32_e32 vcc, 0, v72
	v_and_b32_e32 v2, v2, v3
	v_cndmask_b32_e64 v3, 1, 2, vcc
	v_cmp_eq_u32_e32 vcc, 0, v21
	v_and_b32_e32 v2, v2, v3
	v_cndmask_b32_e64 v3, 1, 2, vcc
	v_cmp_eq_u32_e32 vcc, 0, v71
	v_and_b32_e32 v2, v2, v3
	v_cndmask_b32_e64 v3, 1, 2, vcc
	v_cmp_eq_u32_e32 vcc, 0, v70
	v_and_b32_e32 v2, v2, v3
	v_cndmask_b32_e64 v3, 1, 2, vcc
	v_cmp_eq_u32_e32 vcc, 0, v69
	v_and_b32_e32 v2, v2, v3
	v_cndmask_b32_e64 v3, 1, 2, vcc
	v_cmp_eq_u32_e32 vcc, 0, v68
	v_and_b32_e32 v2, v2, v3
	v_cndmask_b32_e64 v3, 1, 2, vcc
	v_cmp_eq_u32_e32 vcc, 0, v66
	v_and_b32_e32 v2, v2, v3
	v_cndmask_b32_e64 v3, 1, 2, vcc
	v_cmp_eq_u32_e32 vcc, 0, v64
	v_and_b32_e32 v2, v2, v3
	v_cndmask_b32_e64 v3, 1, 2, vcc
	v_cmp_eq_u32_e32 vcc, 0, v62
	v_and_b32_e32 v2, v2, v3
	v_cndmask_b32_e64 v3, 1, 2, vcc
	s_movk_i32 s30, 0x100
	v_and_b32_e32 v2, v2, v3
	v_cmp_gt_u32_e32 vcc, s30, v16
	v_mov_b32_e32 v19, 0
	v_cmp_ne_u32_e64 s[28:29], 0, v78
	v_cmp_ne_u32_e64 s[26:27], 0, v77
	;; [unrolled: 1-line block ×15, first 2 shown]
	s_mov_b64 s[36:37], -1
	v_cmp_gt_i16_e64 s[30:31], 2, v2
	s_cbranch_vccz .LBB168_105
; %bb.99:
	s_and_saveexec_b64 s[36:37], s[30:31]
	s_cbranch_execz .LBB168_104
; %bb.100:
	v_cmp_ne_u16_e32 vcc, 1, v2
	s_mov_b64 s[38:39], 0
	s_and_saveexec_b64 s[30:31], vcc
	s_xor_b64 s[30:31], exec, s[30:31]
	s_cbranch_execnz .LBB168_148
; %bb.101:
	s_andn2_saveexec_b64 s[30:31], s[30:31]
	s_cbranch_execnz .LBB168_164
.LBB168_102:
	s_or_b64 exec, exec, s[30:31]
	s_and_b64 exec, exec, s[38:39]
	s_cbranch_execz .LBB168_104
.LBB168_103:
	v_sub_u32_e32 v3, v24, v18
	v_readfirstlane_b32 s30, v54
	v_readfirstlane_b32 s31, v17
	s_nop 4
	global_store_byte v3, v1, s[30:31]
.LBB168_104:
	s_or_b64 exec, exec, s[36:37]
	s_mov_b64 s[36:37], 0
.LBB168_105:
	s_and_b64 vcc, exec, s[36:37]
	s_cbranch_vccz .LBB168_126
; %bb.106:
	v_cmp_gt_i16_e32 vcc, 2, v2
	s_and_saveexec_b64 s[30:31], vcc
	s_cbranch_execz .LBB168_111
; %bb.107:
	v_cmp_ne_u16_e32 vcc, 1, v2
	s_mov_b64 s[38:39], 0
	s_and_saveexec_b64 s[36:37], vcc
	s_xor_b64 s[36:37], exec, s[36:37]
	s_cbranch_execnz .LBB168_165
; %bb.108:
	s_andn2_saveexec_b64 s[0:1], s[36:37]
	s_cbranch_execnz .LBB168_181
.LBB168_109:
	s_or_b64 exec, exec, s[0:1]
	s_and_b64 exec, exec, s[38:39]
	s_cbranch_execz .LBB168_111
.LBB168_110:
	v_sub_u32_e32 v2, v24, v18
	ds_write_b8 v2, v1
.LBB168_111:
	s_or_b64 exec, exec, s[30:31]
	v_cmp_lt_u32_e32 vcc, v0, v16
	s_waitcnt lgkmcnt(0)
	s_barrier
	s_and_saveexec_b64 s[0:1], vcc
	s_cbranch_execz .LBB168_125
; %bb.112:
	v_xad_u32 v2, v0, -1, v16
	s_movk_i32 s2, 0x1700
	s_movk_i32 s4, 0x16ff
	v_cmp_gt_u32_e64 s[2:3], s2, v2
	v_cmp_lt_u32_e32 vcc, s4, v2
	v_mov_b32_e32 v1, v0
	s_and_saveexec_b64 s[4:5], vcc
	s_cbranch_execz .LBB168_122
; %bb.113:
	v_sub_u32_e32 v1, v0, v16
	v_or_b32_e32 v1, 0xff, v1
	v_cmp_ge_u32_e32 vcc, v1, v0
	s_mov_b64 s[8:9], -1
	v_mov_b32_e32 v1, v0
	s_and_saveexec_b64 s[6:7], vcc
	s_cbranch_execz .LBB168_121
; %bb.114:
	v_lshrrev_b32_e32 v55, 8, v2
	v_or_b32_e32 v7, 0x700, v0
	v_or_b32_e32 v6, 0x600, v0
	v_or_b32_e32 v5, 0x500, v0
	v_or_b32_e32 v4, 0x400, v0
	v_or_b32_e32 v3, 0x300, v0
	v_or_b32_e32 v2, 0x200, v0
	v_or_b32_e32 v1, 0x100, v0
	v_add_u32_e32 v56, -7, v55
	v_pk_mov_b32 v[14:15], v[6:7], v[6:7] op_sel:[0,1]
	v_cmp_lt_u32_e32 vcc, 7, v56
	v_mov_b32_e32 v59, 0
	v_pk_mov_b32 v[12:13], v[4:5], v[4:5] op_sel:[0,1]
	v_pk_mov_b32 v[10:11], v[2:3], v[2:3] op_sel:[0,1]
	;; [unrolled: 1-line block ×3, first 2 shown]
	s_and_saveexec_b64 s[8:9], vcc
	s_cbranch_execz .LBB168_118
; %bb.115:
	v_lshrrev_b32_e32 v8, 3, v56
	v_add_u32_e32 v8, 1, v8
	v_and_b32_e32 v57, 0x3ffffffe, v8
	v_pk_mov_b32 v[14:15], v[6:7], v[6:7] op_sel:[0,1]
	s_mov_b32 s12, 0
	s_mov_b64 s[10:11], 0
	v_mov_b32_e32 v58, v0
	v_pk_mov_b32 v[12:13], v[4:5], v[4:5] op_sel:[0,1]
	v_pk_mov_b32 v[10:11], v[2:3], v[2:3] op_sel:[0,1]
	v_pk_mov_b32 v[8:9], v[0:1], v[0:1] op_sel:[0,1]
.LBB168_116:                            ; =>This Inner Loop Header: Depth=1
	v_add_co_u32_e32 v2, vcc, v54, v8
	v_addc_co_u32_e32 v3, vcc, 0, v17, vcc
	v_add_co_u32_e32 v4, vcc, v54, v9
	v_addc_co_u32_e32 v5, vcc, 0, v17, vcc
	;; [unrolled: 2-line block ×8, first 2 shown]
	v_add_u32_e32 v88, 0x800, v8
	v_add_co_u32_e32 v88, vcc, v54, v88
	v_add_u32_e32 v90, 0x800, v9
	v_addc_co_u32_e32 v89, vcc, 0, v17, vcc
	v_add_co_u32_e32 v90, vcc, v54, v90
	v_add_u32_e32 v92, 0x800, v10
	v_addc_co_u32_e32 v91, vcc, 0, v17, vcc
	;; [unrolled: 3-line block ×6, first 2 shown]
	v_add_co_u32_e32 v100, vcc, v54, v100
	ds_read_u8 v1, v58
	ds_read_u8 v63, v58 offset:256
	ds_read_u8 v65, v58 offset:512
	;; [unrolled: 1-line block ×7, first 2 shown]
	v_add_u32_e32 v59, 0x800, v15
	ds_read_u8 v107, v58 offset:2048
	ds_read_u8 v108, v58 offset:2304
	;; [unrolled: 1-line block ×8, first 2 shown]
	v_addc_co_u32_e32 v101, vcc, 0, v17, vcc
	v_add_co_u32_e32 v102, vcc, v54, v59
	v_add_u32_e32 v57, -2, v57
	v_addc_co_u32_e32 v103, vcc, 0, v17, vcc
	s_add_i32 s12, s12, 16
	v_cmp_eq_u32_e32 vcc, 0, v57
	v_add_u32_e32 v15, 0x1000, v15
	v_add_u32_e32 v14, 0x1000, v14
	;; [unrolled: 1-line block ×9, first 2 shown]
	v_mov_b32_e32 v59, s12
	s_or_b64 s[10:11], vcc, s[10:11]
	s_waitcnt lgkmcnt(14)
	global_store_byte v[2:3], v1, off
	global_store_byte v[4:5], v63, off
	s_waitcnt lgkmcnt(13)
	global_store_byte v[6:7], v65, off
	s_waitcnt lgkmcnt(12)
	;; [unrolled: 2-line block ×14, first 2 shown]
	global_store_byte v[102:103], v114, off
	s_andn2_b64 exec, exec, s[10:11]
	s_cbranch_execnz .LBB168_116
; %bb.117:
	s_or_b64 exec, exec, s[10:11]
.LBB168_118:
	s_or_b64 exec, exec, s[8:9]
	v_and_b32_e32 v1, 8, v56
	v_cmp_eq_u32_e32 vcc, 0, v1
	s_and_saveexec_b64 s[8:9], vcc
	s_cbranch_execz .LBB168_120
; %bb.119:
	v_add_co_u32_e32 v2, vcc, v54, v8
	v_addc_co_u32_e32 v3, vcc, 0, v17, vcc
	v_add_co_u32_e32 v4, vcc, v54, v9
	v_addc_co_u32_e32 v5, vcc, 0, v17, vcc
	v_add_co_u32_e32 v6, vcc, v54, v10
	v_addc_co_u32_e32 v7, vcc, 0, v17, vcc
	v_add_co_u32_e32 v8, vcc, v54, v11
	v_addc_co_u32_e32 v9, vcc, 0, v17, vcc
	v_add_co_u32_e32 v10, vcc, v54, v12
	v_lshl_or_b32 v1, v59, 8, v0
	v_addc_co_u32_e32 v11, vcc, 0, v17, vcc
	ds_read_u8 v58, v1
	ds_read_u8 v59, v1 offset:256
	ds_read_u8 v60, v1 offset:512
	;; [unrolled: 1-line block ×7, first 2 shown]
	v_add_co_u32_e32 v12, vcc, v54, v13
	v_addc_co_u32_e32 v13, vcc, 0, v17, vcc
	v_add_co_u32_e32 v56, vcc, v54, v14
	v_addc_co_u32_e32 v57, vcc, 0, v17, vcc
	;; [unrolled: 2-line block ×3, first 2 shown]
	s_waitcnt lgkmcnt(7)
	global_store_byte v[2:3], v58, off
	s_waitcnt lgkmcnt(6)
	global_store_byte v[4:5], v59, off
	;; [unrolled: 2-line block ×8, first 2 shown]
.LBB168_120:
	s_or_b64 exec, exec, s[8:9]
	v_add_u32_e32 v2, 1, v55
	v_and_b32_e32 v3, 0x1fffff8, v2
	v_cmp_ne_u32_e32 vcc, v2, v3
	v_lshl_or_b32 v1, v3, 8, v0
	s_orn2_b64 s[8:9], vcc, exec
.LBB168_121:
	s_or_b64 exec, exec, s[6:7]
	s_andn2_b64 s[2:3], s[2:3], exec
	s_and_b64 s[6:7], s[8:9], exec
	s_or_b64 s[2:3], s[2:3], s[6:7]
.LBB168_122:
	s_or_b64 exec, exec, s[4:5]
	s_and_b64 exec, exec, s[2:3]
	s_cbranch_execz .LBB168_125
; %bb.123:
	s_mov_b64 s[2:3], 0
.LBB168_124:                            ; =>This Inner Loop Header: Depth=1
	ds_read_u8 v2, v1
	v_readfirstlane_b32 s4, v54
	v_readfirstlane_b32 s5, v17
	s_waitcnt lgkmcnt(0)
	s_nop 3
	global_store_byte v1, v2, s[4:5]
	v_add_u32_e32 v1, 0x100, v1
	v_cmp_ge_u32_e32 vcc, v1, v16
	s_or_b64 s[2:3], vcc, s[2:3]
	s_andn2_b64 exec, exec, s[2:3]
	s_cbranch_execnz .LBB168_124
.LBB168_125:
	s_or_b64 exec, exec, s[0:1]
.LBB168_126:
	s_cmpk_lg_i32 s33, 0xf00
	s_cselect_b64 s[0:1], -1, 0
	v_cndmask_b32_e64 v8, 0, 1, s[48:49]
	s_and_b64 s[0:1], s[34:35], s[0:1]
	v_cmp_eq_u32_e32 vcc, 0, v0
	v_sub_u32_e32 v1, v16, v8
	v_cndmask_b32_e64 v2, 0, 1, s[0:1]
	s_and_b64 s[0:1], vcc, s[48:49]
	v_add_u32_e32 v1, v1, v2
	v_cndmask_b32_e64 v2, v78, 0, s[0:1]
	s_mul_hi_u32 s0, s33, 0x88888889
	s_lshr_b32 s0, s0, 3
	v_mad_i32_i24 v3, v0, -15, s33
	v_cmp_eq_u32_e32 vcc, s0, v0
	v_cmp_ne_u32_e64 s[0:1], 0, v3
	v_cndmask_b32_e64 v4, 1, v2, s[0:1]
	v_cmp_ne_u32_e64 s[0:1], 1, v3
	v_cndmask_b32_e64 v5, 1, v77, s[0:1]
	;; [unrolled: 2-line block ×15, first 2 shown]
	s_and_b64 vcc, s[34:35], vcc
	v_cndmask_b32_e32 v56, v62, v3, vcc
	v_cndmask_b32_e32 v59, v2, v4, vcc
	v_lshlrev_b64 v[2:3], 3, v[52:53]
	v_cndmask_b32_e32 v55, v64, v55, vcc
	v_cndmask_b32_e32 v54, v66, v54, vcc
	;; [unrolled: 1-line block ×13, first 2 shown]
	v_mov_b32_e32 v4, s43
	v_add_co_u32_e32 v5, vcc, s42, v2
	v_addc_co_u32_e32 v6, vcc, v4, v3, vcc
	v_lshlrev_b64 v[2:3], 3, v[18:19]
	v_add_co_u32_e32 v4, vcc, v5, v2
	v_addc_co_u32_e32 v5, vcc, v6, v3, vcc
	v_lshlrev_b32_e32 v2, 3, v8
	v_add_co_u32_e32 v2, vcc, v2, v4
	v_addc_co_u32_e32 v3, vcc, 0, v5, vcc
	v_add_co_u32_e32 v6, vcc, -8, v2
	v_addc_co_u32_e32 v7, vcc, -1, v3, vcc
	v_cmp_eq_u32_e32 vcc, 0, v59
	v_cndmask_b32_e64 v3, 1, 2, vcc
	v_cmp_eq_u32_e32 vcc, 0, v58
	v_add_u32_e32 v2, v18, v8
	v_cndmask_b32_e64 v8, 1, 2, vcc
	v_cmp_eq_u32_e32 vcc, 0, v57
	v_and_b32_e32 v3, v8, v3
	v_cndmask_b32_e64 v8, 1, 2, vcc
	v_cmp_eq_u32_e32 vcc, 0, v21
	v_and_b32_e32 v3, v3, v8
	;; [unrolled: 3-line block ×13, first 2 shown]
	v_cndmask_b32_e64 v8, 1, 2, vcc
	s_movk_i32 s30, 0x100
	v_and_b32_e32 v3, v3, v8
	v_cmp_gt_u32_e32 vcc, s30, v1
	v_cmp_ne_u32_e64 s[28:29], 0, v59
	v_cmp_ne_u32_e64 s[26:27], 0, v58
	v_cmp_ne_u32_e64 s[24:25], 0, v57
	v_cmp_ne_u32_e64 s[22:23], 0, v21
	v_cmp_ne_u32_e64 s[20:21], 0, v9
	v_cmp_ne_u32_e64 s[18:19], 0, v10
	v_cmp_ne_u32_e64 s[16:17], 0, v11
	v_cmp_ne_u32_e64 s[14:15], 0, v12
	v_cmp_ne_u32_e64 s[12:13], 0, v13
	v_cmp_ne_u32_e64 s[10:11], 0, v14
	v_cmp_ne_u32_e64 s[8:9], 0, v15
	v_cmp_ne_u32_e64 s[6:7], 0, v17
	v_cmp_ne_u32_e64 s[4:5], 0, v54
	v_cmp_ne_u32_e64 s[2:3], 0, v55
	v_cmp_ne_u32_e64 s[0:1], 0, v56
	s_mov_b64 s[36:37], -1
	v_cmp_gt_i16_e64 s[30:31], 2, v3
	s_barrier
	s_cbranch_vccz .LBB168_133
; %bb.127:
	s_and_saveexec_b64 s[36:37], s[30:31]
	s_cbranch_execz .LBB168_132
; %bb.128:
	v_cmp_ne_u16_e32 vcc, 1, v3
	s_mov_b64 s[38:39], 0
	s_and_saveexec_b64 s[30:31], vcc
	s_xor_b64 s[30:31], exec, s[30:31]
	s_cbranch_execnz .LBB168_182
; %bb.129:
	s_andn2_saveexec_b64 s[30:31], s[30:31]
	s_cbranch_execnz .LBB168_198
.LBB168_130:
	s_or_b64 exec, exec, s[30:31]
	s_and_b64 exec, exec, s[38:39]
	s_cbranch_execz .LBB168_132
.LBB168_131:
	v_mov_b32_e32 v9, 0
	v_sub_u32_e32 v10, v24, v2
	v_mov_b32_e32 v11, v9
	v_lshlrev_b64 v[10:11], 3, v[10:11]
	v_add_co_u32_e32 v10, vcc, v6, v10
	v_mov_b32_e32 v8, v25
	v_addc_co_u32_e32 v11, vcc, v7, v11, vcc
	global_store_dwordx2 v[10:11], v[8:9], off
.LBB168_132:
	s_or_b64 exec, exec, s[36:37]
	s_mov_b64 s[36:37], 0
.LBB168_133:
	s_and_b64 vcc, exec, s[36:37]
	s_cbranch_vccz .LBB168_143
; %bb.134:
	v_cmp_gt_i16_e32 vcc, 2, v3
	s_and_saveexec_b64 s[30:31], vcc
	s_cbranch_execz .LBB168_139
; %bb.135:
	v_cmp_ne_u16_e32 vcc, 1, v3
	s_mov_b64 s[38:39], 0
	s_and_saveexec_b64 s[36:37], vcc
	s_xor_b64 s[36:37], exec, s[36:37]
	s_cbranch_execnz .LBB168_199
; %bb.136:
	s_andn2_saveexec_b64 s[0:1], s[36:37]
	s_cbranch_execnz .LBB168_215
.LBB168_137:
	s_or_b64 exec, exec, s[0:1]
	s_and_b64 exec, exec, s[38:39]
	s_cbranch_execz .LBB168_139
.LBB168_138:
	v_sub_u32_e32 v2, v24, v2
	v_lshlrev_b32_e32 v2, 2, v2
	ds_write_b32 v2, v25
.LBB168_139:
	s_or_b64 exec, exec, s[30:31]
	v_cmp_lt_u32_e32 vcc, v0, v1
	s_waitcnt lgkmcnt(0)
	s_barrier
	s_and_saveexec_b64 s[0:1], vcc
	s_cbranch_execz .LBB168_142
; %bb.140:
	v_lshlrev_b32_e32 v8, 2, v0
	s_mov_b64 s[2:3], 0
	v_mov_b32_e32 v3, 0
	v_mov_b32_e32 v2, v0
.LBB168_141:                            ; =>This Inner Loop Header: Depth=1
	ds_read_b32 v10, v8
	v_lshlrev_b64 v[12:13], 3, v[2:3]
	v_add_co_u32_e32 v12, vcc, v6, v12
	v_add_u32_e32 v2, 0x100, v2
	v_addc_co_u32_e32 v13, vcc, v7, v13, vcc
	v_cmp_ge_u32_e32 vcc, v2, v1
	v_mov_b32_e32 v11, v3
	v_add_u32_e32 v8, 0x400, v8
	s_or_b64 s[2:3], vcc, s[2:3]
	s_waitcnt lgkmcnt(0)
	global_store_dwordx2 v[12:13], v[10:11], off
	s_andn2_b64 exec, exec, s[2:3]
	s_cbranch_execnz .LBB168_141
.LBB168_142:
	s_or_b64 exec, exec, s[0:1]
.LBB168_143:
	s_movk_i32 s0, 0xff
	v_cmp_eq_u32_e32 vcc, s0, v0
	s_and_b64 s[0:1], vcc, s[34:35]
	s_and_saveexec_b64 s[2:3], s[0:1]
	s_cbranch_execz .LBB168_146
; %bb.144:
	v_add_co_u32_e32 v0, vcc, v16, v18
	v_addc_co_u32_e64 v1, s[0:1], 0, 0, vcc
	v_add_co_u32_e32 v0, vcc, v0, v52
	v_mov_b32_e32 v17, 0
	v_addc_co_u32_e32 v1, vcc, v1, v53, vcc
	s_cmpk_lg_i32 s33, 0xf00
	global_store_dwordx2 v17, v[0:1], s[44:45]
	s_cbranch_scc1 .LBB168_146
; %bb.145:
	v_lshlrev_b64 v[0:1], 3, v[16:17]
	v_add_co_u32_e32 v0, vcc, v4, v0
	v_mov_b32_e32 v21, v17
	v_addc_co_u32_e32 v1, vcc, v5, v1, vcc
	global_store_dwordx2 v[0:1], v[20:21], off offset:-8
.LBB168_146:
	s_endpgm
.LBB168_147:
	s_or_b64 exec, exec, s[0:1]
	v_mov_b32_e32 v78, s7
	s_and_saveexec_b64 s[0:1], s[8:9]
	s_cbranch_execnz .LBB168_56
	s_branch .LBB168_57
.LBB168_148:
	s_and_saveexec_b64 s[38:39], s[28:29]
	s_cbranch_execnz .LBB168_216
; %bb.149:
	s_or_b64 exec, exec, s[38:39]
	s_and_saveexec_b64 s[38:39], s[26:27]
	s_cbranch_execnz .LBB168_217
.LBB168_150:
	s_or_b64 exec, exec, s[38:39]
	s_and_saveexec_b64 s[38:39], s[24:25]
	s_cbranch_execnz .LBB168_218
.LBB168_151:
	s_or_b64 exec, exec, s[38:39]
	s_and_saveexec_b64 s[38:39], s[22:23]
	s_cbranch_execnz .LBB168_219
.LBB168_152:
	s_or_b64 exec, exec, s[38:39]
	s_and_saveexec_b64 s[38:39], s[20:21]
	s_cbranch_execnz .LBB168_220
.LBB168_153:
	s_or_b64 exec, exec, s[38:39]
	s_and_saveexec_b64 s[38:39], s[18:19]
	s_cbranch_execnz .LBB168_221
.LBB168_154:
	s_or_b64 exec, exec, s[38:39]
	s_and_saveexec_b64 s[38:39], s[16:17]
	s_cbranch_execnz .LBB168_222
.LBB168_155:
	s_or_b64 exec, exec, s[38:39]
	s_and_saveexec_b64 s[38:39], s[14:15]
	s_cbranch_execnz .LBB168_223
.LBB168_156:
	s_or_b64 exec, exec, s[38:39]
	s_and_saveexec_b64 s[38:39], s[12:13]
	s_cbranch_execnz .LBB168_224
.LBB168_157:
	s_or_b64 exec, exec, s[38:39]
	s_and_saveexec_b64 s[38:39], s[10:11]
	s_cbranch_execnz .LBB168_225
.LBB168_158:
	s_or_b64 exec, exec, s[38:39]
	s_and_saveexec_b64 s[38:39], s[8:9]
	s_cbranch_execnz .LBB168_226
.LBB168_159:
	s_or_b64 exec, exec, s[38:39]
	s_and_saveexec_b64 s[38:39], s[6:7]
	s_cbranch_execnz .LBB168_227
.LBB168_160:
	s_or_b64 exec, exec, s[38:39]
	s_and_saveexec_b64 s[38:39], s[4:5]
	s_cbranch_execnz .LBB168_228
.LBB168_161:
	s_or_b64 exec, exec, s[38:39]
	s_and_saveexec_b64 s[38:39], s[2:3]
	s_cbranch_execz .LBB168_163
.LBB168_162:
	v_sub_u32_e32 v3, v22, v18
	v_readfirstlane_b32 s40, v54
	v_readfirstlane_b32 s41, v17
	s_nop 4
	global_store_byte v3, v11, s[40:41]
.LBB168_163:
	s_or_b64 exec, exec, s[38:39]
	s_and_b64 s[38:39], s[0:1], exec
	s_andn2_saveexec_b64 s[30:31], s[30:31]
	s_cbranch_execz .LBB168_102
.LBB168_164:
	v_sub_u32_e32 v3, v50, v18
	v_readfirstlane_b32 s40, v54
	v_readfirstlane_b32 s41, v17
	s_or_b64 s[38:39], s[38:39], exec
	s_nop 3
	global_store_byte v3, v8, s[40:41]
	v_sub_u32_e32 v3, v48, v18
	global_store_byte v3, v67, s[40:41]
	v_sub_u32_e32 v3, v46, v18
	;; [unrolled: 2-line block ×13, first 2 shown]
	global_store_byte v3, v11, s[40:41]
	s_or_b64 exec, exec, s[30:31]
	s_and_b64 exec, exec, s[38:39]
	s_cbranch_execnz .LBB168_103
	s_branch .LBB168_104
.LBB168_165:
	s_and_saveexec_b64 s[38:39], s[28:29]
	s_cbranch_execnz .LBB168_229
; %bb.166:
	s_or_b64 exec, exec, s[38:39]
	s_and_saveexec_b64 s[28:29], s[26:27]
	s_cbranch_execnz .LBB168_230
.LBB168_167:
	s_or_b64 exec, exec, s[28:29]
	s_and_saveexec_b64 s[26:27], s[24:25]
	s_cbranch_execnz .LBB168_231
.LBB168_168:
	s_or_b64 exec, exec, s[26:27]
	s_and_saveexec_b64 s[24:25], s[22:23]
	s_cbranch_execnz .LBB168_232
.LBB168_169:
	s_or_b64 exec, exec, s[24:25]
	s_and_saveexec_b64 s[22:23], s[20:21]
	s_cbranch_execnz .LBB168_233
.LBB168_170:
	s_or_b64 exec, exec, s[22:23]
	s_and_saveexec_b64 s[20:21], s[18:19]
	s_cbranch_execnz .LBB168_234
.LBB168_171:
	s_or_b64 exec, exec, s[20:21]
	s_and_saveexec_b64 s[18:19], s[16:17]
	s_cbranch_execnz .LBB168_235
.LBB168_172:
	s_or_b64 exec, exec, s[18:19]
	s_and_saveexec_b64 s[16:17], s[14:15]
	s_cbranch_execnz .LBB168_236
.LBB168_173:
	s_or_b64 exec, exec, s[16:17]
	s_and_saveexec_b64 s[14:15], s[12:13]
	s_cbranch_execnz .LBB168_237
.LBB168_174:
	s_or_b64 exec, exec, s[14:15]
	s_and_saveexec_b64 s[12:13], s[10:11]
	s_cbranch_execnz .LBB168_238
.LBB168_175:
	s_or_b64 exec, exec, s[12:13]
	s_and_saveexec_b64 s[10:11], s[8:9]
	s_cbranch_execnz .LBB168_239
.LBB168_176:
	s_or_b64 exec, exec, s[10:11]
	s_and_saveexec_b64 s[8:9], s[6:7]
	s_cbranch_execnz .LBB168_240
.LBB168_177:
	s_or_b64 exec, exec, s[8:9]
	s_and_saveexec_b64 s[6:7], s[4:5]
	s_cbranch_execnz .LBB168_241
.LBB168_178:
	s_or_b64 exec, exec, s[6:7]
	s_and_saveexec_b64 s[4:5], s[2:3]
	s_cbranch_execz .LBB168_180
.LBB168_179:
	v_sub_u32_e32 v2, v22, v18
	ds_write_b8 v2, v11
.LBB168_180:
	s_or_b64 exec, exec, s[4:5]
	s_and_b64 s[38:39], s[0:1], exec
                                        ; implicit-def: $vgpr11
                                        ; implicit-def: $vgpr55
                                        ; implicit-def: $vgpr56
                                        ; implicit-def: $vgpr57
                                        ; implicit-def: $vgpr58
                                        ; implicit-def: $vgpr10
                                        ; implicit-def: $vgpr59
                                        ; implicit-def: $vgpr60
                                        ; implicit-def: $vgpr61
                                        ; implicit-def: $vgpr63
                                        ; implicit-def: $vgpr65
                                        ; implicit-def: $vgpr67
	s_andn2_saveexec_b64 s[0:1], s[36:37]
	s_cbranch_execz .LBB168_109
.LBB168_181:
	v_sub_u32_e32 v2, v50, v18
	ds_write_b8 v2, v8
	v_sub_u32_e32 v2, v48, v18
	ds_write_b8 v2, v67
	;; [unrolled: 2-line block ×13, first 2 shown]
	v_sub_u32_e32 v2, v22, v18
	s_or_b64 s[38:39], s[38:39], exec
	ds_write_b8 v2, v11
	s_or_b64 exec, exec, s[0:1]
	s_and_b64 exec, exec, s[38:39]
	s_cbranch_execnz .LBB168_110
	s_branch .LBB168_111
.LBB168_182:
	s_and_saveexec_b64 s[38:39], s[28:29]
	s_cbranch_execnz .LBB168_242
; %bb.183:
	s_or_b64 exec, exec, s[38:39]
	s_and_saveexec_b64 s[38:39], s[26:27]
	s_cbranch_execnz .LBB168_243
.LBB168_184:
	s_or_b64 exec, exec, s[38:39]
	s_and_saveexec_b64 s[38:39], s[24:25]
	s_cbranch_execnz .LBB168_244
.LBB168_185:
	s_or_b64 exec, exec, s[38:39]
	s_and_saveexec_b64 s[38:39], s[22:23]
	s_cbranch_execnz .LBB168_245
.LBB168_186:
	s_or_b64 exec, exec, s[38:39]
	s_and_saveexec_b64 s[38:39], s[20:21]
	s_cbranch_execnz .LBB168_246
.LBB168_187:
	s_or_b64 exec, exec, s[38:39]
	s_and_saveexec_b64 s[38:39], s[18:19]
	s_cbranch_execnz .LBB168_247
.LBB168_188:
	s_or_b64 exec, exec, s[38:39]
	s_and_saveexec_b64 s[38:39], s[16:17]
	s_cbranch_execnz .LBB168_248
.LBB168_189:
	s_or_b64 exec, exec, s[38:39]
	s_and_saveexec_b64 s[38:39], s[14:15]
	s_cbranch_execnz .LBB168_249
.LBB168_190:
	s_or_b64 exec, exec, s[38:39]
	s_and_saveexec_b64 s[38:39], s[12:13]
	s_cbranch_execnz .LBB168_250
.LBB168_191:
	s_or_b64 exec, exec, s[38:39]
	s_and_saveexec_b64 s[38:39], s[10:11]
	s_cbranch_execnz .LBB168_251
.LBB168_192:
	s_or_b64 exec, exec, s[38:39]
	s_and_saveexec_b64 s[38:39], s[8:9]
	s_cbranch_execnz .LBB168_252
.LBB168_193:
	s_or_b64 exec, exec, s[38:39]
	s_and_saveexec_b64 s[38:39], s[6:7]
	s_cbranch_execnz .LBB168_253
.LBB168_194:
	s_or_b64 exec, exec, s[38:39]
	s_and_saveexec_b64 s[38:39], s[4:5]
	s_cbranch_execnz .LBB168_254
.LBB168_195:
	s_or_b64 exec, exec, s[38:39]
	s_and_saveexec_b64 s[38:39], s[2:3]
	s_cbranch_execz .LBB168_197
.LBB168_196:
	v_sub_u32_e32 v8, v22, v2
	v_mov_b32_e32 v9, 0
	v_lshlrev_b64 v[10:11], 3, v[8:9]
	v_add_co_u32_e32 v10, vcc, v6, v10
	v_addc_co_u32_e32 v11, vcc, v7, v11, vcc
	v_mov_b32_e32 v8, v23
	global_store_dwordx2 v[10:11], v[8:9], off
.LBB168_197:
	s_or_b64 exec, exec, s[38:39]
	s_and_b64 s[38:39], s[0:1], exec
	s_andn2_saveexec_b64 s[30:31], s[30:31]
	s_cbranch_execz .LBB168_130
.LBB168_198:
	v_mov_b32_e32 v9, 0
	v_sub_u32_e32 v10, v50, v2
	v_mov_b32_e32 v11, v9
	v_lshlrev_b64 v[10:11], 3, v[10:11]
	v_add_co_u32_e32 v10, vcc, v6, v10
	v_mov_b32_e32 v8, v51
	v_addc_co_u32_e32 v11, vcc, v7, v11, vcc
	global_store_dwordx2 v[10:11], v[8:9], off
	v_sub_u32_e32 v10, v48, v2
	v_mov_b32_e32 v11, v9
	v_lshlrev_b64 v[10:11], 3, v[10:11]
	v_add_co_u32_e32 v10, vcc, v6, v10
	v_mov_b32_e32 v8, v49
	v_addc_co_u32_e32 v11, vcc, v7, v11, vcc
	global_store_dwordx2 v[10:11], v[8:9], off
	;; [unrolled: 7-line block ×13, first 2 shown]
	v_sub_u32_e32 v10, v22, v2
	v_mov_b32_e32 v11, v9
	v_lshlrev_b64 v[10:11], 3, v[10:11]
	v_add_co_u32_e32 v10, vcc, v6, v10
	v_mov_b32_e32 v8, v23
	v_addc_co_u32_e32 v11, vcc, v7, v11, vcc
	s_or_b64 s[38:39], s[38:39], exec
	global_store_dwordx2 v[10:11], v[8:9], off
	s_or_b64 exec, exec, s[30:31]
	s_and_b64 exec, exec, s[38:39]
	s_cbranch_execnz .LBB168_131
	s_branch .LBB168_132
.LBB168_199:
	s_and_saveexec_b64 s[38:39], s[28:29]
	s_cbranch_execnz .LBB168_255
; %bb.200:
	s_or_b64 exec, exec, s[38:39]
	s_and_saveexec_b64 s[28:29], s[26:27]
	s_cbranch_execnz .LBB168_256
.LBB168_201:
	s_or_b64 exec, exec, s[28:29]
	s_and_saveexec_b64 s[26:27], s[24:25]
	s_cbranch_execnz .LBB168_257
.LBB168_202:
	s_or_b64 exec, exec, s[26:27]
	s_and_saveexec_b64 s[24:25], s[22:23]
	s_cbranch_execnz .LBB168_258
.LBB168_203:
	s_or_b64 exec, exec, s[24:25]
	s_and_saveexec_b64 s[22:23], s[20:21]
	s_cbranch_execnz .LBB168_259
.LBB168_204:
	s_or_b64 exec, exec, s[22:23]
	s_and_saveexec_b64 s[20:21], s[18:19]
	s_cbranch_execnz .LBB168_260
.LBB168_205:
	s_or_b64 exec, exec, s[20:21]
	s_and_saveexec_b64 s[18:19], s[16:17]
	s_cbranch_execnz .LBB168_261
.LBB168_206:
	s_or_b64 exec, exec, s[18:19]
	s_and_saveexec_b64 s[16:17], s[14:15]
	s_cbranch_execnz .LBB168_262
.LBB168_207:
	s_or_b64 exec, exec, s[16:17]
	s_and_saveexec_b64 s[14:15], s[12:13]
	s_cbranch_execnz .LBB168_263
.LBB168_208:
	s_or_b64 exec, exec, s[14:15]
	s_and_saveexec_b64 s[12:13], s[10:11]
	s_cbranch_execnz .LBB168_264
.LBB168_209:
	s_or_b64 exec, exec, s[12:13]
	s_and_saveexec_b64 s[10:11], s[8:9]
	s_cbranch_execnz .LBB168_265
.LBB168_210:
	s_or_b64 exec, exec, s[10:11]
	s_and_saveexec_b64 s[8:9], s[6:7]
	s_cbranch_execnz .LBB168_266
.LBB168_211:
	s_or_b64 exec, exec, s[8:9]
	s_and_saveexec_b64 s[6:7], s[4:5]
	s_cbranch_execnz .LBB168_267
.LBB168_212:
	s_or_b64 exec, exec, s[6:7]
	s_and_saveexec_b64 s[4:5], s[2:3]
	s_cbranch_execz .LBB168_214
.LBB168_213:
	v_sub_u32_e32 v3, v22, v2
	v_lshlrev_b32_e32 v3, 2, v3
	ds_write_b32 v3, v23
.LBB168_214:
	s_or_b64 exec, exec, s[4:5]
	s_and_b64 s[38:39], s[0:1], exec
                                        ; implicit-def: $vgpr22_vgpr23
                                        ; implicit-def: $vgpr26_vgpr27
                                        ; implicit-def: $vgpr28_vgpr29
                                        ; implicit-def: $vgpr50_vgpr51
                                        ; implicit-def: $vgpr48_vgpr49
                                        ; implicit-def: $vgpr46_vgpr47
                                        ; implicit-def: $vgpr44_vgpr45
                                        ; implicit-def: $vgpr42_vgpr43
                                        ; implicit-def: $vgpr40_vgpr41
                                        ; implicit-def: $vgpr38_vgpr39
                                        ; implicit-def: $vgpr36_vgpr37
                                        ; implicit-def: $vgpr34_vgpr35
                                        ; implicit-def: $vgpr32_vgpr33
                                        ; implicit-def: $vgpr30_vgpr31
	s_andn2_saveexec_b64 s[0:1], s[36:37]
	s_cbranch_execz .LBB168_137
.LBB168_215:
	v_sub_u32_e32 v3, v50, v2
	v_lshlrev_b32_e32 v3, 2, v3
	ds_write_b32 v3, v51
	v_sub_u32_e32 v3, v48, v2
	v_lshlrev_b32_e32 v3, 2, v3
	ds_write_b32 v3, v49
	;; [unrolled: 3-line block ×13, first 2 shown]
	v_sub_u32_e32 v3, v22, v2
	v_lshlrev_b32_e32 v3, 2, v3
	s_or_b64 s[38:39], s[38:39], exec
	ds_write_b32 v3, v23
	s_or_b64 exec, exec, s[0:1]
	s_and_b64 exec, exec, s[38:39]
	s_cbranch_execnz .LBB168_138
	s_branch .LBB168_139
.LBB168_216:
	v_sub_u32_e32 v3, v50, v18
	v_readfirstlane_b32 s40, v54
	v_readfirstlane_b32 s41, v17
	s_nop 4
	global_store_byte v3, v8, s[40:41]
	s_or_b64 exec, exec, s[38:39]
	s_and_saveexec_b64 s[38:39], s[26:27]
	s_cbranch_execz .LBB168_150
.LBB168_217:
	v_sub_u32_e32 v3, v48, v18
	v_readfirstlane_b32 s40, v54
	v_readfirstlane_b32 s41, v17
	s_nop 4
	global_store_byte v3, v67, s[40:41]
	s_or_b64 exec, exec, s[38:39]
	s_and_saveexec_b64 s[38:39], s[24:25]
	s_cbranch_execz .LBB168_151
.LBB168_218:
	v_sub_u32_e32 v3, v46, v18
	v_readfirstlane_b32 s40, v54
	v_readfirstlane_b32 s41, v17
	s_nop 4
	global_store_byte v3, v65, s[40:41]
	s_or_b64 exec, exec, s[38:39]
	s_and_saveexec_b64 s[38:39], s[22:23]
	s_cbranch_execz .LBB168_152
.LBB168_219:
	v_sub_u32_e32 v3, v44, v18
	v_readfirstlane_b32 s40, v54
	v_readfirstlane_b32 s41, v17
	s_nop 4
	global_store_byte v3, v63, s[40:41]
	s_or_b64 exec, exec, s[38:39]
	s_and_saveexec_b64 s[38:39], s[20:21]
	s_cbranch_execz .LBB168_153
.LBB168_220:
	v_sub_u32_e32 v3, v42, v18
	v_readfirstlane_b32 s40, v54
	v_readfirstlane_b32 s41, v17
	s_nop 4
	global_store_byte v3, v9, s[40:41]
	s_or_b64 exec, exec, s[38:39]
	s_and_saveexec_b64 s[38:39], s[18:19]
	s_cbranch_execz .LBB168_154
.LBB168_221:
	v_sub_u32_e32 v3, v40, v18
	v_readfirstlane_b32 s40, v54
	v_readfirstlane_b32 s41, v17
	s_nop 4
	global_store_byte v3, v61, s[40:41]
	s_or_b64 exec, exec, s[38:39]
	s_and_saveexec_b64 s[38:39], s[16:17]
	s_cbranch_execz .LBB168_155
.LBB168_222:
	v_sub_u32_e32 v3, v38, v18
	v_readfirstlane_b32 s40, v54
	v_readfirstlane_b32 s41, v17
	s_nop 4
	global_store_byte v3, v60, s[40:41]
	s_or_b64 exec, exec, s[38:39]
	s_and_saveexec_b64 s[38:39], s[14:15]
	s_cbranch_execz .LBB168_156
.LBB168_223:
	v_sub_u32_e32 v3, v36, v18
	v_readfirstlane_b32 s40, v54
	v_readfirstlane_b32 s41, v17
	s_nop 4
	global_store_byte v3, v59, s[40:41]
	s_or_b64 exec, exec, s[38:39]
	s_and_saveexec_b64 s[38:39], s[12:13]
	s_cbranch_execz .LBB168_157
.LBB168_224:
	v_sub_u32_e32 v3, v34, v18
	v_readfirstlane_b32 s40, v54
	v_readfirstlane_b32 s41, v17
	s_nop 4
	global_store_byte v3, v10, s[40:41]
	s_or_b64 exec, exec, s[38:39]
	s_and_saveexec_b64 s[38:39], s[10:11]
	s_cbranch_execz .LBB168_158
.LBB168_225:
	v_sub_u32_e32 v3, v32, v18
	v_readfirstlane_b32 s40, v54
	v_readfirstlane_b32 s41, v17
	s_nop 4
	global_store_byte v3, v58, s[40:41]
	s_or_b64 exec, exec, s[38:39]
	s_and_saveexec_b64 s[38:39], s[8:9]
	s_cbranch_execz .LBB168_159
.LBB168_226:
	v_sub_u32_e32 v3, v30, v18
	v_readfirstlane_b32 s40, v54
	v_readfirstlane_b32 s41, v17
	s_nop 4
	global_store_byte v3, v57, s[40:41]
	s_or_b64 exec, exec, s[38:39]
	s_and_saveexec_b64 s[38:39], s[6:7]
	s_cbranch_execz .LBB168_160
.LBB168_227:
	v_sub_u32_e32 v3, v28, v18
	v_readfirstlane_b32 s40, v54
	v_readfirstlane_b32 s41, v17
	s_nop 4
	global_store_byte v3, v56, s[40:41]
	s_or_b64 exec, exec, s[38:39]
	s_and_saveexec_b64 s[38:39], s[4:5]
	s_cbranch_execz .LBB168_161
.LBB168_228:
	v_sub_u32_e32 v3, v26, v18
	v_readfirstlane_b32 s40, v54
	v_readfirstlane_b32 s41, v17
	s_nop 4
	global_store_byte v3, v55, s[40:41]
	s_or_b64 exec, exec, s[38:39]
	s_and_saveexec_b64 s[38:39], s[2:3]
	s_cbranch_execnz .LBB168_162
	s_branch .LBB168_163
.LBB168_229:
	v_sub_u32_e32 v2, v50, v18
	ds_write_b8 v2, v8
	s_or_b64 exec, exec, s[38:39]
	s_and_saveexec_b64 s[28:29], s[26:27]
	s_cbranch_execz .LBB168_167
.LBB168_230:
	v_sub_u32_e32 v2, v48, v18
	ds_write_b8 v2, v67
	s_or_b64 exec, exec, s[28:29]
	s_and_saveexec_b64 s[26:27], s[24:25]
	s_cbranch_execz .LBB168_168
.LBB168_231:
	v_sub_u32_e32 v2, v46, v18
	ds_write_b8 v2, v65
	s_or_b64 exec, exec, s[26:27]
	s_and_saveexec_b64 s[24:25], s[22:23]
	s_cbranch_execz .LBB168_169
.LBB168_232:
	v_sub_u32_e32 v2, v44, v18
	ds_write_b8 v2, v63
	s_or_b64 exec, exec, s[24:25]
	s_and_saveexec_b64 s[22:23], s[20:21]
	s_cbranch_execz .LBB168_170
.LBB168_233:
	v_sub_u32_e32 v2, v42, v18
	ds_write_b8 v2, v9
	s_or_b64 exec, exec, s[22:23]
	s_and_saveexec_b64 s[20:21], s[18:19]
	s_cbranch_execz .LBB168_171
.LBB168_234:
	v_sub_u32_e32 v2, v40, v18
	ds_write_b8 v2, v61
	s_or_b64 exec, exec, s[20:21]
	s_and_saveexec_b64 s[18:19], s[16:17]
	s_cbranch_execz .LBB168_172
.LBB168_235:
	v_sub_u32_e32 v2, v38, v18
	ds_write_b8 v2, v60
	s_or_b64 exec, exec, s[18:19]
	s_and_saveexec_b64 s[16:17], s[14:15]
	s_cbranch_execz .LBB168_173
.LBB168_236:
	v_sub_u32_e32 v2, v36, v18
	ds_write_b8 v2, v59
	s_or_b64 exec, exec, s[16:17]
	s_and_saveexec_b64 s[14:15], s[12:13]
	s_cbranch_execz .LBB168_174
.LBB168_237:
	v_sub_u32_e32 v2, v34, v18
	ds_write_b8 v2, v10
	s_or_b64 exec, exec, s[14:15]
	s_and_saveexec_b64 s[12:13], s[10:11]
	s_cbranch_execz .LBB168_175
.LBB168_238:
	v_sub_u32_e32 v2, v32, v18
	ds_write_b8 v2, v58
	s_or_b64 exec, exec, s[12:13]
	s_and_saveexec_b64 s[10:11], s[8:9]
	s_cbranch_execz .LBB168_176
.LBB168_239:
	v_sub_u32_e32 v2, v30, v18
	ds_write_b8 v2, v57
	s_or_b64 exec, exec, s[10:11]
	s_and_saveexec_b64 s[8:9], s[6:7]
	s_cbranch_execz .LBB168_177
.LBB168_240:
	v_sub_u32_e32 v2, v28, v18
	ds_write_b8 v2, v56
	s_or_b64 exec, exec, s[8:9]
	s_and_saveexec_b64 s[6:7], s[4:5]
	s_cbranch_execz .LBB168_178
.LBB168_241:
	v_sub_u32_e32 v2, v26, v18
	ds_write_b8 v2, v55
	s_or_b64 exec, exec, s[6:7]
	s_and_saveexec_b64 s[4:5], s[2:3]
	s_cbranch_execnz .LBB168_179
	s_branch .LBB168_180
.LBB168_242:
	v_sub_u32_e32 v8, v50, v2
	v_mov_b32_e32 v9, 0
	v_lshlrev_b64 v[10:11], 3, v[8:9]
	v_add_co_u32_e32 v10, vcc, v6, v10
	v_addc_co_u32_e32 v11, vcc, v7, v11, vcc
	v_mov_b32_e32 v8, v51
	global_store_dwordx2 v[10:11], v[8:9], off
	s_or_b64 exec, exec, s[38:39]
	s_and_saveexec_b64 s[38:39], s[26:27]
	s_cbranch_execz .LBB168_184
.LBB168_243:
	v_sub_u32_e32 v8, v48, v2
	v_mov_b32_e32 v9, 0
	v_lshlrev_b64 v[10:11], 3, v[8:9]
	v_add_co_u32_e32 v10, vcc, v6, v10
	v_addc_co_u32_e32 v11, vcc, v7, v11, vcc
	v_mov_b32_e32 v8, v49
	global_store_dwordx2 v[10:11], v[8:9], off
	s_or_b64 exec, exec, s[38:39]
	s_and_saveexec_b64 s[38:39], s[24:25]
	s_cbranch_execz .LBB168_185
.LBB168_244:
	v_sub_u32_e32 v8, v46, v2
	v_mov_b32_e32 v9, 0
	v_lshlrev_b64 v[10:11], 3, v[8:9]
	v_add_co_u32_e32 v10, vcc, v6, v10
	v_addc_co_u32_e32 v11, vcc, v7, v11, vcc
	v_mov_b32_e32 v8, v47
	global_store_dwordx2 v[10:11], v[8:9], off
	s_or_b64 exec, exec, s[38:39]
	s_and_saveexec_b64 s[38:39], s[22:23]
	s_cbranch_execz .LBB168_186
.LBB168_245:
	v_sub_u32_e32 v8, v44, v2
	v_mov_b32_e32 v9, 0
	v_lshlrev_b64 v[10:11], 3, v[8:9]
	v_add_co_u32_e32 v10, vcc, v6, v10
	v_addc_co_u32_e32 v11, vcc, v7, v11, vcc
	v_mov_b32_e32 v8, v45
	global_store_dwordx2 v[10:11], v[8:9], off
	s_or_b64 exec, exec, s[38:39]
	s_and_saveexec_b64 s[38:39], s[20:21]
	s_cbranch_execz .LBB168_187
.LBB168_246:
	v_sub_u32_e32 v8, v42, v2
	v_mov_b32_e32 v9, 0
	v_lshlrev_b64 v[10:11], 3, v[8:9]
	v_add_co_u32_e32 v10, vcc, v6, v10
	v_addc_co_u32_e32 v11, vcc, v7, v11, vcc
	v_mov_b32_e32 v8, v43
	global_store_dwordx2 v[10:11], v[8:9], off
	s_or_b64 exec, exec, s[38:39]
	s_and_saveexec_b64 s[38:39], s[18:19]
	s_cbranch_execz .LBB168_188
.LBB168_247:
	v_sub_u32_e32 v8, v40, v2
	v_mov_b32_e32 v9, 0
	v_lshlrev_b64 v[10:11], 3, v[8:9]
	v_add_co_u32_e32 v10, vcc, v6, v10
	v_addc_co_u32_e32 v11, vcc, v7, v11, vcc
	v_mov_b32_e32 v8, v41
	global_store_dwordx2 v[10:11], v[8:9], off
	s_or_b64 exec, exec, s[38:39]
	s_and_saveexec_b64 s[38:39], s[16:17]
	s_cbranch_execz .LBB168_189
.LBB168_248:
	v_sub_u32_e32 v8, v38, v2
	v_mov_b32_e32 v9, 0
	v_lshlrev_b64 v[10:11], 3, v[8:9]
	v_add_co_u32_e32 v10, vcc, v6, v10
	v_addc_co_u32_e32 v11, vcc, v7, v11, vcc
	v_mov_b32_e32 v8, v39
	global_store_dwordx2 v[10:11], v[8:9], off
	s_or_b64 exec, exec, s[38:39]
	s_and_saveexec_b64 s[38:39], s[14:15]
	s_cbranch_execz .LBB168_190
.LBB168_249:
	v_sub_u32_e32 v8, v36, v2
	v_mov_b32_e32 v9, 0
	v_lshlrev_b64 v[10:11], 3, v[8:9]
	v_add_co_u32_e32 v10, vcc, v6, v10
	v_addc_co_u32_e32 v11, vcc, v7, v11, vcc
	v_mov_b32_e32 v8, v37
	global_store_dwordx2 v[10:11], v[8:9], off
	s_or_b64 exec, exec, s[38:39]
	s_and_saveexec_b64 s[38:39], s[12:13]
	s_cbranch_execz .LBB168_191
.LBB168_250:
	v_sub_u32_e32 v8, v34, v2
	v_mov_b32_e32 v9, 0
	v_lshlrev_b64 v[10:11], 3, v[8:9]
	v_add_co_u32_e32 v10, vcc, v6, v10
	v_addc_co_u32_e32 v11, vcc, v7, v11, vcc
	v_mov_b32_e32 v8, v35
	global_store_dwordx2 v[10:11], v[8:9], off
	s_or_b64 exec, exec, s[38:39]
	s_and_saveexec_b64 s[38:39], s[10:11]
	s_cbranch_execz .LBB168_192
.LBB168_251:
	v_sub_u32_e32 v8, v32, v2
	v_mov_b32_e32 v9, 0
	v_lshlrev_b64 v[10:11], 3, v[8:9]
	v_add_co_u32_e32 v10, vcc, v6, v10
	v_addc_co_u32_e32 v11, vcc, v7, v11, vcc
	v_mov_b32_e32 v8, v33
	global_store_dwordx2 v[10:11], v[8:9], off
	s_or_b64 exec, exec, s[38:39]
	s_and_saveexec_b64 s[38:39], s[8:9]
	s_cbranch_execz .LBB168_193
.LBB168_252:
	v_sub_u32_e32 v8, v30, v2
	v_mov_b32_e32 v9, 0
	v_lshlrev_b64 v[10:11], 3, v[8:9]
	v_add_co_u32_e32 v10, vcc, v6, v10
	v_addc_co_u32_e32 v11, vcc, v7, v11, vcc
	v_mov_b32_e32 v8, v31
	global_store_dwordx2 v[10:11], v[8:9], off
	s_or_b64 exec, exec, s[38:39]
	s_and_saveexec_b64 s[38:39], s[6:7]
	s_cbranch_execz .LBB168_194
.LBB168_253:
	v_sub_u32_e32 v8, v28, v2
	v_mov_b32_e32 v9, 0
	v_lshlrev_b64 v[10:11], 3, v[8:9]
	v_add_co_u32_e32 v10, vcc, v6, v10
	v_addc_co_u32_e32 v11, vcc, v7, v11, vcc
	v_mov_b32_e32 v8, v29
	global_store_dwordx2 v[10:11], v[8:9], off
	s_or_b64 exec, exec, s[38:39]
	s_and_saveexec_b64 s[38:39], s[4:5]
	s_cbranch_execz .LBB168_195
.LBB168_254:
	v_sub_u32_e32 v8, v26, v2
	v_mov_b32_e32 v9, 0
	v_lshlrev_b64 v[10:11], 3, v[8:9]
	v_add_co_u32_e32 v10, vcc, v6, v10
	v_addc_co_u32_e32 v11, vcc, v7, v11, vcc
	v_mov_b32_e32 v8, v27
	global_store_dwordx2 v[10:11], v[8:9], off
	s_or_b64 exec, exec, s[38:39]
	s_and_saveexec_b64 s[38:39], s[2:3]
	s_cbranch_execnz .LBB168_196
	s_branch .LBB168_197
.LBB168_255:
	v_sub_u32_e32 v3, v50, v2
	v_lshlrev_b32_e32 v3, 2, v3
	ds_write_b32 v3, v51
	s_or_b64 exec, exec, s[38:39]
	s_and_saveexec_b64 s[28:29], s[26:27]
	s_cbranch_execz .LBB168_201
.LBB168_256:
	v_sub_u32_e32 v3, v48, v2
	v_lshlrev_b32_e32 v3, 2, v3
	ds_write_b32 v3, v49
	s_or_b64 exec, exec, s[28:29]
	s_and_saveexec_b64 s[26:27], s[24:25]
	s_cbranch_execz .LBB168_202
.LBB168_257:
	v_sub_u32_e32 v3, v46, v2
	v_lshlrev_b32_e32 v3, 2, v3
	ds_write_b32 v3, v47
	s_or_b64 exec, exec, s[26:27]
	s_and_saveexec_b64 s[24:25], s[22:23]
	s_cbranch_execz .LBB168_203
.LBB168_258:
	v_sub_u32_e32 v3, v44, v2
	v_lshlrev_b32_e32 v3, 2, v3
	ds_write_b32 v3, v45
	s_or_b64 exec, exec, s[24:25]
	s_and_saveexec_b64 s[22:23], s[20:21]
	s_cbranch_execz .LBB168_204
.LBB168_259:
	v_sub_u32_e32 v3, v42, v2
	v_lshlrev_b32_e32 v3, 2, v3
	ds_write_b32 v3, v43
	s_or_b64 exec, exec, s[22:23]
	s_and_saveexec_b64 s[20:21], s[18:19]
	s_cbranch_execz .LBB168_205
.LBB168_260:
	v_sub_u32_e32 v3, v40, v2
	v_lshlrev_b32_e32 v3, 2, v3
	ds_write_b32 v3, v41
	s_or_b64 exec, exec, s[20:21]
	s_and_saveexec_b64 s[18:19], s[16:17]
	s_cbranch_execz .LBB168_206
.LBB168_261:
	v_sub_u32_e32 v3, v38, v2
	v_lshlrev_b32_e32 v3, 2, v3
	ds_write_b32 v3, v39
	s_or_b64 exec, exec, s[18:19]
	s_and_saveexec_b64 s[16:17], s[14:15]
	s_cbranch_execz .LBB168_207
.LBB168_262:
	v_sub_u32_e32 v3, v36, v2
	v_lshlrev_b32_e32 v3, 2, v3
	ds_write_b32 v3, v37
	s_or_b64 exec, exec, s[16:17]
	s_and_saveexec_b64 s[14:15], s[12:13]
	s_cbranch_execz .LBB168_208
.LBB168_263:
	v_sub_u32_e32 v3, v34, v2
	v_lshlrev_b32_e32 v3, 2, v3
	ds_write_b32 v3, v35
	s_or_b64 exec, exec, s[14:15]
	s_and_saveexec_b64 s[12:13], s[10:11]
	s_cbranch_execz .LBB168_209
.LBB168_264:
	v_sub_u32_e32 v3, v32, v2
	v_lshlrev_b32_e32 v3, 2, v3
	ds_write_b32 v3, v33
	s_or_b64 exec, exec, s[12:13]
	s_and_saveexec_b64 s[10:11], s[8:9]
	s_cbranch_execz .LBB168_210
.LBB168_265:
	v_sub_u32_e32 v3, v30, v2
	v_lshlrev_b32_e32 v3, 2, v3
	ds_write_b32 v3, v31
	s_or_b64 exec, exec, s[10:11]
	s_and_saveexec_b64 s[8:9], s[6:7]
	s_cbranch_execz .LBB168_211
.LBB168_266:
	v_sub_u32_e32 v3, v28, v2
	v_lshlrev_b32_e32 v3, 2, v3
	ds_write_b32 v3, v29
	s_or_b64 exec, exec, s[8:9]
	s_and_saveexec_b64 s[6:7], s[4:5]
	s_cbranch_execz .LBB168_212
.LBB168_267:
	v_sub_u32_e32 v3, v26, v2
	v_lshlrev_b32_e32 v3, 2, v3
	ds_write_b32 v3, v27
	s_or_b64 exec, exec, s[6:7]
	s_and_saveexec_b64 s[4:5], s[2:3]
	s_cbranch_execnz .LBB168_213
	s_branch .LBB168_214
	.section	.rodata,"a",@progbits
	.p2align	6, 0x0
	.amdhsa_kernel _ZN7rocprim17ROCPRIM_400000_NS6detail17trampoline_kernelINS0_14default_configENS1_33run_length_encode_config_selectorIhjNS0_4plusIjEEEEZZNS1_33reduce_by_key_impl_wrapped_configILNS1_25lookback_scan_determinismE0ES3_S7_PKhNS0_17constant_iteratorIjlEEPhPlSF_S6_NS0_8equal_toIhEEEE10hipError_tPvRmT2_T3_mT4_T5_T6_T7_T8_P12ihipStream_tbENKUlT_T0_E_clISt17integral_constantIbLb0EESZ_EEDaSU_SV_EUlSU_E_NS1_11comp_targetILNS1_3genE4ELNS1_11target_archE910ELNS1_3gpuE8ELNS1_3repE0EEENS1_30default_config_static_selectorELNS0_4arch9wavefront6targetE1EEEvT1_
		.amdhsa_group_segment_fixed_size 15360
		.amdhsa_private_segment_fixed_size 0
		.amdhsa_kernarg_size 128
		.amdhsa_user_sgpr_count 6
		.amdhsa_user_sgpr_private_segment_buffer 1
		.amdhsa_user_sgpr_dispatch_ptr 0
		.amdhsa_user_sgpr_queue_ptr 0
		.amdhsa_user_sgpr_kernarg_segment_ptr 1
		.amdhsa_user_sgpr_dispatch_id 0
		.amdhsa_user_sgpr_flat_scratch_init 0
		.amdhsa_user_sgpr_kernarg_preload_length 0
		.amdhsa_user_sgpr_kernarg_preload_offset 0
		.amdhsa_user_sgpr_private_segment_size 0
		.amdhsa_uses_dynamic_stack 0
		.amdhsa_system_sgpr_private_segment_wavefront_offset 0
		.amdhsa_system_sgpr_workgroup_id_x 1
		.amdhsa_system_sgpr_workgroup_id_y 0
		.amdhsa_system_sgpr_workgroup_id_z 0
		.amdhsa_system_sgpr_workgroup_info 0
		.amdhsa_system_vgpr_workitem_id 0
		.amdhsa_next_free_vgpr 115
		.amdhsa_next_free_sgpr 64
		.amdhsa_accum_offset 116
		.amdhsa_reserve_vcc 1
		.amdhsa_reserve_flat_scratch 0
		.amdhsa_float_round_mode_32 0
		.amdhsa_float_round_mode_16_64 0
		.amdhsa_float_denorm_mode_32 3
		.amdhsa_float_denorm_mode_16_64 3
		.amdhsa_dx10_clamp 1
		.amdhsa_ieee_mode 1
		.amdhsa_fp16_overflow 0
		.amdhsa_tg_split 0
		.amdhsa_exception_fp_ieee_invalid_op 0
		.amdhsa_exception_fp_denorm_src 0
		.amdhsa_exception_fp_ieee_div_zero 0
		.amdhsa_exception_fp_ieee_overflow 0
		.amdhsa_exception_fp_ieee_underflow 0
		.amdhsa_exception_fp_ieee_inexact 0
		.amdhsa_exception_int_div_zero 0
	.end_amdhsa_kernel
	.section	.text._ZN7rocprim17ROCPRIM_400000_NS6detail17trampoline_kernelINS0_14default_configENS1_33run_length_encode_config_selectorIhjNS0_4plusIjEEEEZZNS1_33reduce_by_key_impl_wrapped_configILNS1_25lookback_scan_determinismE0ES3_S7_PKhNS0_17constant_iteratorIjlEEPhPlSF_S6_NS0_8equal_toIhEEEE10hipError_tPvRmT2_T3_mT4_T5_T6_T7_T8_P12ihipStream_tbENKUlT_T0_E_clISt17integral_constantIbLb0EESZ_EEDaSU_SV_EUlSU_E_NS1_11comp_targetILNS1_3genE4ELNS1_11target_archE910ELNS1_3gpuE8ELNS1_3repE0EEENS1_30default_config_static_selectorELNS0_4arch9wavefront6targetE1EEEvT1_,"axG",@progbits,_ZN7rocprim17ROCPRIM_400000_NS6detail17trampoline_kernelINS0_14default_configENS1_33run_length_encode_config_selectorIhjNS0_4plusIjEEEEZZNS1_33reduce_by_key_impl_wrapped_configILNS1_25lookback_scan_determinismE0ES3_S7_PKhNS0_17constant_iteratorIjlEEPhPlSF_S6_NS0_8equal_toIhEEEE10hipError_tPvRmT2_T3_mT4_T5_T6_T7_T8_P12ihipStream_tbENKUlT_T0_E_clISt17integral_constantIbLb0EESZ_EEDaSU_SV_EUlSU_E_NS1_11comp_targetILNS1_3genE4ELNS1_11target_archE910ELNS1_3gpuE8ELNS1_3repE0EEENS1_30default_config_static_selectorELNS0_4arch9wavefront6targetE1EEEvT1_,comdat
.Lfunc_end168:
	.size	_ZN7rocprim17ROCPRIM_400000_NS6detail17trampoline_kernelINS0_14default_configENS1_33run_length_encode_config_selectorIhjNS0_4plusIjEEEEZZNS1_33reduce_by_key_impl_wrapped_configILNS1_25lookback_scan_determinismE0ES3_S7_PKhNS0_17constant_iteratorIjlEEPhPlSF_S6_NS0_8equal_toIhEEEE10hipError_tPvRmT2_T3_mT4_T5_T6_T7_T8_P12ihipStream_tbENKUlT_T0_E_clISt17integral_constantIbLb0EESZ_EEDaSU_SV_EUlSU_E_NS1_11comp_targetILNS1_3genE4ELNS1_11target_archE910ELNS1_3gpuE8ELNS1_3repE0EEENS1_30default_config_static_selectorELNS0_4arch9wavefront6targetE1EEEvT1_, .Lfunc_end168-_ZN7rocprim17ROCPRIM_400000_NS6detail17trampoline_kernelINS0_14default_configENS1_33run_length_encode_config_selectorIhjNS0_4plusIjEEEEZZNS1_33reduce_by_key_impl_wrapped_configILNS1_25lookback_scan_determinismE0ES3_S7_PKhNS0_17constant_iteratorIjlEEPhPlSF_S6_NS0_8equal_toIhEEEE10hipError_tPvRmT2_T3_mT4_T5_T6_T7_T8_P12ihipStream_tbENKUlT_T0_E_clISt17integral_constantIbLb0EESZ_EEDaSU_SV_EUlSU_E_NS1_11comp_targetILNS1_3genE4ELNS1_11target_archE910ELNS1_3gpuE8ELNS1_3repE0EEENS1_30default_config_static_selectorELNS0_4arch9wavefront6targetE1EEEvT1_
                                        ; -- End function
	.section	.AMDGPU.csdata,"",@progbits
; Kernel info:
; codeLenInByte = 14500
; NumSgprs: 68
; NumVgprs: 115
; NumAgprs: 0
; TotalNumVgprs: 115
; ScratchSize: 0
; MemoryBound: 0
; FloatMode: 240
; IeeeMode: 1
; LDSByteSize: 15360 bytes/workgroup (compile time only)
; SGPRBlocks: 8
; VGPRBlocks: 14
; NumSGPRsForWavesPerEU: 68
; NumVGPRsForWavesPerEU: 115
; AccumOffset: 116
; Occupancy: 4
; WaveLimiterHint : 1
; COMPUTE_PGM_RSRC2:SCRATCH_EN: 0
; COMPUTE_PGM_RSRC2:USER_SGPR: 6
; COMPUTE_PGM_RSRC2:TRAP_HANDLER: 0
; COMPUTE_PGM_RSRC2:TGID_X_EN: 1
; COMPUTE_PGM_RSRC2:TGID_Y_EN: 0
; COMPUTE_PGM_RSRC2:TGID_Z_EN: 0
; COMPUTE_PGM_RSRC2:TIDIG_COMP_CNT: 0
; COMPUTE_PGM_RSRC3_GFX90A:ACCUM_OFFSET: 28
; COMPUTE_PGM_RSRC3_GFX90A:TG_SPLIT: 0
	.section	.text._ZN7rocprim17ROCPRIM_400000_NS6detail17trampoline_kernelINS0_14default_configENS1_33run_length_encode_config_selectorIhjNS0_4plusIjEEEEZZNS1_33reduce_by_key_impl_wrapped_configILNS1_25lookback_scan_determinismE0ES3_S7_PKhNS0_17constant_iteratorIjlEEPhPlSF_S6_NS0_8equal_toIhEEEE10hipError_tPvRmT2_T3_mT4_T5_T6_T7_T8_P12ihipStream_tbENKUlT_T0_E_clISt17integral_constantIbLb0EESZ_EEDaSU_SV_EUlSU_E_NS1_11comp_targetILNS1_3genE3ELNS1_11target_archE908ELNS1_3gpuE7ELNS1_3repE0EEENS1_30default_config_static_selectorELNS0_4arch9wavefront6targetE1EEEvT1_,"axG",@progbits,_ZN7rocprim17ROCPRIM_400000_NS6detail17trampoline_kernelINS0_14default_configENS1_33run_length_encode_config_selectorIhjNS0_4plusIjEEEEZZNS1_33reduce_by_key_impl_wrapped_configILNS1_25lookback_scan_determinismE0ES3_S7_PKhNS0_17constant_iteratorIjlEEPhPlSF_S6_NS0_8equal_toIhEEEE10hipError_tPvRmT2_T3_mT4_T5_T6_T7_T8_P12ihipStream_tbENKUlT_T0_E_clISt17integral_constantIbLb0EESZ_EEDaSU_SV_EUlSU_E_NS1_11comp_targetILNS1_3genE3ELNS1_11target_archE908ELNS1_3gpuE7ELNS1_3repE0EEENS1_30default_config_static_selectorELNS0_4arch9wavefront6targetE1EEEvT1_,comdat
	.protected	_ZN7rocprim17ROCPRIM_400000_NS6detail17trampoline_kernelINS0_14default_configENS1_33run_length_encode_config_selectorIhjNS0_4plusIjEEEEZZNS1_33reduce_by_key_impl_wrapped_configILNS1_25lookback_scan_determinismE0ES3_S7_PKhNS0_17constant_iteratorIjlEEPhPlSF_S6_NS0_8equal_toIhEEEE10hipError_tPvRmT2_T3_mT4_T5_T6_T7_T8_P12ihipStream_tbENKUlT_T0_E_clISt17integral_constantIbLb0EESZ_EEDaSU_SV_EUlSU_E_NS1_11comp_targetILNS1_3genE3ELNS1_11target_archE908ELNS1_3gpuE7ELNS1_3repE0EEENS1_30default_config_static_selectorELNS0_4arch9wavefront6targetE1EEEvT1_ ; -- Begin function _ZN7rocprim17ROCPRIM_400000_NS6detail17trampoline_kernelINS0_14default_configENS1_33run_length_encode_config_selectorIhjNS0_4plusIjEEEEZZNS1_33reduce_by_key_impl_wrapped_configILNS1_25lookback_scan_determinismE0ES3_S7_PKhNS0_17constant_iteratorIjlEEPhPlSF_S6_NS0_8equal_toIhEEEE10hipError_tPvRmT2_T3_mT4_T5_T6_T7_T8_P12ihipStream_tbENKUlT_T0_E_clISt17integral_constantIbLb0EESZ_EEDaSU_SV_EUlSU_E_NS1_11comp_targetILNS1_3genE3ELNS1_11target_archE908ELNS1_3gpuE7ELNS1_3repE0EEENS1_30default_config_static_selectorELNS0_4arch9wavefront6targetE1EEEvT1_
	.globl	_ZN7rocprim17ROCPRIM_400000_NS6detail17trampoline_kernelINS0_14default_configENS1_33run_length_encode_config_selectorIhjNS0_4plusIjEEEEZZNS1_33reduce_by_key_impl_wrapped_configILNS1_25lookback_scan_determinismE0ES3_S7_PKhNS0_17constant_iteratorIjlEEPhPlSF_S6_NS0_8equal_toIhEEEE10hipError_tPvRmT2_T3_mT4_T5_T6_T7_T8_P12ihipStream_tbENKUlT_T0_E_clISt17integral_constantIbLb0EESZ_EEDaSU_SV_EUlSU_E_NS1_11comp_targetILNS1_3genE3ELNS1_11target_archE908ELNS1_3gpuE7ELNS1_3repE0EEENS1_30default_config_static_selectorELNS0_4arch9wavefront6targetE1EEEvT1_
	.p2align	8
	.type	_ZN7rocprim17ROCPRIM_400000_NS6detail17trampoline_kernelINS0_14default_configENS1_33run_length_encode_config_selectorIhjNS0_4plusIjEEEEZZNS1_33reduce_by_key_impl_wrapped_configILNS1_25lookback_scan_determinismE0ES3_S7_PKhNS0_17constant_iteratorIjlEEPhPlSF_S6_NS0_8equal_toIhEEEE10hipError_tPvRmT2_T3_mT4_T5_T6_T7_T8_P12ihipStream_tbENKUlT_T0_E_clISt17integral_constantIbLb0EESZ_EEDaSU_SV_EUlSU_E_NS1_11comp_targetILNS1_3genE3ELNS1_11target_archE908ELNS1_3gpuE7ELNS1_3repE0EEENS1_30default_config_static_selectorELNS0_4arch9wavefront6targetE1EEEvT1_,@function
_ZN7rocprim17ROCPRIM_400000_NS6detail17trampoline_kernelINS0_14default_configENS1_33run_length_encode_config_selectorIhjNS0_4plusIjEEEEZZNS1_33reduce_by_key_impl_wrapped_configILNS1_25lookback_scan_determinismE0ES3_S7_PKhNS0_17constant_iteratorIjlEEPhPlSF_S6_NS0_8equal_toIhEEEE10hipError_tPvRmT2_T3_mT4_T5_T6_T7_T8_P12ihipStream_tbENKUlT_T0_E_clISt17integral_constantIbLb0EESZ_EEDaSU_SV_EUlSU_E_NS1_11comp_targetILNS1_3genE3ELNS1_11target_archE908ELNS1_3gpuE7ELNS1_3repE0EEENS1_30default_config_static_selectorELNS0_4arch9wavefront6targetE1EEEvT1_: ; @_ZN7rocprim17ROCPRIM_400000_NS6detail17trampoline_kernelINS0_14default_configENS1_33run_length_encode_config_selectorIhjNS0_4plusIjEEEEZZNS1_33reduce_by_key_impl_wrapped_configILNS1_25lookback_scan_determinismE0ES3_S7_PKhNS0_17constant_iteratorIjlEEPhPlSF_S6_NS0_8equal_toIhEEEE10hipError_tPvRmT2_T3_mT4_T5_T6_T7_T8_P12ihipStream_tbENKUlT_T0_E_clISt17integral_constantIbLb0EESZ_EEDaSU_SV_EUlSU_E_NS1_11comp_targetILNS1_3genE3ELNS1_11target_archE908ELNS1_3gpuE7ELNS1_3repE0EEENS1_30default_config_static_selectorELNS0_4arch9wavefront6targetE1EEEvT1_
; %bb.0:
	.section	.rodata,"a",@progbits
	.p2align	6, 0x0
	.amdhsa_kernel _ZN7rocprim17ROCPRIM_400000_NS6detail17trampoline_kernelINS0_14default_configENS1_33run_length_encode_config_selectorIhjNS0_4plusIjEEEEZZNS1_33reduce_by_key_impl_wrapped_configILNS1_25lookback_scan_determinismE0ES3_S7_PKhNS0_17constant_iteratorIjlEEPhPlSF_S6_NS0_8equal_toIhEEEE10hipError_tPvRmT2_T3_mT4_T5_T6_T7_T8_P12ihipStream_tbENKUlT_T0_E_clISt17integral_constantIbLb0EESZ_EEDaSU_SV_EUlSU_E_NS1_11comp_targetILNS1_3genE3ELNS1_11target_archE908ELNS1_3gpuE7ELNS1_3repE0EEENS1_30default_config_static_selectorELNS0_4arch9wavefront6targetE1EEEvT1_
		.amdhsa_group_segment_fixed_size 0
		.amdhsa_private_segment_fixed_size 0
		.amdhsa_kernarg_size 128
		.amdhsa_user_sgpr_count 6
		.amdhsa_user_sgpr_private_segment_buffer 1
		.amdhsa_user_sgpr_dispatch_ptr 0
		.amdhsa_user_sgpr_queue_ptr 0
		.amdhsa_user_sgpr_kernarg_segment_ptr 1
		.amdhsa_user_sgpr_dispatch_id 0
		.amdhsa_user_sgpr_flat_scratch_init 0
		.amdhsa_user_sgpr_kernarg_preload_length 0
		.amdhsa_user_sgpr_kernarg_preload_offset 0
		.amdhsa_user_sgpr_private_segment_size 0
		.amdhsa_uses_dynamic_stack 0
		.amdhsa_system_sgpr_private_segment_wavefront_offset 0
		.amdhsa_system_sgpr_workgroup_id_x 1
		.amdhsa_system_sgpr_workgroup_id_y 0
		.amdhsa_system_sgpr_workgroup_id_z 0
		.amdhsa_system_sgpr_workgroup_info 0
		.amdhsa_system_vgpr_workitem_id 0
		.amdhsa_next_free_vgpr 1
		.amdhsa_next_free_sgpr 0
		.amdhsa_accum_offset 4
		.amdhsa_reserve_vcc 0
		.amdhsa_reserve_flat_scratch 0
		.amdhsa_float_round_mode_32 0
		.amdhsa_float_round_mode_16_64 0
		.amdhsa_float_denorm_mode_32 3
		.amdhsa_float_denorm_mode_16_64 3
		.amdhsa_dx10_clamp 1
		.amdhsa_ieee_mode 1
		.amdhsa_fp16_overflow 0
		.amdhsa_tg_split 0
		.amdhsa_exception_fp_ieee_invalid_op 0
		.amdhsa_exception_fp_denorm_src 0
		.amdhsa_exception_fp_ieee_div_zero 0
		.amdhsa_exception_fp_ieee_overflow 0
		.amdhsa_exception_fp_ieee_underflow 0
		.amdhsa_exception_fp_ieee_inexact 0
		.amdhsa_exception_int_div_zero 0
	.end_amdhsa_kernel
	.section	.text._ZN7rocprim17ROCPRIM_400000_NS6detail17trampoline_kernelINS0_14default_configENS1_33run_length_encode_config_selectorIhjNS0_4plusIjEEEEZZNS1_33reduce_by_key_impl_wrapped_configILNS1_25lookback_scan_determinismE0ES3_S7_PKhNS0_17constant_iteratorIjlEEPhPlSF_S6_NS0_8equal_toIhEEEE10hipError_tPvRmT2_T3_mT4_T5_T6_T7_T8_P12ihipStream_tbENKUlT_T0_E_clISt17integral_constantIbLb0EESZ_EEDaSU_SV_EUlSU_E_NS1_11comp_targetILNS1_3genE3ELNS1_11target_archE908ELNS1_3gpuE7ELNS1_3repE0EEENS1_30default_config_static_selectorELNS0_4arch9wavefront6targetE1EEEvT1_,"axG",@progbits,_ZN7rocprim17ROCPRIM_400000_NS6detail17trampoline_kernelINS0_14default_configENS1_33run_length_encode_config_selectorIhjNS0_4plusIjEEEEZZNS1_33reduce_by_key_impl_wrapped_configILNS1_25lookback_scan_determinismE0ES3_S7_PKhNS0_17constant_iteratorIjlEEPhPlSF_S6_NS0_8equal_toIhEEEE10hipError_tPvRmT2_T3_mT4_T5_T6_T7_T8_P12ihipStream_tbENKUlT_T0_E_clISt17integral_constantIbLb0EESZ_EEDaSU_SV_EUlSU_E_NS1_11comp_targetILNS1_3genE3ELNS1_11target_archE908ELNS1_3gpuE7ELNS1_3repE0EEENS1_30default_config_static_selectorELNS0_4arch9wavefront6targetE1EEEvT1_,comdat
.Lfunc_end169:
	.size	_ZN7rocprim17ROCPRIM_400000_NS6detail17trampoline_kernelINS0_14default_configENS1_33run_length_encode_config_selectorIhjNS0_4plusIjEEEEZZNS1_33reduce_by_key_impl_wrapped_configILNS1_25lookback_scan_determinismE0ES3_S7_PKhNS0_17constant_iteratorIjlEEPhPlSF_S6_NS0_8equal_toIhEEEE10hipError_tPvRmT2_T3_mT4_T5_T6_T7_T8_P12ihipStream_tbENKUlT_T0_E_clISt17integral_constantIbLb0EESZ_EEDaSU_SV_EUlSU_E_NS1_11comp_targetILNS1_3genE3ELNS1_11target_archE908ELNS1_3gpuE7ELNS1_3repE0EEENS1_30default_config_static_selectorELNS0_4arch9wavefront6targetE1EEEvT1_, .Lfunc_end169-_ZN7rocprim17ROCPRIM_400000_NS6detail17trampoline_kernelINS0_14default_configENS1_33run_length_encode_config_selectorIhjNS0_4plusIjEEEEZZNS1_33reduce_by_key_impl_wrapped_configILNS1_25lookback_scan_determinismE0ES3_S7_PKhNS0_17constant_iteratorIjlEEPhPlSF_S6_NS0_8equal_toIhEEEE10hipError_tPvRmT2_T3_mT4_T5_T6_T7_T8_P12ihipStream_tbENKUlT_T0_E_clISt17integral_constantIbLb0EESZ_EEDaSU_SV_EUlSU_E_NS1_11comp_targetILNS1_3genE3ELNS1_11target_archE908ELNS1_3gpuE7ELNS1_3repE0EEENS1_30default_config_static_selectorELNS0_4arch9wavefront6targetE1EEEvT1_
                                        ; -- End function
	.section	.AMDGPU.csdata,"",@progbits
; Kernel info:
; codeLenInByte = 0
; NumSgprs: 4
; NumVgprs: 0
; NumAgprs: 0
; TotalNumVgprs: 0
; ScratchSize: 0
; MemoryBound: 0
; FloatMode: 240
; IeeeMode: 1
; LDSByteSize: 0 bytes/workgroup (compile time only)
; SGPRBlocks: 0
; VGPRBlocks: 0
; NumSGPRsForWavesPerEU: 4
; NumVGPRsForWavesPerEU: 1
; AccumOffset: 4
; Occupancy: 8
; WaveLimiterHint : 0
; COMPUTE_PGM_RSRC2:SCRATCH_EN: 0
; COMPUTE_PGM_RSRC2:USER_SGPR: 6
; COMPUTE_PGM_RSRC2:TRAP_HANDLER: 0
; COMPUTE_PGM_RSRC2:TGID_X_EN: 1
; COMPUTE_PGM_RSRC2:TGID_Y_EN: 0
; COMPUTE_PGM_RSRC2:TGID_Z_EN: 0
; COMPUTE_PGM_RSRC2:TIDIG_COMP_CNT: 0
; COMPUTE_PGM_RSRC3_GFX90A:ACCUM_OFFSET: 0
; COMPUTE_PGM_RSRC3_GFX90A:TG_SPLIT: 0
	.section	.text._ZN7rocprim17ROCPRIM_400000_NS6detail17trampoline_kernelINS0_14default_configENS1_33run_length_encode_config_selectorIhjNS0_4plusIjEEEEZZNS1_33reduce_by_key_impl_wrapped_configILNS1_25lookback_scan_determinismE0ES3_S7_PKhNS0_17constant_iteratorIjlEEPhPlSF_S6_NS0_8equal_toIhEEEE10hipError_tPvRmT2_T3_mT4_T5_T6_T7_T8_P12ihipStream_tbENKUlT_T0_E_clISt17integral_constantIbLb0EESZ_EEDaSU_SV_EUlSU_E_NS1_11comp_targetILNS1_3genE2ELNS1_11target_archE906ELNS1_3gpuE6ELNS1_3repE0EEENS1_30default_config_static_selectorELNS0_4arch9wavefront6targetE1EEEvT1_,"axG",@progbits,_ZN7rocprim17ROCPRIM_400000_NS6detail17trampoline_kernelINS0_14default_configENS1_33run_length_encode_config_selectorIhjNS0_4plusIjEEEEZZNS1_33reduce_by_key_impl_wrapped_configILNS1_25lookback_scan_determinismE0ES3_S7_PKhNS0_17constant_iteratorIjlEEPhPlSF_S6_NS0_8equal_toIhEEEE10hipError_tPvRmT2_T3_mT4_T5_T6_T7_T8_P12ihipStream_tbENKUlT_T0_E_clISt17integral_constantIbLb0EESZ_EEDaSU_SV_EUlSU_E_NS1_11comp_targetILNS1_3genE2ELNS1_11target_archE906ELNS1_3gpuE6ELNS1_3repE0EEENS1_30default_config_static_selectorELNS0_4arch9wavefront6targetE1EEEvT1_,comdat
	.protected	_ZN7rocprim17ROCPRIM_400000_NS6detail17trampoline_kernelINS0_14default_configENS1_33run_length_encode_config_selectorIhjNS0_4plusIjEEEEZZNS1_33reduce_by_key_impl_wrapped_configILNS1_25lookback_scan_determinismE0ES3_S7_PKhNS0_17constant_iteratorIjlEEPhPlSF_S6_NS0_8equal_toIhEEEE10hipError_tPvRmT2_T3_mT4_T5_T6_T7_T8_P12ihipStream_tbENKUlT_T0_E_clISt17integral_constantIbLb0EESZ_EEDaSU_SV_EUlSU_E_NS1_11comp_targetILNS1_3genE2ELNS1_11target_archE906ELNS1_3gpuE6ELNS1_3repE0EEENS1_30default_config_static_selectorELNS0_4arch9wavefront6targetE1EEEvT1_ ; -- Begin function _ZN7rocprim17ROCPRIM_400000_NS6detail17trampoline_kernelINS0_14default_configENS1_33run_length_encode_config_selectorIhjNS0_4plusIjEEEEZZNS1_33reduce_by_key_impl_wrapped_configILNS1_25lookback_scan_determinismE0ES3_S7_PKhNS0_17constant_iteratorIjlEEPhPlSF_S6_NS0_8equal_toIhEEEE10hipError_tPvRmT2_T3_mT4_T5_T6_T7_T8_P12ihipStream_tbENKUlT_T0_E_clISt17integral_constantIbLb0EESZ_EEDaSU_SV_EUlSU_E_NS1_11comp_targetILNS1_3genE2ELNS1_11target_archE906ELNS1_3gpuE6ELNS1_3repE0EEENS1_30default_config_static_selectorELNS0_4arch9wavefront6targetE1EEEvT1_
	.globl	_ZN7rocprim17ROCPRIM_400000_NS6detail17trampoline_kernelINS0_14default_configENS1_33run_length_encode_config_selectorIhjNS0_4plusIjEEEEZZNS1_33reduce_by_key_impl_wrapped_configILNS1_25lookback_scan_determinismE0ES3_S7_PKhNS0_17constant_iteratorIjlEEPhPlSF_S6_NS0_8equal_toIhEEEE10hipError_tPvRmT2_T3_mT4_T5_T6_T7_T8_P12ihipStream_tbENKUlT_T0_E_clISt17integral_constantIbLb0EESZ_EEDaSU_SV_EUlSU_E_NS1_11comp_targetILNS1_3genE2ELNS1_11target_archE906ELNS1_3gpuE6ELNS1_3repE0EEENS1_30default_config_static_selectorELNS0_4arch9wavefront6targetE1EEEvT1_
	.p2align	8
	.type	_ZN7rocprim17ROCPRIM_400000_NS6detail17trampoline_kernelINS0_14default_configENS1_33run_length_encode_config_selectorIhjNS0_4plusIjEEEEZZNS1_33reduce_by_key_impl_wrapped_configILNS1_25lookback_scan_determinismE0ES3_S7_PKhNS0_17constant_iteratorIjlEEPhPlSF_S6_NS0_8equal_toIhEEEE10hipError_tPvRmT2_T3_mT4_T5_T6_T7_T8_P12ihipStream_tbENKUlT_T0_E_clISt17integral_constantIbLb0EESZ_EEDaSU_SV_EUlSU_E_NS1_11comp_targetILNS1_3genE2ELNS1_11target_archE906ELNS1_3gpuE6ELNS1_3repE0EEENS1_30default_config_static_selectorELNS0_4arch9wavefront6targetE1EEEvT1_,@function
_ZN7rocprim17ROCPRIM_400000_NS6detail17trampoline_kernelINS0_14default_configENS1_33run_length_encode_config_selectorIhjNS0_4plusIjEEEEZZNS1_33reduce_by_key_impl_wrapped_configILNS1_25lookback_scan_determinismE0ES3_S7_PKhNS0_17constant_iteratorIjlEEPhPlSF_S6_NS0_8equal_toIhEEEE10hipError_tPvRmT2_T3_mT4_T5_T6_T7_T8_P12ihipStream_tbENKUlT_T0_E_clISt17integral_constantIbLb0EESZ_EEDaSU_SV_EUlSU_E_NS1_11comp_targetILNS1_3genE2ELNS1_11target_archE906ELNS1_3gpuE6ELNS1_3repE0EEENS1_30default_config_static_selectorELNS0_4arch9wavefront6targetE1EEEvT1_: ; @_ZN7rocprim17ROCPRIM_400000_NS6detail17trampoline_kernelINS0_14default_configENS1_33run_length_encode_config_selectorIhjNS0_4plusIjEEEEZZNS1_33reduce_by_key_impl_wrapped_configILNS1_25lookback_scan_determinismE0ES3_S7_PKhNS0_17constant_iteratorIjlEEPhPlSF_S6_NS0_8equal_toIhEEEE10hipError_tPvRmT2_T3_mT4_T5_T6_T7_T8_P12ihipStream_tbENKUlT_T0_E_clISt17integral_constantIbLb0EESZ_EEDaSU_SV_EUlSU_E_NS1_11comp_targetILNS1_3genE2ELNS1_11target_archE906ELNS1_3gpuE6ELNS1_3repE0EEENS1_30default_config_static_selectorELNS0_4arch9wavefront6targetE1EEEvT1_
; %bb.0:
	.section	.rodata,"a",@progbits
	.p2align	6, 0x0
	.amdhsa_kernel _ZN7rocprim17ROCPRIM_400000_NS6detail17trampoline_kernelINS0_14default_configENS1_33run_length_encode_config_selectorIhjNS0_4plusIjEEEEZZNS1_33reduce_by_key_impl_wrapped_configILNS1_25lookback_scan_determinismE0ES3_S7_PKhNS0_17constant_iteratorIjlEEPhPlSF_S6_NS0_8equal_toIhEEEE10hipError_tPvRmT2_T3_mT4_T5_T6_T7_T8_P12ihipStream_tbENKUlT_T0_E_clISt17integral_constantIbLb0EESZ_EEDaSU_SV_EUlSU_E_NS1_11comp_targetILNS1_3genE2ELNS1_11target_archE906ELNS1_3gpuE6ELNS1_3repE0EEENS1_30default_config_static_selectorELNS0_4arch9wavefront6targetE1EEEvT1_
		.amdhsa_group_segment_fixed_size 0
		.amdhsa_private_segment_fixed_size 0
		.amdhsa_kernarg_size 128
		.amdhsa_user_sgpr_count 6
		.amdhsa_user_sgpr_private_segment_buffer 1
		.amdhsa_user_sgpr_dispatch_ptr 0
		.amdhsa_user_sgpr_queue_ptr 0
		.amdhsa_user_sgpr_kernarg_segment_ptr 1
		.amdhsa_user_sgpr_dispatch_id 0
		.amdhsa_user_sgpr_flat_scratch_init 0
		.amdhsa_user_sgpr_kernarg_preload_length 0
		.amdhsa_user_sgpr_kernarg_preload_offset 0
		.amdhsa_user_sgpr_private_segment_size 0
		.amdhsa_uses_dynamic_stack 0
		.amdhsa_system_sgpr_private_segment_wavefront_offset 0
		.amdhsa_system_sgpr_workgroup_id_x 1
		.amdhsa_system_sgpr_workgroup_id_y 0
		.amdhsa_system_sgpr_workgroup_id_z 0
		.amdhsa_system_sgpr_workgroup_info 0
		.amdhsa_system_vgpr_workitem_id 0
		.amdhsa_next_free_vgpr 1
		.amdhsa_next_free_sgpr 0
		.amdhsa_accum_offset 4
		.amdhsa_reserve_vcc 0
		.amdhsa_reserve_flat_scratch 0
		.amdhsa_float_round_mode_32 0
		.amdhsa_float_round_mode_16_64 0
		.amdhsa_float_denorm_mode_32 3
		.amdhsa_float_denorm_mode_16_64 3
		.amdhsa_dx10_clamp 1
		.amdhsa_ieee_mode 1
		.amdhsa_fp16_overflow 0
		.amdhsa_tg_split 0
		.amdhsa_exception_fp_ieee_invalid_op 0
		.amdhsa_exception_fp_denorm_src 0
		.amdhsa_exception_fp_ieee_div_zero 0
		.amdhsa_exception_fp_ieee_overflow 0
		.amdhsa_exception_fp_ieee_underflow 0
		.amdhsa_exception_fp_ieee_inexact 0
		.amdhsa_exception_int_div_zero 0
	.end_amdhsa_kernel
	.section	.text._ZN7rocprim17ROCPRIM_400000_NS6detail17trampoline_kernelINS0_14default_configENS1_33run_length_encode_config_selectorIhjNS0_4plusIjEEEEZZNS1_33reduce_by_key_impl_wrapped_configILNS1_25lookback_scan_determinismE0ES3_S7_PKhNS0_17constant_iteratorIjlEEPhPlSF_S6_NS0_8equal_toIhEEEE10hipError_tPvRmT2_T3_mT4_T5_T6_T7_T8_P12ihipStream_tbENKUlT_T0_E_clISt17integral_constantIbLb0EESZ_EEDaSU_SV_EUlSU_E_NS1_11comp_targetILNS1_3genE2ELNS1_11target_archE906ELNS1_3gpuE6ELNS1_3repE0EEENS1_30default_config_static_selectorELNS0_4arch9wavefront6targetE1EEEvT1_,"axG",@progbits,_ZN7rocprim17ROCPRIM_400000_NS6detail17trampoline_kernelINS0_14default_configENS1_33run_length_encode_config_selectorIhjNS0_4plusIjEEEEZZNS1_33reduce_by_key_impl_wrapped_configILNS1_25lookback_scan_determinismE0ES3_S7_PKhNS0_17constant_iteratorIjlEEPhPlSF_S6_NS0_8equal_toIhEEEE10hipError_tPvRmT2_T3_mT4_T5_T6_T7_T8_P12ihipStream_tbENKUlT_T0_E_clISt17integral_constantIbLb0EESZ_EEDaSU_SV_EUlSU_E_NS1_11comp_targetILNS1_3genE2ELNS1_11target_archE906ELNS1_3gpuE6ELNS1_3repE0EEENS1_30default_config_static_selectorELNS0_4arch9wavefront6targetE1EEEvT1_,comdat
.Lfunc_end170:
	.size	_ZN7rocprim17ROCPRIM_400000_NS6detail17trampoline_kernelINS0_14default_configENS1_33run_length_encode_config_selectorIhjNS0_4plusIjEEEEZZNS1_33reduce_by_key_impl_wrapped_configILNS1_25lookback_scan_determinismE0ES3_S7_PKhNS0_17constant_iteratorIjlEEPhPlSF_S6_NS0_8equal_toIhEEEE10hipError_tPvRmT2_T3_mT4_T5_T6_T7_T8_P12ihipStream_tbENKUlT_T0_E_clISt17integral_constantIbLb0EESZ_EEDaSU_SV_EUlSU_E_NS1_11comp_targetILNS1_3genE2ELNS1_11target_archE906ELNS1_3gpuE6ELNS1_3repE0EEENS1_30default_config_static_selectorELNS0_4arch9wavefront6targetE1EEEvT1_, .Lfunc_end170-_ZN7rocprim17ROCPRIM_400000_NS6detail17trampoline_kernelINS0_14default_configENS1_33run_length_encode_config_selectorIhjNS0_4plusIjEEEEZZNS1_33reduce_by_key_impl_wrapped_configILNS1_25lookback_scan_determinismE0ES3_S7_PKhNS0_17constant_iteratorIjlEEPhPlSF_S6_NS0_8equal_toIhEEEE10hipError_tPvRmT2_T3_mT4_T5_T6_T7_T8_P12ihipStream_tbENKUlT_T0_E_clISt17integral_constantIbLb0EESZ_EEDaSU_SV_EUlSU_E_NS1_11comp_targetILNS1_3genE2ELNS1_11target_archE906ELNS1_3gpuE6ELNS1_3repE0EEENS1_30default_config_static_selectorELNS0_4arch9wavefront6targetE1EEEvT1_
                                        ; -- End function
	.section	.AMDGPU.csdata,"",@progbits
; Kernel info:
; codeLenInByte = 0
; NumSgprs: 4
; NumVgprs: 0
; NumAgprs: 0
; TotalNumVgprs: 0
; ScratchSize: 0
; MemoryBound: 0
; FloatMode: 240
; IeeeMode: 1
; LDSByteSize: 0 bytes/workgroup (compile time only)
; SGPRBlocks: 0
; VGPRBlocks: 0
; NumSGPRsForWavesPerEU: 4
; NumVGPRsForWavesPerEU: 1
; AccumOffset: 4
; Occupancy: 8
; WaveLimiterHint : 0
; COMPUTE_PGM_RSRC2:SCRATCH_EN: 0
; COMPUTE_PGM_RSRC2:USER_SGPR: 6
; COMPUTE_PGM_RSRC2:TRAP_HANDLER: 0
; COMPUTE_PGM_RSRC2:TGID_X_EN: 1
; COMPUTE_PGM_RSRC2:TGID_Y_EN: 0
; COMPUTE_PGM_RSRC2:TGID_Z_EN: 0
; COMPUTE_PGM_RSRC2:TIDIG_COMP_CNT: 0
; COMPUTE_PGM_RSRC3_GFX90A:ACCUM_OFFSET: 0
; COMPUTE_PGM_RSRC3_GFX90A:TG_SPLIT: 0
	.section	.text._ZN7rocprim17ROCPRIM_400000_NS6detail17trampoline_kernelINS0_14default_configENS1_33run_length_encode_config_selectorIhjNS0_4plusIjEEEEZZNS1_33reduce_by_key_impl_wrapped_configILNS1_25lookback_scan_determinismE0ES3_S7_PKhNS0_17constant_iteratorIjlEEPhPlSF_S6_NS0_8equal_toIhEEEE10hipError_tPvRmT2_T3_mT4_T5_T6_T7_T8_P12ihipStream_tbENKUlT_T0_E_clISt17integral_constantIbLb0EESZ_EEDaSU_SV_EUlSU_E_NS1_11comp_targetILNS1_3genE10ELNS1_11target_archE1201ELNS1_3gpuE5ELNS1_3repE0EEENS1_30default_config_static_selectorELNS0_4arch9wavefront6targetE1EEEvT1_,"axG",@progbits,_ZN7rocprim17ROCPRIM_400000_NS6detail17trampoline_kernelINS0_14default_configENS1_33run_length_encode_config_selectorIhjNS0_4plusIjEEEEZZNS1_33reduce_by_key_impl_wrapped_configILNS1_25lookback_scan_determinismE0ES3_S7_PKhNS0_17constant_iteratorIjlEEPhPlSF_S6_NS0_8equal_toIhEEEE10hipError_tPvRmT2_T3_mT4_T5_T6_T7_T8_P12ihipStream_tbENKUlT_T0_E_clISt17integral_constantIbLb0EESZ_EEDaSU_SV_EUlSU_E_NS1_11comp_targetILNS1_3genE10ELNS1_11target_archE1201ELNS1_3gpuE5ELNS1_3repE0EEENS1_30default_config_static_selectorELNS0_4arch9wavefront6targetE1EEEvT1_,comdat
	.protected	_ZN7rocprim17ROCPRIM_400000_NS6detail17trampoline_kernelINS0_14default_configENS1_33run_length_encode_config_selectorIhjNS0_4plusIjEEEEZZNS1_33reduce_by_key_impl_wrapped_configILNS1_25lookback_scan_determinismE0ES3_S7_PKhNS0_17constant_iteratorIjlEEPhPlSF_S6_NS0_8equal_toIhEEEE10hipError_tPvRmT2_T3_mT4_T5_T6_T7_T8_P12ihipStream_tbENKUlT_T0_E_clISt17integral_constantIbLb0EESZ_EEDaSU_SV_EUlSU_E_NS1_11comp_targetILNS1_3genE10ELNS1_11target_archE1201ELNS1_3gpuE5ELNS1_3repE0EEENS1_30default_config_static_selectorELNS0_4arch9wavefront6targetE1EEEvT1_ ; -- Begin function _ZN7rocprim17ROCPRIM_400000_NS6detail17trampoline_kernelINS0_14default_configENS1_33run_length_encode_config_selectorIhjNS0_4plusIjEEEEZZNS1_33reduce_by_key_impl_wrapped_configILNS1_25lookback_scan_determinismE0ES3_S7_PKhNS0_17constant_iteratorIjlEEPhPlSF_S6_NS0_8equal_toIhEEEE10hipError_tPvRmT2_T3_mT4_T5_T6_T7_T8_P12ihipStream_tbENKUlT_T0_E_clISt17integral_constantIbLb0EESZ_EEDaSU_SV_EUlSU_E_NS1_11comp_targetILNS1_3genE10ELNS1_11target_archE1201ELNS1_3gpuE5ELNS1_3repE0EEENS1_30default_config_static_selectorELNS0_4arch9wavefront6targetE1EEEvT1_
	.globl	_ZN7rocprim17ROCPRIM_400000_NS6detail17trampoline_kernelINS0_14default_configENS1_33run_length_encode_config_selectorIhjNS0_4plusIjEEEEZZNS1_33reduce_by_key_impl_wrapped_configILNS1_25lookback_scan_determinismE0ES3_S7_PKhNS0_17constant_iteratorIjlEEPhPlSF_S6_NS0_8equal_toIhEEEE10hipError_tPvRmT2_T3_mT4_T5_T6_T7_T8_P12ihipStream_tbENKUlT_T0_E_clISt17integral_constantIbLb0EESZ_EEDaSU_SV_EUlSU_E_NS1_11comp_targetILNS1_3genE10ELNS1_11target_archE1201ELNS1_3gpuE5ELNS1_3repE0EEENS1_30default_config_static_selectorELNS0_4arch9wavefront6targetE1EEEvT1_
	.p2align	8
	.type	_ZN7rocprim17ROCPRIM_400000_NS6detail17trampoline_kernelINS0_14default_configENS1_33run_length_encode_config_selectorIhjNS0_4plusIjEEEEZZNS1_33reduce_by_key_impl_wrapped_configILNS1_25lookback_scan_determinismE0ES3_S7_PKhNS0_17constant_iteratorIjlEEPhPlSF_S6_NS0_8equal_toIhEEEE10hipError_tPvRmT2_T3_mT4_T5_T6_T7_T8_P12ihipStream_tbENKUlT_T0_E_clISt17integral_constantIbLb0EESZ_EEDaSU_SV_EUlSU_E_NS1_11comp_targetILNS1_3genE10ELNS1_11target_archE1201ELNS1_3gpuE5ELNS1_3repE0EEENS1_30default_config_static_selectorELNS0_4arch9wavefront6targetE1EEEvT1_,@function
_ZN7rocprim17ROCPRIM_400000_NS6detail17trampoline_kernelINS0_14default_configENS1_33run_length_encode_config_selectorIhjNS0_4plusIjEEEEZZNS1_33reduce_by_key_impl_wrapped_configILNS1_25lookback_scan_determinismE0ES3_S7_PKhNS0_17constant_iteratorIjlEEPhPlSF_S6_NS0_8equal_toIhEEEE10hipError_tPvRmT2_T3_mT4_T5_T6_T7_T8_P12ihipStream_tbENKUlT_T0_E_clISt17integral_constantIbLb0EESZ_EEDaSU_SV_EUlSU_E_NS1_11comp_targetILNS1_3genE10ELNS1_11target_archE1201ELNS1_3gpuE5ELNS1_3repE0EEENS1_30default_config_static_selectorELNS0_4arch9wavefront6targetE1EEEvT1_: ; @_ZN7rocprim17ROCPRIM_400000_NS6detail17trampoline_kernelINS0_14default_configENS1_33run_length_encode_config_selectorIhjNS0_4plusIjEEEEZZNS1_33reduce_by_key_impl_wrapped_configILNS1_25lookback_scan_determinismE0ES3_S7_PKhNS0_17constant_iteratorIjlEEPhPlSF_S6_NS0_8equal_toIhEEEE10hipError_tPvRmT2_T3_mT4_T5_T6_T7_T8_P12ihipStream_tbENKUlT_T0_E_clISt17integral_constantIbLb0EESZ_EEDaSU_SV_EUlSU_E_NS1_11comp_targetILNS1_3genE10ELNS1_11target_archE1201ELNS1_3gpuE5ELNS1_3repE0EEENS1_30default_config_static_selectorELNS0_4arch9wavefront6targetE1EEEvT1_
; %bb.0:
	.section	.rodata,"a",@progbits
	.p2align	6, 0x0
	.amdhsa_kernel _ZN7rocprim17ROCPRIM_400000_NS6detail17trampoline_kernelINS0_14default_configENS1_33run_length_encode_config_selectorIhjNS0_4plusIjEEEEZZNS1_33reduce_by_key_impl_wrapped_configILNS1_25lookback_scan_determinismE0ES3_S7_PKhNS0_17constant_iteratorIjlEEPhPlSF_S6_NS0_8equal_toIhEEEE10hipError_tPvRmT2_T3_mT4_T5_T6_T7_T8_P12ihipStream_tbENKUlT_T0_E_clISt17integral_constantIbLb0EESZ_EEDaSU_SV_EUlSU_E_NS1_11comp_targetILNS1_3genE10ELNS1_11target_archE1201ELNS1_3gpuE5ELNS1_3repE0EEENS1_30default_config_static_selectorELNS0_4arch9wavefront6targetE1EEEvT1_
		.amdhsa_group_segment_fixed_size 0
		.amdhsa_private_segment_fixed_size 0
		.amdhsa_kernarg_size 128
		.amdhsa_user_sgpr_count 6
		.amdhsa_user_sgpr_private_segment_buffer 1
		.amdhsa_user_sgpr_dispatch_ptr 0
		.amdhsa_user_sgpr_queue_ptr 0
		.amdhsa_user_sgpr_kernarg_segment_ptr 1
		.amdhsa_user_sgpr_dispatch_id 0
		.amdhsa_user_sgpr_flat_scratch_init 0
		.amdhsa_user_sgpr_kernarg_preload_length 0
		.amdhsa_user_sgpr_kernarg_preload_offset 0
		.amdhsa_user_sgpr_private_segment_size 0
		.amdhsa_uses_dynamic_stack 0
		.amdhsa_system_sgpr_private_segment_wavefront_offset 0
		.amdhsa_system_sgpr_workgroup_id_x 1
		.amdhsa_system_sgpr_workgroup_id_y 0
		.amdhsa_system_sgpr_workgroup_id_z 0
		.amdhsa_system_sgpr_workgroup_info 0
		.amdhsa_system_vgpr_workitem_id 0
		.amdhsa_next_free_vgpr 1
		.amdhsa_next_free_sgpr 0
		.amdhsa_accum_offset 4
		.amdhsa_reserve_vcc 0
		.amdhsa_reserve_flat_scratch 0
		.amdhsa_float_round_mode_32 0
		.amdhsa_float_round_mode_16_64 0
		.amdhsa_float_denorm_mode_32 3
		.amdhsa_float_denorm_mode_16_64 3
		.amdhsa_dx10_clamp 1
		.amdhsa_ieee_mode 1
		.amdhsa_fp16_overflow 0
		.amdhsa_tg_split 0
		.amdhsa_exception_fp_ieee_invalid_op 0
		.amdhsa_exception_fp_denorm_src 0
		.amdhsa_exception_fp_ieee_div_zero 0
		.amdhsa_exception_fp_ieee_overflow 0
		.amdhsa_exception_fp_ieee_underflow 0
		.amdhsa_exception_fp_ieee_inexact 0
		.amdhsa_exception_int_div_zero 0
	.end_amdhsa_kernel
	.section	.text._ZN7rocprim17ROCPRIM_400000_NS6detail17trampoline_kernelINS0_14default_configENS1_33run_length_encode_config_selectorIhjNS0_4plusIjEEEEZZNS1_33reduce_by_key_impl_wrapped_configILNS1_25lookback_scan_determinismE0ES3_S7_PKhNS0_17constant_iteratorIjlEEPhPlSF_S6_NS0_8equal_toIhEEEE10hipError_tPvRmT2_T3_mT4_T5_T6_T7_T8_P12ihipStream_tbENKUlT_T0_E_clISt17integral_constantIbLb0EESZ_EEDaSU_SV_EUlSU_E_NS1_11comp_targetILNS1_3genE10ELNS1_11target_archE1201ELNS1_3gpuE5ELNS1_3repE0EEENS1_30default_config_static_selectorELNS0_4arch9wavefront6targetE1EEEvT1_,"axG",@progbits,_ZN7rocprim17ROCPRIM_400000_NS6detail17trampoline_kernelINS0_14default_configENS1_33run_length_encode_config_selectorIhjNS0_4plusIjEEEEZZNS1_33reduce_by_key_impl_wrapped_configILNS1_25lookback_scan_determinismE0ES3_S7_PKhNS0_17constant_iteratorIjlEEPhPlSF_S6_NS0_8equal_toIhEEEE10hipError_tPvRmT2_T3_mT4_T5_T6_T7_T8_P12ihipStream_tbENKUlT_T0_E_clISt17integral_constantIbLb0EESZ_EEDaSU_SV_EUlSU_E_NS1_11comp_targetILNS1_3genE10ELNS1_11target_archE1201ELNS1_3gpuE5ELNS1_3repE0EEENS1_30default_config_static_selectorELNS0_4arch9wavefront6targetE1EEEvT1_,comdat
.Lfunc_end171:
	.size	_ZN7rocprim17ROCPRIM_400000_NS6detail17trampoline_kernelINS0_14default_configENS1_33run_length_encode_config_selectorIhjNS0_4plusIjEEEEZZNS1_33reduce_by_key_impl_wrapped_configILNS1_25lookback_scan_determinismE0ES3_S7_PKhNS0_17constant_iteratorIjlEEPhPlSF_S6_NS0_8equal_toIhEEEE10hipError_tPvRmT2_T3_mT4_T5_T6_T7_T8_P12ihipStream_tbENKUlT_T0_E_clISt17integral_constantIbLb0EESZ_EEDaSU_SV_EUlSU_E_NS1_11comp_targetILNS1_3genE10ELNS1_11target_archE1201ELNS1_3gpuE5ELNS1_3repE0EEENS1_30default_config_static_selectorELNS0_4arch9wavefront6targetE1EEEvT1_, .Lfunc_end171-_ZN7rocprim17ROCPRIM_400000_NS6detail17trampoline_kernelINS0_14default_configENS1_33run_length_encode_config_selectorIhjNS0_4plusIjEEEEZZNS1_33reduce_by_key_impl_wrapped_configILNS1_25lookback_scan_determinismE0ES3_S7_PKhNS0_17constant_iteratorIjlEEPhPlSF_S6_NS0_8equal_toIhEEEE10hipError_tPvRmT2_T3_mT4_T5_T6_T7_T8_P12ihipStream_tbENKUlT_T0_E_clISt17integral_constantIbLb0EESZ_EEDaSU_SV_EUlSU_E_NS1_11comp_targetILNS1_3genE10ELNS1_11target_archE1201ELNS1_3gpuE5ELNS1_3repE0EEENS1_30default_config_static_selectorELNS0_4arch9wavefront6targetE1EEEvT1_
                                        ; -- End function
	.section	.AMDGPU.csdata,"",@progbits
; Kernel info:
; codeLenInByte = 0
; NumSgprs: 4
; NumVgprs: 0
; NumAgprs: 0
; TotalNumVgprs: 0
; ScratchSize: 0
; MemoryBound: 0
; FloatMode: 240
; IeeeMode: 1
; LDSByteSize: 0 bytes/workgroup (compile time only)
; SGPRBlocks: 0
; VGPRBlocks: 0
; NumSGPRsForWavesPerEU: 4
; NumVGPRsForWavesPerEU: 1
; AccumOffset: 4
; Occupancy: 8
; WaveLimiterHint : 0
; COMPUTE_PGM_RSRC2:SCRATCH_EN: 0
; COMPUTE_PGM_RSRC2:USER_SGPR: 6
; COMPUTE_PGM_RSRC2:TRAP_HANDLER: 0
; COMPUTE_PGM_RSRC2:TGID_X_EN: 1
; COMPUTE_PGM_RSRC2:TGID_Y_EN: 0
; COMPUTE_PGM_RSRC2:TGID_Z_EN: 0
; COMPUTE_PGM_RSRC2:TIDIG_COMP_CNT: 0
; COMPUTE_PGM_RSRC3_GFX90A:ACCUM_OFFSET: 0
; COMPUTE_PGM_RSRC3_GFX90A:TG_SPLIT: 0
	.section	.text._ZN7rocprim17ROCPRIM_400000_NS6detail17trampoline_kernelINS0_14default_configENS1_33run_length_encode_config_selectorIhjNS0_4plusIjEEEEZZNS1_33reduce_by_key_impl_wrapped_configILNS1_25lookback_scan_determinismE0ES3_S7_PKhNS0_17constant_iteratorIjlEEPhPlSF_S6_NS0_8equal_toIhEEEE10hipError_tPvRmT2_T3_mT4_T5_T6_T7_T8_P12ihipStream_tbENKUlT_T0_E_clISt17integral_constantIbLb0EESZ_EEDaSU_SV_EUlSU_E_NS1_11comp_targetILNS1_3genE10ELNS1_11target_archE1200ELNS1_3gpuE4ELNS1_3repE0EEENS1_30default_config_static_selectorELNS0_4arch9wavefront6targetE1EEEvT1_,"axG",@progbits,_ZN7rocprim17ROCPRIM_400000_NS6detail17trampoline_kernelINS0_14default_configENS1_33run_length_encode_config_selectorIhjNS0_4plusIjEEEEZZNS1_33reduce_by_key_impl_wrapped_configILNS1_25lookback_scan_determinismE0ES3_S7_PKhNS0_17constant_iteratorIjlEEPhPlSF_S6_NS0_8equal_toIhEEEE10hipError_tPvRmT2_T3_mT4_T5_T6_T7_T8_P12ihipStream_tbENKUlT_T0_E_clISt17integral_constantIbLb0EESZ_EEDaSU_SV_EUlSU_E_NS1_11comp_targetILNS1_3genE10ELNS1_11target_archE1200ELNS1_3gpuE4ELNS1_3repE0EEENS1_30default_config_static_selectorELNS0_4arch9wavefront6targetE1EEEvT1_,comdat
	.protected	_ZN7rocprim17ROCPRIM_400000_NS6detail17trampoline_kernelINS0_14default_configENS1_33run_length_encode_config_selectorIhjNS0_4plusIjEEEEZZNS1_33reduce_by_key_impl_wrapped_configILNS1_25lookback_scan_determinismE0ES3_S7_PKhNS0_17constant_iteratorIjlEEPhPlSF_S6_NS0_8equal_toIhEEEE10hipError_tPvRmT2_T3_mT4_T5_T6_T7_T8_P12ihipStream_tbENKUlT_T0_E_clISt17integral_constantIbLb0EESZ_EEDaSU_SV_EUlSU_E_NS1_11comp_targetILNS1_3genE10ELNS1_11target_archE1200ELNS1_3gpuE4ELNS1_3repE0EEENS1_30default_config_static_selectorELNS0_4arch9wavefront6targetE1EEEvT1_ ; -- Begin function _ZN7rocprim17ROCPRIM_400000_NS6detail17trampoline_kernelINS0_14default_configENS1_33run_length_encode_config_selectorIhjNS0_4plusIjEEEEZZNS1_33reduce_by_key_impl_wrapped_configILNS1_25lookback_scan_determinismE0ES3_S7_PKhNS0_17constant_iteratorIjlEEPhPlSF_S6_NS0_8equal_toIhEEEE10hipError_tPvRmT2_T3_mT4_T5_T6_T7_T8_P12ihipStream_tbENKUlT_T0_E_clISt17integral_constantIbLb0EESZ_EEDaSU_SV_EUlSU_E_NS1_11comp_targetILNS1_3genE10ELNS1_11target_archE1200ELNS1_3gpuE4ELNS1_3repE0EEENS1_30default_config_static_selectorELNS0_4arch9wavefront6targetE1EEEvT1_
	.globl	_ZN7rocprim17ROCPRIM_400000_NS6detail17trampoline_kernelINS0_14default_configENS1_33run_length_encode_config_selectorIhjNS0_4plusIjEEEEZZNS1_33reduce_by_key_impl_wrapped_configILNS1_25lookback_scan_determinismE0ES3_S7_PKhNS0_17constant_iteratorIjlEEPhPlSF_S6_NS0_8equal_toIhEEEE10hipError_tPvRmT2_T3_mT4_T5_T6_T7_T8_P12ihipStream_tbENKUlT_T0_E_clISt17integral_constantIbLb0EESZ_EEDaSU_SV_EUlSU_E_NS1_11comp_targetILNS1_3genE10ELNS1_11target_archE1200ELNS1_3gpuE4ELNS1_3repE0EEENS1_30default_config_static_selectorELNS0_4arch9wavefront6targetE1EEEvT1_
	.p2align	8
	.type	_ZN7rocprim17ROCPRIM_400000_NS6detail17trampoline_kernelINS0_14default_configENS1_33run_length_encode_config_selectorIhjNS0_4plusIjEEEEZZNS1_33reduce_by_key_impl_wrapped_configILNS1_25lookback_scan_determinismE0ES3_S7_PKhNS0_17constant_iteratorIjlEEPhPlSF_S6_NS0_8equal_toIhEEEE10hipError_tPvRmT2_T3_mT4_T5_T6_T7_T8_P12ihipStream_tbENKUlT_T0_E_clISt17integral_constantIbLb0EESZ_EEDaSU_SV_EUlSU_E_NS1_11comp_targetILNS1_3genE10ELNS1_11target_archE1200ELNS1_3gpuE4ELNS1_3repE0EEENS1_30default_config_static_selectorELNS0_4arch9wavefront6targetE1EEEvT1_,@function
_ZN7rocprim17ROCPRIM_400000_NS6detail17trampoline_kernelINS0_14default_configENS1_33run_length_encode_config_selectorIhjNS0_4plusIjEEEEZZNS1_33reduce_by_key_impl_wrapped_configILNS1_25lookback_scan_determinismE0ES3_S7_PKhNS0_17constant_iteratorIjlEEPhPlSF_S6_NS0_8equal_toIhEEEE10hipError_tPvRmT2_T3_mT4_T5_T6_T7_T8_P12ihipStream_tbENKUlT_T0_E_clISt17integral_constantIbLb0EESZ_EEDaSU_SV_EUlSU_E_NS1_11comp_targetILNS1_3genE10ELNS1_11target_archE1200ELNS1_3gpuE4ELNS1_3repE0EEENS1_30default_config_static_selectorELNS0_4arch9wavefront6targetE1EEEvT1_: ; @_ZN7rocprim17ROCPRIM_400000_NS6detail17trampoline_kernelINS0_14default_configENS1_33run_length_encode_config_selectorIhjNS0_4plusIjEEEEZZNS1_33reduce_by_key_impl_wrapped_configILNS1_25lookback_scan_determinismE0ES3_S7_PKhNS0_17constant_iteratorIjlEEPhPlSF_S6_NS0_8equal_toIhEEEE10hipError_tPvRmT2_T3_mT4_T5_T6_T7_T8_P12ihipStream_tbENKUlT_T0_E_clISt17integral_constantIbLb0EESZ_EEDaSU_SV_EUlSU_E_NS1_11comp_targetILNS1_3genE10ELNS1_11target_archE1200ELNS1_3gpuE4ELNS1_3repE0EEENS1_30default_config_static_selectorELNS0_4arch9wavefront6targetE1EEEvT1_
; %bb.0:
	.section	.rodata,"a",@progbits
	.p2align	6, 0x0
	.amdhsa_kernel _ZN7rocprim17ROCPRIM_400000_NS6detail17trampoline_kernelINS0_14default_configENS1_33run_length_encode_config_selectorIhjNS0_4plusIjEEEEZZNS1_33reduce_by_key_impl_wrapped_configILNS1_25lookback_scan_determinismE0ES3_S7_PKhNS0_17constant_iteratorIjlEEPhPlSF_S6_NS0_8equal_toIhEEEE10hipError_tPvRmT2_T3_mT4_T5_T6_T7_T8_P12ihipStream_tbENKUlT_T0_E_clISt17integral_constantIbLb0EESZ_EEDaSU_SV_EUlSU_E_NS1_11comp_targetILNS1_3genE10ELNS1_11target_archE1200ELNS1_3gpuE4ELNS1_3repE0EEENS1_30default_config_static_selectorELNS0_4arch9wavefront6targetE1EEEvT1_
		.amdhsa_group_segment_fixed_size 0
		.amdhsa_private_segment_fixed_size 0
		.amdhsa_kernarg_size 128
		.amdhsa_user_sgpr_count 6
		.amdhsa_user_sgpr_private_segment_buffer 1
		.amdhsa_user_sgpr_dispatch_ptr 0
		.amdhsa_user_sgpr_queue_ptr 0
		.amdhsa_user_sgpr_kernarg_segment_ptr 1
		.amdhsa_user_sgpr_dispatch_id 0
		.amdhsa_user_sgpr_flat_scratch_init 0
		.amdhsa_user_sgpr_kernarg_preload_length 0
		.amdhsa_user_sgpr_kernarg_preload_offset 0
		.amdhsa_user_sgpr_private_segment_size 0
		.amdhsa_uses_dynamic_stack 0
		.amdhsa_system_sgpr_private_segment_wavefront_offset 0
		.amdhsa_system_sgpr_workgroup_id_x 1
		.amdhsa_system_sgpr_workgroup_id_y 0
		.amdhsa_system_sgpr_workgroup_id_z 0
		.amdhsa_system_sgpr_workgroup_info 0
		.amdhsa_system_vgpr_workitem_id 0
		.amdhsa_next_free_vgpr 1
		.amdhsa_next_free_sgpr 0
		.amdhsa_accum_offset 4
		.amdhsa_reserve_vcc 0
		.amdhsa_reserve_flat_scratch 0
		.amdhsa_float_round_mode_32 0
		.amdhsa_float_round_mode_16_64 0
		.amdhsa_float_denorm_mode_32 3
		.amdhsa_float_denorm_mode_16_64 3
		.amdhsa_dx10_clamp 1
		.amdhsa_ieee_mode 1
		.amdhsa_fp16_overflow 0
		.amdhsa_tg_split 0
		.amdhsa_exception_fp_ieee_invalid_op 0
		.amdhsa_exception_fp_denorm_src 0
		.amdhsa_exception_fp_ieee_div_zero 0
		.amdhsa_exception_fp_ieee_overflow 0
		.amdhsa_exception_fp_ieee_underflow 0
		.amdhsa_exception_fp_ieee_inexact 0
		.amdhsa_exception_int_div_zero 0
	.end_amdhsa_kernel
	.section	.text._ZN7rocprim17ROCPRIM_400000_NS6detail17trampoline_kernelINS0_14default_configENS1_33run_length_encode_config_selectorIhjNS0_4plusIjEEEEZZNS1_33reduce_by_key_impl_wrapped_configILNS1_25lookback_scan_determinismE0ES3_S7_PKhNS0_17constant_iteratorIjlEEPhPlSF_S6_NS0_8equal_toIhEEEE10hipError_tPvRmT2_T3_mT4_T5_T6_T7_T8_P12ihipStream_tbENKUlT_T0_E_clISt17integral_constantIbLb0EESZ_EEDaSU_SV_EUlSU_E_NS1_11comp_targetILNS1_3genE10ELNS1_11target_archE1200ELNS1_3gpuE4ELNS1_3repE0EEENS1_30default_config_static_selectorELNS0_4arch9wavefront6targetE1EEEvT1_,"axG",@progbits,_ZN7rocprim17ROCPRIM_400000_NS6detail17trampoline_kernelINS0_14default_configENS1_33run_length_encode_config_selectorIhjNS0_4plusIjEEEEZZNS1_33reduce_by_key_impl_wrapped_configILNS1_25lookback_scan_determinismE0ES3_S7_PKhNS0_17constant_iteratorIjlEEPhPlSF_S6_NS0_8equal_toIhEEEE10hipError_tPvRmT2_T3_mT4_T5_T6_T7_T8_P12ihipStream_tbENKUlT_T0_E_clISt17integral_constantIbLb0EESZ_EEDaSU_SV_EUlSU_E_NS1_11comp_targetILNS1_3genE10ELNS1_11target_archE1200ELNS1_3gpuE4ELNS1_3repE0EEENS1_30default_config_static_selectorELNS0_4arch9wavefront6targetE1EEEvT1_,comdat
.Lfunc_end172:
	.size	_ZN7rocprim17ROCPRIM_400000_NS6detail17trampoline_kernelINS0_14default_configENS1_33run_length_encode_config_selectorIhjNS0_4plusIjEEEEZZNS1_33reduce_by_key_impl_wrapped_configILNS1_25lookback_scan_determinismE0ES3_S7_PKhNS0_17constant_iteratorIjlEEPhPlSF_S6_NS0_8equal_toIhEEEE10hipError_tPvRmT2_T3_mT4_T5_T6_T7_T8_P12ihipStream_tbENKUlT_T0_E_clISt17integral_constantIbLb0EESZ_EEDaSU_SV_EUlSU_E_NS1_11comp_targetILNS1_3genE10ELNS1_11target_archE1200ELNS1_3gpuE4ELNS1_3repE0EEENS1_30default_config_static_selectorELNS0_4arch9wavefront6targetE1EEEvT1_, .Lfunc_end172-_ZN7rocprim17ROCPRIM_400000_NS6detail17trampoline_kernelINS0_14default_configENS1_33run_length_encode_config_selectorIhjNS0_4plusIjEEEEZZNS1_33reduce_by_key_impl_wrapped_configILNS1_25lookback_scan_determinismE0ES3_S7_PKhNS0_17constant_iteratorIjlEEPhPlSF_S6_NS0_8equal_toIhEEEE10hipError_tPvRmT2_T3_mT4_T5_T6_T7_T8_P12ihipStream_tbENKUlT_T0_E_clISt17integral_constantIbLb0EESZ_EEDaSU_SV_EUlSU_E_NS1_11comp_targetILNS1_3genE10ELNS1_11target_archE1200ELNS1_3gpuE4ELNS1_3repE0EEENS1_30default_config_static_selectorELNS0_4arch9wavefront6targetE1EEEvT1_
                                        ; -- End function
	.section	.AMDGPU.csdata,"",@progbits
; Kernel info:
; codeLenInByte = 0
; NumSgprs: 4
; NumVgprs: 0
; NumAgprs: 0
; TotalNumVgprs: 0
; ScratchSize: 0
; MemoryBound: 0
; FloatMode: 240
; IeeeMode: 1
; LDSByteSize: 0 bytes/workgroup (compile time only)
; SGPRBlocks: 0
; VGPRBlocks: 0
; NumSGPRsForWavesPerEU: 4
; NumVGPRsForWavesPerEU: 1
; AccumOffset: 4
; Occupancy: 8
; WaveLimiterHint : 0
; COMPUTE_PGM_RSRC2:SCRATCH_EN: 0
; COMPUTE_PGM_RSRC2:USER_SGPR: 6
; COMPUTE_PGM_RSRC2:TRAP_HANDLER: 0
; COMPUTE_PGM_RSRC2:TGID_X_EN: 1
; COMPUTE_PGM_RSRC2:TGID_Y_EN: 0
; COMPUTE_PGM_RSRC2:TGID_Z_EN: 0
; COMPUTE_PGM_RSRC2:TIDIG_COMP_CNT: 0
; COMPUTE_PGM_RSRC3_GFX90A:ACCUM_OFFSET: 0
; COMPUTE_PGM_RSRC3_GFX90A:TG_SPLIT: 0
	.section	.text._ZN7rocprim17ROCPRIM_400000_NS6detail17trampoline_kernelINS0_14default_configENS1_33run_length_encode_config_selectorIhjNS0_4plusIjEEEEZZNS1_33reduce_by_key_impl_wrapped_configILNS1_25lookback_scan_determinismE0ES3_S7_PKhNS0_17constant_iteratorIjlEEPhPlSF_S6_NS0_8equal_toIhEEEE10hipError_tPvRmT2_T3_mT4_T5_T6_T7_T8_P12ihipStream_tbENKUlT_T0_E_clISt17integral_constantIbLb0EESZ_EEDaSU_SV_EUlSU_E_NS1_11comp_targetILNS1_3genE9ELNS1_11target_archE1100ELNS1_3gpuE3ELNS1_3repE0EEENS1_30default_config_static_selectorELNS0_4arch9wavefront6targetE1EEEvT1_,"axG",@progbits,_ZN7rocprim17ROCPRIM_400000_NS6detail17trampoline_kernelINS0_14default_configENS1_33run_length_encode_config_selectorIhjNS0_4plusIjEEEEZZNS1_33reduce_by_key_impl_wrapped_configILNS1_25lookback_scan_determinismE0ES3_S7_PKhNS0_17constant_iteratorIjlEEPhPlSF_S6_NS0_8equal_toIhEEEE10hipError_tPvRmT2_T3_mT4_T5_T6_T7_T8_P12ihipStream_tbENKUlT_T0_E_clISt17integral_constantIbLb0EESZ_EEDaSU_SV_EUlSU_E_NS1_11comp_targetILNS1_3genE9ELNS1_11target_archE1100ELNS1_3gpuE3ELNS1_3repE0EEENS1_30default_config_static_selectorELNS0_4arch9wavefront6targetE1EEEvT1_,comdat
	.protected	_ZN7rocprim17ROCPRIM_400000_NS6detail17trampoline_kernelINS0_14default_configENS1_33run_length_encode_config_selectorIhjNS0_4plusIjEEEEZZNS1_33reduce_by_key_impl_wrapped_configILNS1_25lookback_scan_determinismE0ES3_S7_PKhNS0_17constant_iteratorIjlEEPhPlSF_S6_NS0_8equal_toIhEEEE10hipError_tPvRmT2_T3_mT4_T5_T6_T7_T8_P12ihipStream_tbENKUlT_T0_E_clISt17integral_constantIbLb0EESZ_EEDaSU_SV_EUlSU_E_NS1_11comp_targetILNS1_3genE9ELNS1_11target_archE1100ELNS1_3gpuE3ELNS1_3repE0EEENS1_30default_config_static_selectorELNS0_4arch9wavefront6targetE1EEEvT1_ ; -- Begin function _ZN7rocprim17ROCPRIM_400000_NS6detail17trampoline_kernelINS0_14default_configENS1_33run_length_encode_config_selectorIhjNS0_4plusIjEEEEZZNS1_33reduce_by_key_impl_wrapped_configILNS1_25lookback_scan_determinismE0ES3_S7_PKhNS0_17constant_iteratorIjlEEPhPlSF_S6_NS0_8equal_toIhEEEE10hipError_tPvRmT2_T3_mT4_T5_T6_T7_T8_P12ihipStream_tbENKUlT_T0_E_clISt17integral_constantIbLb0EESZ_EEDaSU_SV_EUlSU_E_NS1_11comp_targetILNS1_3genE9ELNS1_11target_archE1100ELNS1_3gpuE3ELNS1_3repE0EEENS1_30default_config_static_selectorELNS0_4arch9wavefront6targetE1EEEvT1_
	.globl	_ZN7rocprim17ROCPRIM_400000_NS6detail17trampoline_kernelINS0_14default_configENS1_33run_length_encode_config_selectorIhjNS0_4plusIjEEEEZZNS1_33reduce_by_key_impl_wrapped_configILNS1_25lookback_scan_determinismE0ES3_S7_PKhNS0_17constant_iteratorIjlEEPhPlSF_S6_NS0_8equal_toIhEEEE10hipError_tPvRmT2_T3_mT4_T5_T6_T7_T8_P12ihipStream_tbENKUlT_T0_E_clISt17integral_constantIbLb0EESZ_EEDaSU_SV_EUlSU_E_NS1_11comp_targetILNS1_3genE9ELNS1_11target_archE1100ELNS1_3gpuE3ELNS1_3repE0EEENS1_30default_config_static_selectorELNS0_4arch9wavefront6targetE1EEEvT1_
	.p2align	8
	.type	_ZN7rocprim17ROCPRIM_400000_NS6detail17trampoline_kernelINS0_14default_configENS1_33run_length_encode_config_selectorIhjNS0_4plusIjEEEEZZNS1_33reduce_by_key_impl_wrapped_configILNS1_25lookback_scan_determinismE0ES3_S7_PKhNS0_17constant_iteratorIjlEEPhPlSF_S6_NS0_8equal_toIhEEEE10hipError_tPvRmT2_T3_mT4_T5_T6_T7_T8_P12ihipStream_tbENKUlT_T0_E_clISt17integral_constantIbLb0EESZ_EEDaSU_SV_EUlSU_E_NS1_11comp_targetILNS1_3genE9ELNS1_11target_archE1100ELNS1_3gpuE3ELNS1_3repE0EEENS1_30default_config_static_selectorELNS0_4arch9wavefront6targetE1EEEvT1_,@function
_ZN7rocprim17ROCPRIM_400000_NS6detail17trampoline_kernelINS0_14default_configENS1_33run_length_encode_config_selectorIhjNS0_4plusIjEEEEZZNS1_33reduce_by_key_impl_wrapped_configILNS1_25lookback_scan_determinismE0ES3_S7_PKhNS0_17constant_iteratorIjlEEPhPlSF_S6_NS0_8equal_toIhEEEE10hipError_tPvRmT2_T3_mT4_T5_T6_T7_T8_P12ihipStream_tbENKUlT_T0_E_clISt17integral_constantIbLb0EESZ_EEDaSU_SV_EUlSU_E_NS1_11comp_targetILNS1_3genE9ELNS1_11target_archE1100ELNS1_3gpuE3ELNS1_3repE0EEENS1_30default_config_static_selectorELNS0_4arch9wavefront6targetE1EEEvT1_: ; @_ZN7rocprim17ROCPRIM_400000_NS6detail17trampoline_kernelINS0_14default_configENS1_33run_length_encode_config_selectorIhjNS0_4plusIjEEEEZZNS1_33reduce_by_key_impl_wrapped_configILNS1_25lookback_scan_determinismE0ES3_S7_PKhNS0_17constant_iteratorIjlEEPhPlSF_S6_NS0_8equal_toIhEEEE10hipError_tPvRmT2_T3_mT4_T5_T6_T7_T8_P12ihipStream_tbENKUlT_T0_E_clISt17integral_constantIbLb0EESZ_EEDaSU_SV_EUlSU_E_NS1_11comp_targetILNS1_3genE9ELNS1_11target_archE1100ELNS1_3gpuE3ELNS1_3repE0EEENS1_30default_config_static_selectorELNS0_4arch9wavefront6targetE1EEEvT1_
; %bb.0:
	.section	.rodata,"a",@progbits
	.p2align	6, 0x0
	.amdhsa_kernel _ZN7rocprim17ROCPRIM_400000_NS6detail17trampoline_kernelINS0_14default_configENS1_33run_length_encode_config_selectorIhjNS0_4plusIjEEEEZZNS1_33reduce_by_key_impl_wrapped_configILNS1_25lookback_scan_determinismE0ES3_S7_PKhNS0_17constant_iteratorIjlEEPhPlSF_S6_NS0_8equal_toIhEEEE10hipError_tPvRmT2_T3_mT4_T5_T6_T7_T8_P12ihipStream_tbENKUlT_T0_E_clISt17integral_constantIbLb0EESZ_EEDaSU_SV_EUlSU_E_NS1_11comp_targetILNS1_3genE9ELNS1_11target_archE1100ELNS1_3gpuE3ELNS1_3repE0EEENS1_30default_config_static_selectorELNS0_4arch9wavefront6targetE1EEEvT1_
		.amdhsa_group_segment_fixed_size 0
		.amdhsa_private_segment_fixed_size 0
		.amdhsa_kernarg_size 128
		.amdhsa_user_sgpr_count 6
		.amdhsa_user_sgpr_private_segment_buffer 1
		.amdhsa_user_sgpr_dispatch_ptr 0
		.amdhsa_user_sgpr_queue_ptr 0
		.amdhsa_user_sgpr_kernarg_segment_ptr 1
		.amdhsa_user_sgpr_dispatch_id 0
		.amdhsa_user_sgpr_flat_scratch_init 0
		.amdhsa_user_sgpr_kernarg_preload_length 0
		.amdhsa_user_sgpr_kernarg_preload_offset 0
		.amdhsa_user_sgpr_private_segment_size 0
		.amdhsa_uses_dynamic_stack 0
		.amdhsa_system_sgpr_private_segment_wavefront_offset 0
		.amdhsa_system_sgpr_workgroup_id_x 1
		.amdhsa_system_sgpr_workgroup_id_y 0
		.amdhsa_system_sgpr_workgroup_id_z 0
		.amdhsa_system_sgpr_workgroup_info 0
		.amdhsa_system_vgpr_workitem_id 0
		.amdhsa_next_free_vgpr 1
		.amdhsa_next_free_sgpr 0
		.amdhsa_accum_offset 4
		.amdhsa_reserve_vcc 0
		.amdhsa_reserve_flat_scratch 0
		.amdhsa_float_round_mode_32 0
		.amdhsa_float_round_mode_16_64 0
		.amdhsa_float_denorm_mode_32 3
		.amdhsa_float_denorm_mode_16_64 3
		.amdhsa_dx10_clamp 1
		.amdhsa_ieee_mode 1
		.amdhsa_fp16_overflow 0
		.amdhsa_tg_split 0
		.amdhsa_exception_fp_ieee_invalid_op 0
		.amdhsa_exception_fp_denorm_src 0
		.amdhsa_exception_fp_ieee_div_zero 0
		.amdhsa_exception_fp_ieee_overflow 0
		.amdhsa_exception_fp_ieee_underflow 0
		.amdhsa_exception_fp_ieee_inexact 0
		.amdhsa_exception_int_div_zero 0
	.end_amdhsa_kernel
	.section	.text._ZN7rocprim17ROCPRIM_400000_NS6detail17trampoline_kernelINS0_14default_configENS1_33run_length_encode_config_selectorIhjNS0_4plusIjEEEEZZNS1_33reduce_by_key_impl_wrapped_configILNS1_25lookback_scan_determinismE0ES3_S7_PKhNS0_17constant_iteratorIjlEEPhPlSF_S6_NS0_8equal_toIhEEEE10hipError_tPvRmT2_T3_mT4_T5_T6_T7_T8_P12ihipStream_tbENKUlT_T0_E_clISt17integral_constantIbLb0EESZ_EEDaSU_SV_EUlSU_E_NS1_11comp_targetILNS1_3genE9ELNS1_11target_archE1100ELNS1_3gpuE3ELNS1_3repE0EEENS1_30default_config_static_selectorELNS0_4arch9wavefront6targetE1EEEvT1_,"axG",@progbits,_ZN7rocprim17ROCPRIM_400000_NS6detail17trampoline_kernelINS0_14default_configENS1_33run_length_encode_config_selectorIhjNS0_4plusIjEEEEZZNS1_33reduce_by_key_impl_wrapped_configILNS1_25lookback_scan_determinismE0ES3_S7_PKhNS0_17constant_iteratorIjlEEPhPlSF_S6_NS0_8equal_toIhEEEE10hipError_tPvRmT2_T3_mT4_T5_T6_T7_T8_P12ihipStream_tbENKUlT_T0_E_clISt17integral_constantIbLb0EESZ_EEDaSU_SV_EUlSU_E_NS1_11comp_targetILNS1_3genE9ELNS1_11target_archE1100ELNS1_3gpuE3ELNS1_3repE0EEENS1_30default_config_static_selectorELNS0_4arch9wavefront6targetE1EEEvT1_,comdat
.Lfunc_end173:
	.size	_ZN7rocprim17ROCPRIM_400000_NS6detail17trampoline_kernelINS0_14default_configENS1_33run_length_encode_config_selectorIhjNS0_4plusIjEEEEZZNS1_33reduce_by_key_impl_wrapped_configILNS1_25lookback_scan_determinismE0ES3_S7_PKhNS0_17constant_iteratorIjlEEPhPlSF_S6_NS0_8equal_toIhEEEE10hipError_tPvRmT2_T3_mT4_T5_T6_T7_T8_P12ihipStream_tbENKUlT_T0_E_clISt17integral_constantIbLb0EESZ_EEDaSU_SV_EUlSU_E_NS1_11comp_targetILNS1_3genE9ELNS1_11target_archE1100ELNS1_3gpuE3ELNS1_3repE0EEENS1_30default_config_static_selectorELNS0_4arch9wavefront6targetE1EEEvT1_, .Lfunc_end173-_ZN7rocprim17ROCPRIM_400000_NS6detail17trampoline_kernelINS0_14default_configENS1_33run_length_encode_config_selectorIhjNS0_4plusIjEEEEZZNS1_33reduce_by_key_impl_wrapped_configILNS1_25lookback_scan_determinismE0ES3_S7_PKhNS0_17constant_iteratorIjlEEPhPlSF_S6_NS0_8equal_toIhEEEE10hipError_tPvRmT2_T3_mT4_T5_T6_T7_T8_P12ihipStream_tbENKUlT_T0_E_clISt17integral_constantIbLb0EESZ_EEDaSU_SV_EUlSU_E_NS1_11comp_targetILNS1_3genE9ELNS1_11target_archE1100ELNS1_3gpuE3ELNS1_3repE0EEENS1_30default_config_static_selectorELNS0_4arch9wavefront6targetE1EEEvT1_
                                        ; -- End function
	.section	.AMDGPU.csdata,"",@progbits
; Kernel info:
; codeLenInByte = 0
; NumSgprs: 4
; NumVgprs: 0
; NumAgprs: 0
; TotalNumVgprs: 0
; ScratchSize: 0
; MemoryBound: 0
; FloatMode: 240
; IeeeMode: 1
; LDSByteSize: 0 bytes/workgroup (compile time only)
; SGPRBlocks: 0
; VGPRBlocks: 0
; NumSGPRsForWavesPerEU: 4
; NumVGPRsForWavesPerEU: 1
; AccumOffset: 4
; Occupancy: 8
; WaveLimiterHint : 0
; COMPUTE_PGM_RSRC2:SCRATCH_EN: 0
; COMPUTE_PGM_RSRC2:USER_SGPR: 6
; COMPUTE_PGM_RSRC2:TRAP_HANDLER: 0
; COMPUTE_PGM_RSRC2:TGID_X_EN: 1
; COMPUTE_PGM_RSRC2:TGID_Y_EN: 0
; COMPUTE_PGM_RSRC2:TGID_Z_EN: 0
; COMPUTE_PGM_RSRC2:TIDIG_COMP_CNT: 0
; COMPUTE_PGM_RSRC3_GFX90A:ACCUM_OFFSET: 0
; COMPUTE_PGM_RSRC3_GFX90A:TG_SPLIT: 0
	.section	.text._ZN7rocprim17ROCPRIM_400000_NS6detail17trampoline_kernelINS0_14default_configENS1_33run_length_encode_config_selectorIhjNS0_4plusIjEEEEZZNS1_33reduce_by_key_impl_wrapped_configILNS1_25lookback_scan_determinismE0ES3_S7_PKhNS0_17constant_iteratorIjlEEPhPlSF_S6_NS0_8equal_toIhEEEE10hipError_tPvRmT2_T3_mT4_T5_T6_T7_T8_P12ihipStream_tbENKUlT_T0_E_clISt17integral_constantIbLb0EESZ_EEDaSU_SV_EUlSU_E_NS1_11comp_targetILNS1_3genE8ELNS1_11target_archE1030ELNS1_3gpuE2ELNS1_3repE0EEENS1_30default_config_static_selectorELNS0_4arch9wavefront6targetE1EEEvT1_,"axG",@progbits,_ZN7rocprim17ROCPRIM_400000_NS6detail17trampoline_kernelINS0_14default_configENS1_33run_length_encode_config_selectorIhjNS0_4plusIjEEEEZZNS1_33reduce_by_key_impl_wrapped_configILNS1_25lookback_scan_determinismE0ES3_S7_PKhNS0_17constant_iteratorIjlEEPhPlSF_S6_NS0_8equal_toIhEEEE10hipError_tPvRmT2_T3_mT4_T5_T6_T7_T8_P12ihipStream_tbENKUlT_T0_E_clISt17integral_constantIbLb0EESZ_EEDaSU_SV_EUlSU_E_NS1_11comp_targetILNS1_3genE8ELNS1_11target_archE1030ELNS1_3gpuE2ELNS1_3repE0EEENS1_30default_config_static_selectorELNS0_4arch9wavefront6targetE1EEEvT1_,comdat
	.protected	_ZN7rocprim17ROCPRIM_400000_NS6detail17trampoline_kernelINS0_14default_configENS1_33run_length_encode_config_selectorIhjNS0_4plusIjEEEEZZNS1_33reduce_by_key_impl_wrapped_configILNS1_25lookback_scan_determinismE0ES3_S7_PKhNS0_17constant_iteratorIjlEEPhPlSF_S6_NS0_8equal_toIhEEEE10hipError_tPvRmT2_T3_mT4_T5_T6_T7_T8_P12ihipStream_tbENKUlT_T0_E_clISt17integral_constantIbLb0EESZ_EEDaSU_SV_EUlSU_E_NS1_11comp_targetILNS1_3genE8ELNS1_11target_archE1030ELNS1_3gpuE2ELNS1_3repE0EEENS1_30default_config_static_selectorELNS0_4arch9wavefront6targetE1EEEvT1_ ; -- Begin function _ZN7rocprim17ROCPRIM_400000_NS6detail17trampoline_kernelINS0_14default_configENS1_33run_length_encode_config_selectorIhjNS0_4plusIjEEEEZZNS1_33reduce_by_key_impl_wrapped_configILNS1_25lookback_scan_determinismE0ES3_S7_PKhNS0_17constant_iteratorIjlEEPhPlSF_S6_NS0_8equal_toIhEEEE10hipError_tPvRmT2_T3_mT4_T5_T6_T7_T8_P12ihipStream_tbENKUlT_T0_E_clISt17integral_constantIbLb0EESZ_EEDaSU_SV_EUlSU_E_NS1_11comp_targetILNS1_3genE8ELNS1_11target_archE1030ELNS1_3gpuE2ELNS1_3repE0EEENS1_30default_config_static_selectorELNS0_4arch9wavefront6targetE1EEEvT1_
	.globl	_ZN7rocprim17ROCPRIM_400000_NS6detail17trampoline_kernelINS0_14default_configENS1_33run_length_encode_config_selectorIhjNS0_4plusIjEEEEZZNS1_33reduce_by_key_impl_wrapped_configILNS1_25lookback_scan_determinismE0ES3_S7_PKhNS0_17constant_iteratorIjlEEPhPlSF_S6_NS0_8equal_toIhEEEE10hipError_tPvRmT2_T3_mT4_T5_T6_T7_T8_P12ihipStream_tbENKUlT_T0_E_clISt17integral_constantIbLb0EESZ_EEDaSU_SV_EUlSU_E_NS1_11comp_targetILNS1_3genE8ELNS1_11target_archE1030ELNS1_3gpuE2ELNS1_3repE0EEENS1_30default_config_static_selectorELNS0_4arch9wavefront6targetE1EEEvT1_
	.p2align	8
	.type	_ZN7rocprim17ROCPRIM_400000_NS6detail17trampoline_kernelINS0_14default_configENS1_33run_length_encode_config_selectorIhjNS0_4plusIjEEEEZZNS1_33reduce_by_key_impl_wrapped_configILNS1_25lookback_scan_determinismE0ES3_S7_PKhNS0_17constant_iteratorIjlEEPhPlSF_S6_NS0_8equal_toIhEEEE10hipError_tPvRmT2_T3_mT4_T5_T6_T7_T8_P12ihipStream_tbENKUlT_T0_E_clISt17integral_constantIbLb0EESZ_EEDaSU_SV_EUlSU_E_NS1_11comp_targetILNS1_3genE8ELNS1_11target_archE1030ELNS1_3gpuE2ELNS1_3repE0EEENS1_30default_config_static_selectorELNS0_4arch9wavefront6targetE1EEEvT1_,@function
_ZN7rocprim17ROCPRIM_400000_NS6detail17trampoline_kernelINS0_14default_configENS1_33run_length_encode_config_selectorIhjNS0_4plusIjEEEEZZNS1_33reduce_by_key_impl_wrapped_configILNS1_25lookback_scan_determinismE0ES3_S7_PKhNS0_17constant_iteratorIjlEEPhPlSF_S6_NS0_8equal_toIhEEEE10hipError_tPvRmT2_T3_mT4_T5_T6_T7_T8_P12ihipStream_tbENKUlT_T0_E_clISt17integral_constantIbLb0EESZ_EEDaSU_SV_EUlSU_E_NS1_11comp_targetILNS1_3genE8ELNS1_11target_archE1030ELNS1_3gpuE2ELNS1_3repE0EEENS1_30default_config_static_selectorELNS0_4arch9wavefront6targetE1EEEvT1_: ; @_ZN7rocprim17ROCPRIM_400000_NS6detail17trampoline_kernelINS0_14default_configENS1_33run_length_encode_config_selectorIhjNS0_4plusIjEEEEZZNS1_33reduce_by_key_impl_wrapped_configILNS1_25lookback_scan_determinismE0ES3_S7_PKhNS0_17constant_iteratorIjlEEPhPlSF_S6_NS0_8equal_toIhEEEE10hipError_tPvRmT2_T3_mT4_T5_T6_T7_T8_P12ihipStream_tbENKUlT_T0_E_clISt17integral_constantIbLb0EESZ_EEDaSU_SV_EUlSU_E_NS1_11comp_targetILNS1_3genE8ELNS1_11target_archE1030ELNS1_3gpuE2ELNS1_3repE0EEENS1_30default_config_static_selectorELNS0_4arch9wavefront6targetE1EEEvT1_
; %bb.0:
	.section	.rodata,"a",@progbits
	.p2align	6, 0x0
	.amdhsa_kernel _ZN7rocprim17ROCPRIM_400000_NS6detail17trampoline_kernelINS0_14default_configENS1_33run_length_encode_config_selectorIhjNS0_4plusIjEEEEZZNS1_33reduce_by_key_impl_wrapped_configILNS1_25lookback_scan_determinismE0ES3_S7_PKhNS0_17constant_iteratorIjlEEPhPlSF_S6_NS0_8equal_toIhEEEE10hipError_tPvRmT2_T3_mT4_T5_T6_T7_T8_P12ihipStream_tbENKUlT_T0_E_clISt17integral_constantIbLb0EESZ_EEDaSU_SV_EUlSU_E_NS1_11comp_targetILNS1_3genE8ELNS1_11target_archE1030ELNS1_3gpuE2ELNS1_3repE0EEENS1_30default_config_static_selectorELNS0_4arch9wavefront6targetE1EEEvT1_
		.amdhsa_group_segment_fixed_size 0
		.amdhsa_private_segment_fixed_size 0
		.amdhsa_kernarg_size 128
		.amdhsa_user_sgpr_count 6
		.amdhsa_user_sgpr_private_segment_buffer 1
		.amdhsa_user_sgpr_dispatch_ptr 0
		.amdhsa_user_sgpr_queue_ptr 0
		.amdhsa_user_sgpr_kernarg_segment_ptr 1
		.amdhsa_user_sgpr_dispatch_id 0
		.amdhsa_user_sgpr_flat_scratch_init 0
		.amdhsa_user_sgpr_kernarg_preload_length 0
		.amdhsa_user_sgpr_kernarg_preload_offset 0
		.amdhsa_user_sgpr_private_segment_size 0
		.amdhsa_uses_dynamic_stack 0
		.amdhsa_system_sgpr_private_segment_wavefront_offset 0
		.amdhsa_system_sgpr_workgroup_id_x 1
		.amdhsa_system_sgpr_workgroup_id_y 0
		.amdhsa_system_sgpr_workgroup_id_z 0
		.amdhsa_system_sgpr_workgroup_info 0
		.amdhsa_system_vgpr_workitem_id 0
		.amdhsa_next_free_vgpr 1
		.amdhsa_next_free_sgpr 0
		.amdhsa_accum_offset 4
		.amdhsa_reserve_vcc 0
		.amdhsa_reserve_flat_scratch 0
		.amdhsa_float_round_mode_32 0
		.amdhsa_float_round_mode_16_64 0
		.amdhsa_float_denorm_mode_32 3
		.amdhsa_float_denorm_mode_16_64 3
		.amdhsa_dx10_clamp 1
		.amdhsa_ieee_mode 1
		.amdhsa_fp16_overflow 0
		.amdhsa_tg_split 0
		.amdhsa_exception_fp_ieee_invalid_op 0
		.amdhsa_exception_fp_denorm_src 0
		.amdhsa_exception_fp_ieee_div_zero 0
		.amdhsa_exception_fp_ieee_overflow 0
		.amdhsa_exception_fp_ieee_underflow 0
		.amdhsa_exception_fp_ieee_inexact 0
		.amdhsa_exception_int_div_zero 0
	.end_amdhsa_kernel
	.section	.text._ZN7rocprim17ROCPRIM_400000_NS6detail17trampoline_kernelINS0_14default_configENS1_33run_length_encode_config_selectorIhjNS0_4plusIjEEEEZZNS1_33reduce_by_key_impl_wrapped_configILNS1_25lookback_scan_determinismE0ES3_S7_PKhNS0_17constant_iteratorIjlEEPhPlSF_S6_NS0_8equal_toIhEEEE10hipError_tPvRmT2_T3_mT4_T5_T6_T7_T8_P12ihipStream_tbENKUlT_T0_E_clISt17integral_constantIbLb0EESZ_EEDaSU_SV_EUlSU_E_NS1_11comp_targetILNS1_3genE8ELNS1_11target_archE1030ELNS1_3gpuE2ELNS1_3repE0EEENS1_30default_config_static_selectorELNS0_4arch9wavefront6targetE1EEEvT1_,"axG",@progbits,_ZN7rocprim17ROCPRIM_400000_NS6detail17trampoline_kernelINS0_14default_configENS1_33run_length_encode_config_selectorIhjNS0_4plusIjEEEEZZNS1_33reduce_by_key_impl_wrapped_configILNS1_25lookback_scan_determinismE0ES3_S7_PKhNS0_17constant_iteratorIjlEEPhPlSF_S6_NS0_8equal_toIhEEEE10hipError_tPvRmT2_T3_mT4_T5_T6_T7_T8_P12ihipStream_tbENKUlT_T0_E_clISt17integral_constantIbLb0EESZ_EEDaSU_SV_EUlSU_E_NS1_11comp_targetILNS1_3genE8ELNS1_11target_archE1030ELNS1_3gpuE2ELNS1_3repE0EEENS1_30default_config_static_selectorELNS0_4arch9wavefront6targetE1EEEvT1_,comdat
.Lfunc_end174:
	.size	_ZN7rocprim17ROCPRIM_400000_NS6detail17trampoline_kernelINS0_14default_configENS1_33run_length_encode_config_selectorIhjNS0_4plusIjEEEEZZNS1_33reduce_by_key_impl_wrapped_configILNS1_25lookback_scan_determinismE0ES3_S7_PKhNS0_17constant_iteratorIjlEEPhPlSF_S6_NS0_8equal_toIhEEEE10hipError_tPvRmT2_T3_mT4_T5_T6_T7_T8_P12ihipStream_tbENKUlT_T0_E_clISt17integral_constantIbLb0EESZ_EEDaSU_SV_EUlSU_E_NS1_11comp_targetILNS1_3genE8ELNS1_11target_archE1030ELNS1_3gpuE2ELNS1_3repE0EEENS1_30default_config_static_selectorELNS0_4arch9wavefront6targetE1EEEvT1_, .Lfunc_end174-_ZN7rocprim17ROCPRIM_400000_NS6detail17trampoline_kernelINS0_14default_configENS1_33run_length_encode_config_selectorIhjNS0_4plusIjEEEEZZNS1_33reduce_by_key_impl_wrapped_configILNS1_25lookback_scan_determinismE0ES3_S7_PKhNS0_17constant_iteratorIjlEEPhPlSF_S6_NS0_8equal_toIhEEEE10hipError_tPvRmT2_T3_mT4_T5_T6_T7_T8_P12ihipStream_tbENKUlT_T0_E_clISt17integral_constantIbLb0EESZ_EEDaSU_SV_EUlSU_E_NS1_11comp_targetILNS1_3genE8ELNS1_11target_archE1030ELNS1_3gpuE2ELNS1_3repE0EEENS1_30default_config_static_selectorELNS0_4arch9wavefront6targetE1EEEvT1_
                                        ; -- End function
	.section	.AMDGPU.csdata,"",@progbits
; Kernel info:
; codeLenInByte = 0
; NumSgprs: 4
; NumVgprs: 0
; NumAgprs: 0
; TotalNumVgprs: 0
; ScratchSize: 0
; MemoryBound: 0
; FloatMode: 240
; IeeeMode: 1
; LDSByteSize: 0 bytes/workgroup (compile time only)
; SGPRBlocks: 0
; VGPRBlocks: 0
; NumSGPRsForWavesPerEU: 4
; NumVGPRsForWavesPerEU: 1
; AccumOffset: 4
; Occupancy: 8
; WaveLimiterHint : 0
; COMPUTE_PGM_RSRC2:SCRATCH_EN: 0
; COMPUTE_PGM_RSRC2:USER_SGPR: 6
; COMPUTE_PGM_RSRC2:TRAP_HANDLER: 0
; COMPUTE_PGM_RSRC2:TGID_X_EN: 1
; COMPUTE_PGM_RSRC2:TGID_Y_EN: 0
; COMPUTE_PGM_RSRC2:TGID_Z_EN: 0
; COMPUTE_PGM_RSRC2:TIDIG_COMP_CNT: 0
; COMPUTE_PGM_RSRC3_GFX90A:ACCUM_OFFSET: 0
; COMPUTE_PGM_RSRC3_GFX90A:TG_SPLIT: 0
	.section	.text._ZN7rocprim17ROCPRIM_400000_NS6detail17trampoline_kernelINS0_14default_configENS1_33run_length_encode_config_selectorIhjNS0_4plusIjEEEEZZNS1_33reduce_by_key_impl_wrapped_configILNS1_25lookback_scan_determinismE0ES3_S7_PKhNS0_17constant_iteratorIjlEEPhPlSF_S6_NS0_8equal_toIhEEEE10hipError_tPvRmT2_T3_mT4_T5_T6_T7_T8_P12ihipStream_tbENKUlT_T0_E_clISt17integral_constantIbLb1EESZ_EEDaSU_SV_EUlSU_E_NS1_11comp_targetILNS1_3genE0ELNS1_11target_archE4294967295ELNS1_3gpuE0ELNS1_3repE0EEENS1_30default_config_static_selectorELNS0_4arch9wavefront6targetE1EEEvT1_,"axG",@progbits,_ZN7rocprim17ROCPRIM_400000_NS6detail17trampoline_kernelINS0_14default_configENS1_33run_length_encode_config_selectorIhjNS0_4plusIjEEEEZZNS1_33reduce_by_key_impl_wrapped_configILNS1_25lookback_scan_determinismE0ES3_S7_PKhNS0_17constant_iteratorIjlEEPhPlSF_S6_NS0_8equal_toIhEEEE10hipError_tPvRmT2_T3_mT4_T5_T6_T7_T8_P12ihipStream_tbENKUlT_T0_E_clISt17integral_constantIbLb1EESZ_EEDaSU_SV_EUlSU_E_NS1_11comp_targetILNS1_3genE0ELNS1_11target_archE4294967295ELNS1_3gpuE0ELNS1_3repE0EEENS1_30default_config_static_selectorELNS0_4arch9wavefront6targetE1EEEvT1_,comdat
	.protected	_ZN7rocprim17ROCPRIM_400000_NS6detail17trampoline_kernelINS0_14default_configENS1_33run_length_encode_config_selectorIhjNS0_4plusIjEEEEZZNS1_33reduce_by_key_impl_wrapped_configILNS1_25lookback_scan_determinismE0ES3_S7_PKhNS0_17constant_iteratorIjlEEPhPlSF_S6_NS0_8equal_toIhEEEE10hipError_tPvRmT2_T3_mT4_T5_T6_T7_T8_P12ihipStream_tbENKUlT_T0_E_clISt17integral_constantIbLb1EESZ_EEDaSU_SV_EUlSU_E_NS1_11comp_targetILNS1_3genE0ELNS1_11target_archE4294967295ELNS1_3gpuE0ELNS1_3repE0EEENS1_30default_config_static_selectorELNS0_4arch9wavefront6targetE1EEEvT1_ ; -- Begin function _ZN7rocprim17ROCPRIM_400000_NS6detail17trampoline_kernelINS0_14default_configENS1_33run_length_encode_config_selectorIhjNS0_4plusIjEEEEZZNS1_33reduce_by_key_impl_wrapped_configILNS1_25lookback_scan_determinismE0ES3_S7_PKhNS0_17constant_iteratorIjlEEPhPlSF_S6_NS0_8equal_toIhEEEE10hipError_tPvRmT2_T3_mT4_T5_T6_T7_T8_P12ihipStream_tbENKUlT_T0_E_clISt17integral_constantIbLb1EESZ_EEDaSU_SV_EUlSU_E_NS1_11comp_targetILNS1_3genE0ELNS1_11target_archE4294967295ELNS1_3gpuE0ELNS1_3repE0EEENS1_30default_config_static_selectorELNS0_4arch9wavefront6targetE1EEEvT1_
	.globl	_ZN7rocprim17ROCPRIM_400000_NS6detail17trampoline_kernelINS0_14default_configENS1_33run_length_encode_config_selectorIhjNS0_4plusIjEEEEZZNS1_33reduce_by_key_impl_wrapped_configILNS1_25lookback_scan_determinismE0ES3_S7_PKhNS0_17constant_iteratorIjlEEPhPlSF_S6_NS0_8equal_toIhEEEE10hipError_tPvRmT2_T3_mT4_T5_T6_T7_T8_P12ihipStream_tbENKUlT_T0_E_clISt17integral_constantIbLb1EESZ_EEDaSU_SV_EUlSU_E_NS1_11comp_targetILNS1_3genE0ELNS1_11target_archE4294967295ELNS1_3gpuE0ELNS1_3repE0EEENS1_30default_config_static_selectorELNS0_4arch9wavefront6targetE1EEEvT1_
	.p2align	8
	.type	_ZN7rocprim17ROCPRIM_400000_NS6detail17trampoline_kernelINS0_14default_configENS1_33run_length_encode_config_selectorIhjNS0_4plusIjEEEEZZNS1_33reduce_by_key_impl_wrapped_configILNS1_25lookback_scan_determinismE0ES3_S7_PKhNS0_17constant_iteratorIjlEEPhPlSF_S6_NS0_8equal_toIhEEEE10hipError_tPvRmT2_T3_mT4_T5_T6_T7_T8_P12ihipStream_tbENKUlT_T0_E_clISt17integral_constantIbLb1EESZ_EEDaSU_SV_EUlSU_E_NS1_11comp_targetILNS1_3genE0ELNS1_11target_archE4294967295ELNS1_3gpuE0ELNS1_3repE0EEENS1_30default_config_static_selectorELNS0_4arch9wavefront6targetE1EEEvT1_,@function
_ZN7rocprim17ROCPRIM_400000_NS6detail17trampoline_kernelINS0_14default_configENS1_33run_length_encode_config_selectorIhjNS0_4plusIjEEEEZZNS1_33reduce_by_key_impl_wrapped_configILNS1_25lookback_scan_determinismE0ES3_S7_PKhNS0_17constant_iteratorIjlEEPhPlSF_S6_NS0_8equal_toIhEEEE10hipError_tPvRmT2_T3_mT4_T5_T6_T7_T8_P12ihipStream_tbENKUlT_T0_E_clISt17integral_constantIbLb1EESZ_EEDaSU_SV_EUlSU_E_NS1_11comp_targetILNS1_3genE0ELNS1_11target_archE4294967295ELNS1_3gpuE0ELNS1_3repE0EEENS1_30default_config_static_selectorELNS0_4arch9wavefront6targetE1EEEvT1_: ; @_ZN7rocprim17ROCPRIM_400000_NS6detail17trampoline_kernelINS0_14default_configENS1_33run_length_encode_config_selectorIhjNS0_4plusIjEEEEZZNS1_33reduce_by_key_impl_wrapped_configILNS1_25lookback_scan_determinismE0ES3_S7_PKhNS0_17constant_iteratorIjlEEPhPlSF_S6_NS0_8equal_toIhEEEE10hipError_tPvRmT2_T3_mT4_T5_T6_T7_T8_P12ihipStream_tbENKUlT_T0_E_clISt17integral_constantIbLb1EESZ_EEDaSU_SV_EUlSU_E_NS1_11comp_targetILNS1_3genE0ELNS1_11target_archE4294967295ELNS1_3gpuE0ELNS1_3repE0EEENS1_30default_config_static_selectorELNS0_4arch9wavefront6targetE1EEEvT1_
; %bb.0:
	.section	.rodata,"a",@progbits
	.p2align	6, 0x0
	.amdhsa_kernel _ZN7rocprim17ROCPRIM_400000_NS6detail17trampoline_kernelINS0_14default_configENS1_33run_length_encode_config_selectorIhjNS0_4plusIjEEEEZZNS1_33reduce_by_key_impl_wrapped_configILNS1_25lookback_scan_determinismE0ES3_S7_PKhNS0_17constant_iteratorIjlEEPhPlSF_S6_NS0_8equal_toIhEEEE10hipError_tPvRmT2_T3_mT4_T5_T6_T7_T8_P12ihipStream_tbENKUlT_T0_E_clISt17integral_constantIbLb1EESZ_EEDaSU_SV_EUlSU_E_NS1_11comp_targetILNS1_3genE0ELNS1_11target_archE4294967295ELNS1_3gpuE0ELNS1_3repE0EEENS1_30default_config_static_selectorELNS0_4arch9wavefront6targetE1EEEvT1_
		.amdhsa_group_segment_fixed_size 0
		.amdhsa_private_segment_fixed_size 0
		.amdhsa_kernarg_size 128
		.amdhsa_user_sgpr_count 6
		.amdhsa_user_sgpr_private_segment_buffer 1
		.amdhsa_user_sgpr_dispatch_ptr 0
		.amdhsa_user_sgpr_queue_ptr 0
		.amdhsa_user_sgpr_kernarg_segment_ptr 1
		.amdhsa_user_sgpr_dispatch_id 0
		.amdhsa_user_sgpr_flat_scratch_init 0
		.amdhsa_user_sgpr_kernarg_preload_length 0
		.amdhsa_user_sgpr_kernarg_preload_offset 0
		.amdhsa_user_sgpr_private_segment_size 0
		.amdhsa_uses_dynamic_stack 0
		.amdhsa_system_sgpr_private_segment_wavefront_offset 0
		.amdhsa_system_sgpr_workgroup_id_x 1
		.amdhsa_system_sgpr_workgroup_id_y 0
		.amdhsa_system_sgpr_workgroup_id_z 0
		.amdhsa_system_sgpr_workgroup_info 0
		.amdhsa_system_vgpr_workitem_id 0
		.amdhsa_next_free_vgpr 1
		.amdhsa_next_free_sgpr 0
		.amdhsa_accum_offset 4
		.amdhsa_reserve_vcc 0
		.amdhsa_reserve_flat_scratch 0
		.amdhsa_float_round_mode_32 0
		.amdhsa_float_round_mode_16_64 0
		.amdhsa_float_denorm_mode_32 3
		.amdhsa_float_denorm_mode_16_64 3
		.amdhsa_dx10_clamp 1
		.amdhsa_ieee_mode 1
		.amdhsa_fp16_overflow 0
		.amdhsa_tg_split 0
		.amdhsa_exception_fp_ieee_invalid_op 0
		.amdhsa_exception_fp_denorm_src 0
		.amdhsa_exception_fp_ieee_div_zero 0
		.amdhsa_exception_fp_ieee_overflow 0
		.amdhsa_exception_fp_ieee_underflow 0
		.amdhsa_exception_fp_ieee_inexact 0
		.amdhsa_exception_int_div_zero 0
	.end_amdhsa_kernel
	.section	.text._ZN7rocprim17ROCPRIM_400000_NS6detail17trampoline_kernelINS0_14default_configENS1_33run_length_encode_config_selectorIhjNS0_4plusIjEEEEZZNS1_33reduce_by_key_impl_wrapped_configILNS1_25lookback_scan_determinismE0ES3_S7_PKhNS0_17constant_iteratorIjlEEPhPlSF_S6_NS0_8equal_toIhEEEE10hipError_tPvRmT2_T3_mT4_T5_T6_T7_T8_P12ihipStream_tbENKUlT_T0_E_clISt17integral_constantIbLb1EESZ_EEDaSU_SV_EUlSU_E_NS1_11comp_targetILNS1_3genE0ELNS1_11target_archE4294967295ELNS1_3gpuE0ELNS1_3repE0EEENS1_30default_config_static_selectorELNS0_4arch9wavefront6targetE1EEEvT1_,"axG",@progbits,_ZN7rocprim17ROCPRIM_400000_NS6detail17trampoline_kernelINS0_14default_configENS1_33run_length_encode_config_selectorIhjNS0_4plusIjEEEEZZNS1_33reduce_by_key_impl_wrapped_configILNS1_25lookback_scan_determinismE0ES3_S7_PKhNS0_17constant_iteratorIjlEEPhPlSF_S6_NS0_8equal_toIhEEEE10hipError_tPvRmT2_T3_mT4_T5_T6_T7_T8_P12ihipStream_tbENKUlT_T0_E_clISt17integral_constantIbLb1EESZ_EEDaSU_SV_EUlSU_E_NS1_11comp_targetILNS1_3genE0ELNS1_11target_archE4294967295ELNS1_3gpuE0ELNS1_3repE0EEENS1_30default_config_static_selectorELNS0_4arch9wavefront6targetE1EEEvT1_,comdat
.Lfunc_end175:
	.size	_ZN7rocprim17ROCPRIM_400000_NS6detail17trampoline_kernelINS0_14default_configENS1_33run_length_encode_config_selectorIhjNS0_4plusIjEEEEZZNS1_33reduce_by_key_impl_wrapped_configILNS1_25lookback_scan_determinismE0ES3_S7_PKhNS0_17constant_iteratorIjlEEPhPlSF_S6_NS0_8equal_toIhEEEE10hipError_tPvRmT2_T3_mT4_T5_T6_T7_T8_P12ihipStream_tbENKUlT_T0_E_clISt17integral_constantIbLb1EESZ_EEDaSU_SV_EUlSU_E_NS1_11comp_targetILNS1_3genE0ELNS1_11target_archE4294967295ELNS1_3gpuE0ELNS1_3repE0EEENS1_30default_config_static_selectorELNS0_4arch9wavefront6targetE1EEEvT1_, .Lfunc_end175-_ZN7rocprim17ROCPRIM_400000_NS6detail17trampoline_kernelINS0_14default_configENS1_33run_length_encode_config_selectorIhjNS0_4plusIjEEEEZZNS1_33reduce_by_key_impl_wrapped_configILNS1_25lookback_scan_determinismE0ES3_S7_PKhNS0_17constant_iteratorIjlEEPhPlSF_S6_NS0_8equal_toIhEEEE10hipError_tPvRmT2_T3_mT4_T5_T6_T7_T8_P12ihipStream_tbENKUlT_T0_E_clISt17integral_constantIbLb1EESZ_EEDaSU_SV_EUlSU_E_NS1_11comp_targetILNS1_3genE0ELNS1_11target_archE4294967295ELNS1_3gpuE0ELNS1_3repE0EEENS1_30default_config_static_selectorELNS0_4arch9wavefront6targetE1EEEvT1_
                                        ; -- End function
	.section	.AMDGPU.csdata,"",@progbits
; Kernel info:
; codeLenInByte = 0
; NumSgprs: 4
; NumVgprs: 0
; NumAgprs: 0
; TotalNumVgprs: 0
; ScratchSize: 0
; MemoryBound: 0
; FloatMode: 240
; IeeeMode: 1
; LDSByteSize: 0 bytes/workgroup (compile time only)
; SGPRBlocks: 0
; VGPRBlocks: 0
; NumSGPRsForWavesPerEU: 4
; NumVGPRsForWavesPerEU: 1
; AccumOffset: 4
; Occupancy: 8
; WaveLimiterHint : 0
; COMPUTE_PGM_RSRC2:SCRATCH_EN: 0
; COMPUTE_PGM_RSRC2:USER_SGPR: 6
; COMPUTE_PGM_RSRC2:TRAP_HANDLER: 0
; COMPUTE_PGM_RSRC2:TGID_X_EN: 1
; COMPUTE_PGM_RSRC2:TGID_Y_EN: 0
; COMPUTE_PGM_RSRC2:TGID_Z_EN: 0
; COMPUTE_PGM_RSRC2:TIDIG_COMP_CNT: 0
; COMPUTE_PGM_RSRC3_GFX90A:ACCUM_OFFSET: 0
; COMPUTE_PGM_RSRC3_GFX90A:TG_SPLIT: 0
	.section	.text._ZN7rocprim17ROCPRIM_400000_NS6detail17trampoline_kernelINS0_14default_configENS1_33run_length_encode_config_selectorIhjNS0_4plusIjEEEEZZNS1_33reduce_by_key_impl_wrapped_configILNS1_25lookback_scan_determinismE0ES3_S7_PKhNS0_17constant_iteratorIjlEEPhPlSF_S6_NS0_8equal_toIhEEEE10hipError_tPvRmT2_T3_mT4_T5_T6_T7_T8_P12ihipStream_tbENKUlT_T0_E_clISt17integral_constantIbLb1EESZ_EEDaSU_SV_EUlSU_E_NS1_11comp_targetILNS1_3genE5ELNS1_11target_archE942ELNS1_3gpuE9ELNS1_3repE0EEENS1_30default_config_static_selectorELNS0_4arch9wavefront6targetE1EEEvT1_,"axG",@progbits,_ZN7rocprim17ROCPRIM_400000_NS6detail17trampoline_kernelINS0_14default_configENS1_33run_length_encode_config_selectorIhjNS0_4plusIjEEEEZZNS1_33reduce_by_key_impl_wrapped_configILNS1_25lookback_scan_determinismE0ES3_S7_PKhNS0_17constant_iteratorIjlEEPhPlSF_S6_NS0_8equal_toIhEEEE10hipError_tPvRmT2_T3_mT4_T5_T6_T7_T8_P12ihipStream_tbENKUlT_T0_E_clISt17integral_constantIbLb1EESZ_EEDaSU_SV_EUlSU_E_NS1_11comp_targetILNS1_3genE5ELNS1_11target_archE942ELNS1_3gpuE9ELNS1_3repE0EEENS1_30default_config_static_selectorELNS0_4arch9wavefront6targetE1EEEvT1_,comdat
	.protected	_ZN7rocprim17ROCPRIM_400000_NS6detail17trampoline_kernelINS0_14default_configENS1_33run_length_encode_config_selectorIhjNS0_4plusIjEEEEZZNS1_33reduce_by_key_impl_wrapped_configILNS1_25lookback_scan_determinismE0ES3_S7_PKhNS0_17constant_iteratorIjlEEPhPlSF_S6_NS0_8equal_toIhEEEE10hipError_tPvRmT2_T3_mT4_T5_T6_T7_T8_P12ihipStream_tbENKUlT_T0_E_clISt17integral_constantIbLb1EESZ_EEDaSU_SV_EUlSU_E_NS1_11comp_targetILNS1_3genE5ELNS1_11target_archE942ELNS1_3gpuE9ELNS1_3repE0EEENS1_30default_config_static_selectorELNS0_4arch9wavefront6targetE1EEEvT1_ ; -- Begin function _ZN7rocprim17ROCPRIM_400000_NS6detail17trampoline_kernelINS0_14default_configENS1_33run_length_encode_config_selectorIhjNS0_4plusIjEEEEZZNS1_33reduce_by_key_impl_wrapped_configILNS1_25lookback_scan_determinismE0ES3_S7_PKhNS0_17constant_iteratorIjlEEPhPlSF_S6_NS0_8equal_toIhEEEE10hipError_tPvRmT2_T3_mT4_T5_T6_T7_T8_P12ihipStream_tbENKUlT_T0_E_clISt17integral_constantIbLb1EESZ_EEDaSU_SV_EUlSU_E_NS1_11comp_targetILNS1_3genE5ELNS1_11target_archE942ELNS1_3gpuE9ELNS1_3repE0EEENS1_30default_config_static_selectorELNS0_4arch9wavefront6targetE1EEEvT1_
	.globl	_ZN7rocprim17ROCPRIM_400000_NS6detail17trampoline_kernelINS0_14default_configENS1_33run_length_encode_config_selectorIhjNS0_4plusIjEEEEZZNS1_33reduce_by_key_impl_wrapped_configILNS1_25lookback_scan_determinismE0ES3_S7_PKhNS0_17constant_iteratorIjlEEPhPlSF_S6_NS0_8equal_toIhEEEE10hipError_tPvRmT2_T3_mT4_T5_T6_T7_T8_P12ihipStream_tbENKUlT_T0_E_clISt17integral_constantIbLb1EESZ_EEDaSU_SV_EUlSU_E_NS1_11comp_targetILNS1_3genE5ELNS1_11target_archE942ELNS1_3gpuE9ELNS1_3repE0EEENS1_30default_config_static_selectorELNS0_4arch9wavefront6targetE1EEEvT1_
	.p2align	8
	.type	_ZN7rocprim17ROCPRIM_400000_NS6detail17trampoline_kernelINS0_14default_configENS1_33run_length_encode_config_selectorIhjNS0_4plusIjEEEEZZNS1_33reduce_by_key_impl_wrapped_configILNS1_25lookback_scan_determinismE0ES3_S7_PKhNS0_17constant_iteratorIjlEEPhPlSF_S6_NS0_8equal_toIhEEEE10hipError_tPvRmT2_T3_mT4_T5_T6_T7_T8_P12ihipStream_tbENKUlT_T0_E_clISt17integral_constantIbLb1EESZ_EEDaSU_SV_EUlSU_E_NS1_11comp_targetILNS1_3genE5ELNS1_11target_archE942ELNS1_3gpuE9ELNS1_3repE0EEENS1_30default_config_static_selectorELNS0_4arch9wavefront6targetE1EEEvT1_,@function
_ZN7rocprim17ROCPRIM_400000_NS6detail17trampoline_kernelINS0_14default_configENS1_33run_length_encode_config_selectorIhjNS0_4plusIjEEEEZZNS1_33reduce_by_key_impl_wrapped_configILNS1_25lookback_scan_determinismE0ES3_S7_PKhNS0_17constant_iteratorIjlEEPhPlSF_S6_NS0_8equal_toIhEEEE10hipError_tPvRmT2_T3_mT4_T5_T6_T7_T8_P12ihipStream_tbENKUlT_T0_E_clISt17integral_constantIbLb1EESZ_EEDaSU_SV_EUlSU_E_NS1_11comp_targetILNS1_3genE5ELNS1_11target_archE942ELNS1_3gpuE9ELNS1_3repE0EEENS1_30default_config_static_selectorELNS0_4arch9wavefront6targetE1EEEvT1_: ; @_ZN7rocprim17ROCPRIM_400000_NS6detail17trampoline_kernelINS0_14default_configENS1_33run_length_encode_config_selectorIhjNS0_4plusIjEEEEZZNS1_33reduce_by_key_impl_wrapped_configILNS1_25lookback_scan_determinismE0ES3_S7_PKhNS0_17constant_iteratorIjlEEPhPlSF_S6_NS0_8equal_toIhEEEE10hipError_tPvRmT2_T3_mT4_T5_T6_T7_T8_P12ihipStream_tbENKUlT_T0_E_clISt17integral_constantIbLb1EESZ_EEDaSU_SV_EUlSU_E_NS1_11comp_targetILNS1_3genE5ELNS1_11target_archE942ELNS1_3gpuE9ELNS1_3repE0EEENS1_30default_config_static_selectorELNS0_4arch9wavefront6targetE1EEEvT1_
; %bb.0:
	.section	.rodata,"a",@progbits
	.p2align	6, 0x0
	.amdhsa_kernel _ZN7rocprim17ROCPRIM_400000_NS6detail17trampoline_kernelINS0_14default_configENS1_33run_length_encode_config_selectorIhjNS0_4plusIjEEEEZZNS1_33reduce_by_key_impl_wrapped_configILNS1_25lookback_scan_determinismE0ES3_S7_PKhNS0_17constant_iteratorIjlEEPhPlSF_S6_NS0_8equal_toIhEEEE10hipError_tPvRmT2_T3_mT4_T5_T6_T7_T8_P12ihipStream_tbENKUlT_T0_E_clISt17integral_constantIbLb1EESZ_EEDaSU_SV_EUlSU_E_NS1_11comp_targetILNS1_3genE5ELNS1_11target_archE942ELNS1_3gpuE9ELNS1_3repE0EEENS1_30default_config_static_selectorELNS0_4arch9wavefront6targetE1EEEvT1_
		.amdhsa_group_segment_fixed_size 0
		.amdhsa_private_segment_fixed_size 0
		.amdhsa_kernarg_size 128
		.amdhsa_user_sgpr_count 6
		.amdhsa_user_sgpr_private_segment_buffer 1
		.amdhsa_user_sgpr_dispatch_ptr 0
		.amdhsa_user_sgpr_queue_ptr 0
		.amdhsa_user_sgpr_kernarg_segment_ptr 1
		.amdhsa_user_sgpr_dispatch_id 0
		.amdhsa_user_sgpr_flat_scratch_init 0
		.amdhsa_user_sgpr_kernarg_preload_length 0
		.amdhsa_user_sgpr_kernarg_preload_offset 0
		.amdhsa_user_sgpr_private_segment_size 0
		.amdhsa_uses_dynamic_stack 0
		.amdhsa_system_sgpr_private_segment_wavefront_offset 0
		.amdhsa_system_sgpr_workgroup_id_x 1
		.amdhsa_system_sgpr_workgroup_id_y 0
		.amdhsa_system_sgpr_workgroup_id_z 0
		.amdhsa_system_sgpr_workgroup_info 0
		.amdhsa_system_vgpr_workitem_id 0
		.amdhsa_next_free_vgpr 1
		.amdhsa_next_free_sgpr 0
		.amdhsa_accum_offset 4
		.amdhsa_reserve_vcc 0
		.amdhsa_reserve_flat_scratch 0
		.amdhsa_float_round_mode_32 0
		.amdhsa_float_round_mode_16_64 0
		.amdhsa_float_denorm_mode_32 3
		.amdhsa_float_denorm_mode_16_64 3
		.amdhsa_dx10_clamp 1
		.amdhsa_ieee_mode 1
		.amdhsa_fp16_overflow 0
		.amdhsa_tg_split 0
		.amdhsa_exception_fp_ieee_invalid_op 0
		.amdhsa_exception_fp_denorm_src 0
		.amdhsa_exception_fp_ieee_div_zero 0
		.amdhsa_exception_fp_ieee_overflow 0
		.amdhsa_exception_fp_ieee_underflow 0
		.amdhsa_exception_fp_ieee_inexact 0
		.amdhsa_exception_int_div_zero 0
	.end_amdhsa_kernel
	.section	.text._ZN7rocprim17ROCPRIM_400000_NS6detail17trampoline_kernelINS0_14default_configENS1_33run_length_encode_config_selectorIhjNS0_4plusIjEEEEZZNS1_33reduce_by_key_impl_wrapped_configILNS1_25lookback_scan_determinismE0ES3_S7_PKhNS0_17constant_iteratorIjlEEPhPlSF_S6_NS0_8equal_toIhEEEE10hipError_tPvRmT2_T3_mT4_T5_T6_T7_T8_P12ihipStream_tbENKUlT_T0_E_clISt17integral_constantIbLb1EESZ_EEDaSU_SV_EUlSU_E_NS1_11comp_targetILNS1_3genE5ELNS1_11target_archE942ELNS1_3gpuE9ELNS1_3repE0EEENS1_30default_config_static_selectorELNS0_4arch9wavefront6targetE1EEEvT1_,"axG",@progbits,_ZN7rocprim17ROCPRIM_400000_NS6detail17trampoline_kernelINS0_14default_configENS1_33run_length_encode_config_selectorIhjNS0_4plusIjEEEEZZNS1_33reduce_by_key_impl_wrapped_configILNS1_25lookback_scan_determinismE0ES3_S7_PKhNS0_17constant_iteratorIjlEEPhPlSF_S6_NS0_8equal_toIhEEEE10hipError_tPvRmT2_T3_mT4_T5_T6_T7_T8_P12ihipStream_tbENKUlT_T0_E_clISt17integral_constantIbLb1EESZ_EEDaSU_SV_EUlSU_E_NS1_11comp_targetILNS1_3genE5ELNS1_11target_archE942ELNS1_3gpuE9ELNS1_3repE0EEENS1_30default_config_static_selectorELNS0_4arch9wavefront6targetE1EEEvT1_,comdat
.Lfunc_end176:
	.size	_ZN7rocprim17ROCPRIM_400000_NS6detail17trampoline_kernelINS0_14default_configENS1_33run_length_encode_config_selectorIhjNS0_4plusIjEEEEZZNS1_33reduce_by_key_impl_wrapped_configILNS1_25lookback_scan_determinismE0ES3_S7_PKhNS0_17constant_iteratorIjlEEPhPlSF_S6_NS0_8equal_toIhEEEE10hipError_tPvRmT2_T3_mT4_T5_T6_T7_T8_P12ihipStream_tbENKUlT_T0_E_clISt17integral_constantIbLb1EESZ_EEDaSU_SV_EUlSU_E_NS1_11comp_targetILNS1_3genE5ELNS1_11target_archE942ELNS1_3gpuE9ELNS1_3repE0EEENS1_30default_config_static_selectorELNS0_4arch9wavefront6targetE1EEEvT1_, .Lfunc_end176-_ZN7rocprim17ROCPRIM_400000_NS6detail17trampoline_kernelINS0_14default_configENS1_33run_length_encode_config_selectorIhjNS0_4plusIjEEEEZZNS1_33reduce_by_key_impl_wrapped_configILNS1_25lookback_scan_determinismE0ES3_S7_PKhNS0_17constant_iteratorIjlEEPhPlSF_S6_NS0_8equal_toIhEEEE10hipError_tPvRmT2_T3_mT4_T5_T6_T7_T8_P12ihipStream_tbENKUlT_T0_E_clISt17integral_constantIbLb1EESZ_EEDaSU_SV_EUlSU_E_NS1_11comp_targetILNS1_3genE5ELNS1_11target_archE942ELNS1_3gpuE9ELNS1_3repE0EEENS1_30default_config_static_selectorELNS0_4arch9wavefront6targetE1EEEvT1_
                                        ; -- End function
	.section	.AMDGPU.csdata,"",@progbits
; Kernel info:
; codeLenInByte = 0
; NumSgprs: 4
; NumVgprs: 0
; NumAgprs: 0
; TotalNumVgprs: 0
; ScratchSize: 0
; MemoryBound: 0
; FloatMode: 240
; IeeeMode: 1
; LDSByteSize: 0 bytes/workgroup (compile time only)
; SGPRBlocks: 0
; VGPRBlocks: 0
; NumSGPRsForWavesPerEU: 4
; NumVGPRsForWavesPerEU: 1
; AccumOffset: 4
; Occupancy: 8
; WaveLimiterHint : 0
; COMPUTE_PGM_RSRC2:SCRATCH_EN: 0
; COMPUTE_PGM_RSRC2:USER_SGPR: 6
; COMPUTE_PGM_RSRC2:TRAP_HANDLER: 0
; COMPUTE_PGM_RSRC2:TGID_X_EN: 1
; COMPUTE_PGM_RSRC2:TGID_Y_EN: 0
; COMPUTE_PGM_RSRC2:TGID_Z_EN: 0
; COMPUTE_PGM_RSRC2:TIDIG_COMP_CNT: 0
; COMPUTE_PGM_RSRC3_GFX90A:ACCUM_OFFSET: 0
; COMPUTE_PGM_RSRC3_GFX90A:TG_SPLIT: 0
	.section	.text._ZN7rocprim17ROCPRIM_400000_NS6detail17trampoline_kernelINS0_14default_configENS1_33run_length_encode_config_selectorIhjNS0_4plusIjEEEEZZNS1_33reduce_by_key_impl_wrapped_configILNS1_25lookback_scan_determinismE0ES3_S7_PKhNS0_17constant_iteratorIjlEEPhPlSF_S6_NS0_8equal_toIhEEEE10hipError_tPvRmT2_T3_mT4_T5_T6_T7_T8_P12ihipStream_tbENKUlT_T0_E_clISt17integral_constantIbLb1EESZ_EEDaSU_SV_EUlSU_E_NS1_11comp_targetILNS1_3genE4ELNS1_11target_archE910ELNS1_3gpuE8ELNS1_3repE0EEENS1_30default_config_static_selectorELNS0_4arch9wavefront6targetE1EEEvT1_,"axG",@progbits,_ZN7rocprim17ROCPRIM_400000_NS6detail17trampoline_kernelINS0_14default_configENS1_33run_length_encode_config_selectorIhjNS0_4plusIjEEEEZZNS1_33reduce_by_key_impl_wrapped_configILNS1_25lookback_scan_determinismE0ES3_S7_PKhNS0_17constant_iteratorIjlEEPhPlSF_S6_NS0_8equal_toIhEEEE10hipError_tPvRmT2_T3_mT4_T5_T6_T7_T8_P12ihipStream_tbENKUlT_T0_E_clISt17integral_constantIbLb1EESZ_EEDaSU_SV_EUlSU_E_NS1_11comp_targetILNS1_3genE4ELNS1_11target_archE910ELNS1_3gpuE8ELNS1_3repE0EEENS1_30default_config_static_selectorELNS0_4arch9wavefront6targetE1EEEvT1_,comdat
	.protected	_ZN7rocprim17ROCPRIM_400000_NS6detail17trampoline_kernelINS0_14default_configENS1_33run_length_encode_config_selectorIhjNS0_4plusIjEEEEZZNS1_33reduce_by_key_impl_wrapped_configILNS1_25lookback_scan_determinismE0ES3_S7_PKhNS0_17constant_iteratorIjlEEPhPlSF_S6_NS0_8equal_toIhEEEE10hipError_tPvRmT2_T3_mT4_T5_T6_T7_T8_P12ihipStream_tbENKUlT_T0_E_clISt17integral_constantIbLb1EESZ_EEDaSU_SV_EUlSU_E_NS1_11comp_targetILNS1_3genE4ELNS1_11target_archE910ELNS1_3gpuE8ELNS1_3repE0EEENS1_30default_config_static_selectorELNS0_4arch9wavefront6targetE1EEEvT1_ ; -- Begin function _ZN7rocprim17ROCPRIM_400000_NS6detail17trampoline_kernelINS0_14default_configENS1_33run_length_encode_config_selectorIhjNS0_4plusIjEEEEZZNS1_33reduce_by_key_impl_wrapped_configILNS1_25lookback_scan_determinismE0ES3_S7_PKhNS0_17constant_iteratorIjlEEPhPlSF_S6_NS0_8equal_toIhEEEE10hipError_tPvRmT2_T3_mT4_T5_T6_T7_T8_P12ihipStream_tbENKUlT_T0_E_clISt17integral_constantIbLb1EESZ_EEDaSU_SV_EUlSU_E_NS1_11comp_targetILNS1_3genE4ELNS1_11target_archE910ELNS1_3gpuE8ELNS1_3repE0EEENS1_30default_config_static_selectorELNS0_4arch9wavefront6targetE1EEEvT1_
	.globl	_ZN7rocprim17ROCPRIM_400000_NS6detail17trampoline_kernelINS0_14default_configENS1_33run_length_encode_config_selectorIhjNS0_4plusIjEEEEZZNS1_33reduce_by_key_impl_wrapped_configILNS1_25lookback_scan_determinismE0ES3_S7_PKhNS0_17constant_iteratorIjlEEPhPlSF_S6_NS0_8equal_toIhEEEE10hipError_tPvRmT2_T3_mT4_T5_T6_T7_T8_P12ihipStream_tbENKUlT_T0_E_clISt17integral_constantIbLb1EESZ_EEDaSU_SV_EUlSU_E_NS1_11comp_targetILNS1_3genE4ELNS1_11target_archE910ELNS1_3gpuE8ELNS1_3repE0EEENS1_30default_config_static_selectorELNS0_4arch9wavefront6targetE1EEEvT1_
	.p2align	8
	.type	_ZN7rocprim17ROCPRIM_400000_NS6detail17trampoline_kernelINS0_14default_configENS1_33run_length_encode_config_selectorIhjNS0_4plusIjEEEEZZNS1_33reduce_by_key_impl_wrapped_configILNS1_25lookback_scan_determinismE0ES3_S7_PKhNS0_17constant_iteratorIjlEEPhPlSF_S6_NS0_8equal_toIhEEEE10hipError_tPvRmT2_T3_mT4_T5_T6_T7_T8_P12ihipStream_tbENKUlT_T0_E_clISt17integral_constantIbLb1EESZ_EEDaSU_SV_EUlSU_E_NS1_11comp_targetILNS1_3genE4ELNS1_11target_archE910ELNS1_3gpuE8ELNS1_3repE0EEENS1_30default_config_static_selectorELNS0_4arch9wavefront6targetE1EEEvT1_,@function
_ZN7rocprim17ROCPRIM_400000_NS6detail17trampoline_kernelINS0_14default_configENS1_33run_length_encode_config_selectorIhjNS0_4plusIjEEEEZZNS1_33reduce_by_key_impl_wrapped_configILNS1_25lookback_scan_determinismE0ES3_S7_PKhNS0_17constant_iteratorIjlEEPhPlSF_S6_NS0_8equal_toIhEEEE10hipError_tPvRmT2_T3_mT4_T5_T6_T7_T8_P12ihipStream_tbENKUlT_T0_E_clISt17integral_constantIbLb1EESZ_EEDaSU_SV_EUlSU_E_NS1_11comp_targetILNS1_3genE4ELNS1_11target_archE910ELNS1_3gpuE8ELNS1_3repE0EEENS1_30default_config_static_selectorELNS0_4arch9wavefront6targetE1EEEvT1_: ; @_ZN7rocprim17ROCPRIM_400000_NS6detail17trampoline_kernelINS0_14default_configENS1_33run_length_encode_config_selectorIhjNS0_4plusIjEEEEZZNS1_33reduce_by_key_impl_wrapped_configILNS1_25lookback_scan_determinismE0ES3_S7_PKhNS0_17constant_iteratorIjlEEPhPlSF_S6_NS0_8equal_toIhEEEE10hipError_tPvRmT2_T3_mT4_T5_T6_T7_T8_P12ihipStream_tbENKUlT_T0_E_clISt17integral_constantIbLb1EESZ_EEDaSU_SV_EUlSU_E_NS1_11comp_targetILNS1_3genE4ELNS1_11target_archE910ELNS1_3gpuE8ELNS1_3repE0EEENS1_30default_config_static_selectorELNS0_4arch9wavefront6targetE1EEEvT1_
; %bb.0:
	s_load_dword s12, s[4:5], 0x10
	s_load_dwordx4 s[44:47], s[4:5], 0x20
	s_load_dwordx2 s[52:53], s[4:5], 0x30
	s_load_dwordx2 s[34:35], s[4:5], 0x70
	s_load_dwordx4 s[48:51], s[4:5], 0x60
	s_load_dwordx8 s[36:43], s[4:5], 0x40
	v_cmp_ne_u32_e64 s[2:3], 0, v0
	v_cmp_eq_u32_e64 s[0:1], 0, v0
	s_and_saveexec_b64 s[6:7], s[0:1]
	s_cbranch_execz .LBB177_4
; %bb.1:
	s_mov_b64 s[10:11], exec
	v_mbcnt_lo_u32_b32 v1, s10, 0
	v_mbcnt_hi_u32_b32 v1, s11, v1
	v_cmp_eq_u32_e32 vcc, 0, v1
                                        ; implicit-def: $vgpr2
	s_and_saveexec_b64 s[8:9], vcc
	s_cbranch_execz .LBB177_3
; %bb.2:
	s_load_dwordx2 s[14:15], s[4:5], 0x78
	s_bcnt1_i32_b64 s10, s[10:11]
	v_mov_b32_e32 v2, 0
	v_mov_b32_e32 v3, s10
	s_waitcnt lgkmcnt(0)
	global_atomic_add v2, v2, v3, s[14:15] glc
.LBB177_3:
	s_or_b64 exec, exec, s[8:9]
	s_waitcnt vmcnt(0)
	v_readfirstlane_b32 s8, v2
	v_add_u32_e32 v1, s8, v1
	v_mov_b32_e32 v2, 0
	ds_write_b32 v2, v1
.LBB177_4:
	s_or_b64 exec, exec, s[6:7]
	s_load_dwordx4 s[4:7], s[4:5], 0x0
	v_mov_b32_e32 v1, 0
	s_waitcnt lgkmcnt(0)
	s_barrier
	ds_read_b32 v1, v1
	s_mul_i32 s8, s40, s39
	s_mul_hi_u32 s9, s40, s38
	s_add_i32 s8, s9, s8
	s_mul_i32 s9, s41, s38
	s_add_i32 s8, s8, s9
	s_add_u32 s4, s4, s6
	s_movk_i32 s6, 0xf00
	s_mul_i32 s9, s40, s38
	s_addc_u32 s5, s5, s7
	s_waitcnt lgkmcnt(0)
	v_readfirstlane_b32 s60, v1
	v_mul_lo_u32 v1, v1, s6
	v_add_co_u32_e32 v2, vcc, s4, v1
	s_add_u32 s4, s9, s60
	v_mov_b32_e32 v3, s5
	s_addc_u32 s5, s8, 0
	s_add_u32 s6, s42, -1
	s_addc_u32 s7, s43, -1
	s_cmp_eq_u64 s[4:5], s[6:7]
	v_addc_co_u32_e32 v3, vcc, 0, v3, vcc
	s_cselect_b64 s[40:41], -1, 0
	s_cmp_lg_u64 s[4:5], s[6:7]
	s_mov_b64 s[10:11], -1
	s_cselect_b64 s[8:9], -1, 0
	s_mul_i32 s33, s6, 0xfffff100
	s_and_b64 vcc, exec, s[40:41]
	v_mad_u32_u24 v4, v0, 14, v0
	s_barrier
	s_cbranch_vccnz .LBB177_6
; %bb.5:
	v_readfirstlane_b32 s6, v2
	v_readfirstlane_b32 s7, v3
	s_nop 4
	global_load_ubyte v1, v0, s[6:7]
	global_load_ubyte v5, v0, s[6:7] offset:256
	global_load_ubyte v6, v0, s[6:7] offset:512
	;; [unrolled: 1-line block ×14, first 2 shown]
	s_mov_b64 s[6:7], -1
	s_waitcnt vmcnt(14)
	ds_write_b8 v0, v1
	s_waitcnt vmcnt(13)
	ds_write_b8 v0, v5 offset:256
	s_waitcnt vmcnt(12)
	ds_write_b8 v0, v6 offset:512
	s_waitcnt vmcnt(11)
	ds_write_b8 v0, v7 offset:768
	s_waitcnt vmcnt(10)
	ds_write_b8 v0, v8 offset:1024
	s_waitcnt vmcnt(9)
	ds_write_b8 v0, v9 offset:1280
	s_waitcnt vmcnt(8)
	ds_write_b8 v0, v10 offset:1536
	s_waitcnt vmcnt(7)
	ds_write_b8 v0, v11 offset:1792
	s_waitcnt vmcnt(6)
	ds_write_b8 v0, v12 offset:2048
	s_waitcnt vmcnt(5)
	ds_write_b8 v0, v13 offset:2304
	s_waitcnt vmcnt(4)
	ds_write_b8 v0, v14 offset:2560
	s_waitcnt vmcnt(3)
	ds_write_b8 v0, v15 offset:2816
	s_waitcnt vmcnt(2)
	ds_write_b8 v0, v16 offset:3072
	s_waitcnt vmcnt(1)
	ds_write_b8 v0, v17 offset:3328
	s_waitcnt vmcnt(0)
	ds_write_b8 v0, v18 offset:3584
	s_waitcnt lgkmcnt(0)
	s_barrier
	ds_read_b96 v[8:10], v4
	ds_read_u8 v21, v4 offset:12
	ds_read_u8 v11, v4 offset:13
	;; [unrolled: 1-line block ×3, first 2 shown]
	s_waitcnt lgkmcnt(3)
	v_lshrrev_b32_e32 v66, 8, v8
	v_lshrrev_b32_e32 v64, 16, v8
	;; [unrolled: 1-line block ×9, first 2 shown]
	s_add_i32 s33, s33, s48
	s_cbranch_execz .LBB177_7
	s_branch .LBB177_38
.LBB177_6:
	s_mov_b64 s[6:7], 0
                                        ; implicit-def: $vgpr8
                                        ; implicit-def: $vgpr66
                                        ; implicit-def: $vgpr64
                                        ; implicit-def: $vgpr63
                                        ; implicit-def: $vgpr60
                                        ; implicit-def: $vgpr59
                                        ; implicit-def: $vgpr58
                                        ; implicit-def: $vgpr57
                                        ; implicit-def: $vgpr56
                                        ; implicit-def: $vgpr55
                                        ; implicit-def: $vgpr21
                                        ; implicit-def: $vgpr11
                                        ; implicit-def: $vgpr1
	s_add_i32 s33, s33, s48
	s_andn2_b64 vcc, exec, s[10:11]
	s_cbranch_vccnz .LBB177_38
.LBB177_7:
	v_cmp_gt_u32_e32 vcc, s33, v0
                                        ; implicit-def: $vgpr1
	s_and_saveexec_b64 s[6:7], vcc
	s_cbranch_execz .LBB177_9
; %bb.8:
	v_readfirstlane_b32 s10, v2
	v_readfirstlane_b32 s11, v3
	s_waitcnt lgkmcnt(0)
	s_nop 3
	global_load_ubyte v1, v0, s[10:11]
.LBB177_9:
	s_or_b64 exec, exec, s[6:7]
	v_or_b32_e32 v5, 0x100, v0
	v_cmp_gt_u32_e32 vcc, s33, v5
                                        ; implicit-def: $vgpr5
	s_and_saveexec_b64 s[6:7], vcc
	s_cbranch_execz .LBB177_11
; %bb.10:
	v_readfirstlane_b32 s10, v2
	v_readfirstlane_b32 s11, v3
	s_nop 4
	global_load_ubyte v5, v0, s[10:11] offset:256
.LBB177_11:
	s_or_b64 exec, exec, s[6:7]
	v_or_b32_e32 v6, 0x200, v0
	v_cmp_gt_u32_e32 vcc, s33, v6
                                        ; implicit-def: $vgpr6
	s_and_saveexec_b64 s[6:7], vcc
	s_cbranch_execz .LBB177_13
; %bb.12:
	v_readfirstlane_b32 s10, v2
	v_readfirstlane_b32 s11, v3
	s_nop 4
	global_load_ubyte v6, v0, s[10:11] offset:512
.LBB177_13:
	s_or_b64 exec, exec, s[6:7]
	v_or_b32_e32 v7, 0x300, v0
	v_cmp_gt_u32_e32 vcc, s33, v7
                                        ; implicit-def: $vgpr7
	s_and_saveexec_b64 s[6:7], vcc
	s_cbranch_execz .LBB177_15
; %bb.14:
	v_readfirstlane_b32 s10, v2
	v_readfirstlane_b32 s11, v3
	s_nop 4
	global_load_ubyte v7, v0, s[10:11] offset:768
.LBB177_15:
	s_or_b64 exec, exec, s[6:7]
	v_or_b32_e32 v8, 0x400, v0
	v_cmp_gt_u32_e32 vcc, s33, v8
                                        ; implicit-def: $vgpr8
	s_and_saveexec_b64 s[6:7], vcc
	s_cbranch_execz .LBB177_17
; %bb.16:
	v_readfirstlane_b32 s10, v2
	v_readfirstlane_b32 s11, v3
	s_nop 4
	global_load_ubyte v8, v0, s[10:11] offset:1024
.LBB177_17:
	s_or_b64 exec, exec, s[6:7]
	v_or_b32_e32 v9, 0x500, v0
	v_cmp_gt_u32_e32 vcc, s33, v9
                                        ; implicit-def: $vgpr9
	s_and_saveexec_b64 s[6:7], vcc
	s_cbranch_execz .LBB177_19
; %bb.18:
	v_readfirstlane_b32 s10, v2
	v_readfirstlane_b32 s11, v3
	s_nop 4
	global_load_ubyte v9, v0, s[10:11] offset:1280
.LBB177_19:
	s_or_b64 exec, exec, s[6:7]
	v_or_b32_e32 v10, 0x600, v0
	v_cmp_gt_u32_e32 vcc, s33, v10
                                        ; implicit-def: $vgpr10
	s_and_saveexec_b64 s[6:7], vcc
	s_cbranch_execz .LBB177_21
; %bb.20:
	v_readfirstlane_b32 s10, v2
	v_readfirstlane_b32 s11, v3
	s_nop 4
	global_load_ubyte v10, v0, s[10:11] offset:1536
.LBB177_21:
	s_or_b64 exec, exec, s[6:7]
	s_waitcnt lgkmcnt(1)
	v_or_b32_e32 v11, 0x700, v0
	v_cmp_gt_u32_e32 vcc, s33, v11
                                        ; implicit-def: $vgpr11
	s_and_saveexec_b64 s[6:7], vcc
	s_cbranch_execz .LBB177_23
; %bb.22:
	v_readfirstlane_b32 s10, v2
	v_readfirstlane_b32 s11, v3
	s_nop 4
	global_load_ubyte v11, v0, s[10:11] offset:1792
.LBB177_23:
	s_or_b64 exec, exec, s[6:7]
	v_or_b32_e32 v12, 0x800, v0
	v_cmp_gt_u32_e32 vcc, s33, v12
                                        ; implicit-def: $vgpr12
	s_and_saveexec_b64 s[6:7], vcc
	s_cbranch_execz .LBB177_25
; %bb.24:
	v_readfirstlane_b32 s10, v2
	v_readfirstlane_b32 s11, v3
	s_nop 4
	global_load_ubyte v12, v0, s[10:11] offset:2048
.LBB177_25:
	s_or_b64 exec, exec, s[6:7]
	v_or_b32_e32 v13, 0x900, v0
	v_cmp_gt_u32_e32 vcc, s33, v13
                                        ; implicit-def: $vgpr13
	s_and_saveexec_b64 s[6:7], vcc
	s_cbranch_execz .LBB177_27
; %bb.26:
	v_readfirstlane_b32 s10, v2
	v_readfirstlane_b32 s11, v3
	s_nop 4
	global_load_ubyte v13, v0, s[10:11] offset:2304
.LBB177_27:
	s_or_b64 exec, exec, s[6:7]
	v_or_b32_e32 v14, 0xa00, v0
	v_cmp_gt_u32_e32 vcc, s33, v14
                                        ; implicit-def: $vgpr14
	s_and_saveexec_b64 s[6:7], vcc
	s_cbranch_execz .LBB177_29
; %bb.28:
	v_readfirstlane_b32 s10, v2
	v_readfirstlane_b32 s11, v3
	s_nop 4
	global_load_ubyte v14, v0, s[10:11] offset:2560
.LBB177_29:
	s_or_b64 exec, exec, s[6:7]
	v_or_b32_e32 v15, 0xb00, v0
	v_cmp_gt_u32_e32 vcc, s33, v15
                                        ; implicit-def: $vgpr15
	s_and_saveexec_b64 s[6:7], vcc
	s_cbranch_execz .LBB177_31
; %bb.30:
	v_readfirstlane_b32 s10, v2
	v_readfirstlane_b32 s11, v3
	s_nop 4
	global_load_ubyte v15, v0, s[10:11] offset:2816
.LBB177_31:
	s_or_b64 exec, exec, s[6:7]
	v_or_b32_e32 v16, 0xc00, v0
	v_cmp_gt_u32_e32 vcc, s33, v16
                                        ; implicit-def: $vgpr16
	s_and_saveexec_b64 s[6:7], vcc
	s_cbranch_execz .LBB177_33
; %bb.32:
	v_readfirstlane_b32 s10, v2
	v_readfirstlane_b32 s11, v3
	s_nop 4
	global_load_ubyte v16, v0, s[10:11] offset:3072
.LBB177_33:
	s_or_b64 exec, exec, s[6:7]
	v_or_b32_e32 v17, 0xd00, v0
	v_cmp_gt_u32_e32 vcc, s33, v17
                                        ; implicit-def: $vgpr17
	s_and_saveexec_b64 s[6:7], vcc
	s_cbranch_execz .LBB177_35
; %bb.34:
	v_readfirstlane_b32 s10, v2
	v_readfirstlane_b32 s11, v3
	s_nop 4
	global_load_ubyte v17, v0, s[10:11] offset:3328
.LBB177_35:
	s_or_b64 exec, exec, s[6:7]
	v_or_b32_e32 v18, 0xe00, v0
	v_cmp_gt_u32_e32 vcc, s33, v18
                                        ; implicit-def: $vgpr18
	s_and_saveexec_b64 s[6:7], vcc
	s_cbranch_execz .LBB177_37
; %bb.36:
	v_readfirstlane_b32 s10, v2
	v_readfirstlane_b32 s11, v3
	s_nop 4
	global_load_ubyte v18, v0, s[10:11] offset:3584
.LBB177_37:
	s_or_b64 exec, exec, s[6:7]
	s_waitcnt vmcnt(0) lgkmcnt(0)
	ds_write_b8 v0, v1
	ds_write_b8 v0, v5 offset:256
	ds_write_b8 v0, v6 offset:512
	;; [unrolled: 1-line block ×14, first 2 shown]
	s_waitcnt lgkmcnt(0)
	s_barrier
	ds_read_b96 v[8:10], v4
	ds_read_u8 v21, v4 offset:12
	ds_read_u8 v11, v4 offset:13
	;; [unrolled: 1-line block ×3, first 2 shown]
	v_mad_u32_u24 v4, v0, 15, 14
	s_waitcnt lgkmcnt(3)
	v_lshrrev_b32_e32 v66, 8, v8
	v_lshrrev_b32_e32 v64, 16, v8
	;; [unrolled: 1-line block ×9, first 2 shown]
	v_cmp_gt_u32_e64 s[6:7], s33, v4
.LBB177_38:
	v_mov_b32_e32 v52, s12
                                        ; implicit-def: $vgpr53
	s_and_saveexec_b64 s[10:11], s[6:7]
; %bb.39:
	v_mov_b32_e32 v53, s12
; %bb.40:
	s_or_b64 exec, exec, s[10:11]
	s_cmp_eq_u64 s[4:5], 0
	s_cselect_b64 s[42:43], -1, 0
	s_cmp_lg_u64 s[4:5], 0
	s_mov_b64 s[6:7], 0
	s_cselect_b64 s[10:11], -1, 0
	s_and_b64 vcc, exec, s[8:9]
	s_waitcnt lgkmcnt(0)
	s_barrier
	s_cbranch_vccz .LBB177_46
; %bb.41:
	s_and_b64 vcc, exec, s[10:11]
	s_cbranch_vccz .LBB177_47
; %bb.42:
	global_load_ubyte v4, v[2:3], off offset:-1
	v_cmp_ne_u16_sdwa s[6:7], v11, v1 src0_sel:BYTE_0 src1_sel:BYTE_0
	v_cmp_ne_u16_sdwa s[8:9], v21, v11 src0_sel:BYTE_0 src1_sel:BYTE_0
	;; [unrolled: 1-line block ×14, first 2 shown]
	ds_write_b8 v0, v1
	s_waitcnt lgkmcnt(0)
	s_barrier
	s_and_saveexec_b64 s[58:59], s[2:3]
	s_cbranch_execz .LBB177_44
; %bb.43:
	s_waitcnt vmcnt(0)
	v_add_u32_e32 v4, -1, v0
	ds_read_u8 v4, v4
.LBB177_44:
	s_or_b64 exec, exec, s[58:59]
	s_waitcnt vmcnt(0) lgkmcnt(0)
	v_and_b32_e32 v4, 0xff, v4
	v_cndmask_b32_e64 v61, 0, 1, s[6:7]
	v_cndmask_b32_e64 v62, 0, 1, s[8:9]
	v_cndmask_b32_e64 v65, 0, 1, s[12:13]
	v_cndmask_b32_e64 v67, 0, 1, s[14:15]
	v_cndmask_b32_e64 v68, 0, 1, s[16:17]
	v_cndmask_b32_e64 v69, 0, 1, s[18:19]
	v_cndmask_b32_e64 v70, 0, 1, s[20:21]
	v_cndmask_b32_e64 v71, 0, 1, s[22:23]
	v_cndmask_b32_e64 v72, 0, 1, s[24:25]
	v_cndmask_b32_e64 v73, 0, 1, s[26:27]
	v_cndmask_b32_e64 v74, 0, 1, s[28:29]
	v_cndmask_b32_e64 v75, 0, 1, s[30:31]
	v_cndmask_b32_e64 v76, 0, 1, s[54:55]
	v_cndmask_b32_e64 v77, 0, 1, s[56:57]
	v_cmp_ne_u16_sdwa s[8:9], v4, v8 src0_sel:DWORD src1_sel:BYTE_0
	s_mov_b64 s[6:7], -1
.LBB177_45:
                                        ; implicit-def: $sgpr14
	s_branch .LBB177_59
.LBB177_46:
                                        ; implicit-def: $sgpr8_sgpr9
                                        ; implicit-def: $vgpr61
                                        ; implicit-def: $vgpr62
                                        ; implicit-def: $vgpr65
                                        ; implicit-def: $vgpr67
                                        ; implicit-def: $vgpr68
                                        ; implicit-def: $vgpr69
                                        ; implicit-def: $vgpr70
                                        ; implicit-def: $vgpr71
                                        ; implicit-def: $vgpr72
                                        ; implicit-def: $vgpr73
                                        ; implicit-def: $vgpr74
                                        ; implicit-def: $vgpr75
                                        ; implicit-def: $vgpr76
                                        ; implicit-def: $vgpr77
                                        ; implicit-def: $sgpr14
	s_cbranch_execnz .LBB177_51
	s_branch .LBB177_59
.LBB177_47:
                                        ; implicit-def: $sgpr8_sgpr9
                                        ; implicit-def: $vgpr61
                                        ; implicit-def: $vgpr62
                                        ; implicit-def: $vgpr65
                                        ; implicit-def: $vgpr67
                                        ; implicit-def: $vgpr68
                                        ; implicit-def: $vgpr69
                                        ; implicit-def: $vgpr70
                                        ; implicit-def: $vgpr71
                                        ; implicit-def: $vgpr72
                                        ; implicit-def: $vgpr73
                                        ; implicit-def: $vgpr74
                                        ; implicit-def: $vgpr75
                                        ; implicit-def: $vgpr76
                                        ; implicit-def: $vgpr77
	s_cbranch_execz .LBB177_45
; %bb.48:
	v_cmp_ne_u16_sdwa s[8:9], v11, v1 src0_sel:BYTE_0 src1_sel:BYTE_0
	v_cndmask_b32_e64 v61, 0, 1, s[8:9]
	v_cmp_ne_u16_sdwa s[8:9], v21, v11 src0_sel:BYTE_0 src1_sel:BYTE_0
	v_cndmask_b32_e64 v62, 0, 1, s[8:9]
	;; [unrolled: 2-line block ×14, first 2 shown]
	ds_write_b8 v0, v1
	s_waitcnt lgkmcnt(0)
	s_barrier
	s_waitcnt lgkmcnt(0)
                                        ; implicit-def: $sgpr8_sgpr9
	s_and_saveexec_b64 s[12:13], s[2:3]
	s_xor_b64 s[12:13], exec, s[12:13]
	s_cbranch_execz .LBB177_50
; %bb.49:
	v_add_u32_e32 v4, -1, v0
	ds_read_u8 v4, v4
	s_or_b64 s[6:7], s[6:7], exec
	s_waitcnt lgkmcnt(0)
	v_cmp_ne_u16_sdwa s[8:9], v4, v8 src0_sel:DWORD src1_sel:BYTE_0
	s_and_b64 s[8:9], s[8:9], exec
.LBB177_50:
	s_or_b64 exec, exec, s[12:13]
	s_mov_b32 s14, 1
	s_branch .LBB177_59
.LBB177_51:
	s_mul_hi_u32 s8, s4, 0xfffff100
	s_mulk_i32 s5, 0xf100
	s_sub_i32 s8, s8, s4
	s_add_i32 s8, s8, s5
	s_mulk_i32 s4, 0xf100
	s_add_u32 s4, s4, s48
	s_addc_u32 s5, s8, s49
	s_and_b64 vcc, exec, s[10:11]
	s_cbranch_vccz .LBB177_56
; %bb.52:
	global_load_ubyte v6, v[2:3], off offset:-1
	v_mad_u32_u24 v4, v0, 15, 14
	v_mov_b32_e32 v5, 0
	v_cmp_gt_u64_e32 vcc, s[4:5], v[4:5]
	v_cmp_ne_u16_sdwa s[6:7], v11, v1 src0_sel:BYTE_0 src1_sel:BYTE_0
	v_mad_u32_u24 v4, v0, 15, 13
	s_and_b64 s[6:7], vcc, s[6:7]
	v_cmp_gt_u64_e32 vcc, s[4:5], v[4:5]
	v_cmp_ne_u16_sdwa s[8:9], v21, v11 src0_sel:BYTE_0 src1_sel:BYTE_0
	v_mad_u32_u24 v4, v0, 15, 12
	s_and_b64 s[8:9], vcc, s[8:9]
	;; [unrolled: 4-line block ×13, first 2 shown]
	v_cmp_gt_u64_e32 vcc, s[4:5], v[4:5]
	v_cmp_ne_u16_sdwa s[48:49], v8, v66 src0_sel:BYTE_0 src1_sel:BYTE_0
	v_mul_u32_u24_e32 v2, 15, v0
	s_and_b64 s[48:49], vcc, s[48:49]
	ds_write_b8 v0, v1
	s_waitcnt lgkmcnt(0)
	s_barrier
	s_and_saveexec_b64 s[54:55], s[2:3]
	s_cbranch_execz .LBB177_54
; %bb.53:
	v_add_u32_e32 v3, -1, v0
	s_waitcnt vmcnt(0)
	ds_read_u8 v6, v3
.LBB177_54:
	s_or_b64 exec, exec, s[54:55]
	v_mov_b32_e32 v3, v5
	v_cmp_gt_u64_e32 vcc, s[4:5], v[2:3]
	s_waitcnt vmcnt(0) lgkmcnt(0)
	v_and_b32_e32 v2, 0xff, v6
	v_cndmask_b32_e64 v61, 0, 1, s[6:7]
	v_cmp_ne_u16_sdwa s[6:7], v2, v8 src0_sel:DWORD src1_sel:BYTE_0
	v_cndmask_b32_e64 v62, 0, 1, s[8:9]
	v_cndmask_b32_e64 v65, 0, 1, s[10:11]
	;; [unrolled: 1-line block ×13, first 2 shown]
	s_and_b64 s[8:9], vcc, s[6:7]
	s_mov_b64 s[6:7], -1
.LBB177_55:
                                        ; implicit-def: $sgpr14
	v_mov_b32_e32 v78, s14
	s_and_saveexec_b64 s[2:3], s[6:7]
	s_cbranch_execnz .LBB177_60
	s_branch .LBB177_61
.LBB177_56:
                                        ; implicit-def: $sgpr8_sgpr9
                                        ; implicit-def: $vgpr61
                                        ; implicit-def: $vgpr62
                                        ; implicit-def: $vgpr65
                                        ; implicit-def: $vgpr67
                                        ; implicit-def: $vgpr68
                                        ; implicit-def: $vgpr69
                                        ; implicit-def: $vgpr70
                                        ; implicit-def: $vgpr71
                                        ; implicit-def: $vgpr72
                                        ; implicit-def: $vgpr73
                                        ; implicit-def: $vgpr74
                                        ; implicit-def: $vgpr75
                                        ; implicit-def: $vgpr76
                                        ; implicit-def: $vgpr77
	s_cbranch_execz .LBB177_55
; %bb.57:
	v_mad_u32_u24 v2, v0, 15, 14
	v_mov_b32_e32 v3, 0
	v_cmp_gt_u64_e32 vcc, s[4:5], v[2:3]
	v_cmp_ne_u16_sdwa s[8:9], v11, v1 src0_sel:BYTE_0 src1_sel:BYTE_0
	s_and_b64 s[8:9], vcc, s[8:9]
	v_mad_u32_u24 v2, v0, 15, 13
	v_cndmask_b32_e64 v61, 0, 1, s[8:9]
	v_cmp_gt_u64_e32 vcc, s[4:5], v[2:3]
	v_cmp_ne_u16_sdwa s[8:9], v21, v11 src0_sel:BYTE_0 src1_sel:BYTE_0
	s_and_b64 s[8:9], vcc, s[8:9]
	v_mad_u32_u24 v2, v0, 15, 12
	v_cndmask_b32_e64 v62, 0, 1, s[8:9]
	;; [unrolled: 5-line block ×13, first 2 shown]
	v_cmp_gt_u64_e32 vcc, s[4:5], v[2:3]
	v_cmp_ne_u16_sdwa s[8:9], v8, v66 src0_sel:BYTE_0 src1_sel:BYTE_0
	s_and_b64 s[8:9], vcc, s[8:9]
	s_mov_b32 s14, 1
	v_cndmask_b32_e64 v77, 0, 1, s[8:9]
	ds_write_b8 v0, v1
	s_waitcnt lgkmcnt(0)
	s_barrier
	s_waitcnt lgkmcnt(0)
                                        ; implicit-def: $sgpr8_sgpr9
	s_and_saveexec_b64 s[10:11], s[2:3]
	s_cbranch_execz .LBB177_155
; %bb.58:
	v_add_u32_e32 v2, -1, v0
	ds_read_u8 v4, v2
	v_mul_u32_u24_e32 v2, 15, v0
	v_cmp_gt_u64_e32 vcc, s[4:5], v[2:3]
	s_or_b64 s[6:7], s[6:7], exec
	s_waitcnt lgkmcnt(0)
	v_and_b32_e32 v2, 0xff, v4
	v_cmp_ne_u16_sdwa s[2:3], v2, v8 src0_sel:DWORD src1_sel:BYTE_0
	s_and_b64 s[2:3], vcc, s[2:3]
	s_and_b64 s[8:9], s[2:3], exec
	s_or_b64 exec, exec, s[10:11]
.LBB177_59:
	v_mov_b32_e32 v78, s14
	s_and_saveexec_b64 s[2:3], s[6:7]
.LBB177_60:
	v_cndmask_b32_e64 v78, 0, 1, s[8:9]
.LBB177_61:
	s_or_b64 exec, exec, s[2:3]
	s_cmp_eq_u64 s[38:39], 0
	v_add3_u32 v2, v77, v78, v76
	s_cselect_b64 s[38:39], -1, 0
	s_cmp_lg_u32 s60, 0
	v_cmp_eq_u32_e64 s[26:27], 0, v77
	v_cmp_eq_u32_e64 s[24:25], 0, v76
	;; [unrolled: 1-line block ×3, first 2 shown]
	v_add3_u32 v81, v2, v75, v74
	v_cmp_eq_u32_e64 s[20:21], 0, v74
	v_cmp_eq_u32_e64 s[18:19], 0, v73
	;; [unrolled: 1-line block ×10, first 2 shown]
	v_cmp_eq_u32_e32 vcc, 0, v61
	v_mbcnt_lo_u32_b32 v80, -1, 0
	v_lshrrev_b32_e32 v54, 6, v0
	v_or_b32_e32 v79, 63, v0
	s_cbranch_scc0 .LBB177_92
; %bb.62:
	v_cndmask_b32_e64 v2, 0, v52, s[26:27]
	v_add_u32_e32 v2, v2, v52
	v_cndmask_b32_e64 v2, 0, v2, s[24:25]
	v_add_u32_e32 v2, v2, v52
	;; [unrolled: 2-line block ×11, first 2 shown]
	v_cndmask_b32_e64 v2, 0, v2, s[4:5]
	v_add3_u32 v3, v81, v73, v72
	v_add_u32_e32 v2, v2, v52
	v_add3_u32 v3, v3, v71, v70
	v_cndmask_b32_e64 v2, 0, v2, s[2:3]
	v_add3_u32 v3, v3, v69, v68
	v_add_u32_e32 v2, v2, v52
	v_add3_u32 v3, v3, v67, v65
	v_cndmask_b32_e32 v2, 0, v2, vcc
	v_add3_u32 v3, v3, v62, v61
	v_add_u32_e32 v2, v2, v53
	v_mbcnt_hi_u32_b32 v15, -1, v80
	v_and_b32_e32 v4, 15, v15
	v_mov_b32_dpp v6, v2 row_shr:1 row_mask:0xf bank_mask:0xf
	v_cmp_eq_u32_e32 vcc, 0, v3
	v_mov_b32_dpp v5, v3 row_shr:1 row_mask:0xf bank_mask:0xf
	v_cndmask_b32_e32 v6, 0, v6, vcc
	v_cmp_eq_u32_e32 vcc, 0, v4
	v_cndmask_b32_e64 v5, v5, 0, vcc
	v_add_u32_e32 v3, v5, v3
	v_cndmask_b32_e64 v5, v6, 0, vcc
	v_add_u32_e32 v2, v5, v2
	v_cmp_eq_u32_e32 vcc, 0, v3
	v_mov_b32_dpp v5, v3 row_shr:2 row_mask:0xf bank_mask:0xf
	v_cmp_lt_u32_e64 s[28:29], 1, v4
	v_mov_b32_dpp v6, v2 row_shr:2 row_mask:0xf bank_mask:0xf
	v_cndmask_b32_e64 v5, 0, v5, s[28:29]
	s_and_b64 vcc, s[28:29], vcc
	v_cndmask_b32_e32 v6, 0, v6, vcc
	v_add_u32_e32 v3, v3, v5
	v_add_u32_e32 v2, v6, v2
	v_cmp_eq_u32_e32 vcc, 0, v3
	v_mov_b32_dpp v5, v3 row_shr:4 row_mask:0xf bank_mask:0xf
	v_cmp_lt_u32_e64 s[28:29], 3, v4
	v_mov_b32_dpp v6, v2 row_shr:4 row_mask:0xf bank_mask:0xf
	v_cndmask_b32_e64 v5, 0, v5, s[28:29]
	s_and_b64 vcc, s[28:29], vcc
	v_cndmask_b32_e32 v6, 0, v6, vcc
	v_add_u32_e32 v3, v5, v3
	v_add_u32_e32 v2, v2, v6
	v_cmp_eq_u32_e32 vcc, 0, v3
	v_cmp_lt_u32_e64 s[28:29], 7, v4
	v_mov_b32_dpp v5, v3 row_shr:8 row_mask:0xf bank_mask:0xf
	v_mov_b32_dpp v6, v2 row_shr:8 row_mask:0xf bank_mask:0xf
	s_and_b64 vcc, s[28:29], vcc
	v_cndmask_b32_e64 v4, 0, v5, s[28:29]
	v_cndmask_b32_e32 v5, 0, v6, vcc
	v_add_u32_e32 v2, v5, v2
	v_add_u32_e32 v3, v4, v3
	v_bfe_i32 v6, v15, 4, 1
	v_mov_b32_dpp v5, v2 row_bcast:15 row_mask:0xf bank_mask:0xf
	v_mov_b32_dpp v4, v3 row_bcast:15 row_mask:0xf bank_mask:0xf
	v_cmp_eq_u32_e32 vcc, 0, v3
	v_cndmask_b32_e32 v5, 0, v5, vcc
	v_and_b32_e32 v4, v6, v4
	v_add_u32_e32 v3, v4, v3
	v_and_b32_e32 v4, v6, v5
	v_add_u32_e32 v4, v4, v2
	v_mov_b32_dpp v2, v3 row_bcast:31 row_mask:0xf bank_mask:0xf
	v_cmp_eq_u32_e32 vcc, 0, v3
	v_cmp_lt_u32_e64 s[28:29], 31, v15
	v_mov_b32_dpp v5, v4 row_bcast:31 row_mask:0xf bank_mask:0xf
	v_cndmask_b32_e64 v2, 0, v2, s[28:29]
	s_and_b64 vcc, s[28:29], vcc
	v_add_u32_e32 v2, v2, v3
	v_cndmask_b32_e32 v3, 0, v5, vcc
	v_add_u32_e32 v3, v3, v4
	v_cmp_eq_u32_e32 vcc, v79, v0
	v_lshlrev_b32_e32 v4, 3, v54
	s_and_saveexec_b64 s[28:29], vcc
	s_cbranch_execz .LBB177_64
; %bb.63:
	ds_write_b64 v4, v[2:3] offset:528
.LBB177_64:
	s_or_b64 exec, exec, s[28:29]
	v_cmp_gt_u32_e32 vcc, 4, v0
	s_waitcnt lgkmcnt(0)
	s_barrier
	s_and_saveexec_b64 s[30:31], vcc
	s_cbranch_execz .LBB177_66
; %bb.65:
	v_lshlrev_b32_e32 v5, 3, v0
	ds_read_b64 v[6:7], v5 offset:528
	v_and_b32_e32 v12, 3, v15
	v_cmp_lt_u32_e64 s[28:29], 1, v12
	s_waitcnt lgkmcnt(0)
	v_mov_b32_dpp v14, v7 row_shr:1 row_mask:0xf bank_mask:0xf
	v_cmp_eq_u32_e32 vcc, 0, v6
	v_mov_b32_dpp v13, v6 row_shr:1 row_mask:0xf bank_mask:0xf
	v_cndmask_b32_e32 v14, 0, v14, vcc
	v_cmp_eq_u32_e32 vcc, 0, v12
	v_cndmask_b32_e64 v13, v13, 0, vcc
	v_add_u32_e32 v6, v13, v6
	v_cndmask_b32_e64 v13, v14, 0, vcc
	v_add_u32_e32 v7, v13, v7
	v_cmp_eq_u32_e32 vcc, 0, v6
	v_mov_b32_dpp v13, v6 row_shr:2 row_mask:0xf bank_mask:0xf
	v_mov_b32_dpp v14, v7 row_shr:2 row_mask:0xf bank_mask:0xf
	v_cndmask_b32_e64 v12, 0, v13, s[28:29]
	s_and_b64 vcc, s[28:29], vcc
	v_add_u32_e32 v6, v12, v6
	v_cndmask_b32_e32 v12, 0, v14, vcc
	v_add_u32_e32 v7, v12, v7
	ds_write_b64 v5, v[6:7] offset:528
.LBB177_66:
	s_or_b64 exec, exec, s[30:31]
	v_cmp_gt_u32_e32 vcc, 64, v0
	v_cmp_lt_u32_e64 s[28:29], 63, v0
	v_mov_b32_e32 v12, 0
	v_mov_b32_e32 v13, 0
	s_waitcnt lgkmcnt(0)
	s_barrier
	s_and_saveexec_b64 s[30:31], s[28:29]
	s_cbranch_execz .LBB177_68
; %bb.67:
	ds_read_b64 v[12:13], v4 offset:520
	v_cmp_eq_u32_e64 s[28:29], 0, v2
	s_waitcnt lgkmcnt(0)
	v_add_u32_e32 v4, v12, v2
	v_cndmask_b32_e64 v2, 0, v13, s[28:29]
	v_add_u32_e32 v3, v2, v3
	v_mov_b32_e32 v2, v4
.LBB177_68:
	s_or_b64 exec, exec, s[30:31]
	v_add_u32_e32 v4, -1, v15
	v_and_b32_e32 v5, 64, v15
	v_cmp_lt_i32_e64 s[28:29], v4, v5
	v_cndmask_b32_e64 v4, v4, v15, s[28:29]
	v_lshlrev_b32_e32 v4, 2, v4
	ds_bpermute_b32 v20, v4, v2
	ds_bpermute_b32 v22, v4, v3
	v_cmp_eq_u32_e64 s[28:29], 0, v15
	s_and_saveexec_b64 s[48:49], vcc
	s_cbranch_execz .LBB177_91
; %bb.69:
	v_mov_b32_e32 v7, 0
	ds_read_b64 v[2:3], v7 offset:552
	s_waitcnt lgkmcnt(0)
	v_readfirstlane_b32 s56, v2
	v_readfirstlane_b32 s57, v3
	s_and_saveexec_b64 s[30:31], s[28:29]
	s_cbranch_execz .LBB177_71
; %bb.70:
	s_add_i32 s54, s60, 64
	s_mov_b32 s55, 0
	s_lshl_b64 s[58:59], s[54:55], 4
	s_add_u32 s58, s36, s58
	s_addc_u32 s59, s37, s59
	s_and_b32 s63, s57, 0xff000000
	s_mov_b32 s62, s55
	s_and_b32 s65, s57, 0xff0000
	s_mov_b32 s64, s55
	s_or_b64 s[62:63], s[64:65], s[62:63]
	s_and_b32 s65, s57, 0xff00
	s_or_b64 s[62:63], s[62:63], s[64:65]
	s_and_b32 s65, s57, 0xff
	s_or_b64 s[54:55], s[62:63], s[64:65]
	v_mov_b32_e32 v4, s56
	v_mov_b32_e32 v5, s55
	;; [unrolled: 1-line block ×3, first 2 shown]
	v_pk_mov_b32 v[2:3], s[58:59], s[58:59] op_sel:[0,1]
	;;#ASMSTART
	global_store_dwordx4 v[2:3], v[4:7] off	
s_waitcnt vmcnt(0)
	;;#ASMEND
.LBB177_71:
	s_or_b64 exec, exec, s[30:31]
	v_xad_u32 v14, v15, -1, s60
	v_add_u32_e32 v6, 64, v14
	v_lshlrev_b64 v[2:3], 4, v[6:7]
	v_mov_b32_e32 v4, s37
	v_add_co_u32_e32 v16, vcc, s36, v2
	v_addc_co_u32_e32 v17, vcc, v4, v3, vcc
	;;#ASMSTART
	global_load_dwordx4 v[2:5], v[16:17] off glc	
s_waitcnt vmcnt(0)
	;;#ASMEND
	v_and_b32_e32 v5, 0xff, v3
	v_and_b32_e32 v6, 0xff00, v3
	v_or3_b32 v5, 0, v5, v6
	v_or3_b32 v2, v2, 0, 0
	v_and_b32_e32 v6, 0xff000000, v3
	v_and_b32_e32 v3, 0xff0000, v3
	v_or3_b32 v3, v5, v3, v6
	v_or3_b32 v2, v2, 0, 0
	v_cmp_eq_u16_sdwa s[54:55], v4, v7 src0_sel:BYTE_0 src1_sel:DWORD
	s_and_saveexec_b64 s[30:31], s[54:55]
	s_cbranch_execz .LBB177_77
; %bb.72:
	s_mov_b32 s58, 1
	s_mov_b64 s[54:55], 0
	v_mov_b32_e32 v6, 0
.LBB177_73:                             ; =>This Loop Header: Depth=1
                                        ;     Child Loop BB177_74 Depth 2
	s_max_u32 s59, s58, 1
.LBB177_74:                             ;   Parent Loop BB177_73 Depth=1
                                        ; =>  This Inner Loop Header: Depth=2
	s_add_i32 s59, s59, -1
	s_cmp_eq_u32 s59, 0
	s_sleep 1
	s_cbranch_scc0 .LBB177_74
; %bb.75:                               ;   in Loop: Header=BB177_73 Depth=1
	s_cmp_lt_u32 s58, 32
	s_cselect_b64 s[62:63], -1, 0
	s_cmp_lg_u64 s[62:63], 0
	s_addc_u32 s58, s58, 0
	;;#ASMSTART
	global_load_dwordx4 v[2:5], v[16:17] off glc	
s_waitcnt vmcnt(0)
	;;#ASMEND
	v_cmp_ne_u16_sdwa s[62:63], v4, v6 src0_sel:BYTE_0 src1_sel:DWORD
	s_or_b64 s[54:55], s[62:63], s[54:55]
	s_andn2_b64 exec, exec, s[54:55]
	s_cbranch_execnz .LBB177_73
; %bb.76:
	s_or_b64 exec, exec, s[54:55]
.LBB177_77:
	s_or_b64 exec, exec, s[30:31]
	v_mov_b32_e32 v23, 2
	v_cmp_eq_u16_sdwa s[30:31], v4, v23 src0_sel:BYTE_0 src1_sel:DWORD
	v_lshlrev_b64 v[16:17], v15, -1
	v_and_b32_e32 v5, s31, v17
	v_and_b32_e32 v24, 63, v15
	v_or_b32_e32 v5, 0x80000000, v5
	v_cmp_ne_u32_e32 vcc, 63, v24
	v_and_b32_e32 v6, s30, v16
	v_ffbl_b32_e32 v5, v5
	v_addc_co_u32_e32 v7, vcc, 0, v15, vcc
	v_add_u32_e32 v5, 32, v5
	v_ffbl_b32_e32 v6, v6
	v_lshlrev_b32_e32 v25, 2, v7
	v_min_u32_e32 v5, v6, v5
	ds_bpermute_b32 v6, v25, v3
	v_cmp_eq_u32_e32 vcc, 0, v2
	v_cmp_lt_u32_e64 s[30:31], v24, v5
	ds_bpermute_b32 v7, v25, v2
	s_and_b64 vcc, s[30:31], vcc
	s_waitcnt lgkmcnt(1)
	v_cndmask_b32_e32 v6, 0, v6, vcc
	v_cmp_gt_u32_e32 vcc, 62, v24
	v_add_u32_e32 v3, v6, v3
	v_cndmask_b32_e64 v6, 0, 1, vcc
	v_lshlrev_b32_e32 v6, 1, v6
	v_add_lshl_u32 v26, v6, v15, 2
	s_waitcnt lgkmcnt(0)
	v_cndmask_b32_e64 v7, 0, v7, s[30:31]
	ds_bpermute_b32 v6, v26, v3
	v_add_u32_e32 v2, v7, v2
	ds_bpermute_b32 v7, v26, v2
	v_add_u32_e32 v27, 2, v24
	v_cmp_eq_u32_e32 vcc, 0, v2
	s_waitcnt lgkmcnt(1)
	v_cndmask_b32_e32 v6, 0, v6, vcc
	v_cmp_gt_u32_e32 vcc, v27, v5
	v_cndmask_b32_e64 v6, v6, 0, vcc
	v_add_u32_e32 v3, v6, v3
	s_waitcnt lgkmcnt(0)
	v_cndmask_b32_e64 v6, v7, 0, vcc
	v_cmp_gt_u32_e32 vcc, 60, v24
	v_cndmask_b32_e64 v7, 0, 1, vcc
	v_lshlrev_b32_e32 v7, 2, v7
	v_add_lshl_u32 v28, v7, v15, 2
	ds_bpermute_b32 v7, v28, v3
	v_add_u32_e32 v2, v2, v6
	ds_bpermute_b32 v6, v28, v2
	v_add_u32_e32 v29, 4, v24
	v_cmp_eq_u32_e32 vcc, 0, v2
	s_waitcnt lgkmcnt(1)
	v_cndmask_b32_e32 v7, 0, v7, vcc
	v_cmp_gt_u32_e32 vcc, v29, v5
	v_cndmask_b32_e64 v7, v7, 0, vcc
	s_waitcnt lgkmcnt(0)
	v_cndmask_b32_e64 v6, v6, 0, vcc
	v_cmp_gt_u32_e32 vcc, 56, v24
	v_add_u32_e32 v3, v3, v7
	v_cndmask_b32_e64 v7, 0, 1, vcc
	v_lshlrev_b32_e32 v7, 3, v7
	v_add_lshl_u32 v30, v7, v15, 2
	ds_bpermute_b32 v7, v30, v3
	v_add_u32_e32 v2, v2, v6
	ds_bpermute_b32 v6, v30, v2
	v_add_u32_e32 v31, 8, v24
	v_cmp_eq_u32_e32 vcc, 0, v2
	s_waitcnt lgkmcnt(1)
	v_cndmask_b32_e32 v7, 0, v7, vcc
	v_cmp_gt_u32_e32 vcc, v31, v5
	v_cndmask_b32_e64 v7, v7, 0, vcc
	s_waitcnt lgkmcnt(0)
	v_cndmask_b32_e64 v6, v6, 0, vcc
	v_cmp_gt_u32_e32 vcc, 48, v24
	v_add_u32_e32 v3, v3, v7
	;; [unrolled: 16-line block ×3, first 2 shown]
	v_cndmask_b32_e64 v7, 0, 1, vcc
	v_lshlrev_b32_e32 v7, 5, v7
	v_add_lshl_u32 v34, v7, v15, 2
	ds_bpermute_b32 v7, v34, v3
	v_add_u32_e32 v2, v2, v6
	ds_bpermute_b32 v6, v34, v2
	v_add_u32_e32 v35, 32, v24
	v_cmp_eq_u32_e32 vcc, 0, v2
	s_waitcnt lgkmcnt(1)
	v_cndmask_b32_e32 v7, 0, v7, vcc
	v_cmp_gt_u32_e32 vcc, v35, v5
	v_cndmask_b32_e64 v5, v7, 0, vcc
	v_add_u32_e32 v3, v5, v3
	s_waitcnt lgkmcnt(0)
	v_cndmask_b32_e64 v5, v6, 0, vcc
	v_add_u32_e32 v2, v5, v2
	v_mov_b32_e32 v15, 0
	s_branch .LBB177_79
.LBB177_78:                             ;   in Loop: Header=BB177_79 Depth=1
	s_or_b64 exec, exec, s[30:31]
	v_cmp_eq_u16_sdwa s[30:31], v4, v23 src0_sel:BYTE_0 src1_sel:DWORD
	v_and_b32_e32 v5, s31, v17
	v_or_b32_e32 v5, 0x80000000, v5
	v_and_b32_e32 v18, s30, v16
	v_ffbl_b32_e32 v5, v5
	v_add_u32_e32 v5, 32, v5
	v_ffbl_b32_e32 v18, v18
	v_min_u32_e32 v5, v18, v5
	ds_bpermute_b32 v18, v25, v3
	v_cmp_eq_u32_e32 vcc, 0, v2
	v_cmp_lt_u32_e64 s[30:31], v24, v5
	ds_bpermute_b32 v19, v25, v2
	s_and_b64 vcc, s[30:31], vcc
	s_waitcnt lgkmcnt(1)
	v_cndmask_b32_e32 v18, 0, v18, vcc
	v_add_u32_e32 v3, v18, v3
	ds_bpermute_b32 v18, v26, v3
	s_waitcnt lgkmcnt(1)
	v_cndmask_b32_e64 v19, 0, v19, s[30:31]
	v_add_u32_e32 v2, v19, v2
	v_cmp_eq_u32_e32 vcc, 0, v2
	ds_bpermute_b32 v19, v26, v2
	s_waitcnt lgkmcnt(1)
	v_cndmask_b32_e32 v18, 0, v18, vcc
	v_cmp_gt_u32_e32 vcc, v27, v5
	v_cndmask_b32_e64 v18, v18, 0, vcc
	v_add_u32_e32 v3, v18, v3
	ds_bpermute_b32 v18, v28, v3
	s_waitcnt lgkmcnt(1)
	v_cndmask_b32_e64 v19, v19, 0, vcc
	v_add_u32_e32 v2, v2, v19
	v_cmp_eq_u32_e32 vcc, 0, v2
	ds_bpermute_b32 v19, v28, v2
	s_waitcnt lgkmcnt(1)
	v_cndmask_b32_e32 v18, 0, v18, vcc
	v_cmp_gt_u32_e32 vcc, v29, v5
	v_cndmask_b32_e64 v18, v18, 0, vcc
	v_add_u32_e32 v3, v3, v18
	ds_bpermute_b32 v18, v30, v3
	s_waitcnt lgkmcnt(1)
	v_cndmask_b32_e64 v19, v19, 0, vcc
	v_add_u32_e32 v2, v2, v19
	ds_bpermute_b32 v19, v30, v2
	v_cmp_eq_u32_e32 vcc, 0, v2
	s_waitcnt lgkmcnt(1)
	v_cndmask_b32_e32 v18, 0, v18, vcc
	v_cmp_gt_u32_e32 vcc, v31, v5
	v_cndmask_b32_e64 v18, v18, 0, vcc
	v_add_u32_e32 v3, v3, v18
	ds_bpermute_b32 v18, v32, v3
	s_waitcnt lgkmcnt(1)
	v_cndmask_b32_e64 v19, v19, 0, vcc
	v_add_u32_e32 v2, v2, v19
	ds_bpermute_b32 v19, v32, v2
	v_cmp_eq_u32_e32 vcc, 0, v2
	;; [unrolled: 11-line block ×3, first 2 shown]
	s_waitcnt lgkmcnt(1)
	v_cndmask_b32_e32 v18, 0, v18, vcc
	v_cmp_gt_u32_e32 vcc, v35, v5
	v_cndmask_b32_e64 v5, v18, 0, vcc
	v_add_u32_e32 v3, v5, v3
	s_waitcnt lgkmcnt(0)
	v_cndmask_b32_e64 v5, v19, 0, vcc
	v_cmp_eq_u32_e32 vcc, 0, v6
	v_cndmask_b32_e32 v3, 0, v3, vcc
	v_subrev_u32_e32 v14, 64, v14
	v_add3_u32 v2, v2, v6, v5
	v_add_u32_e32 v3, v3, v7
.LBB177_79:                             ; =>This Loop Header: Depth=1
                                        ;     Child Loop BB177_82 Depth 2
                                        ;       Child Loop BB177_83 Depth 3
	v_cmp_ne_u16_sdwa s[30:31], v4, v23 src0_sel:BYTE_0 src1_sel:DWORD
	v_mov_b32_e32 v7, v3
	v_cndmask_b32_e64 v3, 0, 1, s[30:31]
	;;#ASMSTART
	;;#ASMEND
	v_cmp_ne_u32_e32 vcc, 0, v3
	s_cmp_lg_u64 vcc, exec
	v_mov_b32_e32 v6, v2
	s_cbranch_scc1 .LBB177_86
; %bb.80:                               ;   in Loop: Header=BB177_79 Depth=1
	v_lshlrev_b64 v[2:3], 4, v[14:15]
	v_mov_b32_e32 v4, s37
	v_add_co_u32_e32 v18, vcc, s36, v2
	v_addc_co_u32_e32 v19, vcc, v4, v3, vcc
	;;#ASMSTART
	global_load_dwordx4 v[2:5], v[18:19] off glc	
s_waitcnt vmcnt(0)
	;;#ASMEND
	v_and_b32_e32 v5, 0xff, v3
	v_and_b32_e32 v36, 0xff00, v3
	v_or3_b32 v5, 0, v5, v36
	v_or3_b32 v2, v2, 0, 0
	v_and_b32_e32 v36, 0xff000000, v3
	v_and_b32_e32 v3, 0xff0000, v3
	v_or3_b32 v3, v5, v3, v36
	v_or3_b32 v2, v2, 0, 0
	v_cmp_eq_u16_sdwa s[54:55], v4, v15 src0_sel:BYTE_0 src1_sel:DWORD
	s_and_saveexec_b64 s[30:31], s[54:55]
	s_cbranch_execz .LBB177_78
; %bb.81:                               ;   in Loop: Header=BB177_79 Depth=1
	s_mov_b32 s58, 1
	s_mov_b64 s[54:55], 0
.LBB177_82:                             ;   Parent Loop BB177_79 Depth=1
                                        ; =>  This Loop Header: Depth=2
                                        ;       Child Loop BB177_83 Depth 3
	s_max_u32 s59, s58, 1
.LBB177_83:                             ;   Parent Loop BB177_79 Depth=1
                                        ;     Parent Loop BB177_82 Depth=2
                                        ; =>    This Inner Loop Header: Depth=3
	s_add_i32 s59, s59, -1
	s_cmp_eq_u32 s59, 0
	s_sleep 1
	s_cbranch_scc0 .LBB177_83
; %bb.84:                               ;   in Loop: Header=BB177_82 Depth=2
	s_cmp_lt_u32 s58, 32
	s_cselect_b64 s[62:63], -1, 0
	s_cmp_lg_u64 s[62:63], 0
	s_addc_u32 s58, s58, 0
	;;#ASMSTART
	global_load_dwordx4 v[2:5], v[18:19] off glc	
s_waitcnt vmcnt(0)
	;;#ASMEND
	v_cmp_ne_u16_sdwa s[62:63], v4, v15 src0_sel:BYTE_0 src1_sel:DWORD
	s_or_b64 s[54:55], s[62:63], s[54:55]
	s_andn2_b64 exec, exec, s[54:55]
	s_cbranch_execnz .LBB177_82
; %bb.85:                               ;   in Loop: Header=BB177_79 Depth=1
	s_or_b64 exec, exec, s[54:55]
	s_branch .LBB177_78
.LBB177_86:                             ;   in Loop: Header=BB177_79 Depth=1
                                        ; implicit-def: $vgpr3
                                        ; implicit-def: $vgpr2
                                        ; implicit-def: $vgpr4
	s_cbranch_execz .LBB177_79
; %bb.87:
	s_and_saveexec_b64 s[30:31], s[28:29]
	s_cbranch_execz .LBB177_89
; %bb.88:
	s_cmp_eq_u32 s56, 0
	s_cselect_b64 vcc, -1, 0
	s_mov_b32 s55, 0
	v_cndmask_b32_e32 v2, 0, v7, vcc
	s_add_i32 s54, s60, 64
	v_add_u32_e32 v2, s57, v2
	s_lshl_b64 s[54:55], s[54:55], 4
	s_add_u32 s54, s36, s54
	v_and_b32_e32 v3, 0xff000000, v2
	v_and_b32_e32 v4, 0xff0000, v2
	s_addc_u32 s55, s37, s55
	v_or_b32_e32 v3, v4, v3
	v_and_b32_e32 v4, 0xff00, v2
	v_and_b32_e32 v2, 0xff, v2
	v_add_u32_e32 v14, s56, v6
	v_mov_b32_e32 v17, 0
	v_or3_b32 v15, v3, v4, v2
	v_mov_b32_e32 v16, 2
	v_pk_mov_b32 v[2:3], s[54:55], s[54:55] op_sel:[0,1]
	;;#ASMSTART
	global_store_dwordx4 v[2:3], v[14:17] off	
s_waitcnt vmcnt(0)
	;;#ASMEND
	v_mov_b32_e32 v4, s56
	v_mov_b32_e32 v5, s57
	ds_write_b128 v17, v[4:7] offset:512
.LBB177_89:
	s_or_b64 exec, exec, s[30:31]
	s_and_b64 exec, exec, s[0:1]
	s_cbranch_execz .LBB177_91
; %bb.90:
	v_mov_b32_e32 v2, 0
	ds_write_b64 v2, v[6:7] offset:552
.LBB177_91:
	s_or_b64 exec, exec, s[48:49]
	v_mov_b32_e32 v4, 0
	s_waitcnt lgkmcnt(0)
	s_barrier
	ds_read_b64 v[2:3], v4 offset:552
	v_cndmask_b32_e64 v6, v20, v12, s[28:29]
	v_cmp_eq_u32_e32 vcc, 0, v6
	v_cndmask_b32_e64 v5, v22, v13, s[28:29]
	s_waitcnt lgkmcnt(0)
	v_cndmask_b32_e32 v7, 0, v3, vcc
	v_add_u32_e32 v5, v7, v5
	v_cndmask_b32_e64 v51, v5, v3, s[0:1]
	v_cndmask_b32_e64 v3, v6, 0, s[0:1]
	v_cmp_eq_u32_e32 vcc, 0, v78
	v_add_u32_e32 v50, v2, v3
	v_cndmask_b32_e32 v2, 0, v51, vcc
	v_add_u32_e32 v49, v2, v52
	v_cndmask_b32_e64 v2, 0, v49, s[26:27]
	v_add_u32_e32 v47, v2, v52
	v_cndmask_b32_e64 v2, 0, v47, s[24:25]
	;; [unrolled: 2-line block ×7, first 2 shown]
	v_add_u32_e32 v48, v50, v78
	v_add_u32_e32 v35, v2, v52
	v_add_u32_e32 v46, v48, v77
	v_cndmask_b32_e64 v2, 0, v35, s[12:13]
	v_add_u32_e32 v44, v46, v76
	v_add_u32_e32 v33, v2, v52
	v_add_u32_e32 v42, v44, v75
	v_cndmask_b32_e64 v2, 0, v33, s[10:11]
	;; [unrolled: 4-line block ×3, first 2 shown]
	v_add_u32_e32 v36, v38, v72
	v_add_u32_e32 v29, v2, v52
	s_barrier
	ds_read_b128 v[16:19], v4 offset:512
	v_add_u32_e32 v34, v36, v71
	v_cndmask_b32_e64 v2, 0, v29, s[6:7]
	v_add_u32_e32 v32, v34, v70
	v_add_u32_e32 v27, v2, v52
	;; [unrolled: 1-line block ×3, first 2 shown]
	v_cndmask_b32_e64 v2, 0, v27, s[4:5]
	v_add_u32_e32 v28, v30, v68
	v_add_u32_e32 v23, v2, v52
	;; [unrolled: 1-line block ×3, first 2 shown]
	v_cndmask_b32_e64 v2, 0, v23, s[2:3]
	s_waitcnt lgkmcnt(0)
	v_cmp_eq_u32_e32 vcc, 0, v16
	v_add_u32_e32 v22, v26, v65
	v_add_u32_e32 v25, v2, v52
	v_cndmask_b32_e32 v2, 0, v19, vcc
	v_add_u32_e32 v24, v22, v62
	v_add_u32_e32 v20, v2, v17
	s_branch .LBB177_104
.LBB177_92:
                                        ; implicit-def: $vgpr16
                                        ; implicit-def: $vgpr20
                                        ; implicit-def: $vgpr24_vgpr25
                                        ; implicit-def: $vgpr22_vgpr23
                                        ; implicit-def: $vgpr26_vgpr27
                                        ; implicit-def: $vgpr28_vgpr29
                                        ; implicit-def: $vgpr50_vgpr51
                                        ; implicit-def: $vgpr48_vgpr49
                                        ; implicit-def: $vgpr46_vgpr47
                                        ; implicit-def: $vgpr44_vgpr45
                                        ; implicit-def: $vgpr42_vgpr43
                                        ; implicit-def: $vgpr40_vgpr41
                                        ; implicit-def: $vgpr38_vgpr39
                                        ; implicit-def: $vgpr36_vgpr37
                                        ; implicit-def: $vgpr34_vgpr35
                                        ; implicit-def: $vgpr32_vgpr33
                                        ; implicit-def: $vgpr30_vgpr31
	s_cbranch_execz .LBB177_104
; %bb.93:
	s_and_b64 s[2:3], s[38:39], exec
	s_cselect_b32 s3, 0, s35
	s_cselect_b32 s2, 0, s34
	s_cmp_eq_u64 s[2:3], 0
	v_mov_b32_e32 v6, v52
	s_cbranch_scc1 .LBB177_95
; %bb.94:
	v_mov_b32_e32 v2, 0
	global_load_dword v6, v2, s[2:3]
.LBB177_95:
	v_cmp_eq_u32_e64 s[2:3], 0, v77
	v_cndmask_b32_e64 v2, 0, v52, s[2:3]
	v_add_u32_e32 v2, v2, v52
	v_cmp_eq_u32_e64 s[4:5], 0, v76
	v_cndmask_b32_e64 v2, 0, v2, s[4:5]
	v_add_u32_e32 v2, v2, v52
	;; [unrolled: 3-line block ×11, first 2 shown]
	v_cmp_eq_u32_e64 s[24:25], 0, v65
	v_cndmask_b32_e64 v2, 0, v2, s[24:25]
	v_add3_u32 v3, v81, v73, v72
	v_add_u32_e32 v2, v2, v52
	v_cmp_eq_u32_e32 vcc, 0, v62
	v_add3_u32 v3, v3, v71, v70
	v_cndmask_b32_e32 v2, 0, v2, vcc
	v_add3_u32 v3, v3, v69, v68
	v_add_u32_e32 v2, v2, v52
	v_cmp_eq_u32_e64 s[26:27], 0, v61
	v_add3_u32 v3, v3, v67, v65
	v_cndmask_b32_e64 v2, 0, v2, s[26:27]
	v_add3_u32 v3, v3, v62, v61
	v_add_u32_e32 v2, v2, v53
	v_mbcnt_hi_u32_b32 v7, -1, v80
	v_and_b32_e32 v4, 15, v7
	v_mov_b32_dpp v12, v2 row_shr:1 row_mask:0xf bank_mask:0xf
	v_cmp_eq_u32_e64 s[26:27], 0, v3
	v_mov_b32_dpp v5, v3 row_shr:1 row_mask:0xf bank_mask:0xf
	v_cndmask_b32_e64 v12, 0, v12, s[26:27]
	v_cmp_eq_u32_e64 s[26:27], 0, v4
	v_cndmask_b32_e64 v5, v5, 0, s[26:27]
	v_add_u32_e32 v3, v5, v3
	v_cndmask_b32_e64 v5, v12, 0, s[26:27]
	v_add_u32_e32 v2, v5, v2
	v_cmp_eq_u32_e64 s[26:27], 0, v3
	v_mov_b32_dpp v5, v3 row_shr:2 row_mask:0xf bank_mask:0xf
	v_cmp_lt_u32_e64 s[28:29], 1, v4
	v_mov_b32_dpp v12, v2 row_shr:2 row_mask:0xf bank_mask:0xf
	v_cndmask_b32_e64 v5, 0, v5, s[28:29]
	s_and_b64 s[26:27], s[28:29], s[26:27]
	v_cndmask_b32_e64 v12, 0, v12, s[26:27]
	v_add_u32_e32 v3, v3, v5
	v_add_u32_e32 v2, v12, v2
	v_cmp_eq_u32_e64 s[26:27], 0, v3
	v_mov_b32_dpp v5, v3 row_shr:4 row_mask:0xf bank_mask:0xf
	v_cmp_lt_u32_e64 s[28:29], 3, v4
	v_mov_b32_dpp v12, v2 row_shr:4 row_mask:0xf bank_mask:0xf
	v_cndmask_b32_e64 v5, 0, v5, s[28:29]
	s_and_b64 s[26:27], s[28:29], s[26:27]
	v_cndmask_b32_e64 v12, 0, v12, s[26:27]
	v_add_u32_e32 v3, v5, v3
	v_add_u32_e32 v2, v2, v12
	v_cmp_eq_u32_e64 s[26:27], 0, v3
	v_cmp_lt_u32_e64 s[28:29], 7, v4
	v_mov_b32_dpp v5, v3 row_shr:8 row_mask:0xf bank_mask:0xf
	v_mov_b32_dpp v12, v2 row_shr:8 row_mask:0xf bank_mask:0xf
	s_and_b64 s[26:27], s[28:29], s[26:27]
	v_cndmask_b32_e64 v4, 0, v5, s[28:29]
	v_cndmask_b32_e64 v5, 0, v12, s[26:27]
	v_add_u32_e32 v2, v5, v2
	v_add_u32_e32 v3, v4, v3
	v_bfe_i32 v12, v7, 4, 1
	v_mov_b32_dpp v5, v2 row_bcast:15 row_mask:0xf bank_mask:0xf
	v_mov_b32_dpp v4, v3 row_bcast:15 row_mask:0xf bank_mask:0xf
	v_cmp_eq_u32_e64 s[26:27], 0, v3
	v_cndmask_b32_e64 v5, 0, v5, s[26:27]
	v_and_b32_e32 v4, v12, v4
	v_add_u32_e32 v3, v4, v3
	v_and_b32_e32 v4, v12, v5
	v_add_u32_e32 v4, v4, v2
	v_mov_b32_dpp v2, v3 row_bcast:31 row_mask:0xf bank_mask:0xf
	v_cmp_eq_u32_e64 s[26:27], 0, v3
	v_cmp_lt_u32_e64 s[28:29], 31, v7
	v_mov_b32_dpp v5, v4 row_bcast:31 row_mask:0xf bank_mask:0xf
	v_cndmask_b32_e64 v2, 0, v2, s[28:29]
	s_and_b64 s[26:27], s[28:29], s[26:27]
	v_add_u32_e32 v2, v2, v3
	v_cndmask_b32_e64 v3, 0, v5, s[26:27]
	v_add_u32_e32 v3, v3, v4
	v_cmp_eq_u32_e64 s[26:27], v79, v0
	s_and_saveexec_b64 s[28:29], s[26:27]
	s_cbranch_execz .LBB177_97
; %bb.96:
	v_lshlrev_b32_e32 v4, 3, v54
	ds_write_b64 v4, v[2:3] offset:528
.LBB177_97:
	s_or_b64 exec, exec, s[28:29]
	v_cmp_gt_u32_e64 s[26:27], 4, v0
	s_waitcnt lgkmcnt(0)
	s_barrier
	s_and_saveexec_b64 s[30:31], s[26:27]
	s_cbranch_execz .LBB177_99
; %bb.98:
	v_lshlrev_b32_e32 v12, 3, v0
	ds_read_b64 v[4:5], v12 offset:528
	v_and_b32_e32 v13, 3, v7
	v_cmp_lt_u32_e64 s[28:29], 1, v13
	s_waitcnt lgkmcnt(0)
	v_mov_b32_dpp v15, v5 row_shr:1 row_mask:0xf bank_mask:0xf
	v_cmp_eq_u32_e64 s[26:27], 0, v4
	v_mov_b32_dpp v14, v4 row_shr:1 row_mask:0xf bank_mask:0xf
	v_cndmask_b32_e64 v15, 0, v15, s[26:27]
	v_cmp_eq_u32_e64 s[26:27], 0, v13
	v_cndmask_b32_e64 v14, v14, 0, s[26:27]
	v_add_u32_e32 v4, v14, v4
	v_cndmask_b32_e64 v14, v15, 0, s[26:27]
	v_add_u32_e32 v5, v14, v5
	v_cmp_eq_u32_e64 s[26:27], 0, v4
	v_mov_b32_dpp v14, v4 row_shr:2 row_mask:0xf bank_mask:0xf
	v_mov_b32_dpp v15, v5 row_shr:2 row_mask:0xf bank_mask:0xf
	v_cndmask_b32_e64 v13, 0, v14, s[28:29]
	s_and_b64 s[26:27], s[28:29], s[26:27]
	v_add_u32_e32 v4, v13, v4
	v_cndmask_b32_e64 v13, 0, v15, s[26:27]
	v_add_u32_e32 v5, v13, v5
	ds_write_b64 v12, v[4:5] offset:528
.LBB177_99:
	s_or_b64 exec, exec, s[30:31]
	v_cmp_lt_u32_e64 s[26:27], 63, v0
	v_mov_b32_e32 v12, 0
	v_mov_b32_e32 v4, 0
	s_waitcnt vmcnt(0)
	v_mov_b32_e32 v5, v6
	s_waitcnt lgkmcnt(0)
	s_barrier
	s_and_saveexec_b64 s[28:29], s[26:27]
	s_cbranch_execz .LBB177_101
; %bb.100:
	v_lshlrev_b32_e32 v4, 3, v54
	ds_read_b64 v[4:5], v4 offset:520
	s_waitcnt lgkmcnt(0)
	v_cmp_eq_u32_e64 s[26:27], 0, v4
	v_cndmask_b32_e64 v13, 0, v6, s[26:27]
	v_add_u32_e32 v5, v13, v5
.LBB177_101:
	s_or_b64 exec, exec, s[28:29]
	v_cmp_eq_u32_e64 s[26:27], 0, v2
	v_add_u32_e32 v13, v4, v2
	v_cndmask_b32_e64 v2, 0, v5, s[26:27]
	v_add_u32_e32 v2, v2, v3
	v_add_u32_e32 v3, -1, v7
	v_and_b32_e32 v14, 64, v7
	v_cmp_lt_i32_e64 s[26:27], v3, v14
	v_cndmask_b32_e64 v3, v3, v7, s[26:27]
	v_lshlrev_b32_e32 v3, 2, v3
	ds_bpermute_b32 v2, v3, v2
	ds_bpermute_b32 v13, v3, v13
	v_cmp_eq_u32_e64 s[26:27], 0, v7
	ds_read_b64 v[16:17], v12 offset:552
	s_waitcnt lgkmcnt(2)
	v_cndmask_b32_e64 v2, v2, v5, s[26:27]
	s_waitcnt lgkmcnt(1)
	v_cndmask_b32_e64 v3, v13, v4, s[26:27]
	v_cndmask_b32_e64 v51, v2, v6, s[0:1]
	v_cmp_eq_u32_e64 s[26:27], 0, v78
	v_cndmask_b32_e64 v2, 0, v51, s[26:27]
	v_add_u32_e32 v49, v2, v52
	v_cndmask_b32_e64 v2, 0, v49, s[2:3]
	v_add_u32_e32 v47, v2, v52
	;; [unrolled: 2-line block ×7, first 2 shown]
	v_cndmask_b32_e64 v50, v3, 0, s[0:1]
	v_cndmask_b32_e64 v2, 0, v37, s[14:15]
	v_add_u32_e32 v48, v50, v78
	v_add_u32_e32 v35, v2, v52
	v_add_u32_e32 v46, v48, v77
	v_cndmask_b32_e64 v2, 0, v35, s[16:17]
	v_add_u32_e32 v44, v46, v76
	v_add_u32_e32 v33, v2, v52
	v_add_u32_e32 v42, v44, v75
	;; [unrolled: 4-line block ×6, first 2 shown]
	v_cndmask_b32_e32 v2, 0, v23, vcc
	s_waitcnt lgkmcnt(0)
	v_cmp_eq_u32_e32 vcc, 0, v16
	v_add_u32_e32 v22, v26, v65
	v_add_u32_e32 v25, v2, v52
	v_cndmask_b32_e32 v2, 0, v6, vcc
	v_add_u32_e32 v24, v22, v62
	v_add_u32_e32 v20, v2, v17
	s_and_saveexec_b64 s[2:3], s[0:1]
	s_cbranch_execz .LBB177_103
; %bb.102:
	s_add_u32 s4, s36, 0x400
	v_and_b32_e32 v2, 0xff000000, v20
	v_and_b32_e32 v3, 0xff0000, v20
	s_addc_u32 s5, s37, 0
	v_or_b32_e32 v2, v3, v2
	v_and_b32_e32 v3, 0xff00, v20
	v_and_b32_e32 v4, 0xff, v20
	v_mov_b32_e32 v19, 0
	v_or3_b32 v17, v2, v3, v4
	v_mov_b32_e32 v18, 2
	v_pk_mov_b32 v[2:3], s[4:5], s[4:5] op_sel:[0,1]
	;;#ASMSTART
	global_store_dwordx4 v[2:3], v[16:19] off	
s_waitcnt vmcnt(0)
	;;#ASMEND
.LBB177_103:
	s_or_b64 exec, exec, s[2:3]
	v_mov_b32_e32 v18, 0
.LBB177_104:
	s_and_b64 s[2:3], s[38:39], exec
	s_cselect_b32 s3, 0, s51
	s_cselect_b32 s2, 0, s50
	s_cmp_eq_u64 s[2:3], 0
	v_pk_mov_b32 v[52:53], 0, 0
	s_barrier
	s_cbranch_scc1 .LBB177_106
; %bb.105:
	v_mov_b32_e32 v2, 0
	global_load_dwordx2 v[52:53], v2, s[2:3]
.LBB177_106:
	v_mov_b32_e32 v2, s45
	s_waitcnt vmcnt(0)
	v_add_co_u32_e32 v3, vcc, s44, v52
	v_addc_co_u32_e32 v2, vcc, v2, v53, vcc
	v_add_co_u32_e32 v54, vcc, v3, v18
	v_addc_co_u32_e32 v17, vcc, 0, v2, vcc
	v_cmp_eq_u32_e32 vcc, 0, v78
	v_cndmask_b32_e64 v2, 1, 2, vcc
	v_cmp_eq_u32_e32 vcc, 0, v77
	v_cndmask_b32_e64 v3, 1, 2, vcc
	v_cmp_eq_u32_e32 vcc, 0, v76
	v_and_b32_e32 v2, v3, v2
	v_cndmask_b32_e64 v3, 1, 2, vcc
	v_cmp_eq_u32_e32 vcc, 0, v75
	v_and_b32_e32 v2, v2, v3
	;; [unrolled: 3-line block ×13, first 2 shown]
	v_cndmask_b32_e64 v3, 1, 2, vcc
	s_movk_i32 s34, 0x100
	v_and_b32_e32 v2, v2, v3
	v_cmp_gt_u32_e32 vcc, s34, v16
	v_mov_b32_e32 v19, 0
	v_cmp_ne_u32_e64 s[30:31], 0, v78
	v_cmp_ne_u32_e64 s[28:29], 0, v77
	;; [unrolled: 1-line block ×15, first 2 shown]
	s_mov_b64 s[36:37], -1
	v_cmp_gt_i16_e64 s[34:35], 2, v2
	s_cbranch_vccz .LBB177_113
; %bb.107:
	s_and_saveexec_b64 s[36:37], s[34:35]
	s_cbranch_execz .LBB177_112
; %bb.108:
	v_cmp_ne_u16_e32 vcc, 1, v2
	s_mov_b64 s[38:39], 0
	s_and_saveexec_b64 s[34:35], vcc
	s_xor_b64 s[34:35], exec, s[34:35]
	s_cbranch_execnz .LBB177_156
; %bb.109:
	s_andn2_saveexec_b64 s[34:35], s[34:35]
	s_cbranch_execnz .LBB177_172
.LBB177_110:
	s_or_b64 exec, exec, s[34:35]
	s_and_b64 exec, exec, s[38:39]
	s_cbranch_execz .LBB177_112
.LBB177_111:
	v_sub_u32_e32 v3, v24, v18
	v_readfirstlane_b32 s34, v54
	v_readfirstlane_b32 s35, v17
	s_nop 4
	global_store_byte v3, v1, s[34:35]
.LBB177_112:
	s_or_b64 exec, exec, s[36:37]
	s_mov_b64 s[36:37], 0
.LBB177_113:
	s_and_b64 vcc, exec, s[36:37]
	s_cbranch_vccz .LBB177_134
; %bb.114:
	v_cmp_gt_i16_e32 vcc, 2, v2
	s_and_saveexec_b64 s[34:35], vcc
	s_cbranch_execz .LBB177_119
; %bb.115:
	v_cmp_ne_u16_e32 vcc, 1, v2
	s_mov_b64 s[38:39], 0
	s_and_saveexec_b64 s[36:37], vcc
	s_xor_b64 s[36:37], exec, s[36:37]
	s_cbranch_execnz .LBB177_173
; %bb.116:
	s_andn2_saveexec_b64 s[2:3], s[36:37]
	s_cbranch_execnz .LBB177_189
.LBB177_117:
	s_or_b64 exec, exec, s[2:3]
	s_and_b64 exec, exec, s[38:39]
	s_cbranch_execz .LBB177_119
.LBB177_118:
	v_sub_u32_e32 v2, v24, v18
	ds_write_b8 v2, v1
.LBB177_119:
	s_or_b64 exec, exec, s[34:35]
	v_cmp_lt_u32_e32 vcc, v0, v16
	s_waitcnt lgkmcnt(0)
	s_barrier
	s_and_saveexec_b64 s[2:3], vcc
	s_cbranch_execz .LBB177_133
; %bb.120:
	v_xad_u32 v2, v0, -1, v16
	s_movk_i32 s4, 0x1700
	s_movk_i32 s6, 0x16ff
	v_cmp_gt_u32_e64 s[4:5], s4, v2
	v_cmp_lt_u32_e32 vcc, s6, v2
	v_mov_b32_e32 v1, v0
	s_and_saveexec_b64 s[6:7], vcc
	s_cbranch_execz .LBB177_130
; %bb.121:
	v_sub_u32_e32 v1, v0, v16
	v_or_b32_e32 v1, 0xff, v1
	v_cmp_ge_u32_e32 vcc, v1, v0
	s_mov_b64 s[10:11], -1
	v_mov_b32_e32 v1, v0
	s_and_saveexec_b64 s[8:9], vcc
	s_cbranch_execz .LBB177_129
; %bb.122:
	v_lshrrev_b32_e32 v21, 8, v2
	v_or_b32_e32 v7, 0x700, v0
	v_or_b32_e32 v6, 0x600, v0
	;; [unrolled: 1-line block ×7, first 2 shown]
	v_add_u32_e32 v55, -7, v21
	v_pk_mov_b32 v[14:15], v[6:7], v[6:7] op_sel:[0,1]
	v_cmp_lt_u32_e32 vcc, 7, v55
	v_mov_b32_e32 v58, 0
	v_pk_mov_b32 v[12:13], v[4:5], v[4:5] op_sel:[0,1]
	v_pk_mov_b32 v[10:11], v[2:3], v[2:3] op_sel:[0,1]
	;; [unrolled: 1-line block ×3, first 2 shown]
	s_and_saveexec_b64 s[10:11], vcc
	s_cbranch_execz .LBB177_126
; %bb.123:
	v_lshrrev_b32_e32 v8, 3, v55
	v_add_u32_e32 v8, 1, v8
	v_and_b32_e32 v56, 0x3ffffffe, v8
	v_pk_mov_b32 v[14:15], v[6:7], v[6:7] op_sel:[0,1]
	s_mov_b32 s14, 0
	s_mov_b64 s[12:13], 0
	v_mov_b32_e32 v57, v0
	v_pk_mov_b32 v[12:13], v[4:5], v[4:5] op_sel:[0,1]
	v_pk_mov_b32 v[10:11], v[2:3], v[2:3] op_sel:[0,1]
	;; [unrolled: 1-line block ×3, first 2 shown]
.LBB177_124:                            ; =>This Inner Loop Header: Depth=1
	v_add_co_u32_e32 v2, vcc, v54, v8
	v_addc_co_u32_e32 v3, vcc, 0, v17, vcc
	v_add_co_u32_e32 v4, vcc, v54, v9
	v_addc_co_u32_e32 v5, vcc, 0, v17, vcc
	;; [unrolled: 2-line block ×8, first 2 shown]
	v_add_u32_e32 v90, 0x800, v8
	v_add_co_u32_e32 v90, vcc, v54, v90
	v_add_u32_e32 v92, 0x800, v9
	v_addc_co_u32_e32 v91, vcc, 0, v17, vcc
	v_add_co_u32_e32 v92, vcc, v54, v92
	v_add_u32_e32 v94, 0x800, v10
	v_addc_co_u32_e32 v93, vcc, 0, v17, vcc
	;; [unrolled: 3-line block ×6, first 2 shown]
	v_add_co_u32_e32 v102, vcc, v54, v102
	ds_read_u8 v1, v57
	ds_read_u8 v59, v57 offset:256
	ds_read_u8 v60, v57 offset:512
	;; [unrolled: 1-line block ×7, first 2 shown]
	v_add_u32_e32 v58, 0x800, v15
	ds_read_u8 v107, v57 offset:2048
	ds_read_u8 v108, v57 offset:2304
	;; [unrolled: 1-line block ×8, first 2 shown]
	v_addc_co_u32_e32 v103, vcc, 0, v17, vcc
	v_add_co_u32_e32 v104, vcc, v54, v58
	v_add_u32_e32 v56, -2, v56
	v_addc_co_u32_e32 v105, vcc, 0, v17, vcc
	s_add_i32 s14, s14, 16
	v_cmp_eq_u32_e32 vcc, 0, v56
	v_add_u32_e32 v15, 0x1000, v15
	v_add_u32_e32 v14, 0x1000, v14
	;; [unrolled: 1-line block ×9, first 2 shown]
	v_mov_b32_e32 v58, s14
	s_or_b64 s[12:13], vcc, s[12:13]
	s_waitcnt lgkmcnt(14)
	global_store_byte v[2:3], v1, off
	global_store_byte v[4:5], v59, off
	s_waitcnt lgkmcnt(13)
	global_store_byte v[6:7], v60, off
	s_waitcnt lgkmcnt(12)
	;; [unrolled: 2-line block ×14, first 2 shown]
	global_store_byte v[104:105], v114, off
	s_andn2_b64 exec, exec, s[12:13]
	s_cbranch_execnz .LBB177_124
; %bb.125:
	s_or_b64 exec, exec, s[12:13]
.LBB177_126:
	s_or_b64 exec, exec, s[10:11]
	v_and_b32_e32 v1, 8, v55
	v_cmp_eq_u32_e32 vcc, 0, v1
	s_and_saveexec_b64 s[10:11], vcc
	s_cbranch_execz .LBB177_128
; %bb.127:
	v_add_co_u32_e32 v2, vcc, v54, v8
	v_addc_co_u32_e32 v3, vcc, 0, v17, vcc
	v_add_co_u32_e32 v4, vcc, v54, v9
	v_addc_co_u32_e32 v5, vcc, 0, v17, vcc
	;; [unrolled: 2-line block ×4, first 2 shown]
	v_add_co_u32_e32 v10, vcc, v54, v12
	v_lshl_or_b32 v1, v58, 8, v0
	v_addc_co_u32_e32 v11, vcc, 0, v17, vcc
	ds_read_u8 v55, v1
	ds_read_u8 v58, v1 offset:256
	ds_read_u8 v59, v1 offset:512
	;; [unrolled: 1-line block ×7, first 2 shown]
	v_add_co_u32_e32 v12, vcc, v54, v13
	v_addc_co_u32_e32 v13, vcc, 0, v17, vcc
	v_add_co_u32_e32 v56, vcc, v54, v14
	v_addc_co_u32_e32 v57, vcc, 0, v17, vcc
	;; [unrolled: 2-line block ×3, first 2 shown]
	s_waitcnt lgkmcnt(7)
	global_store_byte v[2:3], v55, off
	s_waitcnt lgkmcnt(6)
	global_store_byte v[4:5], v58, off
	s_waitcnt lgkmcnt(5)
	global_store_byte v[6:7], v59, off
	s_waitcnt lgkmcnt(4)
	global_store_byte v[8:9], v60, off
	s_waitcnt lgkmcnt(3)
	global_store_byte v[10:11], v63, off
	s_waitcnt lgkmcnt(2)
	global_store_byte v[12:13], v64, off
	s_waitcnt lgkmcnt(1)
	global_store_byte v[56:57], v66, off
	s_waitcnt lgkmcnt(0)
	global_store_byte v[14:15], v1, off
.LBB177_128:
	s_or_b64 exec, exec, s[10:11]
	v_add_u32_e32 v2, 1, v21
	v_and_b32_e32 v3, 0x1fffff8, v2
	v_cmp_ne_u32_e32 vcc, v2, v3
	v_lshl_or_b32 v1, v3, 8, v0
	s_orn2_b64 s[10:11], vcc, exec
.LBB177_129:
	s_or_b64 exec, exec, s[8:9]
	s_andn2_b64 s[4:5], s[4:5], exec
	s_and_b64 s[8:9], s[10:11], exec
	s_or_b64 s[4:5], s[4:5], s[8:9]
.LBB177_130:
	s_or_b64 exec, exec, s[6:7]
	s_and_b64 exec, exec, s[4:5]
	s_cbranch_execz .LBB177_133
; %bb.131:
	s_mov_b64 s[4:5], 0
.LBB177_132:                            ; =>This Inner Loop Header: Depth=1
	ds_read_u8 v2, v1
	v_readfirstlane_b32 s6, v54
	v_readfirstlane_b32 s7, v17
	s_waitcnt lgkmcnt(0)
	s_nop 3
	global_store_byte v1, v2, s[6:7]
	v_add_u32_e32 v1, 0x100, v1
	v_cmp_ge_u32_e32 vcc, v1, v16
	s_or_b64 s[4:5], vcc, s[4:5]
	s_andn2_b64 exec, exec, s[4:5]
	s_cbranch_execnz .LBB177_132
.LBB177_133:
	s_or_b64 exec, exec, s[2:3]
.LBB177_134:
	s_cmpk_lg_i32 s33, 0xf00
	s_cselect_b64 s[2:3], -1, 0
	v_cndmask_b32_e64 v8, 0, 1, s[42:43]
	s_and_b64 s[2:3], s[2:3], s[40:41]
	v_sub_u32_e32 v1, v16, v8
	v_cndmask_b32_e64 v2, 0, 1, s[2:3]
	s_and_b64 s[0:1], s[0:1], s[42:43]
	v_add_u32_e32 v1, v1, v2
	v_cndmask_b32_e64 v2, v78, 0, s[0:1]
	s_mul_hi_u32 s0, s33, 0x88888889
	s_lshr_b32 s0, s0, 3
	v_mad_i32_i24 v3, v0, -15, s33
	v_cmp_eq_u32_e32 vcc, s0, v0
	v_cmp_ne_u32_e64 s[0:1], 0, v3
	v_cndmask_b32_e64 v4, 1, v2, s[0:1]
	v_cmp_ne_u32_e64 s[0:1], 1, v3
	v_cndmask_b32_e64 v5, 1, v77, s[0:1]
	;; [unrolled: 2-line block ×15, first 2 shown]
	s_and_b64 vcc, vcc, s[40:41]
	v_cndmask_b32_e32 v55, v61, v3, vcc
	v_cndmask_b32_e32 v59, v2, v4, vcc
	v_lshlrev_b64 v[2:3], 3, v[52:53]
	v_cndmask_b32_e32 v54, v62, v54, vcc
	v_cndmask_b32_e32 v21, v65, v21, vcc
	;; [unrolled: 1-line block ×13, first 2 shown]
	v_mov_b32_e32 v4, s47
	v_add_co_u32_e32 v5, vcc, s46, v2
	v_addc_co_u32_e32 v6, vcc, v4, v3, vcc
	v_lshlrev_b64 v[2:3], 3, v[18:19]
	v_add_co_u32_e32 v4, vcc, v5, v2
	v_addc_co_u32_e32 v5, vcc, v6, v3, vcc
	v_lshlrev_b32_e32 v2, 3, v8
	v_add_co_u32_e32 v2, vcc, v2, v4
	v_addc_co_u32_e32 v3, vcc, 0, v5, vcc
	v_add_co_u32_e32 v6, vcc, -8, v2
	v_addc_co_u32_e32 v7, vcc, -1, v3, vcc
	v_cmp_eq_u32_e32 vcc, 0, v59
	v_cndmask_b32_e64 v3, 1, 2, vcc
	v_cmp_eq_u32_e32 vcc, 0, v58
	v_add_u32_e32 v2, v18, v8
	v_cndmask_b32_e64 v8, 1, 2, vcc
	v_cmp_eq_u32_e32 vcc, 0, v57
	v_and_b32_e32 v3, v8, v3
	v_cndmask_b32_e64 v8, 1, 2, vcc
	v_cmp_eq_u32_e32 vcc, 0, v56
	v_and_b32_e32 v3, v3, v8
	;; [unrolled: 3-line block ×13, first 2 shown]
	v_cndmask_b32_e64 v8, 1, 2, vcc
	s_movk_i32 s30, 0x100
	v_and_b32_e32 v3, v3, v8
	v_cmp_gt_u32_e32 vcc, s30, v1
	v_cmp_ne_u32_e64 s[28:29], 0, v59
	v_cmp_ne_u32_e64 s[26:27], 0, v58
	;; [unrolled: 1-line block ×15, first 2 shown]
	s_mov_b64 s[34:35], -1
	v_cmp_gt_i16_e64 s[30:31], 2, v3
	s_barrier
	s_cbranch_vccz .LBB177_141
; %bb.135:
	s_and_saveexec_b64 s[34:35], s[30:31]
	s_cbranch_execz .LBB177_140
; %bb.136:
	v_cmp_ne_u16_e32 vcc, 1, v3
	s_mov_b64 s[36:37], 0
	s_and_saveexec_b64 s[30:31], vcc
	s_xor_b64 s[30:31], exec, s[30:31]
	s_cbranch_execnz .LBB177_190
; %bb.137:
	s_andn2_saveexec_b64 s[30:31], s[30:31]
	s_cbranch_execnz .LBB177_206
.LBB177_138:
	s_or_b64 exec, exec, s[30:31]
	s_and_b64 exec, exec, s[36:37]
	s_cbranch_execz .LBB177_140
.LBB177_139:
	v_mov_b32_e32 v9, 0
	v_sub_u32_e32 v10, v24, v2
	v_mov_b32_e32 v11, v9
	v_lshlrev_b64 v[10:11], 3, v[10:11]
	v_add_co_u32_e32 v10, vcc, v6, v10
	v_mov_b32_e32 v8, v25
	v_addc_co_u32_e32 v11, vcc, v7, v11, vcc
	global_store_dwordx2 v[10:11], v[8:9], off
.LBB177_140:
	s_or_b64 exec, exec, s[34:35]
	s_mov_b64 s[34:35], 0
.LBB177_141:
	s_and_b64 vcc, exec, s[34:35]
	s_cbranch_vccz .LBB177_151
; %bb.142:
	v_cmp_gt_i16_e32 vcc, 2, v3
	s_and_saveexec_b64 s[30:31], vcc
	s_cbranch_execz .LBB177_147
; %bb.143:
	v_cmp_ne_u16_e32 vcc, 1, v3
	s_mov_b64 s[36:37], 0
	s_and_saveexec_b64 s[34:35], vcc
	s_xor_b64 s[34:35], exec, s[34:35]
	s_cbranch_execnz .LBB177_207
; %bb.144:
	s_andn2_saveexec_b64 s[0:1], s[34:35]
	s_cbranch_execnz .LBB177_223
.LBB177_145:
	s_or_b64 exec, exec, s[0:1]
	s_and_b64 exec, exec, s[36:37]
	s_cbranch_execz .LBB177_147
.LBB177_146:
	v_sub_u32_e32 v2, v24, v2
	v_lshlrev_b32_e32 v2, 2, v2
	ds_write_b32 v2, v25
.LBB177_147:
	s_or_b64 exec, exec, s[30:31]
	v_cmp_lt_u32_e32 vcc, v0, v1
	s_waitcnt lgkmcnt(0)
	s_barrier
	s_and_saveexec_b64 s[0:1], vcc
	s_cbranch_execz .LBB177_150
; %bb.148:
	v_lshlrev_b32_e32 v8, 2, v0
	s_mov_b64 s[2:3], 0
	v_mov_b32_e32 v3, 0
	v_mov_b32_e32 v2, v0
.LBB177_149:                            ; =>This Inner Loop Header: Depth=1
	ds_read_b32 v10, v8
	v_lshlrev_b64 v[12:13], 3, v[2:3]
	v_add_co_u32_e32 v12, vcc, v6, v12
	v_add_u32_e32 v2, 0x100, v2
	v_addc_co_u32_e32 v13, vcc, v7, v13, vcc
	v_cmp_ge_u32_e32 vcc, v2, v1
	v_mov_b32_e32 v11, v3
	v_add_u32_e32 v8, 0x400, v8
	s_or_b64 s[2:3], vcc, s[2:3]
	s_waitcnt lgkmcnt(0)
	global_store_dwordx2 v[12:13], v[10:11], off
	s_andn2_b64 exec, exec, s[2:3]
	s_cbranch_execnz .LBB177_149
.LBB177_150:
	s_or_b64 exec, exec, s[0:1]
.LBB177_151:
	s_movk_i32 s0, 0xff
	v_cmp_eq_u32_e32 vcc, s0, v0
	s_and_b64 s[0:1], vcc, s[40:41]
	s_and_saveexec_b64 s[2:3], s[0:1]
	s_cbranch_execz .LBB177_154
; %bb.152:
	v_add_co_u32_e32 v0, vcc, v16, v18
	v_addc_co_u32_e64 v1, s[0:1], 0, 0, vcc
	v_add_co_u32_e32 v0, vcc, v0, v52
	v_mov_b32_e32 v17, 0
	v_addc_co_u32_e32 v1, vcc, v1, v53, vcc
	s_cmpk_lg_i32 s33, 0xf00
	global_store_dwordx2 v17, v[0:1], s[52:53]
	s_cbranch_scc1 .LBB177_154
; %bb.153:
	v_lshlrev_b64 v[0:1], 3, v[16:17]
	v_add_co_u32_e32 v0, vcc, v4, v0
	v_mov_b32_e32 v21, v17
	v_addc_co_u32_e32 v1, vcc, v5, v1, vcc
	global_store_dwordx2 v[0:1], v[20:21], off offset:-8
.LBB177_154:
	s_endpgm
.LBB177_155:
	s_or_b64 exec, exec, s[10:11]
	v_mov_b32_e32 v78, s14
	s_and_saveexec_b64 s[2:3], s[6:7]
	s_cbranch_execnz .LBB177_60
	s_branch .LBB177_61
.LBB177_156:
	s_and_saveexec_b64 s[38:39], s[30:31]
	s_cbranch_execnz .LBB177_224
; %bb.157:
	s_or_b64 exec, exec, s[38:39]
	s_and_saveexec_b64 s[38:39], s[28:29]
	s_cbranch_execnz .LBB177_225
.LBB177_158:
	s_or_b64 exec, exec, s[38:39]
	s_and_saveexec_b64 s[38:39], s[26:27]
	s_cbranch_execnz .LBB177_226
.LBB177_159:
	s_or_b64 exec, exec, s[38:39]
	s_and_saveexec_b64 s[38:39], s[24:25]
	s_cbranch_execnz .LBB177_227
.LBB177_160:
	s_or_b64 exec, exec, s[38:39]
	s_and_saveexec_b64 s[38:39], s[22:23]
	s_cbranch_execnz .LBB177_228
.LBB177_161:
	s_or_b64 exec, exec, s[38:39]
	s_and_saveexec_b64 s[38:39], s[20:21]
	s_cbranch_execnz .LBB177_229
.LBB177_162:
	s_or_b64 exec, exec, s[38:39]
	s_and_saveexec_b64 s[38:39], s[18:19]
	s_cbranch_execnz .LBB177_230
.LBB177_163:
	s_or_b64 exec, exec, s[38:39]
	s_and_saveexec_b64 s[38:39], s[16:17]
	s_cbranch_execnz .LBB177_231
.LBB177_164:
	s_or_b64 exec, exec, s[38:39]
	s_and_saveexec_b64 s[38:39], s[14:15]
	s_cbranch_execnz .LBB177_232
.LBB177_165:
	s_or_b64 exec, exec, s[38:39]
	s_and_saveexec_b64 s[38:39], s[12:13]
	s_cbranch_execnz .LBB177_233
.LBB177_166:
	s_or_b64 exec, exec, s[38:39]
	s_and_saveexec_b64 s[38:39], s[10:11]
	s_cbranch_execnz .LBB177_234
.LBB177_167:
	s_or_b64 exec, exec, s[38:39]
	s_and_saveexec_b64 s[38:39], s[8:9]
	s_cbranch_execnz .LBB177_235
.LBB177_168:
	s_or_b64 exec, exec, s[38:39]
	s_and_saveexec_b64 s[38:39], s[6:7]
	s_cbranch_execnz .LBB177_236
.LBB177_169:
	s_or_b64 exec, exec, s[38:39]
	s_and_saveexec_b64 s[38:39], s[4:5]
	s_cbranch_execz .LBB177_171
.LBB177_170:
	v_sub_u32_e32 v3, v22, v18
	v_readfirstlane_b32 s44, v54
	v_readfirstlane_b32 s45, v17
	s_nop 4
	global_store_byte v3, v11, s[44:45]
.LBB177_171:
	s_or_b64 exec, exec, s[38:39]
	s_and_b64 s[38:39], s[2:3], exec
	s_andn2_saveexec_b64 s[34:35], s[34:35]
	s_cbranch_execz .LBB177_110
.LBB177_172:
	v_sub_u32_e32 v3, v50, v18
	v_readfirstlane_b32 s44, v54
	v_readfirstlane_b32 s45, v17
	s_or_b64 s[38:39], s[38:39], exec
	s_nop 3
	global_store_byte v3, v8, s[44:45]
	v_sub_u32_e32 v3, v48, v18
	global_store_byte v3, v66, s[44:45]
	v_sub_u32_e32 v3, v46, v18
	;; [unrolled: 2-line block ×13, first 2 shown]
	global_store_byte v3, v11, s[44:45]
	s_or_b64 exec, exec, s[34:35]
	s_and_b64 exec, exec, s[38:39]
	s_cbranch_execnz .LBB177_111
	s_branch .LBB177_112
.LBB177_173:
	s_and_saveexec_b64 s[38:39], s[30:31]
	s_cbranch_execnz .LBB177_237
; %bb.174:
	s_or_b64 exec, exec, s[38:39]
	s_and_saveexec_b64 s[30:31], s[28:29]
	s_cbranch_execnz .LBB177_238
.LBB177_175:
	s_or_b64 exec, exec, s[30:31]
	s_and_saveexec_b64 s[28:29], s[26:27]
	s_cbranch_execnz .LBB177_239
.LBB177_176:
	s_or_b64 exec, exec, s[28:29]
	s_and_saveexec_b64 s[26:27], s[24:25]
	s_cbranch_execnz .LBB177_240
.LBB177_177:
	s_or_b64 exec, exec, s[26:27]
	s_and_saveexec_b64 s[24:25], s[22:23]
	s_cbranch_execnz .LBB177_241
.LBB177_178:
	s_or_b64 exec, exec, s[24:25]
	s_and_saveexec_b64 s[22:23], s[20:21]
	s_cbranch_execnz .LBB177_242
.LBB177_179:
	s_or_b64 exec, exec, s[22:23]
	s_and_saveexec_b64 s[20:21], s[18:19]
	s_cbranch_execnz .LBB177_243
.LBB177_180:
	s_or_b64 exec, exec, s[20:21]
	s_and_saveexec_b64 s[18:19], s[16:17]
	s_cbranch_execnz .LBB177_244
.LBB177_181:
	s_or_b64 exec, exec, s[18:19]
	s_and_saveexec_b64 s[16:17], s[14:15]
	s_cbranch_execnz .LBB177_245
.LBB177_182:
	s_or_b64 exec, exec, s[16:17]
	s_and_saveexec_b64 s[14:15], s[12:13]
	s_cbranch_execnz .LBB177_246
.LBB177_183:
	s_or_b64 exec, exec, s[14:15]
	s_and_saveexec_b64 s[12:13], s[10:11]
	s_cbranch_execnz .LBB177_247
.LBB177_184:
	s_or_b64 exec, exec, s[12:13]
	s_and_saveexec_b64 s[10:11], s[8:9]
	s_cbranch_execnz .LBB177_248
.LBB177_185:
	s_or_b64 exec, exec, s[10:11]
	s_and_saveexec_b64 s[8:9], s[6:7]
	s_cbranch_execnz .LBB177_249
.LBB177_186:
	s_or_b64 exec, exec, s[8:9]
	s_and_saveexec_b64 s[6:7], s[4:5]
	s_cbranch_execz .LBB177_188
.LBB177_187:
	v_sub_u32_e32 v2, v22, v18
	ds_write_b8 v2, v11
.LBB177_188:
	s_or_b64 exec, exec, s[6:7]
	s_and_b64 s[38:39], s[2:3], exec
                                        ; implicit-def: $vgpr11
                                        ; implicit-def: $vgpr21
                                        ; implicit-def: $vgpr55
                                        ; implicit-def: $vgpr56
                                        ; implicit-def: $vgpr57
                                        ; implicit-def: $vgpr10
                                        ; implicit-def: $vgpr58
                                        ; implicit-def: $vgpr59
                                        ; implicit-def: $vgpr60
                                        ; implicit-def: $vgpr63
                                        ; implicit-def: $vgpr64
                                        ; implicit-def: $vgpr66
	s_andn2_saveexec_b64 s[2:3], s[36:37]
	s_cbranch_execz .LBB177_117
.LBB177_189:
	v_sub_u32_e32 v2, v50, v18
	ds_write_b8 v2, v8
	v_sub_u32_e32 v2, v48, v18
	ds_write_b8 v2, v66
	;; [unrolled: 2-line block ×13, first 2 shown]
	v_sub_u32_e32 v2, v22, v18
	s_or_b64 s[38:39], s[38:39], exec
	ds_write_b8 v2, v11
	s_or_b64 exec, exec, s[2:3]
	s_and_b64 exec, exec, s[38:39]
	s_cbranch_execnz .LBB177_118
	s_branch .LBB177_119
.LBB177_190:
	s_and_saveexec_b64 s[36:37], s[28:29]
	s_cbranch_execnz .LBB177_250
; %bb.191:
	s_or_b64 exec, exec, s[36:37]
	s_and_saveexec_b64 s[36:37], s[26:27]
	s_cbranch_execnz .LBB177_251
.LBB177_192:
	s_or_b64 exec, exec, s[36:37]
	s_and_saveexec_b64 s[36:37], s[24:25]
	s_cbranch_execnz .LBB177_252
.LBB177_193:
	s_or_b64 exec, exec, s[36:37]
	s_and_saveexec_b64 s[36:37], s[22:23]
	s_cbranch_execnz .LBB177_253
.LBB177_194:
	s_or_b64 exec, exec, s[36:37]
	s_and_saveexec_b64 s[36:37], s[20:21]
	s_cbranch_execnz .LBB177_254
.LBB177_195:
	s_or_b64 exec, exec, s[36:37]
	s_and_saveexec_b64 s[36:37], s[18:19]
	s_cbranch_execnz .LBB177_255
.LBB177_196:
	s_or_b64 exec, exec, s[36:37]
	s_and_saveexec_b64 s[36:37], s[16:17]
	s_cbranch_execnz .LBB177_256
.LBB177_197:
	s_or_b64 exec, exec, s[36:37]
	s_and_saveexec_b64 s[36:37], s[14:15]
	s_cbranch_execnz .LBB177_257
.LBB177_198:
	s_or_b64 exec, exec, s[36:37]
	s_and_saveexec_b64 s[36:37], s[12:13]
	s_cbranch_execnz .LBB177_258
.LBB177_199:
	s_or_b64 exec, exec, s[36:37]
	s_and_saveexec_b64 s[36:37], s[10:11]
	s_cbranch_execnz .LBB177_259
.LBB177_200:
	s_or_b64 exec, exec, s[36:37]
	s_and_saveexec_b64 s[36:37], s[8:9]
	s_cbranch_execnz .LBB177_260
.LBB177_201:
	s_or_b64 exec, exec, s[36:37]
	s_and_saveexec_b64 s[36:37], s[6:7]
	s_cbranch_execnz .LBB177_261
.LBB177_202:
	s_or_b64 exec, exec, s[36:37]
	s_and_saveexec_b64 s[36:37], s[4:5]
	s_cbranch_execnz .LBB177_262
.LBB177_203:
	s_or_b64 exec, exec, s[36:37]
	s_and_saveexec_b64 s[36:37], s[2:3]
	s_cbranch_execz .LBB177_205
.LBB177_204:
	v_sub_u32_e32 v8, v22, v2
	v_mov_b32_e32 v9, 0
	v_lshlrev_b64 v[10:11], 3, v[8:9]
	v_add_co_u32_e32 v10, vcc, v6, v10
	v_addc_co_u32_e32 v11, vcc, v7, v11, vcc
	v_mov_b32_e32 v8, v23
	global_store_dwordx2 v[10:11], v[8:9], off
.LBB177_205:
	s_or_b64 exec, exec, s[36:37]
	s_and_b64 s[36:37], s[0:1], exec
	s_andn2_saveexec_b64 s[30:31], s[30:31]
	s_cbranch_execz .LBB177_138
.LBB177_206:
	v_mov_b32_e32 v9, 0
	v_sub_u32_e32 v10, v50, v2
	v_mov_b32_e32 v11, v9
	v_lshlrev_b64 v[10:11], 3, v[10:11]
	v_add_co_u32_e32 v10, vcc, v6, v10
	v_mov_b32_e32 v8, v51
	v_addc_co_u32_e32 v11, vcc, v7, v11, vcc
	global_store_dwordx2 v[10:11], v[8:9], off
	v_sub_u32_e32 v10, v48, v2
	v_mov_b32_e32 v11, v9
	v_lshlrev_b64 v[10:11], 3, v[10:11]
	v_add_co_u32_e32 v10, vcc, v6, v10
	v_mov_b32_e32 v8, v49
	v_addc_co_u32_e32 v11, vcc, v7, v11, vcc
	global_store_dwordx2 v[10:11], v[8:9], off
	;; [unrolled: 7-line block ×13, first 2 shown]
	v_sub_u32_e32 v10, v22, v2
	v_mov_b32_e32 v11, v9
	v_lshlrev_b64 v[10:11], 3, v[10:11]
	v_add_co_u32_e32 v10, vcc, v6, v10
	v_mov_b32_e32 v8, v23
	v_addc_co_u32_e32 v11, vcc, v7, v11, vcc
	s_or_b64 s[36:37], s[36:37], exec
	global_store_dwordx2 v[10:11], v[8:9], off
	s_or_b64 exec, exec, s[30:31]
	s_and_b64 exec, exec, s[36:37]
	s_cbranch_execnz .LBB177_139
	s_branch .LBB177_140
.LBB177_207:
	s_and_saveexec_b64 s[36:37], s[28:29]
	s_cbranch_execnz .LBB177_263
; %bb.208:
	s_or_b64 exec, exec, s[36:37]
	s_and_saveexec_b64 s[28:29], s[26:27]
	s_cbranch_execnz .LBB177_264
.LBB177_209:
	s_or_b64 exec, exec, s[28:29]
	s_and_saveexec_b64 s[26:27], s[24:25]
	s_cbranch_execnz .LBB177_265
.LBB177_210:
	s_or_b64 exec, exec, s[26:27]
	s_and_saveexec_b64 s[24:25], s[22:23]
	s_cbranch_execnz .LBB177_266
.LBB177_211:
	s_or_b64 exec, exec, s[24:25]
	s_and_saveexec_b64 s[22:23], s[20:21]
	s_cbranch_execnz .LBB177_267
.LBB177_212:
	s_or_b64 exec, exec, s[22:23]
	s_and_saveexec_b64 s[20:21], s[18:19]
	s_cbranch_execnz .LBB177_268
.LBB177_213:
	s_or_b64 exec, exec, s[20:21]
	s_and_saveexec_b64 s[18:19], s[16:17]
	s_cbranch_execnz .LBB177_269
.LBB177_214:
	s_or_b64 exec, exec, s[18:19]
	s_and_saveexec_b64 s[16:17], s[14:15]
	s_cbranch_execnz .LBB177_270
.LBB177_215:
	s_or_b64 exec, exec, s[16:17]
	s_and_saveexec_b64 s[14:15], s[12:13]
	s_cbranch_execnz .LBB177_271
.LBB177_216:
	s_or_b64 exec, exec, s[14:15]
	s_and_saveexec_b64 s[12:13], s[10:11]
	s_cbranch_execnz .LBB177_272
.LBB177_217:
	s_or_b64 exec, exec, s[12:13]
	s_and_saveexec_b64 s[10:11], s[8:9]
	s_cbranch_execnz .LBB177_273
.LBB177_218:
	s_or_b64 exec, exec, s[10:11]
	s_and_saveexec_b64 s[8:9], s[6:7]
	s_cbranch_execnz .LBB177_274
.LBB177_219:
	s_or_b64 exec, exec, s[8:9]
	s_and_saveexec_b64 s[6:7], s[4:5]
	s_cbranch_execnz .LBB177_275
.LBB177_220:
	s_or_b64 exec, exec, s[6:7]
	s_and_saveexec_b64 s[4:5], s[2:3]
	s_cbranch_execz .LBB177_222
.LBB177_221:
	v_sub_u32_e32 v3, v22, v2
	v_lshlrev_b32_e32 v3, 2, v3
	ds_write_b32 v3, v23
.LBB177_222:
	s_or_b64 exec, exec, s[4:5]
	s_and_b64 s[36:37], s[0:1], exec
                                        ; implicit-def: $vgpr22_vgpr23
                                        ; implicit-def: $vgpr26_vgpr27
                                        ; implicit-def: $vgpr28_vgpr29
                                        ; implicit-def: $vgpr50_vgpr51
                                        ; implicit-def: $vgpr48_vgpr49
                                        ; implicit-def: $vgpr46_vgpr47
                                        ; implicit-def: $vgpr44_vgpr45
                                        ; implicit-def: $vgpr42_vgpr43
                                        ; implicit-def: $vgpr40_vgpr41
                                        ; implicit-def: $vgpr38_vgpr39
                                        ; implicit-def: $vgpr36_vgpr37
                                        ; implicit-def: $vgpr34_vgpr35
                                        ; implicit-def: $vgpr32_vgpr33
                                        ; implicit-def: $vgpr30_vgpr31
	s_andn2_saveexec_b64 s[0:1], s[34:35]
	s_cbranch_execz .LBB177_145
.LBB177_223:
	v_sub_u32_e32 v3, v50, v2
	v_lshlrev_b32_e32 v3, 2, v3
	ds_write_b32 v3, v51
	v_sub_u32_e32 v3, v48, v2
	v_lshlrev_b32_e32 v3, 2, v3
	ds_write_b32 v3, v49
	;; [unrolled: 3-line block ×13, first 2 shown]
	v_sub_u32_e32 v3, v22, v2
	v_lshlrev_b32_e32 v3, 2, v3
	s_or_b64 s[36:37], s[36:37], exec
	ds_write_b32 v3, v23
	s_or_b64 exec, exec, s[0:1]
	s_and_b64 exec, exec, s[36:37]
	s_cbranch_execnz .LBB177_146
	s_branch .LBB177_147
.LBB177_224:
	v_sub_u32_e32 v3, v50, v18
	v_readfirstlane_b32 s44, v54
	v_readfirstlane_b32 s45, v17
	s_nop 4
	global_store_byte v3, v8, s[44:45]
	s_or_b64 exec, exec, s[38:39]
	s_and_saveexec_b64 s[38:39], s[28:29]
	s_cbranch_execz .LBB177_158
.LBB177_225:
	v_sub_u32_e32 v3, v48, v18
	v_readfirstlane_b32 s44, v54
	v_readfirstlane_b32 s45, v17
	s_nop 4
	global_store_byte v3, v66, s[44:45]
	s_or_b64 exec, exec, s[38:39]
	s_and_saveexec_b64 s[38:39], s[26:27]
	s_cbranch_execz .LBB177_159
.LBB177_226:
	v_sub_u32_e32 v3, v46, v18
	v_readfirstlane_b32 s44, v54
	v_readfirstlane_b32 s45, v17
	s_nop 4
	global_store_byte v3, v64, s[44:45]
	s_or_b64 exec, exec, s[38:39]
	s_and_saveexec_b64 s[38:39], s[24:25]
	s_cbranch_execz .LBB177_160
.LBB177_227:
	v_sub_u32_e32 v3, v44, v18
	v_readfirstlane_b32 s44, v54
	v_readfirstlane_b32 s45, v17
	s_nop 4
	global_store_byte v3, v63, s[44:45]
	s_or_b64 exec, exec, s[38:39]
	s_and_saveexec_b64 s[38:39], s[22:23]
	s_cbranch_execz .LBB177_161
.LBB177_228:
	v_sub_u32_e32 v3, v42, v18
	v_readfirstlane_b32 s44, v54
	v_readfirstlane_b32 s45, v17
	s_nop 4
	global_store_byte v3, v9, s[44:45]
	s_or_b64 exec, exec, s[38:39]
	s_and_saveexec_b64 s[38:39], s[20:21]
	s_cbranch_execz .LBB177_162
.LBB177_229:
	v_sub_u32_e32 v3, v40, v18
	v_readfirstlane_b32 s44, v54
	v_readfirstlane_b32 s45, v17
	s_nop 4
	global_store_byte v3, v60, s[44:45]
	s_or_b64 exec, exec, s[38:39]
	s_and_saveexec_b64 s[38:39], s[18:19]
	s_cbranch_execz .LBB177_163
.LBB177_230:
	v_sub_u32_e32 v3, v38, v18
	v_readfirstlane_b32 s44, v54
	v_readfirstlane_b32 s45, v17
	s_nop 4
	global_store_byte v3, v59, s[44:45]
	s_or_b64 exec, exec, s[38:39]
	s_and_saveexec_b64 s[38:39], s[16:17]
	s_cbranch_execz .LBB177_164
.LBB177_231:
	v_sub_u32_e32 v3, v36, v18
	v_readfirstlane_b32 s44, v54
	v_readfirstlane_b32 s45, v17
	s_nop 4
	global_store_byte v3, v58, s[44:45]
	s_or_b64 exec, exec, s[38:39]
	s_and_saveexec_b64 s[38:39], s[14:15]
	s_cbranch_execz .LBB177_165
.LBB177_232:
	v_sub_u32_e32 v3, v34, v18
	v_readfirstlane_b32 s44, v54
	v_readfirstlane_b32 s45, v17
	s_nop 4
	global_store_byte v3, v10, s[44:45]
	s_or_b64 exec, exec, s[38:39]
	s_and_saveexec_b64 s[38:39], s[12:13]
	s_cbranch_execz .LBB177_166
.LBB177_233:
	v_sub_u32_e32 v3, v32, v18
	v_readfirstlane_b32 s44, v54
	v_readfirstlane_b32 s45, v17
	s_nop 4
	global_store_byte v3, v57, s[44:45]
	s_or_b64 exec, exec, s[38:39]
	s_and_saveexec_b64 s[38:39], s[10:11]
	s_cbranch_execz .LBB177_167
.LBB177_234:
	v_sub_u32_e32 v3, v30, v18
	v_readfirstlane_b32 s44, v54
	v_readfirstlane_b32 s45, v17
	s_nop 4
	global_store_byte v3, v56, s[44:45]
	s_or_b64 exec, exec, s[38:39]
	s_and_saveexec_b64 s[38:39], s[8:9]
	s_cbranch_execz .LBB177_168
.LBB177_235:
	v_sub_u32_e32 v3, v28, v18
	v_readfirstlane_b32 s44, v54
	v_readfirstlane_b32 s45, v17
	s_nop 4
	global_store_byte v3, v55, s[44:45]
	s_or_b64 exec, exec, s[38:39]
	s_and_saveexec_b64 s[38:39], s[6:7]
	s_cbranch_execz .LBB177_169
.LBB177_236:
	v_sub_u32_e32 v3, v26, v18
	v_readfirstlane_b32 s44, v54
	v_readfirstlane_b32 s45, v17
	s_nop 4
	global_store_byte v3, v21, s[44:45]
	s_or_b64 exec, exec, s[38:39]
	s_and_saveexec_b64 s[38:39], s[4:5]
	s_cbranch_execnz .LBB177_170
	s_branch .LBB177_171
.LBB177_237:
	v_sub_u32_e32 v2, v50, v18
	ds_write_b8 v2, v8
	s_or_b64 exec, exec, s[38:39]
	s_and_saveexec_b64 s[30:31], s[28:29]
	s_cbranch_execz .LBB177_175
.LBB177_238:
	v_sub_u32_e32 v2, v48, v18
	ds_write_b8 v2, v66
	s_or_b64 exec, exec, s[30:31]
	s_and_saveexec_b64 s[28:29], s[26:27]
	s_cbranch_execz .LBB177_176
.LBB177_239:
	v_sub_u32_e32 v2, v46, v18
	ds_write_b8 v2, v64
	s_or_b64 exec, exec, s[28:29]
	s_and_saveexec_b64 s[26:27], s[24:25]
	s_cbranch_execz .LBB177_177
.LBB177_240:
	v_sub_u32_e32 v2, v44, v18
	ds_write_b8 v2, v63
	s_or_b64 exec, exec, s[26:27]
	s_and_saveexec_b64 s[24:25], s[22:23]
	s_cbranch_execz .LBB177_178
.LBB177_241:
	v_sub_u32_e32 v2, v42, v18
	ds_write_b8 v2, v9
	s_or_b64 exec, exec, s[24:25]
	s_and_saveexec_b64 s[22:23], s[20:21]
	s_cbranch_execz .LBB177_179
.LBB177_242:
	v_sub_u32_e32 v2, v40, v18
	ds_write_b8 v2, v60
	s_or_b64 exec, exec, s[22:23]
	s_and_saveexec_b64 s[20:21], s[18:19]
	s_cbranch_execz .LBB177_180
.LBB177_243:
	v_sub_u32_e32 v2, v38, v18
	ds_write_b8 v2, v59
	s_or_b64 exec, exec, s[20:21]
	s_and_saveexec_b64 s[18:19], s[16:17]
	s_cbranch_execz .LBB177_181
.LBB177_244:
	v_sub_u32_e32 v2, v36, v18
	ds_write_b8 v2, v58
	s_or_b64 exec, exec, s[18:19]
	s_and_saveexec_b64 s[16:17], s[14:15]
	s_cbranch_execz .LBB177_182
.LBB177_245:
	v_sub_u32_e32 v2, v34, v18
	ds_write_b8 v2, v10
	s_or_b64 exec, exec, s[16:17]
	s_and_saveexec_b64 s[14:15], s[12:13]
	s_cbranch_execz .LBB177_183
.LBB177_246:
	v_sub_u32_e32 v2, v32, v18
	ds_write_b8 v2, v57
	s_or_b64 exec, exec, s[14:15]
	s_and_saveexec_b64 s[12:13], s[10:11]
	s_cbranch_execz .LBB177_184
.LBB177_247:
	v_sub_u32_e32 v2, v30, v18
	ds_write_b8 v2, v56
	s_or_b64 exec, exec, s[12:13]
	s_and_saveexec_b64 s[10:11], s[8:9]
	s_cbranch_execz .LBB177_185
.LBB177_248:
	v_sub_u32_e32 v2, v28, v18
	ds_write_b8 v2, v55
	s_or_b64 exec, exec, s[10:11]
	s_and_saveexec_b64 s[8:9], s[6:7]
	s_cbranch_execz .LBB177_186
.LBB177_249:
	v_sub_u32_e32 v2, v26, v18
	ds_write_b8 v2, v21
	s_or_b64 exec, exec, s[8:9]
	s_and_saveexec_b64 s[6:7], s[4:5]
	s_cbranch_execnz .LBB177_187
	s_branch .LBB177_188
.LBB177_250:
	v_sub_u32_e32 v8, v50, v2
	v_mov_b32_e32 v9, 0
	v_lshlrev_b64 v[10:11], 3, v[8:9]
	v_add_co_u32_e32 v10, vcc, v6, v10
	v_addc_co_u32_e32 v11, vcc, v7, v11, vcc
	v_mov_b32_e32 v8, v51
	global_store_dwordx2 v[10:11], v[8:9], off
	s_or_b64 exec, exec, s[36:37]
	s_and_saveexec_b64 s[36:37], s[26:27]
	s_cbranch_execz .LBB177_192
.LBB177_251:
	v_sub_u32_e32 v8, v48, v2
	v_mov_b32_e32 v9, 0
	v_lshlrev_b64 v[10:11], 3, v[8:9]
	v_add_co_u32_e32 v10, vcc, v6, v10
	v_addc_co_u32_e32 v11, vcc, v7, v11, vcc
	v_mov_b32_e32 v8, v49
	global_store_dwordx2 v[10:11], v[8:9], off
	s_or_b64 exec, exec, s[36:37]
	s_and_saveexec_b64 s[36:37], s[24:25]
	s_cbranch_execz .LBB177_193
.LBB177_252:
	v_sub_u32_e32 v8, v46, v2
	v_mov_b32_e32 v9, 0
	v_lshlrev_b64 v[10:11], 3, v[8:9]
	v_add_co_u32_e32 v10, vcc, v6, v10
	v_addc_co_u32_e32 v11, vcc, v7, v11, vcc
	v_mov_b32_e32 v8, v47
	global_store_dwordx2 v[10:11], v[8:9], off
	s_or_b64 exec, exec, s[36:37]
	s_and_saveexec_b64 s[36:37], s[22:23]
	s_cbranch_execz .LBB177_194
.LBB177_253:
	v_sub_u32_e32 v8, v44, v2
	v_mov_b32_e32 v9, 0
	v_lshlrev_b64 v[10:11], 3, v[8:9]
	v_add_co_u32_e32 v10, vcc, v6, v10
	v_addc_co_u32_e32 v11, vcc, v7, v11, vcc
	v_mov_b32_e32 v8, v45
	global_store_dwordx2 v[10:11], v[8:9], off
	s_or_b64 exec, exec, s[36:37]
	s_and_saveexec_b64 s[36:37], s[20:21]
	s_cbranch_execz .LBB177_195
.LBB177_254:
	v_sub_u32_e32 v8, v42, v2
	v_mov_b32_e32 v9, 0
	v_lshlrev_b64 v[10:11], 3, v[8:9]
	v_add_co_u32_e32 v10, vcc, v6, v10
	v_addc_co_u32_e32 v11, vcc, v7, v11, vcc
	v_mov_b32_e32 v8, v43
	global_store_dwordx2 v[10:11], v[8:9], off
	s_or_b64 exec, exec, s[36:37]
	s_and_saveexec_b64 s[36:37], s[18:19]
	s_cbranch_execz .LBB177_196
.LBB177_255:
	v_sub_u32_e32 v8, v40, v2
	v_mov_b32_e32 v9, 0
	v_lshlrev_b64 v[10:11], 3, v[8:9]
	v_add_co_u32_e32 v10, vcc, v6, v10
	v_addc_co_u32_e32 v11, vcc, v7, v11, vcc
	v_mov_b32_e32 v8, v41
	global_store_dwordx2 v[10:11], v[8:9], off
	s_or_b64 exec, exec, s[36:37]
	s_and_saveexec_b64 s[36:37], s[16:17]
	s_cbranch_execz .LBB177_197
.LBB177_256:
	v_sub_u32_e32 v8, v38, v2
	v_mov_b32_e32 v9, 0
	v_lshlrev_b64 v[10:11], 3, v[8:9]
	v_add_co_u32_e32 v10, vcc, v6, v10
	v_addc_co_u32_e32 v11, vcc, v7, v11, vcc
	v_mov_b32_e32 v8, v39
	global_store_dwordx2 v[10:11], v[8:9], off
	s_or_b64 exec, exec, s[36:37]
	s_and_saveexec_b64 s[36:37], s[14:15]
	s_cbranch_execz .LBB177_198
.LBB177_257:
	v_sub_u32_e32 v8, v36, v2
	v_mov_b32_e32 v9, 0
	v_lshlrev_b64 v[10:11], 3, v[8:9]
	v_add_co_u32_e32 v10, vcc, v6, v10
	v_addc_co_u32_e32 v11, vcc, v7, v11, vcc
	v_mov_b32_e32 v8, v37
	global_store_dwordx2 v[10:11], v[8:9], off
	s_or_b64 exec, exec, s[36:37]
	s_and_saveexec_b64 s[36:37], s[12:13]
	s_cbranch_execz .LBB177_199
.LBB177_258:
	v_sub_u32_e32 v8, v34, v2
	v_mov_b32_e32 v9, 0
	v_lshlrev_b64 v[10:11], 3, v[8:9]
	v_add_co_u32_e32 v10, vcc, v6, v10
	v_addc_co_u32_e32 v11, vcc, v7, v11, vcc
	v_mov_b32_e32 v8, v35
	global_store_dwordx2 v[10:11], v[8:9], off
	s_or_b64 exec, exec, s[36:37]
	s_and_saveexec_b64 s[36:37], s[10:11]
	s_cbranch_execz .LBB177_200
.LBB177_259:
	v_sub_u32_e32 v8, v32, v2
	v_mov_b32_e32 v9, 0
	v_lshlrev_b64 v[10:11], 3, v[8:9]
	v_add_co_u32_e32 v10, vcc, v6, v10
	v_addc_co_u32_e32 v11, vcc, v7, v11, vcc
	v_mov_b32_e32 v8, v33
	global_store_dwordx2 v[10:11], v[8:9], off
	s_or_b64 exec, exec, s[36:37]
	s_and_saveexec_b64 s[36:37], s[8:9]
	s_cbranch_execz .LBB177_201
.LBB177_260:
	v_sub_u32_e32 v8, v30, v2
	v_mov_b32_e32 v9, 0
	v_lshlrev_b64 v[10:11], 3, v[8:9]
	v_add_co_u32_e32 v10, vcc, v6, v10
	v_addc_co_u32_e32 v11, vcc, v7, v11, vcc
	v_mov_b32_e32 v8, v31
	global_store_dwordx2 v[10:11], v[8:9], off
	s_or_b64 exec, exec, s[36:37]
	s_and_saveexec_b64 s[36:37], s[6:7]
	s_cbranch_execz .LBB177_202
.LBB177_261:
	v_sub_u32_e32 v8, v28, v2
	v_mov_b32_e32 v9, 0
	v_lshlrev_b64 v[10:11], 3, v[8:9]
	v_add_co_u32_e32 v10, vcc, v6, v10
	v_addc_co_u32_e32 v11, vcc, v7, v11, vcc
	v_mov_b32_e32 v8, v29
	global_store_dwordx2 v[10:11], v[8:9], off
	s_or_b64 exec, exec, s[36:37]
	s_and_saveexec_b64 s[36:37], s[4:5]
	s_cbranch_execz .LBB177_203
.LBB177_262:
	v_sub_u32_e32 v8, v26, v2
	v_mov_b32_e32 v9, 0
	v_lshlrev_b64 v[10:11], 3, v[8:9]
	v_add_co_u32_e32 v10, vcc, v6, v10
	v_addc_co_u32_e32 v11, vcc, v7, v11, vcc
	v_mov_b32_e32 v8, v27
	global_store_dwordx2 v[10:11], v[8:9], off
	s_or_b64 exec, exec, s[36:37]
	s_and_saveexec_b64 s[36:37], s[2:3]
	s_cbranch_execnz .LBB177_204
	s_branch .LBB177_205
.LBB177_263:
	v_sub_u32_e32 v3, v50, v2
	v_lshlrev_b32_e32 v3, 2, v3
	ds_write_b32 v3, v51
	s_or_b64 exec, exec, s[36:37]
	s_and_saveexec_b64 s[28:29], s[26:27]
	s_cbranch_execz .LBB177_209
.LBB177_264:
	v_sub_u32_e32 v3, v48, v2
	v_lshlrev_b32_e32 v3, 2, v3
	ds_write_b32 v3, v49
	s_or_b64 exec, exec, s[28:29]
	s_and_saveexec_b64 s[26:27], s[24:25]
	s_cbranch_execz .LBB177_210
.LBB177_265:
	v_sub_u32_e32 v3, v46, v2
	v_lshlrev_b32_e32 v3, 2, v3
	ds_write_b32 v3, v47
	s_or_b64 exec, exec, s[26:27]
	s_and_saveexec_b64 s[24:25], s[22:23]
	s_cbranch_execz .LBB177_211
.LBB177_266:
	v_sub_u32_e32 v3, v44, v2
	v_lshlrev_b32_e32 v3, 2, v3
	ds_write_b32 v3, v45
	s_or_b64 exec, exec, s[24:25]
	s_and_saveexec_b64 s[22:23], s[20:21]
	s_cbranch_execz .LBB177_212
.LBB177_267:
	v_sub_u32_e32 v3, v42, v2
	v_lshlrev_b32_e32 v3, 2, v3
	ds_write_b32 v3, v43
	s_or_b64 exec, exec, s[22:23]
	s_and_saveexec_b64 s[20:21], s[18:19]
	s_cbranch_execz .LBB177_213
.LBB177_268:
	v_sub_u32_e32 v3, v40, v2
	v_lshlrev_b32_e32 v3, 2, v3
	ds_write_b32 v3, v41
	s_or_b64 exec, exec, s[20:21]
	s_and_saveexec_b64 s[18:19], s[16:17]
	s_cbranch_execz .LBB177_214
.LBB177_269:
	v_sub_u32_e32 v3, v38, v2
	v_lshlrev_b32_e32 v3, 2, v3
	ds_write_b32 v3, v39
	s_or_b64 exec, exec, s[18:19]
	s_and_saveexec_b64 s[16:17], s[14:15]
	s_cbranch_execz .LBB177_215
.LBB177_270:
	v_sub_u32_e32 v3, v36, v2
	v_lshlrev_b32_e32 v3, 2, v3
	ds_write_b32 v3, v37
	s_or_b64 exec, exec, s[16:17]
	s_and_saveexec_b64 s[14:15], s[12:13]
	s_cbranch_execz .LBB177_216
.LBB177_271:
	v_sub_u32_e32 v3, v34, v2
	v_lshlrev_b32_e32 v3, 2, v3
	ds_write_b32 v3, v35
	s_or_b64 exec, exec, s[14:15]
	s_and_saveexec_b64 s[12:13], s[10:11]
	s_cbranch_execz .LBB177_217
.LBB177_272:
	v_sub_u32_e32 v3, v32, v2
	v_lshlrev_b32_e32 v3, 2, v3
	ds_write_b32 v3, v33
	s_or_b64 exec, exec, s[12:13]
	s_and_saveexec_b64 s[10:11], s[8:9]
	s_cbranch_execz .LBB177_218
.LBB177_273:
	v_sub_u32_e32 v3, v30, v2
	v_lshlrev_b32_e32 v3, 2, v3
	ds_write_b32 v3, v31
	s_or_b64 exec, exec, s[10:11]
	s_and_saveexec_b64 s[8:9], s[6:7]
	s_cbranch_execz .LBB177_219
.LBB177_274:
	v_sub_u32_e32 v3, v28, v2
	v_lshlrev_b32_e32 v3, 2, v3
	ds_write_b32 v3, v29
	s_or_b64 exec, exec, s[8:9]
	s_and_saveexec_b64 s[6:7], s[4:5]
	s_cbranch_execz .LBB177_220
.LBB177_275:
	v_sub_u32_e32 v3, v26, v2
	v_lshlrev_b32_e32 v3, 2, v3
	ds_write_b32 v3, v27
	s_or_b64 exec, exec, s[6:7]
	s_and_saveexec_b64 s[4:5], s[2:3]
	s_cbranch_execnz .LBB177_221
	s_branch .LBB177_222
	.section	.rodata,"a",@progbits
	.p2align	6, 0x0
	.amdhsa_kernel _ZN7rocprim17ROCPRIM_400000_NS6detail17trampoline_kernelINS0_14default_configENS1_33run_length_encode_config_selectorIhjNS0_4plusIjEEEEZZNS1_33reduce_by_key_impl_wrapped_configILNS1_25lookback_scan_determinismE0ES3_S7_PKhNS0_17constant_iteratorIjlEEPhPlSF_S6_NS0_8equal_toIhEEEE10hipError_tPvRmT2_T3_mT4_T5_T6_T7_T8_P12ihipStream_tbENKUlT_T0_E_clISt17integral_constantIbLb1EESZ_EEDaSU_SV_EUlSU_E_NS1_11comp_targetILNS1_3genE4ELNS1_11target_archE910ELNS1_3gpuE8ELNS1_3repE0EEENS1_30default_config_static_selectorELNS0_4arch9wavefront6targetE1EEEvT1_
		.amdhsa_group_segment_fixed_size 15360
		.amdhsa_private_segment_fixed_size 0
		.amdhsa_kernarg_size 128
		.amdhsa_user_sgpr_count 6
		.amdhsa_user_sgpr_private_segment_buffer 1
		.amdhsa_user_sgpr_dispatch_ptr 0
		.amdhsa_user_sgpr_queue_ptr 0
		.amdhsa_user_sgpr_kernarg_segment_ptr 1
		.amdhsa_user_sgpr_dispatch_id 0
		.amdhsa_user_sgpr_flat_scratch_init 0
		.amdhsa_user_sgpr_kernarg_preload_length 0
		.amdhsa_user_sgpr_kernarg_preload_offset 0
		.amdhsa_user_sgpr_private_segment_size 0
		.amdhsa_uses_dynamic_stack 0
		.amdhsa_system_sgpr_private_segment_wavefront_offset 0
		.amdhsa_system_sgpr_workgroup_id_x 1
		.amdhsa_system_sgpr_workgroup_id_y 0
		.amdhsa_system_sgpr_workgroup_id_z 0
		.amdhsa_system_sgpr_workgroup_info 0
		.amdhsa_system_vgpr_workitem_id 0
		.amdhsa_next_free_vgpr 115
		.amdhsa_next_free_sgpr 66
		.amdhsa_accum_offset 116
		.amdhsa_reserve_vcc 1
		.amdhsa_reserve_flat_scratch 0
		.amdhsa_float_round_mode_32 0
		.amdhsa_float_round_mode_16_64 0
		.amdhsa_float_denorm_mode_32 3
		.amdhsa_float_denorm_mode_16_64 3
		.amdhsa_dx10_clamp 1
		.amdhsa_ieee_mode 1
		.amdhsa_fp16_overflow 0
		.amdhsa_tg_split 0
		.amdhsa_exception_fp_ieee_invalid_op 0
		.amdhsa_exception_fp_denorm_src 0
		.amdhsa_exception_fp_ieee_div_zero 0
		.amdhsa_exception_fp_ieee_overflow 0
		.amdhsa_exception_fp_ieee_underflow 0
		.amdhsa_exception_fp_ieee_inexact 0
		.amdhsa_exception_int_div_zero 0
	.end_amdhsa_kernel
	.section	.text._ZN7rocprim17ROCPRIM_400000_NS6detail17trampoline_kernelINS0_14default_configENS1_33run_length_encode_config_selectorIhjNS0_4plusIjEEEEZZNS1_33reduce_by_key_impl_wrapped_configILNS1_25lookback_scan_determinismE0ES3_S7_PKhNS0_17constant_iteratorIjlEEPhPlSF_S6_NS0_8equal_toIhEEEE10hipError_tPvRmT2_T3_mT4_T5_T6_T7_T8_P12ihipStream_tbENKUlT_T0_E_clISt17integral_constantIbLb1EESZ_EEDaSU_SV_EUlSU_E_NS1_11comp_targetILNS1_3genE4ELNS1_11target_archE910ELNS1_3gpuE8ELNS1_3repE0EEENS1_30default_config_static_selectorELNS0_4arch9wavefront6targetE1EEEvT1_,"axG",@progbits,_ZN7rocprim17ROCPRIM_400000_NS6detail17trampoline_kernelINS0_14default_configENS1_33run_length_encode_config_selectorIhjNS0_4plusIjEEEEZZNS1_33reduce_by_key_impl_wrapped_configILNS1_25lookback_scan_determinismE0ES3_S7_PKhNS0_17constant_iteratorIjlEEPhPlSF_S6_NS0_8equal_toIhEEEE10hipError_tPvRmT2_T3_mT4_T5_T6_T7_T8_P12ihipStream_tbENKUlT_T0_E_clISt17integral_constantIbLb1EESZ_EEDaSU_SV_EUlSU_E_NS1_11comp_targetILNS1_3genE4ELNS1_11target_archE910ELNS1_3gpuE8ELNS1_3repE0EEENS1_30default_config_static_selectorELNS0_4arch9wavefront6targetE1EEEvT1_,comdat
.Lfunc_end177:
	.size	_ZN7rocprim17ROCPRIM_400000_NS6detail17trampoline_kernelINS0_14default_configENS1_33run_length_encode_config_selectorIhjNS0_4plusIjEEEEZZNS1_33reduce_by_key_impl_wrapped_configILNS1_25lookback_scan_determinismE0ES3_S7_PKhNS0_17constant_iteratorIjlEEPhPlSF_S6_NS0_8equal_toIhEEEE10hipError_tPvRmT2_T3_mT4_T5_T6_T7_T8_P12ihipStream_tbENKUlT_T0_E_clISt17integral_constantIbLb1EESZ_EEDaSU_SV_EUlSU_E_NS1_11comp_targetILNS1_3genE4ELNS1_11target_archE910ELNS1_3gpuE8ELNS1_3repE0EEENS1_30default_config_static_selectorELNS0_4arch9wavefront6targetE1EEEvT1_, .Lfunc_end177-_ZN7rocprim17ROCPRIM_400000_NS6detail17trampoline_kernelINS0_14default_configENS1_33run_length_encode_config_selectorIhjNS0_4plusIjEEEEZZNS1_33reduce_by_key_impl_wrapped_configILNS1_25lookback_scan_determinismE0ES3_S7_PKhNS0_17constant_iteratorIjlEEPhPlSF_S6_NS0_8equal_toIhEEEE10hipError_tPvRmT2_T3_mT4_T5_T6_T7_T8_P12ihipStream_tbENKUlT_T0_E_clISt17integral_constantIbLb1EESZ_EEDaSU_SV_EUlSU_E_NS1_11comp_targetILNS1_3genE4ELNS1_11target_archE910ELNS1_3gpuE8ELNS1_3repE0EEENS1_30default_config_static_selectorELNS0_4arch9wavefront6targetE1EEEvT1_
                                        ; -- End function
	.section	.AMDGPU.csdata,"",@progbits
; Kernel info:
; codeLenInByte = 14896
; NumSgprs: 70
; NumVgprs: 115
; NumAgprs: 0
; TotalNumVgprs: 115
; ScratchSize: 0
; MemoryBound: 0
; FloatMode: 240
; IeeeMode: 1
; LDSByteSize: 15360 bytes/workgroup (compile time only)
; SGPRBlocks: 8
; VGPRBlocks: 14
; NumSGPRsForWavesPerEU: 70
; NumVGPRsForWavesPerEU: 115
; AccumOffset: 116
; Occupancy: 4
; WaveLimiterHint : 1
; COMPUTE_PGM_RSRC2:SCRATCH_EN: 0
; COMPUTE_PGM_RSRC2:USER_SGPR: 6
; COMPUTE_PGM_RSRC2:TRAP_HANDLER: 0
; COMPUTE_PGM_RSRC2:TGID_X_EN: 1
; COMPUTE_PGM_RSRC2:TGID_Y_EN: 0
; COMPUTE_PGM_RSRC2:TGID_Z_EN: 0
; COMPUTE_PGM_RSRC2:TIDIG_COMP_CNT: 0
; COMPUTE_PGM_RSRC3_GFX90A:ACCUM_OFFSET: 28
; COMPUTE_PGM_RSRC3_GFX90A:TG_SPLIT: 0
	.section	.text._ZN7rocprim17ROCPRIM_400000_NS6detail17trampoline_kernelINS0_14default_configENS1_33run_length_encode_config_selectorIhjNS0_4plusIjEEEEZZNS1_33reduce_by_key_impl_wrapped_configILNS1_25lookback_scan_determinismE0ES3_S7_PKhNS0_17constant_iteratorIjlEEPhPlSF_S6_NS0_8equal_toIhEEEE10hipError_tPvRmT2_T3_mT4_T5_T6_T7_T8_P12ihipStream_tbENKUlT_T0_E_clISt17integral_constantIbLb1EESZ_EEDaSU_SV_EUlSU_E_NS1_11comp_targetILNS1_3genE3ELNS1_11target_archE908ELNS1_3gpuE7ELNS1_3repE0EEENS1_30default_config_static_selectorELNS0_4arch9wavefront6targetE1EEEvT1_,"axG",@progbits,_ZN7rocprim17ROCPRIM_400000_NS6detail17trampoline_kernelINS0_14default_configENS1_33run_length_encode_config_selectorIhjNS0_4plusIjEEEEZZNS1_33reduce_by_key_impl_wrapped_configILNS1_25lookback_scan_determinismE0ES3_S7_PKhNS0_17constant_iteratorIjlEEPhPlSF_S6_NS0_8equal_toIhEEEE10hipError_tPvRmT2_T3_mT4_T5_T6_T7_T8_P12ihipStream_tbENKUlT_T0_E_clISt17integral_constantIbLb1EESZ_EEDaSU_SV_EUlSU_E_NS1_11comp_targetILNS1_3genE3ELNS1_11target_archE908ELNS1_3gpuE7ELNS1_3repE0EEENS1_30default_config_static_selectorELNS0_4arch9wavefront6targetE1EEEvT1_,comdat
	.protected	_ZN7rocprim17ROCPRIM_400000_NS6detail17trampoline_kernelINS0_14default_configENS1_33run_length_encode_config_selectorIhjNS0_4plusIjEEEEZZNS1_33reduce_by_key_impl_wrapped_configILNS1_25lookback_scan_determinismE0ES3_S7_PKhNS0_17constant_iteratorIjlEEPhPlSF_S6_NS0_8equal_toIhEEEE10hipError_tPvRmT2_T3_mT4_T5_T6_T7_T8_P12ihipStream_tbENKUlT_T0_E_clISt17integral_constantIbLb1EESZ_EEDaSU_SV_EUlSU_E_NS1_11comp_targetILNS1_3genE3ELNS1_11target_archE908ELNS1_3gpuE7ELNS1_3repE0EEENS1_30default_config_static_selectorELNS0_4arch9wavefront6targetE1EEEvT1_ ; -- Begin function _ZN7rocprim17ROCPRIM_400000_NS6detail17trampoline_kernelINS0_14default_configENS1_33run_length_encode_config_selectorIhjNS0_4plusIjEEEEZZNS1_33reduce_by_key_impl_wrapped_configILNS1_25lookback_scan_determinismE0ES3_S7_PKhNS0_17constant_iteratorIjlEEPhPlSF_S6_NS0_8equal_toIhEEEE10hipError_tPvRmT2_T3_mT4_T5_T6_T7_T8_P12ihipStream_tbENKUlT_T0_E_clISt17integral_constantIbLb1EESZ_EEDaSU_SV_EUlSU_E_NS1_11comp_targetILNS1_3genE3ELNS1_11target_archE908ELNS1_3gpuE7ELNS1_3repE0EEENS1_30default_config_static_selectorELNS0_4arch9wavefront6targetE1EEEvT1_
	.globl	_ZN7rocprim17ROCPRIM_400000_NS6detail17trampoline_kernelINS0_14default_configENS1_33run_length_encode_config_selectorIhjNS0_4plusIjEEEEZZNS1_33reduce_by_key_impl_wrapped_configILNS1_25lookback_scan_determinismE0ES3_S7_PKhNS0_17constant_iteratorIjlEEPhPlSF_S6_NS0_8equal_toIhEEEE10hipError_tPvRmT2_T3_mT4_T5_T6_T7_T8_P12ihipStream_tbENKUlT_T0_E_clISt17integral_constantIbLb1EESZ_EEDaSU_SV_EUlSU_E_NS1_11comp_targetILNS1_3genE3ELNS1_11target_archE908ELNS1_3gpuE7ELNS1_3repE0EEENS1_30default_config_static_selectorELNS0_4arch9wavefront6targetE1EEEvT1_
	.p2align	8
	.type	_ZN7rocprim17ROCPRIM_400000_NS6detail17trampoline_kernelINS0_14default_configENS1_33run_length_encode_config_selectorIhjNS0_4plusIjEEEEZZNS1_33reduce_by_key_impl_wrapped_configILNS1_25lookback_scan_determinismE0ES3_S7_PKhNS0_17constant_iteratorIjlEEPhPlSF_S6_NS0_8equal_toIhEEEE10hipError_tPvRmT2_T3_mT4_T5_T6_T7_T8_P12ihipStream_tbENKUlT_T0_E_clISt17integral_constantIbLb1EESZ_EEDaSU_SV_EUlSU_E_NS1_11comp_targetILNS1_3genE3ELNS1_11target_archE908ELNS1_3gpuE7ELNS1_3repE0EEENS1_30default_config_static_selectorELNS0_4arch9wavefront6targetE1EEEvT1_,@function
_ZN7rocprim17ROCPRIM_400000_NS6detail17trampoline_kernelINS0_14default_configENS1_33run_length_encode_config_selectorIhjNS0_4plusIjEEEEZZNS1_33reduce_by_key_impl_wrapped_configILNS1_25lookback_scan_determinismE0ES3_S7_PKhNS0_17constant_iteratorIjlEEPhPlSF_S6_NS0_8equal_toIhEEEE10hipError_tPvRmT2_T3_mT4_T5_T6_T7_T8_P12ihipStream_tbENKUlT_T0_E_clISt17integral_constantIbLb1EESZ_EEDaSU_SV_EUlSU_E_NS1_11comp_targetILNS1_3genE3ELNS1_11target_archE908ELNS1_3gpuE7ELNS1_3repE0EEENS1_30default_config_static_selectorELNS0_4arch9wavefront6targetE1EEEvT1_: ; @_ZN7rocprim17ROCPRIM_400000_NS6detail17trampoline_kernelINS0_14default_configENS1_33run_length_encode_config_selectorIhjNS0_4plusIjEEEEZZNS1_33reduce_by_key_impl_wrapped_configILNS1_25lookback_scan_determinismE0ES3_S7_PKhNS0_17constant_iteratorIjlEEPhPlSF_S6_NS0_8equal_toIhEEEE10hipError_tPvRmT2_T3_mT4_T5_T6_T7_T8_P12ihipStream_tbENKUlT_T0_E_clISt17integral_constantIbLb1EESZ_EEDaSU_SV_EUlSU_E_NS1_11comp_targetILNS1_3genE3ELNS1_11target_archE908ELNS1_3gpuE7ELNS1_3repE0EEENS1_30default_config_static_selectorELNS0_4arch9wavefront6targetE1EEEvT1_
; %bb.0:
	.section	.rodata,"a",@progbits
	.p2align	6, 0x0
	.amdhsa_kernel _ZN7rocprim17ROCPRIM_400000_NS6detail17trampoline_kernelINS0_14default_configENS1_33run_length_encode_config_selectorIhjNS0_4plusIjEEEEZZNS1_33reduce_by_key_impl_wrapped_configILNS1_25lookback_scan_determinismE0ES3_S7_PKhNS0_17constant_iteratorIjlEEPhPlSF_S6_NS0_8equal_toIhEEEE10hipError_tPvRmT2_T3_mT4_T5_T6_T7_T8_P12ihipStream_tbENKUlT_T0_E_clISt17integral_constantIbLb1EESZ_EEDaSU_SV_EUlSU_E_NS1_11comp_targetILNS1_3genE3ELNS1_11target_archE908ELNS1_3gpuE7ELNS1_3repE0EEENS1_30default_config_static_selectorELNS0_4arch9wavefront6targetE1EEEvT1_
		.amdhsa_group_segment_fixed_size 0
		.amdhsa_private_segment_fixed_size 0
		.amdhsa_kernarg_size 128
		.amdhsa_user_sgpr_count 6
		.amdhsa_user_sgpr_private_segment_buffer 1
		.amdhsa_user_sgpr_dispatch_ptr 0
		.amdhsa_user_sgpr_queue_ptr 0
		.amdhsa_user_sgpr_kernarg_segment_ptr 1
		.amdhsa_user_sgpr_dispatch_id 0
		.amdhsa_user_sgpr_flat_scratch_init 0
		.amdhsa_user_sgpr_kernarg_preload_length 0
		.amdhsa_user_sgpr_kernarg_preload_offset 0
		.amdhsa_user_sgpr_private_segment_size 0
		.amdhsa_uses_dynamic_stack 0
		.amdhsa_system_sgpr_private_segment_wavefront_offset 0
		.amdhsa_system_sgpr_workgroup_id_x 1
		.amdhsa_system_sgpr_workgroup_id_y 0
		.amdhsa_system_sgpr_workgroup_id_z 0
		.amdhsa_system_sgpr_workgroup_info 0
		.amdhsa_system_vgpr_workitem_id 0
		.amdhsa_next_free_vgpr 1
		.amdhsa_next_free_sgpr 0
		.amdhsa_accum_offset 4
		.amdhsa_reserve_vcc 0
		.amdhsa_reserve_flat_scratch 0
		.amdhsa_float_round_mode_32 0
		.amdhsa_float_round_mode_16_64 0
		.amdhsa_float_denorm_mode_32 3
		.amdhsa_float_denorm_mode_16_64 3
		.amdhsa_dx10_clamp 1
		.amdhsa_ieee_mode 1
		.amdhsa_fp16_overflow 0
		.amdhsa_tg_split 0
		.amdhsa_exception_fp_ieee_invalid_op 0
		.amdhsa_exception_fp_denorm_src 0
		.amdhsa_exception_fp_ieee_div_zero 0
		.amdhsa_exception_fp_ieee_overflow 0
		.amdhsa_exception_fp_ieee_underflow 0
		.amdhsa_exception_fp_ieee_inexact 0
		.amdhsa_exception_int_div_zero 0
	.end_amdhsa_kernel
	.section	.text._ZN7rocprim17ROCPRIM_400000_NS6detail17trampoline_kernelINS0_14default_configENS1_33run_length_encode_config_selectorIhjNS0_4plusIjEEEEZZNS1_33reduce_by_key_impl_wrapped_configILNS1_25lookback_scan_determinismE0ES3_S7_PKhNS0_17constant_iteratorIjlEEPhPlSF_S6_NS0_8equal_toIhEEEE10hipError_tPvRmT2_T3_mT4_T5_T6_T7_T8_P12ihipStream_tbENKUlT_T0_E_clISt17integral_constantIbLb1EESZ_EEDaSU_SV_EUlSU_E_NS1_11comp_targetILNS1_3genE3ELNS1_11target_archE908ELNS1_3gpuE7ELNS1_3repE0EEENS1_30default_config_static_selectorELNS0_4arch9wavefront6targetE1EEEvT1_,"axG",@progbits,_ZN7rocprim17ROCPRIM_400000_NS6detail17trampoline_kernelINS0_14default_configENS1_33run_length_encode_config_selectorIhjNS0_4plusIjEEEEZZNS1_33reduce_by_key_impl_wrapped_configILNS1_25lookback_scan_determinismE0ES3_S7_PKhNS0_17constant_iteratorIjlEEPhPlSF_S6_NS0_8equal_toIhEEEE10hipError_tPvRmT2_T3_mT4_T5_T6_T7_T8_P12ihipStream_tbENKUlT_T0_E_clISt17integral_constantIbLb1EESZ_EEDaSU_SV_EUlSU_E_NS1_11comp_targetILNS1_3genE3ELNS1_11target_archE908ELNS1_3gpuE7ELNS1_3repE0EEENS1_30default_config_static_selectorELNS0_4arch9wavefront6targetE1EEEvT1_,comdat
.Lfunc_end178:
	.size	_ZN7rocprim17ROCPRIM_400000_NS6detail17trampoline_kernelINS0_14default_configENS1_33run_length_encode_config_selectorIhjNS0_4plusIjEEEEZZNS1_33reduce_by_key_impl_wrapped_configILNS1_25lookback_scan_determinismE0ES3_S7_PKhNS0_17constant_iteratorIjlEEPhPlSF_S6_NS0_8equal_toIhEEEE10hipError_tPvRmT2_T3_mT4_T5_T6_T7_T8_P12ihipStream_tbENKUlT_T0_E_clISt17integral_constantIbLb1EESZ_EEDaSU_SV_EUlSU_E_NS1_11comp_targetILNS1_3genE3ELNS1_11target_archE908ELNS1_3gpuE7ELNS1_3repE0EEENS1_30default_config_static_selectorELNS0_4arch9wavefront6targetE1EEEvT1_, .Lfunc_end178-_ZN7rocprim17ROCPRIM_400000_NS6detail17trampoline_kernelINS0_14default_configENS1_33run_length_encode_config_selectorIhjNS0_4plusIjEEEEZZNS1_33reduce_by_key_impl_wrapped_configILNS1_25lookback_scan_determinismE0ES3_S7_PKhNS0_17constant_iteratorIjlEEPhPlSF_S6_NS0_8equal_toIhEEEE10hipError_tPvRmT2_T3_mT4_T5_T6_T7_T8_P12ihipStream_tbENKUlT_T0_E_clISt17integral_constantIbLb1EESZ_EEDaSU_SV_EUlSU_E_NS1_11comp_targetILNS1_3genE3ELNS1_11target_archE908ELNS1_3gpuE7ELNS1_3repE0EEENS1_30default_config_static_selectorELNS0_4arch9wavefront6targetE1EEEvT1_
                                        ; -- End function
	.section	.AMDGPU.csdata,"",@progbits
; Kernel info:
; codeLenInByte = 0
; NumSgprs: 4
; NumVgprs: 0
; NumAgprs: 0
; TotalNumVgprs: 0
; ScratchSize: 0
; MemoryBound: 0
; FloatMode: 240
; IeeeMode: 1
; LDSByteSize: 0 bytes/workgroup (compile time only)
; SGPRBlocks: 0
; VGPRBlocks: 0
; NumSGPRsForWavesPerEU: 4
; NumVGPRsForWavesPerEU: 1
; AccumOffset: 4
; Occupancy: 8
; WaveLimiterHint : 0
; COMPUTE_PGM_RSRC2:SCRATCH_EN: 0
; COMPUTE_PGM_RSRC2:USER_SGPR: 6
; COMPUTE_PGM_RSRC2:TRAP_HANDLER: 0
; COMPUTE_PGM_RSRC2:TGID_X_EN: 1
; COMPUTE_PGM_RSRC2:TGID_Y_EN: 0
; COMPUTE_PGM_RSRC2:TGID_Z_EN: 0
; COMPUTE_PGM_RSRC2:TIDIG_COMP_CNT: 0
; COMPUTE_PGM_RSRC3_GFX90A:ACCUM_OFFSET: 0
; COMPUTE_PGM_RSRC3_GFX90A:TG_SPLIT: 0
	.section	.text._ZN7rocprim17ROCPRIM_400000_NS6detail17trampoline_kernelINS0_14default_configENS1_33run_length_encode_config_selectorIhjNS0_4plusIjEEEEZZNS1_33reduce_by_key_impl_wrapped_configILNS1_25lookback_scan_determinismE0ES3_S7_PKhNS0_17constant_iteratorIjlEEPhPlSF_S6_NS0_8equal_toIhEEEE10hipError_tPvRmT2_T3_mT4_T5_T6_T7_T8_P12ihipStream_tbENKUlT_T0_E_clISt17integral_constantIbLb1EESZ_EEDaSU_SV_EUlSU_E_NS1_11comp_targetILNS1_3genE2ELNS1_11target_archE906ELNS1_3gpuE6ELNS1_3repE0EEENS1_30default_config_static_selectorELNS0_4arch9wavefront6targetE1EEEvT1_,"axG",@progbits,_ZN7rocprim17ROCPRIM_400000_NS6detail17trampoline_kernelINS0_14default_configENS1_33run_length_encode_config_selectorIhjNS0_4plusIjEEEEZZNS1_33reduce_by_key_impl_wrapped_configILNS1_25lookback_scan_determinismE0ES3_S7_PKhNS0_17constant_iteratorIjlEEPhPlSF_S6_NS0_8equal_toIhEEEE10hipError_tPvRmT2_T3_mT4_T5_T6_T7_T8_P12ihipStream_tbENKUlT_T0_E_clISt17integral_constantIbLb1EESZ_EEDaSU_SV_EUlSU_E_NS1_11comp_targetILNS1_3genE2ELNS1_11target_archE906ELNS1_3gpuE6ELNS1_3repE0EEENS1_30default_config_static_selectorELNS0_4arch9wavefront6targetE1EEEvT1_,comdat
	.protected	_ZN7rocprim17ROCPRIM_400000_NS6detail17trampoline_kernelINS0_14default_configENS1_33run_length_encode_config_selectorIhjNS0_4plusIjEEEEZZNS1_33reduce_by_key_impl_wrapped_configILNS1_25lookback_scan_determinismE0ES3_S7_PKhNS0_17constant_iteratorIjlEEPhPlSF_S6_NS0_8equal_toIhEEEE10hipError_tPvRmT2_T3_mT4_T5_T6_T7_T8_P12ihipStream_tbENKUlT_T0_E_clISt17integral_constantIbLb1EESZ_EEDaSU_SV_EUlSU_E_NS1_11comp_targetILNS1_3genE2ELNS1_11target_archE906ELNS1_3gpuE6ELNS1_3repE0EEENS1_30default_config_static_selectorELNS0_4arch9wavefront6targetE1EEEvT1_ ; -- Begin function _ZN7rocprim17ROCPRIM_400000_NS6detail17trampoline_kernelINS0_14default_configENS1_33run_length_encode_config_selectorIhjNS0_4plusIjEEEEZZNS1_33reduce_by_key_impl_wrapped_configILNS1_25lookback_scan_determinismE0ES3_S7_PKhNS0_17constant_iteratorIjlEEPhPlSF_S6_NS0_8equal_toIhEEEE10hipError_tPvRmT2_T3_mT4_T5_T6_T7_T8_P12ihipStream_tbENKUlT_T0_E_clISt17integral_constantIbLb1EESZ_EEDaSU_SV_EUlSU_E_NS1_11comp_targetILNS1_3genE2ELNS1_11target_archE906ELNS1_3gpuE6ELNS1_3repE0EEENS1_30default_config_static_selectorELNS0_4arch9wavefront6targetE1EEEvT1_
	.globl	_ZN7rocprim17ROCPRIM_400000_NS6detail17trampoline_kernelINS0_14default_configENS1_33run_length_encode_config_selectorIhjNS0_4plusIjEEEEZZNS1_33reduce_by_key_impl_wrapped_configILNS1_25lookback_scan_determinismE0ES3_S7_PKhNS0_17constant_iteratorIjlEEPhPlSF_S6_NS0_8equal_toIhEEEE10hipError_tPvRmT2_T3_mT4_T5_T6_T7_T8_P12ihipStream_tbENKUlT_T0_E_clISt17integral_constantIbLb1EESZ_EEDaSU_SV_EUlSU_E_NS1_11comp_targetILNS1_3genE2ELNS1_11target_archE906ELNS1_3gpuE6ELNS1_3repE0EEENS1_30default_config_static_selectorELNS0_4arch9wavefront6targetE1EEEvT1_
	.p2align	8
	.type	_ZN7rocprim17ROCPRIM_400000_NS6detail17trampoline_kernelINS0_14default_configENS1_33run_length_encode_config_selectorIhjNS0_4plusIjEEEEZZNS1_33reduce_by_key_impl_wrapped_configILNS1_25lookback_scan_determinismE0ES3_S7_PKhNS0_17constant_iteratorIjlEEPhPlSF_S6_NS0_8equal_toIhEEEE10hipError_tPvRmT2_T3_mT4_T5_T6_T7_T8_P12ihipStream_tbENKUlT_T0_E_clISt17integral_constantIbLb1EESZ_EEDaSU_SV_EUlSU_E_NS1_11comp_targetILNS1_3genE2ELNS1_11target_archE906ELNS1_3gpuE6ELNS1_3repE0EEENS1_30default_config_static_selectorELNS0_4arch9wavefront6targetE1EEEvT1_,@function
_ZN7rocprim17ROCPRIM_400000_NS6detail17trampoline_kernelINS0_14default_configENS1_33run_length_encode_config_selectorIhjNS0_4plusIjEEEEZZNS1_33reduce_by_key_impl_wrapped_configILNS1_25lookback_scan_determinismE0ES3_S7_PKhNS0_17constant_iteratorIjlEEPhPlSF_S6_NS0_8equal_toIhEEEE10hipError_tPvRmT2_T3_mT4_T5_T6_T7_T8_P12ihipStream_tbENKUlT_T0_E_clISt17integral_constantIbLb1EESZ_EEDaSU_SV_EUlSU_E_NS1_11comp_targetILNS1_3genE2ELNS1_11target_archE906ELNS1_3gpuE6ELNS1_3repE0EEENS1_30default_config_static_selectorELNS0_4arch9wavefront6targetE1EEEvT1_: ; @_ZN7rocprim17ROCPRIM_400000_NS6detail17trampoline_kernelINS0_14default_configENS1_33run_length_encode_config_selectorIhjNS0_4plusIjEEEEZZNS1_33reduce_by_key_impl_wrapped_configILNS1_25lookback_scan_determinismE0ES3_S7_PKhNS0_17constant_iteratorIjlEEPhPlSF_S6_NS0_8equal_toIhEEEE10hipError_tPvRmT2_T3_mT4_T5_T6_T7_T8_P12ihipStream_tbENKUlT_T0_E_clISt17integral_constantIbLb1EESZ_EEDaSU_SV_EUlSU_E_NS1_11comp_targetILNS1_3genE2ELNS1_11target_archE906ELNS1_3gpuE6ELNS1_3repE0EEENS1_30default_config_static_selectorELNS0_4arch9wavefront6targetE1EEEvT1_
; %bb.0:
	.section	.rodata,"a",@progbits
	.p2align	6, 0x0
	.amdhsa_kernel _ZN7rocprim17ROCPRIM_400000_NS6detail17trampoline_kernelINS0_14default_configENS1_33run_length_encode_config_selectorIhjNS0_4plusIjEEEEZZNS1_33reduce_by_key_impl_wrapped_configILNS1_25lookback_scan_determinismE0ES3_S7_PKhNS0_17constant_iteratorIjlEEPhPlSF_S6_NS0_8equal_toIhEEEE10hipError_tPvRmT2_T3_mT4_T5_T6_T7_T8_P12ihipStream_tbENKUlT_T0_E_clISt17integral_constantIbLb1EESZ_EEDaSU_SV_EUlSU_E_NS1_11comp_targetILNS1_3genE2ELNS1_11target_archE906ELNS1_3gpuE6ELNS1_3repE0EEENS1_30default_config_static_selectorELNS0_4arch9wavefront6targetE1EEEvT1_
		.amdhsa_group_segment_fixed_size 0
		.amdhsa_private_segment_fixed_size 0
		.amdhsa_kernarg_size 128
		.amdhsa_user_sgpr_count 6
		.amdhsa_user_sgpr_private_segment_buffer 1
		.amdhsa_user_sgpr_dispatch_ptr 0
		.amdhsa_user_sgpr_queue_ptr 0
		.amdhsa_user_sgpr_kernarg_segment_ptr 1
		.amdhsa_user_sgpr_dispatch_id 0
		.amdhsa_user_sgpr_flat_scratch_init 0
		.amdhsa_user_sgpr_kernarg_preload_length 0
		.amdhsa_user_sgpr_kernarg_preload_offset 0
		.amdhsa_user_sgpr_private_segment_size 0
		.amdhsa_uses_dynamic_stack 0
		.amdhsa_system_sgpr_private_segment_wavefront_offset 0
		.amdhsa_system_sgpr_workgroup_id_x 1
		.amdhsa_system_sgpr_workgroup_id_y 0
		.amdhsa_system_sgpr_workgroup_id_z 0
		.amdhsa_system_sgpr_workgroup_info 0
		.amdhsa_system_vgpr_workitem_id 0
		.amdhsa_next_free_vgpr 1
		.amdhsa_next_free_sgpr 0
		.amdhsa_accum_offset 4
		.amdhsa_reserve_vcc 0
		.amdhsa_reserve_flat_scratch 0
		.amdhsa_float_round_mode_32 0
		.amdhsa_float_round_mode_16_64 0
		.amdhsa_float_denorm_mode_32 3
		.amdhsa_float_denorm_mode_16_64 3
		.amdhsa_dx10_clamp 1
		.amdhsa_ieee_mode 1
		.amdhsa_fp16_overflow 0
		.amdhsa_tg_split 0
		.amdhsa_exception_fp_ieee_invalid_op 0
		.amdhsa_exception_fp_denorm_src 0
		.amdhsa_exception_fp_ieee_div_zero 0
		.amdhsa_exception_fp_ieee_overflow 0
		.amdhsa_exception_fp_ieee_underflow 0
		.amdhsa_exception_fp_ieee_inexact 0
		.amdhsa_exception_int_div_zero 0
	.end_amdhsa_kernel
	.section	.text._ZN7rocprim17ROCPRIM_400000_NS6detail17trampoline_kernelINS0_14default_configENS1_33run_length_encode_config_selectorIhjNS0_4plusIjEEEEZZNS1_33reduce_by_key_impl_wrapped_configILNS1_25lookback_scan_determinismE0ES3_S7_PKhNS0_17constant_iteratorIjlEEPhPlSF_S6_NS0_8equal_toIhEEEE10hipError_tPvRmT2_T3_mT4_T5_T6_T7_T8_P12ihipStream_tbENKUlT_T0_E_clISt17integral_constantIbLb1EESZ_EEDaSU_SV_EUlSU_E_NS1_11comp_targetILNS1_3genE2ELNS1_11target_archE906ELNS1_3gpuE6ELNS1_3repE0EEENS1_30default_config_static_selectorELNS0_4arch9wavefront6targetE1EEEvT1_,"axG",@progbits,_ZN7rocprim17ROCPRIM_400000_NS6detail17trampoline_kernelINS0_14default_configENS1_33run_length_encode_config_selectorIhjNS0_4plusIjEEEEZZNS1_33reduce_by_key_impl_wrapped_configILNS1_25lookback_scan_determinismE0ES3_S7_PKhNS0_17constant_iteratorIjlEEPhPlSF_S6_NS0_8equal_toIhEEEE10hipError_tPvRmT2_T3_mT4_T5_T6_T7_T8_P12ihipStream_tbENKUlT_T0_E_clISt17integral_constantIbLb1EESZ_EEDaSU_SV_EUlSU_E_NS1_11comp_targetILNS1_3genE2ELNS1_11target_archE906ELNS1_3gpuE6ELNS1_3repE0EEENS1_30default_config_static_selectorELNS0_4arch9wavefront6targetE1EEEvT1_,comdat
.Lfunc_end179:
	.size	_ZN7rocprim17ROCPRIM_400000_NS6detail17trampoline_kernelINS0_14default_configENS1_33run_length_encode_config_selectorIhjNS0_4plusIjEEEEZZNS1_33reduce_by_key_impl_wrapped_configILNS1_25lookback_scan_determinismE0ES3_S7_PKhNS0_17constant_iteratorIjlEEPhPlSF_S6_NS0_8equal_toIhEEEE10hipError_tPvRmT2_T3_mT4_T5_T6_T7_T8_P12ihipStream_tbENKUlT_T0_E_clISt17integral_constantIbLb1EESZ_EEDaSU_SV_EUlSU_E_NS1_11comp_targetILNS1_3genE2ELNS1_11target_archE906ELNS1_3gpuE6ELNS1_3repE0EEENS1_30default_config_static_selectorELNS0_4arch9wavefront6targetE1EEEvT1_, .Lfunc_end179-_ZN7rocprim17ROCPRIM_400000_NS6detail17trampoline_kernelINS0_14default_configENS1_33run_length_encode_config_selectorIhjNS0_4plusIjEEEEZZNS1_33reduce_by_key_impl_wrapped_configILNS1_25lookback_scan_determinismE0ES3_S7_PKhNS0_17constant_iteratorIjlEEPhPlSF_S6_NS0_8equal_toIhEEEE10hipError_tPvRmT2_T3_mT4_T5_T6_T7_T8_P12ihipStream_tbENKUlT_T0_E_clISt17integral_constantIbLb1EESZ_EEDaSU_SV_EUlSU_E_NS1_11comp_targetILNS1_3genE2ELNS1_11target_archE906ELNS1_3gpuE6ELNS1_3repE0EEENS1_30default_config_static_selectorELNS0_4arch9wavefront6targetE1EEEvT1_
                                        ; -- End function
	.section	.AMDGPU.csdata,"",@progbits
; Kernel info:
; codeLenInByte = 0
; NumSgprs: 4
; NumVgprs: 0
; NumAgprs: 0
; TotalNumVgprs: 0
; ScratchSize: 0
; MemoryBound: 0
; FloatMode: 240
; IeeeMode: 1
; LDSByteSize: 0 bytes/workgroup (compile time only)
; SGPRBlocks: 0
; VGPRBlocks: 0
; NumSGPRsForWavesPerEU: 4
; NumVGPRsForWavesPerEU: 1
; AccumOffset: 4
; Occupancy: 8
; WaveLimiterHint : 0
; COMPUTE_PGM_RSRC2:SCRATCH_EN: 0
; COMPUTE_PGM_RSRC2:USER_SGPR: 6
; COMPUTE_PGM_RSRC2:TRAP_HANDLER: 0
; COMPUTE_PGM_RSRC2:TGID_X_EN: 1
; COMPUTE_PGM_RSRC2:TGID_Y_EN: 0
; COMPUTE_PGM_RSRC2:TGID_Z_EN: 0
; COMPUTE_PGM_RSRC2:TIDIG_COMP_CNT: 0
; COMPUTE_PGM_RSRC3_GFX90A:ACCUM_OFFSET: 0
; COMPUTE_PGM_RSRC3_GFX90A:TG_SPLIT: 0
	.section	.text._ZN7rocprim17ROCPRIM_400000_NS6detail17trampoline_kernelINS0_14default_configENS1_33run_length_encode_config_selectorIhjNS0_4plusIjEEEEZZNS1_33reduce_by_key_impl_wrapped_configILNS1_25lookback_scan_determinismE0ES3_S7_PKhNS0_17constant_iteratorIjlEEPhPlSF_S6_NS0_8equal_toIhEEEE10hipError_tPvRmT2_T3_mT4_T5_T6_T7_T8_P12ihipStream_tbENKUlT_T0_E_clISt17integral_constantIbLb1EESZ_EEDaSU_SV_EUlSU_E_NS1_11comp_targetILNS1_3genE10ELNS1_11target_archE1201ELNS1_3gpuE5ELNS1_3repE0EEENS1_30default_config_static_selectorELNS0_4arch9wavefront6targetE1EEEvT1_,"axG",@progbits,_ZN7rocprim17ROCPRIM_400000_NS6detail17trampoline_kernelINS0_14default_configENS1_33run_length_encode_config_selectorIhjNS0_4plusIjEEEEZZNS1_33reduce_by_key_impl_wrapped_configILNS1_25lookback_scan_determinismE0ES3_S7_PKhNS0_17constant_iteratorIjlEEPhPlSF_S6_NS0_8equal_toIhEEEE10hipError_tPvRmT2_T3_mT4_T5_T6_T7_T8_P12ihipStream_tbENKUlT_T0_E_clISt17integral_constantIbLb1EESZ_EEDaSU_SV_EUlSU_E_NS1_11comp_targetILNS1_3genE10ELNS1_11target_archE1201ELNS1_3gpuE5ELNS1_3repE0EEENS1_30default_config_static_selectorELNS0_4arch9wavefront6targetE1EEEvT1_,comdat
	.protected	_ZN7rocprim17ROCPRIM_400000_NS6detail17trampoline_kernelINS0_14default_configENS1_33run_length_encode_config_selectorIhjNS0_4plusIjEEEEZZNS1_33reduce_by_key_impl_wrapped_configILNS1_25lookback_scan_determinismE0ES3_S7_PKhNS0_17constant_iteratorIjlEEPhPlSF_S6_NS0_8equal_toIhEEEE10hipError_tPvRmT2_T3_mT4_T5_T6_T7_T8_P12ihipStream_tbENKUlT_T0_E_clISt17integral_constantIbLb1EESZ_EEDaSU_SV_EUlSU_E_NS1_11comp_targetILNS1_3genE10ELNS1_11target_archE1201ELNS1_3gpuE5ELNS1_3repE0EEENS1_30default_config_static_selectorELNS0_4arch9wavefront6targetE1EEEvT1_ ; -- Begin function _ZN7rocprim17ROCPRIM_400000_NS6detail17trampoline_kernelINS0_14default_configENS1_33run_length_encode_config_selectorIhjNS0_4plusIjEEEEZZNS1_33reduce_by_key_impl_wrapped_configILNS1_25lookback_scan_determinismE0ES3_S7_PKhNS0_17constant_iteratorIjlEEPhPlSF_S6_NS0_8equal_toIhEEEE10hipError_tPvRmT2_T3_mT4_T5_T6_T7_T8_P12ihipStream_tbENKUlT_T0_E_clISt17integral_constantIbLb1EESZ_EEDaSU_SV_EUlSU_E_NS1_11comp_targetILNS1_3genE10ELNS1_11target_archE1201ELNS1_3gpuE5ELNS1_3repE0EEENS1_30default_config_static_selectorELNS0_4arch9wavefront6targetE1EEEvT1_
	.globl	_ZN7rocprim17ROCPRIM_400000_NS6detail17trampoline_kernelINS0_14default_configENS1_33run_length_encode_config_selectorIhjNS0_4plusIjEEEEZZNS1_33reduce_by_key_impl_wrapped_configILNS1_25lookback_scan_determinismE0ES3_S7_PKhNS0_17constant_iteratorIjlEEPhPlSF_S6_NS0_8equal_toIhEEEE10hipError_tPvRmT2_T3_mT4_T5_T6_T7_T8_P12ihipStream_tbENKUlT_T0_E_clISt17integral_constantIbLb1EESZ_EEDaSU_SV_EUlSU_E_NS1_11comp_targetILNS1_3genE10ELNS1_11target_archE1201ELNS1_3gpuE5ELNS1_3repE0EEENS1_30default_config_static_selectorELNS0_4arch9wavefront6targetE1EEEvT1_
	.p2align	8
	.type	_ZN7rocprim17ROCPRIM_400000_NS6detail17trampoline_kernelINS0_14default_configENS1_33run_length_encode_config_selectorIhjNS0_4plusIjEEEEZZNS1_33reduce_by_key_impl_wrapped_configILNS1_25lookback_scan_determinismE0ES3_S7_PKhNS0_17constant_iteratorIjlEEPhPlSF_S6_NS0_8equal_toIhEEEE10hipError_tPvRmT2_T3_mT4_T5_T6_T7_T8_P12ihipStream_tbENKUlT_T0_E_clISt17integral_constantIbLb1EESZ_EEDaSU_SV_EUlSU_E_NS1_11comp_targetILNS1_3genE10ELNS1_11target_archE1201ELNS1_3gpuE5ELNS1_3repE0EEENS1_30default_config_static_selectorELNS0_4arch9wavefront6targetE1EEEvT1_,@function
_ZN7rocprim17ROCPRIM_400000_NS6detail17trampoline_kernelINS0_14default_configENS1_33run_length_encode_config_selectorIhjNS0_4plusIjEEEEZZNS1_33reduce_by_key_impl_wrapped_configILNS1_25lookback_scan_determinismE0ES3_S7_PKhNS0_17constant_iteratorIjlEEPhPlSF_S6_NS0_8equal_toIhEEEE10hipError_tPvRmT2_T3_mT4_T5_T6_T7_T8_P12ihipStream_tbENKUlT_T0_E_clISt17integral_constantIbLb1EESZ_EEDaSU_SV_EUlSU_E_NS1_11comp_targetILNS1_3genE10ELNS1_11target_archE1201ELNS1_3gpuE5ELNS1_3repE0EEENS1_30default_config_static_selectorELNS0_4arch9wavefront6targetE1EEEvT1_: ; @_ZN7rocprim17ROCPRIM_400000_NS6detail17trampoline_kernelINS0_14default_configENS1_33run_length_encode_config_selectorIhjNS0_4plusIjEEEEZZNS1_33reduce_by_key_impl_wrapped_configILNS1_25lookback_scan_determinismE0ES3_S7_PKhNS0_17constant_iteratorIjlEEPhPlSF_S6_NS0_8equal_toIhEEEE10hipError_tPvRmT2_T3_mT4_T5_T6_T7_T8_P12ihipStream_tbENKUlT_T0_E_clISt17integral_constantIbLb1EESZ_EEDaSU_SV_EUlSU_E_NS1_11comp_targetILNS1_3genE10ELNS1_11target_archE1201ELNS1_3gpuE5ELNS1_3repE0EEENS1_30default_config_static_selectorELNS0_4arch9wavefront6targetE1EEEvT1_
; %bb.0:
	.section	.rodata,"a",@progbits
	.p2align	6, 0x0
	.amdhsa_kernel _ZN7rocprim17ROCPRIM_400000_NS6detail17trampoline_kernelINS0_14default_configENS1_33run_length_encode_config_selectorIhjNS0_4plusIjEEEEZZNS1_33reduce_by_key_impl_wrapped_configILNS1_25lookback_scan_determinismE0ES3_S7_PKhNS0_17constant_iteratorIjlEEPhPlSF_S6_NS0_8equal_toIhEEEE10hipError_tPvRmT2_T3_mT4_T5_T6_T7_T8_P12ihipStream_tbENKUlT_T0_E_clISt17integral_constantIbLb1EESZ_EEDaSU_SV_EUlSU_E_NS1_11comp_targetILNS1_3genE10ELNS1_11target_archE1201ELNS1_3gpuE5ELNS1_3repE0EEENS1_30default_config_static_selectorELNS0_4arch9wavefront6targetE1EEEvT1_
		.amdhsa_group_segment_fixed_size 0
		.amdhsa_private_segment_fixed_size 0
		.amdhsa_kernarg_size 128
		.amdhsa_user_sgpr_count 6
		.amdhsa_user_sgpr_private_segment_buffer 1
		.amdhsa_user_sgpr_dispatch_ptr 0
		.amdhsa_user_sgpr_queue_ptr 0
		.amdhsa_user_sgpr_kernarg_segment_ptr 1
		.amdhsa_user_sgpr_dispatch_id 0
		.amdhsa_user_sgpr_flat_scratch_init 0
		.amdhsa_user_sgpr_kernarg_preload_length 0
		.amdhsa_user_sgpr_kernarg_preload_offset 0
		.amdhsa_user_sgpr_private_segment_size 0
		.amdhsa_uses_dynamic_stack 0
		.amdhsa_system_sgpr_private_segment_wavefront_offset 0
		.amdhsa_system_sgpr_workgroup_id_x 1
		.amdhsa_system_sgpr_workgroup_id_y 0
		.amdhsa_system_sgpr_workgroup_id_z 0
		.amdhsa_system_sgpr_workgroup_info 0
		.amdhsa_system_vgpr_workitem_id 0
		.amdhsa_next_free_vgpr 1
		.amdhsa_next_free_sgpr 0
		.amdhsa_accum_offset 4
		.amdhsa_reserve_vcc 0
		.amdhsa_reserve_flat_scratch 0
		.amdhsa_float_round_mode_32 0
		.amdhsa_float_round_mode_16_64 0
		.amdhsa_float_denorm_mode_32 3
		.amdhsa_float_denorm_mode_16_64 3
		.amdhsa_dx10_clamp 1
		.amdhsa_ieee_mode 1
		.amdhsa_fp16_overflow 0
		.amdhsa_tg_split 0
		.amdhsa_exception_fp_ieee_invalid_op 0
		.amdhsa_exception_fp_denorm_src 0
		.amdhsa_exception_fp_ieee_div_zero 0
		.amdhsa_exception_fp_ieee_overflow 0
		.amdhsa_exception_fp_ieee_underflow 0
		.amdhsa_exception_fp_ieee_inexact 0
		.amdhsa_exception_int_div_zero 0
	.end_amdhsa_kernel
	.section	.text._ZN7rocprim17ROCPRIM_400000_NS6detail17trampoline_kernelINS0_14default_configENS1_33run_length_encode_config_selectorIhjNS0_4plusIjEEEEZZNS1_33reduce_by_key_impl_wrapped_configILNS1_25lookback_scan_determinismE0ES3_S7_PKhNS0_17constant_iteratorIjlEEPhPlSF_S6_NS0_8equal_toIhEEEE10hipError_tPvRmT2_T3_mT4_T5_T6_T7_T8_P12ihipStream_tbENKUlT_T0_E_clISt17integral_constantIbLb1EESZ_EEDaSU_SV_EUlSU_E_NS1_11comp_targetILNS1_3genE10ELNS1_11target_archE1201ELNS1_3gpuE5ELNS1_3repE0EEENS1_30default_config_static_selectorELNS0_4arch9wavefront6targetE1EEEvT1_,"axG",@progbits,_ZN7rocprim17ROCPRIM_400000_NS6detail17trampoline_kernelINS0_14default_configENS1_33run_length_encode_config_selectorIhjNS0_4plusIjEEEEZZNS1_33reduce_by_key_impl_wrapped_configILNS1_25lookback_scan_determinismE0ES3_S7_PKhNS0_17constant_iteratorIjlEEPhPlSF_S6_NS0_8equal_toIhEEEE10hipError_tPvRmT2_T3_mT4_T5_T6_T7_T8_P12ihipStream_tbENKUlT_T0_E_clISt17integral_constantIbLb1EESZ_EEDaSU_SV_EUlSU_E_NS1_11comp_targetILNS1_3genE10ELNS1_11target_archE1201ELNS1_3gpuE5ELNS1_3repE0EEENS1_30default_config_static_selectorELNS0_4arch9wavefront6targetE1EEEvT1_,comdat
.Lfunc_end180:
	.size	_ZN7rocprim17ROCPRIM_400000_NS6detail17trampoline_kernelINS0_14default_configENS1_33run_length_encode_config_selectorIhjNS0_4plusIjEEEEZZNS1_33reduce_by_key_impl_wrapped_configILNS1_25lookback_scan_determinismE0ES3_S7_PKhNS0_17constant_iteratorIjlEEPhPlSF_S6_NS0_8equal_toIhEEEE10hipError_tPvRmT2_T3_mT4_T5_T6_T7_T8_P12ihipStream_tbENKUlT_T0_E_clISt17integral_constantIbLb1EESZ_EEDaSU_SV_EUlSU_E_NS1_11comp_targetILNS1_3genE10ELNS1_11target_archE1201ELNS1_3gpuE5ELNS1_3repE0EEENS1_30default_config_static_selectorELNS0_4arch9wavefront6targetE1EEEvT1_, .Lfunc_end180-_ZN7rocprim17ROCPRIM_400000_NS6detail17trampoline_kernelINS0_14default_configENS1_33run_length_encode_config_selectorIhjNS0_4plusIjEEEEZZNS1_33reduce_by_key_impl_wrapped_configILNS1_25lookback_scan_determinismE0ES3_S7_PKhNS0_17constant_iteratorIjlEEPhPlSF_S6_NS0_8equal_toIhEEEE10hipError_tPvRmT2_T3_mT4_T5_T6_T7_T8_P12ihipStream_tbENKUlT_T0_E_clISt17integral_constantIbLb1EESZ_EEDaSU_SV_EUlSU_E_NS1_11comp_targetILNS1_3genE10ELNS1_11target_archE1201ELNS1_3gpuE5ELNS1_3repE0EEENS1_30default_config_static_selectorELNS0_4arch9wavefront6targetE1EEEvT1_
                                        ; -- End function
	.section	.AMDGPU.csdata,"",@progbits
; Kernel info:
; codeLenInByte = 0
; NumSgprs: 4
; NumVgprs: 0
; NumAgprs: 0
; TotalNumVgprs: 0
; ScratchSize: 0
; MemoryBound: 0
; FloatMode: 240
; IeeeMode: 1
; LDSByteSize: 0 bytes/workgroup (compile time only)
; SGPRBlocks: 0
; VGPRBlocks: 0
; NumSGPRsForWavesPerEU: 4
; NumVGPRsForWavesPerEU: 1
; AccumOffset: 4
; Occupancy: 8
; WaveLimiterHint : 0
; COMPUTE_PGM_RSRC2:SCRATCH_EN: 0
; COMPUTE_PGM_RSRC2:USER_SGPR: 6
; COMPUTE_PGM_RSRC2:TRAP_HANDLER: 0
; COMPUTE_PGM_RSRC2:TGID_X_EN: 1
; COMPUTE_PGM_RSRC2:TGID_Y_EN: 0
; COMPUTE_PGM_RSRC2:TGID_Z_EN: 0
; COMPUTE_PGM_RSRC2:TIDIG_COMP_CNT: 0
; COMPUTE_PGM_RSRC3_GFX90A:ACCUM_OFFSET: 0
; COMPUTE_PGM_RSRC3_GFX90A:TG_SPLIT: 0
	.section	.text._ZN7rocprim17ROCPRIM_400000_NS6detail17trampoline_kernelINS0_14default_configENS1_33run_length_encode_config_selectorIhjNS0_4plusIjEEEEZZNS1_33reduce_by_key_impl_wrapped_configILNS1_25lookback_scan_determinismE0ES3_S7_PKhNS0_17constant_iteratorIjlEEPhPlSF_S6_NS0_8equal_toIhEEEE10hipError_tPvRmT2_T3_mT4_T5_T6_T7_T8_P12ihipStream_tbENKUlT_T0_E_clISt17integral_constantIbLb1EESZ_EEDaSU_SV_EUlSU_E_NS1_11comp_targetILNS1_3genE10ELNS1_11target_archE1200ELNS1_3gpuE4ELNS1_3repE0EEENS1_30default_config_static_selectorELNS0_4arch9wavefront6targetE1EEEvT1_,"axG",@progbits,_ZN7rocprim17ROCPRIM_400000_NS6detail17trampoline_kernelINS0_14default_configENS1_33run_length_encode_config_selectorIhjNS0_4plusIjEEEEZZNS1_33reduce_by_key_impl_wrapped_configILNS1_25lookback_scan_determinismE0ES3_S7_PKhNS0_17constant_iteratorIjlEEPhPlSF_S6_NS0_8equal_toIhEEEE10hipError_tPvRmT2_T3_mT4_T5_T6_T7_T8_P12ihipStream_tbENKUlT_T0_E_clISt17integral_constantIbLb1EESZ_EEDaSU_SV_EUlSU_E_NS1_11comp_targetILNS1_3genE10ELNS1_11target_archE1200ELNS1_3gpuE4ELNS1_3repE0EEENS1_30default_config_static_selectorELNS0_4arch9wavefront6targetE1EEEvT1_,comdat
	.protected	_ZN7rocprim17ROCPRIM_400000_NS6detail17trampoline_kernelINS0_14default_configENS1_33run_length_encode_config_selectorIhjNS0_4plusIjEEEEZZNS1_33reduce_by_key_impl_wrapped_configILNS1_25lookback_scan_determinismE0ES3_S7_PKhNS0_17constant_iteratorIjlEEPhPlSF_S6_NS0_8equal_toIhEEEE10hipError_tPvRmT2_T3_mT4_T5_T6_T7_T8_P12ihipStream_tbENKUlT_T0_E_clISt17integral_constantIbLb1EESZ_EEDaSU_SV_EUlSU_E_NS1_11comp_targetILNS1_3genE10ELNS1_11target_archE1200ELNS1_3gpuE4ELNS1_3repE0EEENS1_30default_config_static_selectorELNS0_4arch9wavefront6targetE1EEEvT1_ ; -- Begin function _ZN7rocprim17ROCPRIM_400000_NS6detail17trampoline_kernelINS0_14default_configENS1_33run_length_encode_config_selectorIhjNS0_4plusIjEEEEZZNS1_33reduce_by_key_impl_wrapped_configILNS1_25lookback_scan_determinismE0ES3_S7_PKhNS0_17constant_iteratorIjlEEPhPlSF_S6_NS0_8equal_toIhEEEE10hipError_tPvRmT2_T3_mT4_T5_T6_T7_T8_P12ihipStream_tbENKUlT_T0_E_clISt17integral_constantIbLb1EESZ_EEDaSU_SV_EUlSU_E_NS1_11comp_targetILNS1_3genE10ELNS1_11target_archE1200ELNS1_3gpuE4ELNS1_3repE0EEENS1_30default_config_static_selectorELNS0_4arch9wavefront6targetE1EEEvT1_
	.globl	_ZN7rocprim17ROCPRIM_400000_NS6detail17trampoline_kernelINS0_14default_configENS1_33run_length_encode_config_selectorIhjNS0_4plusIjEEEEZZNS1_33reduce_by_key_impl_wrapped_configILNS1_25lookback_scan_determinismE0ES3_S7_PKhNS0_17constant_iteratorIjlEEPhPlSF_S6_NS0_8equal_toIhEEEE10hipError_tPvRmT2_T3_mT4_T5_T6_T7_T8_P12ihipStream_tbENKUlT_T0_E_clISt17integral_constantIbLb1EESZ_EEDaSU_SV_EUlSU_E_NS1_11comp_targetILNS1_3genE10ELNS1_11target_archE1200ELNS1_3gpuE4ELNS1_3repE0EEENS1_30default_config_static_selectorELNS0_4arch9wavefront6targetE1EEEvT1_
	.p2align	8
	.type	_ZN7rocprim17ROCPRIM_400000_NS6detail17trampoline_kernelINS0_14default_configENS1_33run_length_encode_config_selectorIhjNS0_4plusIjEEEEZZNS1_33reduce_by_key_impl_wrapped_configILNS1_25lookback_scan_determinismE0ES3_S7_PKhNS0_17constant_iteratorIjlEEPhPlSF_S6_NS0_8equal_toIhEEEE10hipError_tPvRmT2_T3_mT4_T5_T6_T7_T8_P12ihipStream_tbENKUlT_T0_E_clISt17integral_constantIbLb1EESZ_EEDaSU_SV_EUlSU_E_NS1_11comp_targetILNS1_3genE10ELNS1_11target_archE1200ELNS1_3gpuE4ELNS1_3repE0EEENS1_30default_config_static_selectorELNS0_4arch9wavefront6targetE1EEEvT1_,@function
_ZN7rocprim17ROCPRIM_400000_NS6detail17trampoline_kernelINS0_14default_configENS1_33run_length_encode_config_selectorIhjNS0_4plusIjEEEEZZNS1_33reduce_by_key_impl_wrapped_configILNS1_25lookback_scan_determinismE0ES3_S7_PKhNS0_17constant_iteratorIjlEEPhPlSF_S6_NS0_8equal_toIhEEEE10hipError_tPvRmT2_T3_mT4_T5_T6_T7_T8_P12ihipStream_tbENKUlT_T0_E_clISt17integral_constantIbLb1EESZ_EEDaSU_SV_EUlSU_E_NS1_11comp_targetILNS1_3genE10ELNS1_11target_archE1200ELNS1_3gpuE4ELNS1_3repE0EEENS1_30default_config_static_selectorELNS0_4arch9wavefront6targetE1EEEvT1_: ; @_ZN7rocprim17ROCPRIM_400000_NS6detail17trampoline_kernelINS0_14default_configENS1_33run_length_encode_config_selectorIhjNS0_4plusIjEEEEZZNS1_33reduce_by_key_impl_wrapped_configILNS1_25lookback_scan_determinismE0ES3_S7_PKhNS0_17constant_iteratorIjlEEPhPlSF_S6_NS0_8equal_toIhEEEE10hipError_tPvRmT2_T3_mT4_T5_T6_T7_T8_P12ihipStream_tbENKUlT_T0_E_clISt17integral_constantIbLb1EESZ_EEDaSU_SV_EUlSU_E_NS1_11comp_targetILNS1_3genE10ELNS1_11target_archE1200ELNS1_3gpuE4ELNS1_3repE0EEENS1_30default_config_static_selectorELNS0_4arch9wavefront6targetE1EEEvT1_
; %bb.0:
	.section	.rodata,"a",@progbits
	.p2align	6, 0x0
	.amdhsa_kernel _ZN7rocprim17ROCPRIM_400000_NS6detail17trampoline_kernelINS0_14default_configENS1_33run_length_encode_config_selectorIhjNS0_4plusIjEEEEZZNS1_33reduce_by_key_impl_wrapped_configILNS1_25lookback_scan_determinismE0ES3_S7_PKhNS0_17constant_iteratorIjlEEPhPlSF_S6_NS0_8equal_toIhEEEE10hipError_tPvRmT2_T3_mT4_T5_T6_T7_T8_P12ihipStream_tbENKUlT_T0_E_clISt17integral_constantIbLb1EESZ_EEDaSU_SV_EUlSU_E_NS1_11comp_targetILNS1_3genE10ELNS1_11target_archE1200ELNS1_3gpuE4ELNS1_3repE0EEENS1_30default_config_static_selectorELNS0_4arch9wavefront6targetE1EEEvT1_
		.amdhsa_group_segment_fixed_size 0
		.amdhsa_private_segment_fixed_size 0
		.amdhsa_kernarg_size 128
		.amdhsa_user_sgpr_count 6
		.amdhsa_user_sgpr_private_segment_buffer 1
		.amdhsa_user_sgpr_dispatch_ptr 0
		.amdhsa_user_sgpr_queue_ptr 0
		.amdhsa_user_sgpr_kernarg_segment_ptr 1
		.amdhsa_user_sgpr_dispatch_id 0
		.amdhsa_user_sgpr_flat_scratch_init 0
		.amdhsa_user_sgpr_kernarg_preload_length 0
		.amdhsa_user_sgpr_kernarg_preload_offset 0
		.amdhsa_user_sgpr_private_segment_size 0
		.amdhsa_uses_dynamic_stack 0
		.amdhsa_system_sgpr_private_segment_wavefront_offset 0
		.amdhsa_system_sgpr_workgroup_id_x 1
		.amdhsa_system_sgpr_workgroup_id_y 0
		.amdhsa_system_sgpr_workgroup_id_z 0
		.amdhsa_system_sgpr_workgroup_info 0
		.amdhsa_system_vgpr_workitem_id 0
		.amdhsa_next_free_vgpr 1
		.amdhsa_next_free_sgpr 0
		.amdhsa_accum_offset 4
		.amdhsa_reserve_vcc 0
		.amdhsa_reserve_flat_scratch 0
		.amdhsa_float_round_mode_32 0
		.amdhsa_float_round_mode_16_64 0
		.amdhsa_float_denorm_mode_32 3
		.amdhsa_float_denorm_mode_16_64 3
		.amdhsa_dx10_clamp 1
		.amdhsa_ieee_mode 1
		.amdhsa_fp16_overflow 0
		.amdhsa_tg_split 0
		.amdhsa_exception_fp_ieee_invalid_op 0
		.amdhsa_exception_fp_denorm_src 0
		.amdhsa_exception_fp_ieee_div_zero 0
		.amdhsa_exception_fp_ieee_overflow 0
		.amdhsa_exception_fp_ieee_underflow 0
		.amdhsa_exception_fp_ieee_inexact 0
		.amdhsa_exception_int_div_zero 0
	.end_amdhsa_kernel
	.section	.text._ZN7rocprim17ROCPRIM_400000_NS6detail17trampoline_kernelINS0_14default_configENS1_33run_length_encode_config_selectorIhjNS0_4plusIjEEEEZZNS1_33reduce_by_key_impl_wrapped_configILNS1_25lookback_scan_determinismE0ES3_S7_PKhNS0_17constant_iteratorIjlEEPhPlSF_S6_NS0_8equal_toIhEEEE10hipError_tPvRmT2_T3_mT4_T5_T6_T7_T8_P12ihipStream_tbENKUlT_T0_E_clISt17integral_constantIbLb1EESZ_EEDaSU_SV_EUlSU_E_NS1_11comp_targetILNS1_3genE10ELNS1_11target_archE1200ELNS1_3gpuE4ELNS1_3repE0EEENS1_30default_config_static_selectorELNS0_4arch9wavefront6targetE1EEEvT1_,"axG",@progbits,_ZN7rocprim17ROCPRIM_400000_NS6detail17trampoline_kernelINS0_14default_configENS1_33run_length_encode_config_selectorIhjNS0_4plusIjEEEEZZNS1_33reduce_by_key_impl_wrapped_configILNS1_25lookback_scan_determinismE0ES3_S7_PKhNS0_17constant_iteratorIjlEEPhPlSF_S6_NS0_8equal_toIhEEEE10hipError_tPvRmT2_T3_mT4_T5_T6_T7_T8_P12ihipStream_tbENKUlT_T0_E_clISt17integral_constantIbLb1EESZ_EEDaSU_SV_EUlSU_E_NS1_11comp_targetILNS1_3genE10ELNS1_11target_archE1200ELNS1_3gpuE4ELNS1_3repE0EEENS1_30default_config_static_selectorELNS0_4arch9wavefront6targetE1EEEvT1_,comdat
.Lfunc_end181:
	.size	_ZN7rocprim17ROCPRIM_400000_NS6detail17trampoline_kernelINS0_14default_configENS1_33run_length_encode_config_selectorIhjNS0_4plusIjEEEEZZNS1_33reduce_by_key_impl_wrapped_configILNS1_25lookback_scan_determinismE0ES3_S7_PKhNS0_17constant_iteratorIjlEEPhPlSF_S6_NS0_8equal_toIhEEEE10hipError_tPvRmT2_T3_mT4_T5_T6_T7_T8_P12ihipStream_tbENKUlT_T0_E_clISt17integral_constantIbLb1EESZ_EEDaSU_SV_EUlSU_E_NS1_11comp_targetILNS1_3genE10ELNS1_11target_archE1200ELNS1_3gpuE4ELNS1_3repE0EEENS1_30default_config_static_selectorELNS0_4arch9wavefront6targetE1EEEvT1_, .Lfunc_end181-_ZN7rocprim17ROCPRIM_400000_NS6detail17trampoline_kernelINS0_14default_configENS1_33run_length_encode_config_selectorIhjNS0_4plusIjEEEEZZNS1_33reduce_by_key_impl_wrapped_configILNS1_25lookback_scan_determinismE0ES3_S7_PKhNS0_17constant_iteratorIjlEEPhPlSF_S6_NS0_8equal_toIhEEEE10hipError_tPvRmT2_T3_mT4_T5_T6_T7_T8_P12ihipStream_tbENKUlT_T0_E_clISt17integral_constantIbLb1EESZ_EEDaSU_SV_EUlSU_E_NS1_11comp_targetILNS1_3genE10ELNS1_11target_archE1200ELNS1_3gpuE4ELNS1_3repE0EEENS1_30default_config_static_selectorELNS0_4arch9wavefront6targetE1EEEvT1_
                                        ; -- End function
	.section	.AMDGPU.csdata,"",@progbits
; Kernel info:
; codeLenInByte = 0
; NumSgprs: 4
; NumVgprs: 0
; NumAgprs: 0
; TotalNumVgprs: 0
; ScratchSize: 0
; MemoryBound: 0
; FloatMode: 240
; IeeeMode: 1
; LDSByteSize: 0 bytes/workgroup (compile time only)
; SGPRBlocks: 0
; VGPRBlocks: 0
; NumSGPRsForWavesPerEU: 4
; NumVGPRsForWavesPerEU: 1
; AccumOffset: 4
; Occupancy: 8
; WaveLimiterHint : 0
; COMPUTE_PGM_RSRC2:SCRATCH_EN: 0
; COMPUTE_PGM_RSRC2:USER_SGPR: 6
; COMPUTE_PGM_RSRC2:TRAP_HANDLER: 0
; COMPUTE_PGM_RSRC2:TGID_X_EN: 1
; COMPUTE_PGM_RSRC2:TGID_Y_EN: 0
; COMPUTE_PGM_RSRC2:TGID_Z_EN: 0
; COMPUTE_PGM_RSRC2:TIDIG_COMP_CNT: 0
; COMPUTE_PGM_RSRC3_GFX90A:ACCUM_OFFSET: 0
; COMPUTE_PGM_RSRC3_GFX90A:TG_SPLIT: 0
	.section	.text._ZN7rocprim17ROCPRIM_400000_NS6detail17trampoline_kernelINS0_14default_configENS1_33run_length_encode_config_selectorIhjNS0_4plusIjEEEEZZNS1_33reduce_by_key_impl_wrapped_configILNS1_25lookback_scan_determinismE0ES3_S7_PKhNS0_17constant_iteratorIjlEEPhPlSF_S6_NS0_8equal_toIhEEEE10hipError_tPvRmT2_T3_mT4_T5_T6_T7_T8_P12ihipStream_tbENKUlT_T0_E_clISt17integral_constantIbLb1EESZ_EEDaSU_SV_EUlSU_E_NS1_11comp_targetILNS1_3genE9ELNS1_11target_archE1100ELNS1_3gpuE3ELNS1_3repE0EEENS1_30default_config_static_selectorELNS0_4arch9wavefront6targetE1EEEvT1_,"axG",@progbits,_ZN7rocprim17ROCPRIM_400000_NS6detail17trampoline_kernelINS0_14default_configENS1_33run_length_encode_config_selectorIhjNS0_4plusIjEEEEZZNS1_33reduce_by_key_impl_wrapped_configILNS1_25lookback_scan_determinismE0ES3_S7_PKhNS0_17constant_iteratorIjlEEPhPlSF_S6_NS0_8equal_toIhEEEE10hipError_tPvRmT2_T3_mT4_T5_T6_T7_T8_P12ihipStream_tbENKUlT_T0_E_clISt17integral_constantIbLb1EESZ_EEDaSU_SV_EUlSU_E_NS1_11comp_targetILNS1_3genE9ELNS1_11target_archE1100ELNS1_3gpuE3ELNS1_3repE0EEENS1_30default_config_static_selectorELNS0_4arch9wavefront6targetE1EEEvT1_,comdat
	.protected	_ZN7rocprim17ROCPRIM_400000_NS6detail17trampoline_kernelINS0_14default_configENS1_33run_length_encode_config_selectorIhjNS0_4plusIjEEEEZZNS1_33reduce_by_key_impl_wrapped_configILNS1_25lookback_scan_determinismE0ES3_S7_PKhNS0_17constant_iteratorIjlEEPhPlSF_S6_NS0_8equal_toIhEEEE10hipError_tPvRmT2_T3_mT4_T5_T6_T7_T8_P12ihipStream_tbENKUlT_T0_E_clISt17integral_constantIbLb1EESZ_EEDaSU_SV_EUlSU_E_NS1_11comp_targetILNS1_3genE9ELNS1_11target_archE1100ELNS1_3gpuE3ELNS1_3repE0EEENS1_30default_config_static_selectorELNS0_4arch9wavefront6targetE1EEEvT1_ ; -- Begin function _ZN7rocprim17ROCPRIM_400000_NS6detail17trampoline_kernelINS0_14default_configENS1_33run_length_encode_config_selectorIhjNS0_4plusIjEEEEZZNS1_33reduce_by_key_impl_wrapped_configILNS1_25lookback_scan_determinismE0ES3_S7_PKhNS0_17constant_iteratorIjlEEPhPlSF_S6_NS0_8equal_toIhEEEE10hipError_tPvRmT2_T3_mT4_T5_T6_T7_T8_P12ihipStream_tbENKUlT_T0_E_clISt17integral_constantIbLb1EESZ_EEDaSU_SV_EUlSU_E_NS1_11comp_targetILNS1_3genE9ELNS1_11target_archE1100ELNS1_3gpuE3ELNS1_3repE0EEENS1_30default_config_static_selectorELNS0_4arch9wavefront6targetE1EEEvT1_
	.globl	_ZN7rocprim17ROCPRIM_400000_NS6detail17trampoline_kernelINS0_14default_configENS1_33run_length_encode_config_selectorIhjNS0_4plusIjEEEEZZNS1_33reduce_by_key_impl_wrapped_configILNS1_25lookback_scan_determinismE0ES3_S7_PKhNS0_17constant_iteratorIjlEEPhPlSF_S6_NS0_8equal_toIhEEEE10hipError_tPvRmT2_T3_mT4_T5_T6_T7_T8_P12ihipStream_tbENKUlT_T0_E_clISt17integral_constantIbLb1EESZ_EEDaSU_SV_EUlSU_E_NS1_11comp_targetILNS1_3genE9ELNS1_11target_archE1100ELNS1_3gpuE3ELNS1_3repE0EEENS1_30default_config_static_selectorELNS0_4arch9wavefront6targetE1EEEvT1_
	.p2align	8
	.type	_ZN7rocprim17ROCPRIM_400000_NS6detail17trampoline_kernelINS0_14default_configENS1_33run_length_encode_config_selectorIhjNS0_4plusIjEEEEZZNS1_33reduce_by_key_impl_wrapped_configILNS1_25lookback_scan_determinismE0ES3_S7_PKhNS0_17constant_iteratorIjlEEPhPlSF_S6_NS0_8equal_toIhEEEE10hipError_tPvRmT2_T3_mT4_T5_T6_T7_T8_P12ihipStream_tbENKUlT_T0_E_clISt17integral_constantIbLb1EESZ_EEDaSU_SV_EUlSU_E_NS1_11comp_targetILNS1_3genE9ELNS1_11target_archE1100ELNS1_3gpuE3ELNS1_3repE0EEENS1_30default_config_static_selectorELNS0_4arch9wavefront6targetE1EEEvT1_,@function
_ZN7rocprim17ROCPRIM_400000_NS6detail17trampoline_kernelINS0_14default_configENS1_33run_length_encode_config_selectorIhjNS0_4plusIjEEEEZZNS1_33reduce_by_key_impl_wrapped_configILNS1_25lookback_scan_determinismE0ES3_S7_PKhNS0_17constant_iteratorIjlEEPhPlSF_S6_NS0_8equal_toIhEEEE10hipError_tPvRmT2_T3_mT4_T5_T6_T7_T8_P12ihipStream_tbENKUlT_T0_E_clISt17integral_constantIbLb1EESZ_EEDaSU_SV_EUlSU_E_NS1_11comp_targetILNS1_3genE9ELNS1_11target_archE1100ELNS1_3gpuE3ELNS1_3repE0EEENS1_30default_config_static_selectorELNS0_4arch9wavefront6targetE1EEEvT1_: ; @_ZN7rocprim17ROCPRIM_400000_NS6detail17trampoline_kernelINS0_14default_configENS1_33run_length_encode_config_selectorIhjNS0_4plusIjEEEEZZNS1_33reduce_by_key_impl_wrapped_configILNS1_25lookback_scan_determinismE0ES3_S7_PKhNS0_17constant_iteratorIjlEEPhPlSF_S6_NS0_8equal_toIhEEEE10hipError_tPvRmT2_T3_mT4_T5_T6_T7_T8_P12ihipStream_tbENKUlT_T0_E_clISt17integral_constantIbLb1EESZ_EEDaSU_SV_EUlSU_E_NS1_11comp_targetILNS1_3genE9ELNS1_11target_archE1100ELNS1_3gpuE3ELNS1_3repE0EEENS1_30default_config_static_selectorELNS0_4arch9wavefront6targetE1EEEvT1_
; %bb.0:
	.section	.rodata,"a",@progbits
	.p2align	6, 0x0
	.amdhsa_kernel _ZN7rocprim17ROCPRIM_400000_NS6detail17trampoline_kernelINS0_14default_configENS1_33run_length_encode_config_selectorIhjNS0_4plusIjEEEEZZNS1_33reduce_by_key_impl_wrapped_configILNS1_25lookback_scan_determinismE0ES3_S7_PKhNS0_17constant_iteratorIjlEEPhPlSF_S6_NS0_8equal_toIhEEEE10hipError_tPvRmT2_T3_mT4_T5_T6_T7_T8_P12ihipStream_tbENKUlT_T0_E_clISt17integral_constantIbLb1EESZ_EEDaSU_SV_EUlSU_E_NS1_11comp_targetILNS1_3genE9ELNS1_11target_archE1100ELNS1_3gpuE3ELNS1_3repE0EEENS1_30default_config_static_selectorELNS0_4arch9wavefront6targetE1EEEvT1_
		.amdhsa_group_segment_fixed_size 0
		.amdhsa_private_segment_fixed_size 0
		.amdhsa_kernarg_size 128
		.amdhsa_user_sgpr_count 6
		.amdhsa_user_sgpr_private_segment_buffer 1
		.amdhsa_user_sgpr_dispatch_ptr 0
		.amdhsa_user_sgpr_queue_ptr 0
		.amdhsa_user_sgpr_kernarg_segment_ptr 1
		.amdhsa_user_sgpr_dispatch_id 0
		.amdhsa_user_sgpr_flat_scratch_init 0
		.amdhsa_user_sgpr_kernarg_preload_length 0
		.amdhsa_user_sgpr_kernarg_preload_offset 0
		.amdhsa_user_sgpr_private_segment_size 0
		.amdhsa_uses_dynamic_stack 0
		.amdhsa_system_sgpr_private_segment_wavefront_offset 0
		.amdhsa_system_sgpr_workgroup_id_x 1
		.amdhsa_system_sgpr_workgroup_id_y 0
		.amdhsa_system_sgpr_workgroup_id_z 0
		.amdhsa_system_sgpr_workgroup_info 0
		.amdhsa_system_vgpr_workitem_id 0
		.amdhsa_next_free_vgpr 1
		.amdhsa_next_free_sgpr 0
		.amdhsa_accum_offset 4
		.amdhsa_reserve_vcc 0
		.amdhsa_reserve_flat_scratch 0
		.amdhsa_float_round_mode_32 0
		.amdhsa_float_round_mode_16_64 0
		.amdhsa_float_denorm_mode_32 3
		.amdhsa_float_denorm_mode_16_64 3
		.amdhsa_dx10_clamp 1
		.amdhsa_ieee_mode 1
		.amdhsa_fp16_overflow 0
		.amdhsa_tg_split 0
		.amdhsa_exception_fp_ieee_invalid_op 0
		.amdhsa_exception_fp_denorm_src 0
		.amdhsa_exception_fp_ieee_div_zero 0
		.amdhsa_exception_fp_ieee_overflow 0
		.amdhsa_exception_fp_ieee_underflow 0
		.amdhsa_exception_fp_ieee_inexact 0
		.amdhsa_exception_int_div_zero 0
	.end_amdhsa_kernel
	.section	.text._ZN7rocprim17ROCPRIM_400000_NS6detail17trampoline_kernelINS0_14default_configENS1_33run_length_encode_config_selectorIhjNS0_4plusIjEEEEZZNS1_33reduce_by_key_impl_wrapped_configILNS1_25lookback_scan_determinismE0ES3_S7_PKhNS0_17constant_iteratorIjlEEPhPlSF_S6_NS0_8equal_toIhEEEE10hipError_tPvRmT2_T3_mT4_T5_T6_T7_T8_P12ihipStream_tbENKUlT_T0_E_clISt17integral_constantIbLb1EESZ_EEDaSU_SV_EUlSU_E_NS1_11comp_targetILNS1_3genE9ELNS1_11target_archE1100ELNS1_3gpuE3ELNS1_3repE0EEENS1_30default_config_static_selectorELNS0_4arch9wavefront6targetE1EEEvT1_,"axG",@progbits,_ZN7rocprim17ROCPRIM_400000_NS6detail17trampoline_kernelINS0_14default_configENS1_33run_length_encode_config_selectorIhjNS0_4plusIjEEEEZZNS1_33reduce_by_key_impl_wrapped_configILNS1_25lookback_scan_determinismE0ES3_S7_PKhNS0_17constant_iteratorIjlEEPhPlSF_S6_NS0_8equal_toIhEEEE10hipError_tPvRmT2_T3_mT4_T5_T6_T7_T8_P12ihipStream_tbENKUlT_T0_E_clISt17integral_constantIbLb1EESZ_EEDaSU_SV_EUlSU_E_NS1_11comp_targetILNS1_3genE9ELNS1_11target_archE1100ELNS1_3gpuE3ELNS1_3repE0EEENS1_30default_config_static_selectorELNS0_4arch9wavefront6targetE1EEEvT1_,comdat
.Lfunc_end182:
	.size	_ZN7rocprim17ROCPRIM_400000_NS6detail17trampoline_kernelINS0_14default_configENS1_33run_length_encode_config_selectorIhjNS0_4plusIjEEEEZZNS1_33reduce_by_key_impl_wrapped_configILNS1_25lookback_scan_determinismE0ES3_S7_PKhNS0_17constant_iteratorIjlEEPhPlSF_S6_NS0_8equal_toIhEEEE10hipError_tPvRmT2_T3_mT4_T5_T6_T7_T8_P12ihipStream_tbENKUlT_T0_E_clISt17integral_constantIbLb1EESZ_EEDaSU_SV_EUlSU_E_NS1_11comp_targetILNS1_3genE9ELNS1_11target_archE1100ELNS1_3gpuE3ELNS1_3repE0EEENS1_30default_config_static_selectorELNS0_4arch9wavefront6targetE1EEEvT1_, .Lfunc_end182-_ZN7rocprim17ROCPRIM_400000_NS6detail17trampoline_kernelINS0_14default_configENS1_33run_length_encode_config_selectorIhjNS0_4plusIjEEEEZZNS1_33reduce_by_key_impl_wrapped_configILNS1_25lookback_scan_determinismE0ES3_S7_PKhNS0_17constant_iteratorIjlEEPhPlSF_S6_NS0_8equal_toIhEEEE10hipError_tPvRmT2_T3_mT4_T5_T6_T7_T8_P12ihipStream_tbENKUlT_T0_E_clISt17integral_constantIbLb1EESZ_EEDaSU_SV_EUlSU_E_NS1_11comp_targetILNS1_3genE9ELNS1_11target_archE1100ELNS1_3gpuE3ELNS1_3repE0EEENS1_30default_config_static_selectorELNS0_4arch9wavefront6targetE1EEEvT1_
                                        ; -- End function
	.section	.AMDGPU.csdata,"",@progbits
; Kernel info:
; codeLenInByte = 0
; NumSgprs: 4
; NumVgprs: 0
; NumAgprs: 0
; TotalNumVgprs: 0
; ScratchSize: 0
; MemoryBound: 0
; FloatMode: 240
; IeeeMode: 1
; LDSByteSize: 0 bytes/workgroup (compile time only)
; SGPRBlocks: 0
; VGPRBlocks: 0
; NumSGPRsForWavesPerEU: 4
; NumVGPRsForWavesPerEU: 1
; AccumOffset: 4
; Occupancy: 8
; WaveLimiterHint : 0
; COMPUTE_PGM_RSRC2:SCRATCH_EN: 0
; COMPUTE_PGM_RSRC2:USER_SGPR: 6
; COMPUTE_PGM_RSRC2:TRAP_HANDLER: 0
; COMPUTE_PGM_RSRC2:TGID_X_EN: 1
; COMPUTE_PGM_RSRC2:TGID_Y_EN: 0
; COMPUTE_PGM_RSRC2:TGID_Z_EN: 0
; COMPUTE_PGM_RSRC2:TIDIG_COMP_CNT: 0
; COMPUTE_PGM_RSRC3_GFX90A:ACCUM_OFFSET: 0
; COMPUTE_PGM_RSRC3_GFX90A:TG_SPLIT: 0
	.section	.text._ZN7rocprim17ROCPRIM_400000_NS6detail17trampoline_kernelINS0_14default_configENS1_33run_length_encode_config_selectorIhjNS0_4plusIjEEEEZZNS1_33reduce_by_key_impl_wrapped_configILNS1_25lookback_scan_determinismE0ES3_S7_PKhNS0_17constant_iteratorIjlEEPhPlSF_S6_NS0_8equal_toIhEEEE10hipError_tPvRmT2_T3_mT4_T5_T6_T7_T8_P12ihipStream_tbENKUlT_T0_E_clISt17integral_constantIbLb1EESZ_EEDaSU_SV_EUlSU_E_NS1_11comp_targetILNS1_3genE8ELNS1_11target_archE1030ELNS1_3gpuE2ELNS1_3repE0EEENS1_30default_config_static_selectorELNS0_4arch9wavefront6targetE1EEEvT1_,"axG",@progbits,_ZN7rocprim17ROCPRIM_400000_NS6detail17trampoline_kernelINS0_14default_configENS1_33run_length_encode_config_selectorIhjNS0_4plusIjEEEEZZNS1_33reduce_by_key_impl_wrapped_configILNS1_25lookback_scan_determinismE0ES3_S7_PKhNS0_17constant_iteratorIjlEEPhPlSF_S6_NS0_8equal_toIhEEEE10hipError_tPvRmT2_T3_mT4_T5_T6_T7_T8_P12ihipStream_tbENKUlT_T0_E_clISt17integral_constantIbLb1EESZ_EEDaSU_SV_EUlSU_E_NS1_11comp_targetILNS1_3genE8ELNS1_11target_archE1030ELNS1_3gpuE2ELNS1_3repE0EEENS1_30default_config_static_selectorELNS0_4arch9wavefront6targetE1EEEvT1_,comdat
	.protected	_ZN7rocprim17ROCPRIM_400000_NS6detail17trampoline_kernelINS0_14default_configENS1_33run_length_encode_config_selectorIhjNS0_4plusIjEEEEZZNS1_33reduce_by_key_impl_wrapped_configILNS1_25lookback_scan_determinismE0ES3_S7_PKhNS0_17constant_iteratorIjlEEPhPlSF_S6_NS0_8equal_toIhEEEE10hipError_tPvRmT2_T3_mT4_T5_T6_T7_T8_P12ihipStream_tbENKUlT_T0_E_clISt17integral_constantIbLb1EESZ_EEDaSU_SV_EUlSU_E_NS1_11comp_targetILNS1_3genE8ELNS1_11target_archE1030ELNS1_3gpuE2ELNS1_3repE0EEENS1_30default_config_static_selectorELNS0_4arch9wavefront6targetE1EEEvT1_ ; -- Begin function _ZN7rocprim17ROCPRIM_400000_NS6detail17trampoline_kernelINS0_14default_configENS1_33run_length_encode_config_selectorIhjNS0_4plusIjEEEEZZNS1_33reduce_by_key_impl_wrapped_configILNS1_25lookback_scan_determinismE0ES3_S7_PKhNS0_17constant_iteratorIjlEEPhPlSF_S6_NS0_8equal_toIhEEEE10hipError_tPvRmT2_T3_mT4_T5_T6_T7_T8_P12ihipStream_tbENKUlT_T0_E_clISt17integral_constantIbLb1EESZ_EEDaSU_SV_EUlSU_E_NS1_11comp_targetILNS1_3genE8ELNS1_11target_archE1030ELNS1_3gpuE2ELNS1_3repE0EEENS1_30default_config_static_selectorELNS0_4arch9wavefront6targetE1EEEvT1_
	.globl	_ZN7rocprim17ROCPRIM_400000_NS6detail17trampoline_kernelINS0_14default_configENS1_33run_length_encode_config_selectorIhjNS0_4plusIjEEEEZZNS1_33reduce_by_key_impl_wrapped_configILNS1_25lookback_scan_determinismE0ES3_S7_PKhNS0_17constant_iteratorIjlEEPhPlSF_S6_NS0_8equal_toIhEEEE10hipError_tPvRmT2_T3_mT4_T5_T6_T7_T8_P12ihipStream_tbENKUlT_T0_E_clISt17integral_constantIbLb1EESZ_EEDaSU_SV_EUlSU_E_NS1_11comp_targetILNS1_3genE8ELNS1_11target_archE1030ELNS1_3gpuE2ELNS1_3repE0EEENS1_30default_config_static_selectorELNS0_4arch9wavefront6targetE1EEEvT1_
	.p2align	8
	.type	_ZN7rocprim17ROCPRIM_400000_NS6detail17trampoline_kernelINS0_14default_configENS1_33run_length_encode_config_selectorIhjNS0_4plusIjEEEEZZNS1_33reduce_by_key_impl_wrapped_configILNS1_25lookback_scan_determinismE0ES3_S7_PKhNS0_17constant_iteratorIjlEEPhPlSF_S6_NS0_8equal_toIhEEEE10hipError_tPvRmT2_T3_mT4_T5_T6_T7_T8_P12ihipStream_tbENKUlT_T0_E_clISt17integral_constantIbLb1EESZ_EEDaSU_SV_EUlSU_E_NS1_11comp_targetILNS1_3genE8ELNS1_11target_archE1030ELNS1_3gpuE2ELNS1_3repE0EEENS1_30default_config_static_selectorELNS0_4arch9wavefront6targetE1EEEvT1_,@function
_ZN7rocprim17ROCPRIM_400000_NS6detail17trampoline_kernelINS0_14default_configENS1_33run_length_encode_config_selectorIhjNS0_4plusIjEEEEZZNS1_33reduce_by_key_impl_wrapped_configILNS1_25lookback_scan_determinismE0ES3_S7_PKhNS0_17constant_iteratorIjlEEPhPlSF_S6_NS0_8equal_toIhEEEE10hipError_tPvRmT2_T3_mT4_T5_T6_T7_T8_P12ihipStream_tbENKUlT_T0_E_clISt17integral_constantIbLb1EESZ_EEDaSU_SV_EUlSU_E_NS1_11comp_targetILNS1_3genE8ELNS1_11target_archE1030ELNS1_3gpuE2ELNS1_3repE0EEENS1_30default_config_static_selectorELNS0_4arch9wavefront6targetE1EEEvT1_: ; @_ZN7rocprim17ROCPRIM_400000_NS6detail17trampoline_kernelINS0_14default_configENS1_33run_length_encode_config_selectorIhjNS0_4plusIjEEEEZZNS1_33reduce_by_key_impl_wrapped_configILNS1_25lookback_scan_determinismE0ES3_S7_PKhNS0_17constant_iteratorIjlEEPhPlSF_S6_NS0_8equal_toIhEEEE10hipError_tPvRmT2_T3_mT4_T5_T6_T7_T8_P12ihipStream_tbENKUlT_T0_E_clISt17integral_constantIbLb1EESZ_EEDaSU_SV_EUlSU_E_NS1_11comp_targetILNS1_3genE8ELNS1_11target_archE1030ELNS1_3gpuE2ELNS1_3repE0EEENS1_30default_config_static_selectorELNS0_4arch9wavefront6targetE1EEEvT1_
; %bb.0:
	.section	.rodata,"a",@progbits
	.p2align	6, 0x0
	.amdhsa_kernel _ZN7rocprim17ROCPRIM_400000_NS6detail17trampoline_kernelINS0_14default_configENS1_33run_length_encode_config_selectorIhjNS0_4plusIjEEEEZZNS1_33reduce_by_key_impl_wrapped_configILNS1_25lookback_scan_determinismE0ES3_S7_PKhNS0_17constant_iteratorIjlEEPhPlSF_S6_NS0_8equal_toIhEEEE10hipError_tPvRmT2_T3_mT4_T5_T6_T7_T8_P12ihipStream_tbENKUlT_T0_E_clISt17integral_constantIbLb1EESZ_EEDaSU_SV_EUlSU_E_NS1_11comp_targetILNS1_3genE8ELNS1_11target_archE1030ELNS1_3gpuE2ELNS1_3repE0EEENS1_30default_config_static_selectorELNS0_4arch9wavefront6targetE1EEEvT1_
		.amdhsa_group_segment_fixed_size 0
		.amdhsa_private_segment_fixed_size 0
		.amdhsa_kernarg_size 128
		.amdhsa_user_sgpr_count 6
		.amdhsa_user_sgpr_private_segment_buffer 1
		.amdhsa_user_sgpr_dispatch_ptr 0
		.amdhsa_user_sgpr_queue_ptr 0
		.amdhsa_user_sgpr_kernarg_segment_ptr 1
		.amdhsa_user_sgpr_dispatch_id 0
		.amdhsa_user_sgpr_flat_scratch_init 0
		.amdhsa_user_sgpr_kernarg_preload_length 0
		.amdhsa_user_sgpr_kernarg_preload_offset 0
		.amdhsa_user_sgpr_private_segment_size 0
		.amdhsa_uses_dynamic_stack 0
		.amdhsa_system_sgpr_private_segment_wavefront_offset 0
		.amdhsa_system_sgpr_workgroup_id_x 1
		.amdhsa_system_sgpr_workgroup_id_y 0
		.amdhsa_system_sgpr_workgroup_id_z 0
		.amdhsa_system_sgpr_workgroup_info 0
		.amdhsa_system_vgpr_workitem_id 0
		.amdhsa_next_free_vgpr 1
		.amdhsa_next_free_sgpr 0
		.amdhsa_accum_offset 4
		.amdhsa_reserve_vcc 0
		.amdhsa_reserve_flat_scratch 0
		.amdhsa_float_round_mode_32 0
		.amdhsa_float_round_mode_16_64 0
		.amdhsa_float_denorm_mode_32 3
		.amdhsa_float_denorm_mode_16_64 3
		.amdhsa_dx10_clamp 1
		.amdhsa_ieee_mode 1
		.amdhsa_fp16_overflow 0
		.amdhsa_tg_split 0
		.amdhsa_exception_fp_ieee_invalid_op 0
		.amdhsa_exception_fp_denorm_src 0
		.amdhsa_exception_fp_ieee_div_zero 0
		.amdhsa_exception_fp_ieee_overflow 0
		.amdhsa_exception_fp_ieee_underflow 0
		.amdhsa_exception_fp_ieee_inexact 0
		.amdhsa_exception_int_div_zero 0
	.end_amdhsa_kernel
	.section	.text._ZN7rocprim17ROCPRIM_400000_NS6detail17trampoline_kernelINS0_14default_configENS1_33run_length_encode_config_selectorIhjNS0_4plusIjEEEEZZNS1_33reduce_by_key_impl_wrapped_configILNS1_25lookback_scan_determinismE0ES3_S7_PKhNS0_17constant_iteratorIjlEEPhPlSF_S6_NS0_8equal_toIhEEEE10hipError_tPvRmT2_T3_mT4_T5_T6_T7_T8_P12ihipStream_tbENKUlT_T0_E_clISt17integral_constantIbLb1EESZ_EEDaSU_SV_EUlSU_E_NS1_11comp_targetILNS1_3genE8ELNS1_11target_archE1030ELNS1_3gpuE2ELNS1_3repE0EEENS1_30default_config_static_selectorELNS0_4arch9wavefront6targetE1EEEvT1_,"axG",@progbits,_ZN7rocprim17ROCPRIM_400000_NS6detail17trampoline_kernelINS0_14default_configENS1_33run_length_encode_config_selectorIhjNS0_4plusIjEEEEZZNS1_33reduce_by_key_impl_wrapped_configILNS1_25lookback_scan_determinismE0ES3_S7_PKhNS0_17constant_iteratorIjlEEPhPlSF_S6_NS0_8equal_toIhEEEE10hipError_tPvRmT2_T3_mT4_T5_T6_T7_T8_P12ihipStream_tbENKUlT_T0_E_clISt17integral_constantIbLb1EESZ_EEDaSU_SV_EUlSU_E_NS1_11comp_targetILNS1_3genE8ELNS1_11target_archE1030ELNS1_3gpuE2ELNS1_3repE0EEENS1_30default_config_static_selectorELNS0_4arch9wavefront6targetE1EEEvT1_,comdat
.Lfunc_end183:
	.size	_ZN7rocprim17ROCPRIM_400000_NS6detail17trampoline_kernelINS0_14default_configENS1_33run_length_encode_config_selectorIhjNS0_4plusIjEEEEZZNS1_33reduce_by_key_impl_wrapped_configILNS1_25lookback_scan_determinismE0ES3_S7_PKhNS0_17constant_iteratorIjlEEPhPlSF_S6_NS0_8equal_toIhEEEE10hipError_tPvRmT2_T3_mT4_T5_T6_T7_T8_P12ihipStream_tbENKUlT_T0_E_clISt17integral_constantIbLb1EESZ_EEDaSU_SV_EUlSU_E_NS1_11comp_targetILNS1_3genE8ELNS1_11target_archE1030ELNS1_3gpuE2ELNS1_3repE0EEENS1_30default_config_static_selectorELNS0_4arch9wavefront6targetE1EEEvT1_, .Lfunc_end183-_ZN7rocprim17ROCPRIM_400000_NS6detail17trampoline_kernelINS0_14default_configENS1_33run_length_encode_config_selectorIhjNS0_4plusIjEEEEZZNS1_33reduce_by_key_impl_wrapped_configILNS1_25lookback_scan_determinismE0ES3_S7_PKhNS0_17constant_iteratorIjlEEPhPlSF_S6_NS0_8equal_toIhEEEE10hipError_tPvRmT2_T3_mT4_T5_T6_T7_T8_P12ihipStream_tbENKUlT_T0_E_clISt17integral_constantIbLb1EESZ_EEDaSU_SV_EUlSU_E_NS1_11comp_targetILNS1_3genE8ELNS1_11target_archE1030ELNS1_3gpuE2ELNS1_3repE0EEENS1_30default_config_static_selectorELNS0_4arch9wavefront6targetE1EEEvT1_
                                        ; -- End function
	.section	.AMDGPU.csdata,"",@progbits
; Kernel info:
; codeLenInByte = 0
; NumSgprs: 4
; NumVgprs: 0
; NumAgprs: 0
; TotalNumVgprs: 0
; ScratchSize: 0
; MemoryBound: 0
; FloatMode: 240
; IeeeMode: 1
; LDSByteSize: 0 bytes/workgroup (compile time only)
; SGPRBlocks: 0
; VGPRBlocks: 0
; NumSGPRsForWavesPerEU: 4
; NumVGPRsForWavesPerEU: 1
; AccumOffset: 4
; Occupancy: 8
; WaveLimiterHint : 0
; COMPUTE_PGM_RSRC2:SCRATCH_EN: 0
; COMPUTE_PGM_RSRC2:USER_SGPR: 6
; COMPUTE_PGM_RSRC2:TRAP_HANDLER: 0
; COMPUTE_PGM_RSRC2:TGID_X_EN: 1
; COMPUTE_PGM_RSRC2:TGID_Y_EN: 0
; COMPUTE_PGM_RSRC2:TGID_Z_EN: 0
; COMPUTE_PGM_RSRC2:TIDIG_COMP_CNT: 0
; COMPUTE_PGM_RSRC3_GFX90A:ACCUM_OFFSET: 0
; COMPUTE_PGM_RSRC3_GFX90A:TG_SPLIT: 0
	.section	.text._ZN7rocprim17ROCPRIM_400000_NS6detail17trampoline_kernelINS0_14default_configENS1_33run_length_encode_config_selectorIhjNS0_4plusIjEEEEZZNS1_33reduce_by_key_impl_wrapped_configILNS1_25lookback_scan_determinismE0ES3_S7_PKhNS0_17constant_iteratorIjlEEPhPlSF_S6_NS0_8equal_toIhEEEE10hipError_tPvRmT2_T3_mT4_T5_T6_T7_T8_P12ihipStream_tbENKUlT_T0_E_clISt17integral_constantIbLb1EESY_IbLb0EEEEDaSU_SV_EUlSU_E_NS1_11comp_targetILNS1_3genE0ELNS1_11target_archE4294967295ELNS1_3gpuE0ELNS1_3repE0EEENS1_30default_config_static_selectorELNS0_4arch9wavefront6targetE1EEEvT1_,"axG",@progbits,_ZN7rocprim17ROCPRIM_400000_NS6detail17trampoline_kernelINS0_14default_configENS1_33run_length_encode_config_selectorIhjNS0_4plusIjEEEEZZNS1_33reduce_by_key_impl_wrapped_configILNS1_25lookback_scan_determinismE0ES3_S7_PKhNS0_17constant_iteratorIjlEEPhPlSF_S6_NS0_8equal_toIhEEEE10hipError_tPvRmT2_T3_mT4_T5_T6_T7_T8_P12ihipStream_tbENKUlT_T0_E_clISt17integral_constantIbLb1EESY_IbLb0EEEEDaSU_SV_EUlSU_E_NS1_11comp_targetILNS1_3genE0ELNS1_11target_archE4294967295ELNS1_3gpuE0ELNS1_3repE0EEENS1_30default_config_static_selectorELNS0_4arch9wavefront6targetE1EEEvT1_,comdat
	.protected	_ZN7rocprim17ROCPRIM_400000_NS6detail17trampoline_kernelINS0_14default_configENS1_33run_length_encode_config_selectorIhjNS0_4plusIjEEEEZZNS1_33reduce_by_key_impl_wrapped_configILNS1_25lookback_scan_determinismE0ES3_S7_PKhNS0_17constant_iteratorIjlEEPhPlSF_S6_NS0_8equal_toIhEEEE10hipError_tPvRmT2_T3_mT4_T5_T6_T7_T8_P12ihipStream_tbENKUlT_T0_E_clISt17integral_constantIbLb1EESY_IbLb0EEEEDaSU_SV_EUlSU_E_NS1_11comp_targetILNS1_3genE0ELNS1_11target_archE4294967295ELNS1_3gpuE0ELNS1_3repE0EEENS1_30default_config_static_selectorELNS0_4arch9wavefront6targetE1EEEvT1_ ; -- Begin function _ZN7rocprim17ROCPRIM_400000_NS6detail17trampoline_kernelINS0_14default_configENS1_33run_length_encode_config_selectorIhjNS0_4plusIjEEEEZZNS1_33reduce_by_key_impl_wrapped_configILNS1_25lookback_scan_determinismE0ES3_S7_PKhNS0_17constant_iteratorIjlEEPhPlSF_S6_NS0_8equal_toIhEEEE10hipError_tPvRmT2_T3_mT4_T5_T6_T7_T8_P12ihipStream_tbENKUlT_T0_E_clISt17integral_constantIbLb1EESY_IbLb0EEEEDaSU_SV_EUlSU_E_NS1_11comp_targetILNS1_3genE0ELNS1_11target_archE4294967295ELNS1_3gpuE0ELNS1_3repE0EEENS1_30default_config_static_selectorELNS0_4arch9wavefront6targetE1EEEvT1_
	.globl	_ZN7rocprim17ROCPRIM_400000_NS6detail17trampoline_kernelINS0_14default_configENS1_33run_length_encode_config_selectorIhjNS0_4plusIjEEEEZZNS1_33reduce_by_key_impl_wrapped_configILNS1_25lookback_scan_determinismE0ES3_S7_PKhNS0_17constant_iteratorIjlEEPhPlSF_S6_NS0_8equal_toIhEEEE10hipError_tPvRmT2_T3_mT4_T5_T6_T7_T8_P12ihipStream_tbENKUlT_T0_E_clISt17integral_constantIbLb1EESY_IbLb0EEEEDaSU_SV_EUlSU_E_NS1_11comp_targetILNS1_3genE0ELNS1_11target_archE4294967295ELNS1_3gpuE0ELNS1_3repE0EEENS1_30default_config_static_selectorELNS0_4arch9wavefront6targetE1EEEvT1_
	.p2align	8
	.type	_ZN7rocprim17ROCPRIM_400000_NS6detail17trampoline_kernelINS0_14default_configENS1_33run_length_encode_config_selectorIhjNS0_4plusIjEEEEZZNS1_33reduce_by_key_impl_wrapped_configILNS1_25lookback_scan_determinismE0ES3_S7_PKhNS0_17constant_iteratorIjlEEPhPlSF_S6_NS0_8equal_toIhEEEE10hipError_tPvRmT2_T3_mT4_T5_T6_T7_T8_P12ihipStream_tbENKUlT_T0_E_clISt17integral_constantIbLb1EESY_IbLb0EEEEDaSU_SV_EUlSU_E_NS1_11comp_targetILNS1_3genE0ELNS1_11target_archE4294967295ELNS1_3gpuE0ELNS1_3repE0EEENS1_30default_config_static_selectorELNS0_4arch9wavefront6targetE1EEEvT1_,@function
_ZN7rocprim17ROCPRIM_400000_NS6detail17trampoline_kernelINS0_14default_configENS1_33run_length_encode_config_selectorIhjNS0_4plusIjEEEEZZNS1_33reduce_by_key_impl_wrapped_configILNS1_25lookback_scan_determinismE0ES3_S7_PKhNS0_17constant_iteratorIjlEEPhPlSF_S6_NS0_8equal_toIhEEEE10hipError_tPvRmT2_T3_mT4_T5_T6_T7_T8_P12ihipStream_tbENKUlT_T0_E_clISt17integral_constantIbLb1EESY_IbLb0EEEEDaSU_SV_EUlSU_E_NS1_11comp_targetILNS1_3genE0ELNS1_11target_archE4294967295ELNS1_3gpuE0ELNS1_3repE0EEENS1_30default_config_static_selectorELNS0_4arch9wavefront6targetE1EEEvT1_: ; @_ZN7rocprim17ROCPRIM_400000_NS6detail17trampoline_kernelINS0_14default_configENS1_33run_length_encode_config_selectorIhjNS0_4plusIjEEEEZZNS1_33reduce_by_key_impl_wrapped_configILNS1_25lookback_scan_determinismE0ES3_S7_PKhNS0_17constant_iteratorIjlEEPhPlSF_S6_NS0_8equal_toIhEEEE10hipError_tPvRmT2_T3_mT4_T5_T6_T7_T8_P12ihipStream_tbENKUlT_T0_E_clISt17integral_constantIbLb1EESY_IbLb0EEEEDaSU_SV_EUlSU_E_NS1_11comp_targetILNS1_3genE0ELNS1_11target_archE4294967295ELNS1_3gpuE0ELNS1_3repE0EEENS1_30default_config_static_selectorELNS0_4arch9wavefront6targetE1EEEvT1_
; %bb.0:
	.section	.rodata,"a",@progbits
	.p2align	6, 0x0
	.amdhsa_kernel _ZN7rocprim17ROCPRIM_400000_NS6detail17trampoline_kernelINS0_14default_configENS1_33run_length_encode_config_selectorIhjNS0_4plusIjEEEEZZNS1_33reduce_by_key_impl_wrapped_configILNS1_25lookback_scan_determinismE0ES3_S7_PKhNS0_17constant_iteratorIjlEEPhPlSF_S6_NS0_8equal_toIhEEEE10hipError_tPvRmT2_T3_mT4_T5_T6_T7_T8_P12ihipStream_tbENKUlT_T0_E_clISt17integral_constantIbLb1EESY_IbLb0EEEEDaSU_SV_EUlSU_E_NS1_11comp_targetILNS1_3genE0ELNS1_11target_archE4294967295ELNS1_3gpuE0ELNS1_3repE0EEENS1_30default_config_static_selectorELNS0_4arch9wavefront6targetE1EEEvT1_
		.amdhsa_group_segment_fixed_size 0
		.amdhsa_private_segment_fixed_size 0
		.amdhsa_kernarg_size 128
		.amdhsa_user_sgpr_count 6
		.amdhsa_user_sgpr_private_segment_buffer 1
		.amdhsa_user_sgpr_dispatch_ptr 0
		.amdhsa_user_sgpr_queue_ptr 0
		.amdhsa_user_sgpr_kernarg_segment_ptr 1
		.amdhsa_user_sgpr_dispatch_id 0
		.amdhsa_user_sgpr_flat_scratch_init 0
		.amdhsa_user_sgpr_kernarg_preload_length 0
		.amdhsa_user_sgpr_kernarg_preload_offset 0
		.amdhsa_user_sgpr_private_segment_size 0
		.amdhsa_uses_dynamic_stack 0
		.amdhsa_system_sgpr_private_segment_wavefront_offset 0
		.amdhsa_system_sgpr_workgroup_id_x 1
		.amdhsa_system_sgpr_workgroup_id_y 0
		.amdhsa_system_sgpr_workgroup_id_z 0
		.amdhsa_system_sgpr_workgroup_info 0
		.amdhsa_system_vgpr_workitem_id 0
		.amdhsa_next_free_vgpr 1
		.amdhsa_next_free_sgpr 0
		.amdhsa_accum_offset 4
		.amdhsa_reserve_vcc 0
		.amdhsa_reserve_flat_scratch 0
		.amdhsa_float_round_mode_32 0
		.amdhsa_float_round_mode_16_64 0
		.amdhsa_float_denorm_mode_32 3
		.amdhsa_float_denorm_mode_16_64 3
		.amdhsa_dx10_clamp 1
		.amdhsa_ieee_mode 1
		.amdhsa_fp16_overflow 0
		.amdhsa_tg_split 0
		.amdhsa_exception_fp_ieee_invalid_op 0
		.amdhsa_exception_fp_denorm_src 0
		.amdhsa_exception_fp_ieee_div_zero 0
		.amdhsa_exception_fp_ieee_overflow 0
		.amdhsa_exception_fp_ieee_underflow 0
		.amdhsa_exception_fp_ieee_inexact 0
		.amdhsa_exception_int_div_zero 0
	.end_amdhsa_kernel
	.section	.text._ZN7rocprim17ROCPRIM_400000_NS6detail17trampoline_kernelINS0_14default_configENS1_33run_length_encode_config_selectorIhjNS0_4plusIjEEEEZZNS1_33reduce_by_key_impl_wrapped_configILNS1_25lookback_scan_determinismE0ES3_S7_PKhNS0_17constant_iteratorIjlEEPhPlSF_S6_NS0_8equal_toIhEEEE10hipError_tPvRmT2_T3_mT4_T5_T6_T7_T8_P12ihipStream_tbENKUlT_T0_E_clISt17integral_constantIbLb1EESY_IbLb0EEEEDaSU_SV_EUlSU_E_NS1_11comp_targetILNS1_3genE0ELNS1_11target_archE4294967295ELNS1_3gpuE0ELNS1_3repE0EEENS1_30default_config_static_selectorELNS0_4arch9wavefront6targetE1EEEvT1_,"axG",@progbits,_ZN7rocprim17ROCPRIM_400000_NS6detail17trampoline_kernelINS0_14default_configENS1_33run_length_encode_config_selectorIhjNS0_4plusIjEEEEZZNS1_33reduce_by_key_impl_wrapped_configILNS1_25lookback_scan_determinismE0ES3_S7_PKhNS0_17constant_iteratorIjlEEPhPlSF_S6_NS0_8equal_toIhEEEE10hipError_tPvRmT2_T3_mT4_T5_T6_T7_T8_P12ihipStream_tbENKUlT_T0_E_clISt17integral_constantIbLb1EESY_IbLb0EEEEDaSU_SV_EUlSU_E_NS1_11comp_targetILNS1_3genE0ELNS1_11target_archE4294967295ELNS1_3gpuE0ELNS1_3repE0EEENS1_30default_config_static_selectorELNS0_4arch9wavefront6targetE1EEEvT1_,comdat
.Lfunc_end184:
	.size	_ZN7rocprim17ROCPRIM_400000_NS6detail17trampoline_kernelINS0_14default_configENS1_33run_length_encode_config_selectorIhjNS0_4plusIjEEEEZZNS1_33reduce_by_key_impl_wrapped_configILNS1_25lookback_scan_determinismE0ES3_S7_PKhNS0_17constant_iteratorIjlEEPhPlSF_S6_NS0_8equal_toIhEEEE10hipError_tPvRmT2_T3_mT4_T5_T6_T7_T8_P12ihipStream_tbENKUlT_T0_E_clISt17integral_constantIbLb1EESY_IbLb0EEEEDaSU_SV_EUlSU_E_NS1_11comp_targetILNS1_3genE0ELNS1_11target_archE4294967295ELNS1_3gpuE0ELNS1_3repE0EEENS1_30default_config_static_selectorELNS0_4arch9wavefront6targetE1EEEvT1_, .Lfunc_end184-_ZN7rocprim17ROCPRIM_400000_NS6detail17trampoline_kernelINS0_14default_configENS1_33run_length_encode_config_selectorIhjNS0_4plusIjEEEEZZNS1_33reduce_by_key_impl_wrapped_configILNS1_25lookback_scan_determinismE0ES3_S7_PKhNS0_17constant_iteratorIjlEEPhPlSF_S6_NS0_8equal_toIhEEEE10hipError_tPvRmT2_T3_mT4_T5_T6_T7_T8_P12ihipStream_tbENKUlT_T0_E_clISt17integral_constantIbLb1EESY_IbLb0EEEEDaSU_SV_EUlSU_E_NS1_11comp_targetILNS1_3genE0ELNS1_11target_archE4294967295ELNS1_3gpuE0ELNS1_3repE0EEENS1_30default_config_static_selectorELNS0_4arch9wavefront6targetE1EEEvT1_
                                        ; -- End function
	.section	.AMDGPU.csdata,"",@progbits
; Kernel info:
; codeLenInByte = 0
; NumSgprs: 4
; NumVgprs: 0
; NumAgprs: 0
; TotalNumVgprs: 0
; ScratchSize: 0
; MemoryBound: 0
; FloatMode: 240
; IeeeMode: 1
; LDSByteSize: 0 bytes/workgroup (compile time only)
; SGPRBlocks: 0
; VGPRBlocks: 0
; NumSGPRsForWavesPerEU: 4
; NumVGPRsForWavesPerEU: 1
; AccumOffset: 4
; Occupancy: 8
; WaveLimiterHint : 0
; COMPUTE_PGM_RSRC2:SCRATCH_EN: 0
; COMPUTE_PGM_RSRC2:USER_SGPR: 6
; COMPUTE_PGM_RSRC2:TRAP_HANDLER: 0
; COMPUTE_PGM_RSRC2:TGID_X_EN: 1
; COMPUTE_PGM_RSRC2:TGID_Y_EN: 0
; COMPUTE_PGM_RSRC2:TGID_Z_EN: 0
; COMPUTE_PGM_RSRC2:TIDIG_COMP_CNT: 0
; COMPUTE_PGM_RSRC3_GFX90A:ACCUM_OFFSET: 0
; COMPUTE_PGM_RSRC3_GFX90A:TG_SPLIT: 0
	.section	.text._ZN7rocprim17ROCPRIM_400000_NS6detail17trampoline_kernelINS0_14default_configENS1_33run_length_encode_config_selectorIhjNS0_4plusIjEEEEZZNS1_33reduce_by_key_impl_wrapped_configILNS1_25lookback_scan_determinismE0ES3_S7_PKhNS0_17constant_iteratorIjlEEPhPlSF_S6_NS0_8equal_toIhEEEE10hipError_tPvRmT2_T3_mT4_T5_T6_T7_T8_P12ihipStream_tbENKUlT_T0_E_clISt17integral_constantIbLb1EESY_IbLb0EEEEDaSU_SV_EUlSU_E_NS1_11comp_targetILNS1_3genE5ELNS1_11target_archE942ELNS1_3gpuE9ELNS1_3repE0EEENS1_30default_config_static_selectorELNS0_4arch9wavefront6targetE1EEEvT1_,"axG",@progbits,_ZN7rocprim17ROCPRIM_400000_NS6detail17trampoline_kernelINS0_14default_configENS1_33run_length_encode_config_selectorIhjNS0_4plusIjEEEEZZNS1_33reduce_by_key_impl_wrapped_configILNS1_25lookback_scan_determinismE0ES3_S7_PKhNS0_17constant_iteratorIjlEEPhPlSF_S6_NS0_8equal_toIhEEEE10hipError_tPvRmT2_T3_mT4_T5_T6_T7_T8_P12ihipStream_tbENKUlT_T0_E_clISt17integral_constantIbLb1EESY_IbLb0EEEEDaSU_SV_EUlSU_E_NS1_11comp_targetILNS1_3genE5ELNS1_11target_archE942ELNS1_3gpuE9ELNS1_3repE0EEENS1_30default_config_static_selectorELNS0_4arch9wavefront6targetE1EEEvT1_,comdat
	.protected	_ZN7rocprim17ROCPRIM_400000_NS6detail17trampoline_kernelINS0_14default_configENS1_33run_length_encode_config_selectorIhjNS0_4plusIjEEEEZZNS1_33reduce_by_key_impl_wrapped_configILNS1_25lookback_scan_determinismE0ES3_S7_PKhNS0_17constant_iteratorIjlEEPhPlSF_S6_NS0_8equal_toIhEEEE10hipError_tPvRmT2_T3_mT4_T5_T6_T7_T8_P12ihipStream_tbENKUlT_T0_E_clISt17integral_constantIbLb1EESY_IbLb0EEEEDaSU_SV_EUlSU_E_NS1_11comp_targetILNS1_3genE5ELNS1_11target_archE942ELNS1_3gpuE9ELNS1_3repE0EEENS1_30default_config_static_selectorELNS0_4arch9wavefront6targetE1EEEvT1_ ; -- Begin function _ZN7rocprim17ROCPRIM_400000_NS6detail17trampoline_kernelINS0_14default_configENS1_33run_length_encode_config_selectorIhjNS0_4plusIjEEEEZZNS1_33reduce_by_key_impl_wrapped_configILNS1_25lookback_scan_determinismE0ES3_S7_PKhNS0_17constant_iteratorIjlEEPhPlSF_S6_NS0_8equal_toIhEEEE10hipError_tPvRmT2_T3_mT4_T5_T6_T7_T8_P12ihipStream_tbENKUlT_T0_E_clISt17integral_constantIbLb1EESY_IbLb0EEEEDaSU_SV_EUlSU_E_NS1_11comp_targetILNS1_3genE5ELNS1_11target_archE942ELNS1_3gpuE9ELNS1_3repE0EEENS1_30default_config_static_selectorELNS0_4arch9wavefront6targetE1EEEvT1_
	.globl	_ZN7rocprim17ROCPRIM_400000_NS6detail17trampoline_kernelINS0_14default_configENS1_33run_length_encode_config_selectorIhjNS0_4plusIjEEEEZZNS1_33reduce_by_key_impl_wrapped_configILNS1_25lookback_scan_determinismE0ES3_S7_PKhNS0_17constant_iteratorIjlEEPhPlSF_S6_NS0_8equal_toIhEEEE10hipError_tPvRmT2_T3_mT4_T5_T6_T7_T8_P12ihipStream_tbENKUlT_T0_E_clISt17integral_constantIbLb1EESY_IbLb0EEEEDaSU_SV_EUlSU_E_NS1_11comp_targetILNS1_3genE5ELNS1_11target_archE942ELNS1_3gpuE9ELNS1_3repE0EEENS1_30default_config_static_selectorELNS0_4arch9wavefront6targetE1EEEvT1_
	.p2align	8
	.type	_ZN7rocprim17ROCPRIM_400000_NS6detail17trampoline_kernelINS0_14default_configENS1_33run_length_encode_config_selectorIhjNS0_4plusIjEEEEZZNS1_33reduce_by_key_impl_wrapped_configILNS1_25lookback_scan_determinismE0ES3_S7_PKhNS0_17constant_iteratorIjlEEPhPlSF_S6_NS0_8equal_toIhEEEE10hipError_tPvRmT2_T3_mT4_T5_T6_T7_T8_P12ihipStream_tbENKUlT_T0_E_clISt17integral_constantIbLb1EESY_IbLb0EEEEDaSU_SV_EUlSU_E_NS1_11comp_targetILNS1_3genE5ELNS1_11target_archE942ELNS1_3gpuE9ELNS1_3repE0EEENS1_30default_config_static_selectorELNS0_4arch9wavefront6targetE1EEEvT1_,@function
_ZN7rocprim17ROCPRIM_400000_NS6detail17trampoline_kernelINS0_14default_configENS1_33run_length_encode_config_selectorIhjNS0_4plusIjEEEEZZNS1_33reduce_by_key_impl_wrapped_configILNS1_25lookback_scan_determinismE0ES3_S7_PKhNS0_17constant_iteratorIjlEEPhPlSF_S6_NS0_8equal_toIhEEEE10hipError_tPvRmT2_T3_mT4_T5_T6_T7_T8_P12ihipStream_tbENKUlT_T0_E_clISt17integral_constantIbLb1EESY_IbLb0EEEEDaSU_SV_EUlSU_E_NS1_11comp_targetILNS1_3genE5ELNS1_11target_archE942ELNS1_3gpuE9ELNS1_3repE0EEENS1_30default_config_static_selectorELNS0_4arch9wavefront6targetE1EEEvT1_: ; @_ZN7rocprim17ROCPRIM_400000_NS6detail17trampoline_kernelINS0_14default_configENS1_33run_length_encode_config_selectorIhjNS0_4plusIjEEEEZZNS1_33reduce_by_key_impl_wrapped_configILNS1_25lookback_scan_determinismE0ES3_S7_PKhNS0_17constant_iteratorIjlEEPhPlSF_S6_NS0_8equal_toIhEEEE10hipError_tPvRmT2_T3_mT4_T5_T6_T7_T8_P12ihipStream_tbENKUlT_T0_E_clISt17integral_constantIbLb1EESY_IbLb0EEEEDaSU_SV_EUlSU_E_NS1_11comp_targetILNS1_3genE5ELNS1_11target_archE942ELNS1_3gpuE9ELNS1_3repE0EEENS1_30default_config_static_selectorELNS0_4arch9wavefront6targetE1EEEvT1_
; %bb.0:
	.section	.rodata,"a",@progbits
	.p2align	6, 0x0
	.amdhsa_kernel _ZN7rocprim17ROCPRIM_400000_NS6detail17trampoline_kernelINS0_14default_configENS1_33run_length_encode_config_selectorIhjNS0_4plusIjEEEEZZNS1_33reduce_by_key_impl_wrapped_configILNS1_25lookback_scan_determinismE0ES3_S7_PKhNS0_17constant_iteratorIjlEEPhPlSF_S6_NS0_8equal_toIhEEEE10hipError_tPvRmT2_T3_mT4_T5_T6_T7_T8_P12ihipStream_tbENKUlT_T0_E_clISt17integral_constantIbLb1EESY_IbLb0EEEEDaSU_SV_EUlSU_E_NS1_11comp_targetILNS1_3genE5ELNS1_11target_archE942ELNS1_3gpuE9ELNS1_3repE0EEENS1_30default_config_static_selectorELNS0_4arch9wavefront6targetE1EEEvT1_
		.amdhsa_group_segment_fixed_size 0
		.amdhsa_private_segment_fixed_size 0
		.amdhsa_kernarg_size 128
		.amdhsa_user_sgpr_count 6
		.amdhsa_user_sgpr_private_segment_buffer 1
		.amdhsa_user_sgpr_dispatch_ptr 0
		.amdhsa_user_sgpr_queue_ptr 0
		.amdhsa_user_sgpr_kernarg_segment_ptr 1
		.amdhsa_user_sgpr_dispatch_id 0
		.amdhsa_user_sgpr_flat_scratch_init 0
		.amdhsa_user_sgpr_kernarg_preload_length 0
		.amdhsa_user_sgpr_kernarg_preload_offset 0
		.amdhsa_user_sgpr_private_segment_size 0
		.amdhsa_uses_dynamic_stack 0
		.amdhsa_system_sgpr_private_segment_wavefront_offset 0
		.amdhsa_system_sgpr_workgroup_id_x 1
		.amdhsa_system_sgpr_workgroup_id_y 0
		.amdhsa_system_sgpr_workgroup_id_z 0
		.amdhsa_system_sgpr_workgroup_info 0
		.amdhsa_system_vgpr_workitem_id 0
		.amdhsa_next_free_vgpr 1
		.amdhsa_next_free_sgpr 0
		.amdhsa_accum_offset 4
		.amdhsa_reserve_vcc 0
		.amdhsa_reserve_flat_scratch 0
		.amdhsa_float_round_mode_32 0
		.amdhsa_float_round_mode_16_64 0
		.amdhsa_float_denorm_mode_32 3
		.amdhsa_float_denorm_mode_16_64 3
		.amdhsa_dx10_clamp 1
		.amdhsa_ieee_mode 1
		.amdhsa_fp16_overflow 0
		.amdhsa_tg_split 0
		.amdhsa_exception_fp_ieee_invalid_op 0
		.amdhsa_exception_fp_denorm_src 0
		.amdhsa_exception_fp_ieee_div_zero 0
		.amdhsa_exception_fp_ieee_overflow 0
		.amdhsa_exception_fp_ieee_underflow 0
		.amdhsa_exception_fp_ieee_inexact 0
		.amdhsa_exception_int_div_zero 0
	.end_amdhsa_kernel
	.section	.text._ZN7rocprim17ROCPRIM_400000_NS6detail17trampoline_kernelINS0_14default_configENS1_33run_length_encode_config_selectorIhjNS0_4plusIjEEEEZZNS1_33reduce_by_key_impl_wrapped_configILNS1_25lookback_scan_determinismE0ES3_S7_PKhNS0_17constant_iteratorIjlEEPhPlSF_S6_NS0_8equal_toIhEEEE10hipError_tPvRmT2_T3_mT4_T5_T6_T7_T8_P12ihipStream_tbENKUlT_T0_E_clISt17integral_constantIbLb1EESY_IbLb0EEEEDaSU_SV_EUlSU_E_NS1_11comp_targetILNS1_3genE5ELNS1_11target_archE942ELNS1_3gpuE9ELNS1_3repE0EEENS1_30default_config_static_selectorELNS0_4arch9wavefront6targetE1EEEvT1_,"axG",@progbits,_ZN7rocprim17ROCPRIM_400000_NS6detail17trampoline_kernelINS0_14default_configENS1_33run_length_encode_config_selectorIhjNS0_4plusIjEEEEZZNS1_33reduce_by_key_impl_wrapped_configILNS1_25lookback_scan_determinismE0ES3_S7_PKhNS0_17constant_iteratorIjlEEPhPlSF_S6_NS0_8equal_toIhEEEE10hipError_tPvRmT2_T3_mT4_T5_T6_T7_T8_P12ihipStream_tbENKUlT_T0_E_clISt17integral_constantIbLb1EESY_IbLb0EEEEDaSU_SV_EUlSU_E_NS1_11comp_targetILNS1_3genE5ELNS1_11target_archE942ELNS1_3gpuE9ELNS1_3repE0EEENS1_30default_config_static_selectorELNS0_4arch9wavefront6targetE1EEEvT1_,comdat
.Lfunc_end185:
	.size	_ZN7rocprim17ROCPRIM_400000_NS6detail17trampoline_kernelINS0_14default_configENS1_33run_length_encode_config_selectorIhjNS0_4plusIjEEEEZZNS1_33reduce_by_key_impl_wrapped_configILNS1_25lookback_scan_determinismE0ES3_S7_PKhNS0_17constant_iteratorIjlEEPhPlSF_S6_NS0_8equal_toIhEEEE10hipError_tPvRmT2_T3_mT4_T5_T6_T7_T8_P12ihipStream_tbENKUlT_T0_E_clISt17integral_constantIbLb1EESY_IbLb0EEEEDaSU_SV_EUlSU_E_NS1_11comp_targetILNS1_3genE5ELNS1_11target_archE942ELNS1_3gpuE9ELNS1_3repE0EEENS1_30default_config_static_selectorELNS0_4arch9wavefront6targetE1EEEvT1_, .Lfunc_end185-_ZN7rocprim17ROCPRIM_400000_NS6detail17trampoline_kernelINS0_14default_configENS1_33run_length_encode_config_selectorIhjNS0_4plusIjEEEEZZNS1_33reduce_by_key_impl_wrapped_configILNS1_25lookback_scan_determinismE0ES3_S7_PKhNS0_17constant_iteratorIjlEEPhPlSF_S6_NS0_8equal_toIhEEEE10hipError_tPvRmT2_T3_mT4_T5_T6_T7_T8_P12ihipStream_tbENKUlT_T0_E_clISt17integral_constantIbLb1EESY_IbLb0EEEEDaSU_SV_EUlSU_E_NS1_11comp_targetILNS1_3genE5ELNS1_11target_archE942ELNS1_3gpuE9ELNS1_3repE0EEENS1_30default_config_static_selectorELNS0_4arch9wavefront6targetE1EEEvT1_
                                        ; -- End function
	.section	.AMDGPU.csdata,"",@progbits
; Kernel info:
; codeLenInByte = 0
; NumSgprs: 4
; NumVgprs: 0
; NumAgprs: 0
; TotalNumVgprs: 0
; ScratchSize: 0
; MemoryBound: 0
; FloatMode: 240
; IeeeMode: 1
; LDSByteSize: 0 bytes/workgroup (compile time only)
; SGPRBlocks: 0
; VGPRBlocks: 0
; NumSGPRsForWavesPerEU: 4
; NumVGPRsForWavesPerEU: 1
; AccumOffset: 4
; Occupancy: 8
; WaveLimiterHint : 0
; COMPUTE_PGM_RSRC2:SCRATCH_EN: 0
; COMPUTE_PGM_RSRC2:USER_SGPR: 6
; COMPUTE_PGM_RSRC2:TRAP_HANDLER: 0
; COMPUTE_PGM_RSRC2:TGID_X_EN: 1
; COMPUTE_PGM_RSRC2:TGID_Y_EN: 0
; COMPUTE_PGM_RSRC2:TGID_Z_EN: 0
; COMPUTE_PGM_RSRC2:TIDIG_COMP_CNT: 0
; COMPUTE_PGM_RSRC3_GFX90A:ACCUM_OFFSET: 0
; COMPUTE_PGM_RSRC3_GFX90A:TG_SPLIT: 0
	.section	.text._ZN7rocprim17ROCPRIM_400000_NS6detail17trampoline_kernelINS0_14default_configENS1_33run_length_encode_config_selectorIhjNS0_4plusIjEEEEZZNS1_33reduce_by_key_impl_wrapped_configILNS1_25lookback_scan_determinismE0ES3_S7_PKhNS0_17constant_iteratorIjlEEPhPlSF_S6_NS0_8equal_toIhEEEE10hipError_tPvRmT2_T3_mT4_T5_T6_T7_T8_P12ihipStream_tbENKUlT_T0_E_clISt17integral_constantIbLb1EESY_IbLb0EEEEDaSU_SV_EUlSU_E_NS1_11comp_targetILNS1_3genE4ELNS1_11target_archE910ELNS1_3gpuE8ELNS1_3repE0EEENS1_30default_config_static_selectorELNS0_4arch9wavefront6targetE1EEEvT1_,"axG",@progbits,_ZN7rocprim17ROCPRIM_400000_NS6detail17trampoline_kernelINS0_14default_configENS1_33run_length_encode_config_selectorIhjNS0_4plusIjEEEEZZNS1_33reduce_by_key_impl_wrapped_configILNS1_25lookback_scan_determinismE0ES3_S7_PKhNS0_17constant_iteratorIjlEEPhPlSF_S6_NS0_8equal_toIhEEEE10hipError_tPvRmT2_T3_mT4_T5_T6_T7_T8_P12ihipStream_tbENKUlT_T0_E_clISt17integral_constantIbLb1EESY_IbLb0EEEEDaSU_SV_EUlSU_E_NS1_11comp_targetILNS1_3genE4ELNS1_11target_archE910ELNS1_3gpuE8ELNS1_3repE0EEENS1_30default_config_static_selectorELNS0_4arch9wavefront6targetE1EEEvT1_,comdat
	.protected	_ZN7rocprim17ROCPRIM_400000_NS6detail17trampoline_kernelINS0_14default_configENS1_33run_length_encode_config_selectorIhjNS0_4plusIjEEEEZZNS1_33reduce_by_key_impl_wrapped_configILNS1_25lookback_scan_determinismE0ES3_S7_PKhNS0_17constant_iteratorIjlEEPhPlSF_S6_NS0_8equal_toIhEEEE10hipError_tPvRmT2_T3_mT4_T5_T6_T7_T8_P12ihipStream_tbENKUlT_T0_E_clISt17integral_constantIbLb1EESY_IbLb0EEEEDaSU_SV_EUlSU_E_NS1_11comp_targetILNS1_3genE4ELNS1_11target_archE910ELNS1_3gpuE8ELNS1_3repE0EEENS1_30default_config_static_selectorELNS0_4arch9wavefront6targetE1EEEvT1_ ; -- Begin function _ZN7rocprim17ROCPRIM_400000_NS6detail17trampoline_kernelINS0_14default_configENS1_33run_length_encode_config_selectorIhjNS0_4plusIjEEEEZZNS1_33reduce_by_key_impl_wrapped_configILNS1_25lookback_scan_determinismE0ES3_S7_PKhNS0_17constant_iteratorIjlEEPhPlSF_S6_NS0_8equal_toIhEEEE10hipError_tPvRmT2_T3_mT4_T5_T6_T7_T8_P12ihipStream_tbENKUlT_T0_E_clISt17integral_constantIbLb1EESY_IbLb0EEEEDaSU_SV_EUlSU_E_NS1_11comp_targetILNS1_3genE4ELNS1_11target_archE910ELNS1_3gpuE8ELNS1_3repE0EEENS1_30default_config_static_selectorELNS0_4arch9wavefront6targetE1EEEvT1_
	.globl	_ZN7rocprim17ROCPRIM_400000_NS6detail17trampoline_kernelINS0_14default_configENS1_33run_length_encode_config_selectorIhjNS0_4plusIjEEEEZZNS1_33reduce_by_key_impl_wrapped_configILNS1_25lookback_scan_determinismE0ES3_S7_PKhNS0_17constant_iteratorIjlEEPhPlSF_S6_NS0_8equal_toIhEEEE10hipError_tPvRmT2_T3_mT4_T5_T6_T7_T8_P12ihipStream_tbENKUlT_T0_E_clISt17integral_constantIbLb1EESY_IbLb0EEEEDaSU_SV_EUlSU_E_NS1_11comp_targetILNS1_3genE4ELNS1_11target_archE910ELNS1_3gpuE8ELNS1_3repE0EEENS1_30default_config_static_selectorELNS0_4arch9wavefront6targetE1EEEvT1_
	.p2align	8
	.type	_ZN7rocprim17ROCPRIM_400000_NS6detail17trampoline_kernelINS0_14default_configENS1_33run_length_encode_config_selectorIhjNS0_4plusIjEEEEZZNS1_33reduce_by_key_impl_wrapped_configILNS1_25lookback_scan_determinismE0ES3_S7_PKhNS0_17constant_iteratorIjlEEPhPlSF_S6_NS0_8equal_toIhEEEE10hipError_tPvRmT2_T3_mT4_T5_T6_T7_T8_P12ihipStream_tbENKUlT_T0_E_clISt17integral_constantIbLb1EESY_IbLb0EEEEDaSU_SV_EUlSU_E_NS1_11comp_targetILNS1_3genE4ELNS1_11target_archE910ELNS1_3gpuE8ELNS1_3repE0EEENS1_30default_config_static_selectorELNS0_4arch9wavefront6targetE1EEEvT1_,@function
_ZN7rocprim17ROCPRIM_400000_NS6detail17trampoline_kernelINS0_14default_configENS1_33run_length_encode_config_selectorIhjNS0_4plusIjEEEEZZNS1_33reduce_by_key_impl_wrapped_configILNS1_25lookback_scan_determinismE0ES3_S7_PKhNS0_17constant_iteratorIjlEEPhPlSF_S6_NS0_8equal_toIhEEEE10hipError_tPvRmT2_T3_mT4_T5_T6_T7_T8_P12ihipStream_tbENKUlT_T0_E_clISt17integral_constantIbLb1EESY_IbLb0EEEEDaSU_SV_EUlSU_E_NS1_11comp_targetILNS1_3genE4ELNS1_11target_archE910ELNS1_3gpuE8ELNS1_3repE0EEENS1_30default_config_static_selectorELNS0_4arch9wavefront6targetE1EEEvT1_: ; @_ZN7rocprim17ROCPRIM_400000_NS6detail17trampoline_kernelINS0_14default_configENS1_33run_length_encode_config_selectorIhjNS0_4plusIjEEEEZZNS1_33reduce_by_key_impl_wrapped_configILNS1_25lookback_scan_determinismE0ES3_S7_PKhNS0_17constant_iteratorIjlEEPhPlSF_S6_NS0_8equal_toIhEEEE10hipError_tPvRmT2_T3_mT4_T5_T6_T7_T8_P12ihipStream_tbENKUlT_T0_E_clISt17integral_constantIbLb1EESY_IbLb0EEEEDaSU_SV_EUlSU_E_NS1_11comp_targetILNS1_3genE4ELNS1_11target_archE910ELNS1_3gpuE8ELNS1_3repE0EEENS1_30default_config_static_selectorELNS0_4arch9wavefront6targetE1EEEvT1_
; %bb.0:
	s_load_dwordx8 s[36:43], s[4:5], 0x40
	s_load_dwordx4 s[0:3], s[4:5], 0x0
	s_load_dword s7, s[4:5], 0x10
	s_load_dwordx4 s[44:47], s[4:5], 0x60
	s_mov_b64 s[12:13], -1
	s_waitcnt lgkmcnt(0)
	s_mul_i32 s8, s40, s39
	s_mul_hi_u32 s9, s40, s38
	s_add_i32 s8, s9, s8
	s_mul_i32 s9, s41, s38
	s_add_i32 s8, s8, s9
	s_add_u32 s0, s0, s2
	s_addc_u32 s1, s1, s3
	s_mul_i32 s2, s6, 0xf00
	s_add_u32 s0, s0, s2
	s_mul_i32 s9, s40, s38
	s_addc_u32 s1, s1, 0
	s_add_u32 s2, s9, s6
	s_addc_u32 s3, s8, 0
	s_add_u32 s8, s42, -1
	s_addc_u32 s9, s43, -1
	s_cmp_eq_u64 s[2:3], s[8:9]
	s_cselect_b64 s[34:35], -1, 0
	s_cmp_lg_u64 s[2:3], s[8:9]
	s_cselect_b64 s[10:11], -1, 0
	s_mul_i32 s33, s8, 0xfffff100
	s_and_b64 vcc, exec, s[34:35]
	v_mad_u32_u24 v2, v0, 14, v0
	s_cbranch_vccnz .LBB186_2
; %bb.1:
	global_load_ubyte v1, v0, s[0:1]
	global_load_ubyte v3, v0, s[0:1] offset:256
	global_load_ubyte v4, v0, s[0:1] offset:512
	;; [unrolled: 1-line block ×14, first 2 shown]
	s_mov_b64 s[8:9], -1
	s_waitcnt vmcnt(14)
	ds_write_b8 v0, v1
	s_waitcnt vmcnt(13)
	ds_write_b8 v0, v3 offset:256
	s_waitcnt vmcnt(12)
	ds_write_b8 v0, v4 offset:512
	;; [unrolled: 2-line block ×14, first 2 shown]
	s_waitcnt lgkmcnt(0)
	s_barrier
	ds_read_b96 v[8:10], v2
	ds_read_u8 v21, v2 offset:12
	ds_read_u8 v11, v2 offset:13
	;; [unrolled: 1-line block ×3, first 2 shown]
	s_waitcnt lgkmcnt(3)
	v_lshrrev_b32_e32 v66, 8, v8
	v_lshrrev_b32_e32 v64, 16, v8
	;; [unrolled: 1-line block ×9, first 2 shown]
	s_add_i32 s33, s33, s44
	s_cbranch_execz .LBB186_3
	s_branch .LBB186_34
.LBB186_2:
	s_mov_b64 s[8:9], 0
                                        ; implicit-def: $vgpr8
                                        ; implicit-def: $vgpr66
                                        ; implicit-def: $vgpr64
                                        ; implicit-def: $vgpr62
                                        ; implicit-def: $vgpr60
                                        ; implicit-def: $vgpr59
                                        ; implicit-def: $vgpr58
                                        ; implicit-def: $vgpr57
                                        ; implicit-def: $vgpr56
                                        ; implicit-def: $vgpr55
                                        ; implicit-def: $vgpr21
                                        ; implicit-def: $vgpr11
                                        ; implicit-def: $vgpr1
	s_add_i32 s33, s33, s44
	s_andn2_b64 vcc, exec, s[12:13]
	s_cbranch_vccnz .LBB186_34
.LBB186_3:
	v_cmp_gt_u32_e32 vcc, s33, v0
                                        ; implicit-def: $vgpr1
	s_and_saveexec_b64 s[8:9], vcc
	s_cbranch_execz .LBB186_5
; %bb.4:
	s_waitcnt lgkmcnt(0)
	global_load_ubyte v1, v0, s[0:1]
.LBB186_5:
	s_or_b64 exec, exec, s[8:9]
	v_or_b32_e32 v3, 0x100, v0
	v_cmp_gt_u32_e32 vcc, s33, v3
                                        ; implicit-def: $vgpr3
	s_and_saveexec_b64 s[8:9], vcc
	s_cbranch_execz .LBB186_7
; %bb.6:
	global_load_ubyte v3, v0, s[0:1] offset:256
.LBB186_7:
	s_or_b64 exec, exec, s[8:9]
	v_or_b32_e32 v4, 0x200, v0
	v_cmp_gt_u32_e32 vcc, s33, v4
                                        ; implicit-def: $vgpr4
	s_and_saveexec_b64 s[8:9], vcc
	s_cbranch_execz .LBB186_9
; %bb.8:
	global_load_ubyte v4, v0, s[0:1] offset:512
.LBB186_9:
	s_or_b64 exec, exec, s[8:9]
	v_or_b32_e32 v5, 0x300, v0
	v_cmp_gt_u32_e32 vcc, s33, v5
                                        ; implicit-def: $vgpr5
	s_and_saveexec_b64 s[8:9], vcc
	s_cbranch_execz .LBB186_11
; %bb.10:
	global_load_ubyte v5, v0, s[0:1] offset:768
.LBB186_11:
	s_or_b64 exec, exec, s[8:9]
	v_or_b32_e32 v6, 0x400, v0
	v_cmp_gt_u32_e32 vcc, s33, v6
                                        ; implicit-def: $vgpr6
	s_and_saveexec_b64 s[8:9], vcc
	s_cbranch_execz .LBB186_13
; %bb.12:
	global_load_ubyte v6, v0, s[0:1] offset:1024
.LBB186_13:
	s_or_b64 exec, exec, s[8:9]
	v_or_b32_e32 v7, 0x500, v0
	v_cmp_gt_u32_e32 vcc, s33, v7
                                        ; implicit-def: $vgpr7
	s_and_saveexec_b64 s[8:9], vcc
	s_cbranch_execz .LBB186_15
; %bb.14:
	global_load_ubyte v7, v0, s[0:1] offset:1280
.LBB186_15:
	s_or_b64 exec, exec, s[8:9]
	v_or_b32_e32 v8, 0x600, v0
	v_cmp_gt_u32_e32 vcc, s33, v8
                                        ; implicit-def: $vgpr8
	s_and_saveexec_b64 s[8:9], vcc
	s_cbranch_execz .LBB186_17
; %bb.16:
	global_load_ubyte v8, v0, s[0:1] offset:1536
.LBB186_17:
	s_or_b64 exec, exec, s[8:9]
	v_or_b32_e32 v9, 0x700, v0
	v_cmp_gt_u32_e32 vcc, s33, v9
                                        ; implicit-def: $vgpr9
	s_and_saveexec_b64 s[8:9], vcc
	s_cbranch_execz .LBB186_19
; %bb.18:
	global_load_ubyte v9, v0, s[0:1] offset:1792
.LBB186_19:
	s_or_b64 exec, exec, s[8:9]
	v_or_b32_e32 v10, 0x800, v0
	v_cmp_gt_u32_e32 vcc, s33, v10
                                        ; implicit-def: $vgpr10
	s_and_saveexec_b64 s[8:9], vcc
	s_cbranch_execz .LBB186_21
; %bb.20:
	global_load_ubyte v10, v0, s[0:1] offset:2048
.LBB186_21:
	s_or_b64 exec, exec, s[8:9]
	s_waitcnt lgkmcnt(1)
	v_or_b32_e32 v11, 0x900, v0
	v_cmp_gt_u32_e32 vcc, s33, v11
                                        ; implicit-def: $vgpr11
	s_and_saveexec_b64 s[8:9], vcc
	s_cbranch_execz .LBB186_23
; %bb.22:
	global_load_ubyte v11, v0, s[0:1] offset:2304
.LBB186_23:
	s_or_b64 exec, exec, s[8:9]
	v_or_b32_e32 v12, 0xa00, v0
	v_cmp_gt_u32_e32 vcc, s33, v12
                                        ; implicit-def: $vgpr12
	s_and_saveexec_b64 s[8:9], vcc
	s_cbranch_execz .LBB186_25
; %bb.24:
	global_load_ubyte v12, v0, s[0:1] offset:2560
.LBB186_25:
	s_or_b64 exec, exec, s[8:9]
	v_or_b32_e32 v13, 0xb00, v0
	v_cmp_gt_u32_e32 vcc, s33, v13
                                        ; implicit-def: $vgpr13
	s_and_saveexec_b64 s[8:9], vcc
	s_cbranch_execz .LBB186_27
; %bb.26:
	global_load_ubyte v13, v0, s[0:1] offset:2816
.LBB186_27:
	s_or_b64 exec, exec, s[8:9]
	v_or_b32_e32 v14, 0xc00, v0
	v_cmp_gt_u32_e32 vcc, s33, v14
                                        ; implicit-def: $vgpr14
	s_and_saveexec_b64 s[8:9], vcc
	s_cbranch_execz .LBB186_29
; %bb.28:
	global_load_ubyte v14, v0, s[0:1] offset:3072
.LBB186_29:
	s_or_b64 exec, exec, s[8:9]
	v_or_b32_e32 v15, 0xd00, v0
	v_cmp_gt_u32_e32 vcc, s33, v15
                                        ; implicit-def: $vgpr15
	s_and_saveexec_b64 s[8:9], vcc
	s_cbranch_execz .LBB186_31
; %bb.30:
	global_load_ubyte v15, v0, s[0:1] offset:3328
.LBB186_31:
	s_or_b64 exec, exec, s[8:9]
	v_or_b32_e32 v16, 0xe00, v0
	v_cmp_gt_u32_e32 vcc, s33, v16
                                        ; implicit-def: $vgpr16
	s_and_saveexec_b64 s[8:9], vcc
	s_cbranch_execz .LBB186_33
; %bb.32:
	global_load_ubyte v16, v0, s[0:1] offset:3584
.LBB186_33:
	s_or_b64 exec, exec, s[8:9]
	s_waitcnt vmcnt(0) lgkmcnt(0)
	ds_write_b8 v0, v1
	ds_write_b8 v0, v3 offset:256
	ds_write_b8 v0, v4 offset:512
	;; [unrolled: 1-line block ×14, first 2 shown]
	s_waitcnt lgkmcnt(0)
	s_barrier
	ds_read_b96 v[8:10], v2
	ds_read_u8 v21, v2 offset:12
	ds_read_u8 v11, v2 offset:13
	;; [unrolled: 1-line block ×3, first 2 shown]
	v_mad_u32_u24 v2, v0, 15, 14
	s_waitcnt lgkmcnt(3)
	v_lshrrev_b32_e32 v66, 8, v8
	v_lshrrev_b32_e32 v64, 16, v8
	;; [unrolled: 1-line block ×9, first 2 shown]
	v_cmp_gt_u32_e64 s[8:9], s33, v2
.LBB186_34:
	v_mov_b32_e32 v52, s7
                                        ; implicit-def: $vgpr53
	s_and_saveexec_b64 s[12:13], s[8:9]
; %bb.35:
	v_mov_b32_e32 v53, s7
; %bb.36:
	s_or_b64 exec, exec, s[12:13]
	s_load_dwordx2 s[50:51], s[4:5], 0x70
	s_cmp_eq_u64 s[2:3], 0
	s_cselect_b64 s[48:49], -1, 0
	s_cmp_lg_u64 s[2:3], 0
	s_mov_b64 s[8:9], 0
	s_cselect_b64 s[12:13], -1, 0
	s_and_b64 vcc, exec, s[10:11]
	s_waitcnt lgkmcnt(0)
	s_barrier
	s_cbranch_vccz .LBB186_42
; %bb.37:
	s_and_b64 vcc, exec, s[12:13]
	s_cbranch_vccz .LBB186_43
; %bb.38:
	v_mov_b32_e32 v2, 0
	global_load_ubyte v2, v2, s[0:1] offset:-1
	v_cmp_ne_u16_sdwa s[8:9], v11, v1 src0_sel:BYTE_0 src1_sel:BYTE_0
	v_cmp_ne_u16_sdwa s[10:11], v21, v11 src0_sel:BYTE_0 src1_sel:BYTE_0
	;; [unrolled: 1-line block ×14, first 2 shown]
	v_cmp_ne_u32_e32 vcc, 0, v0
	ds_write_b8 v0, v1
	s_waitcnt lgkmcnt(0)
	s_barrier
	s_and_saveexec_b64 s[54:55], vcc
	s_cbranch_execz .LBB186_40
; %bb.39:
	s_waitcnt vmcnt(0)
	v_add_u32_e32 v2, -1, v0
	ds_read_u8 v2, v2
.LBB186_40:
	s_or_b64 exec, exec, s[54:55]
	s_waitcnt vmcnt(0) lgkmcnt(0)
	v_and_b32_e32 v2, 0xff, v2
	v_cndmask_b32_e64 v61, 0, 1, s[8:9]
	v_cndmask_b32_e64 v63, 0, 1, s[10:11]
	v_cndmask_b32_e64 v65, 0, 1, s[14:15]
	v_cndmask_b32_e64 v67, 0, 1, s[16:17]
	v_cndmask_b32_e64 v68, 0, 1, s[18:19]
	v_cndmask_b32_e64 v69, 0, 1, s[20:21]
	v_cndmask_b32_e64 v70, 0, 1, s[22:23]
	v_cndmask_b32_e64 v71, 0, 1, s[24:25]
	v_cndmask_b32_e64 v72, 0, 1, s[26:27]
	v_cndmask_b32_e64 v73, 0, 1, s[28:29]
	v_cndmask_b32_e64 v74, 0, 1, s[30:31]
	v_cndmask_b32_e64 v75, 0, 1, s[40:41]
	v_cndmask_b32_e64 v76, 0, 1, s[42:43]
	v_cndmask_b32_e64 v77, 0, 1, s[52:53]
	v_cmp_ne_u16_sdwa s[10:11], v2, v8 src0_sel:DWORD src1_sel:BYTE_0
	s_mov_b64 s[8:9], -1
.LBB186_41:
                                        ; implicit-def: $sgpr7
	s_branch .LBB186_55
.LBB186_42:
                                        ; implicit-def: $sgpr10_sgpr11
                                        ; implicit-def: $vgpr61
                                        ; implicit-def: $vgpr63
                                        ; implicit-def: $vgpr65
                                        ; implicit-def: $vgpr67
                                        ; implicit-def: $vgpr68
                                        ; implicit-def: $vgpr69
                                        ; implicit-def: $vgpr70
                                        ; implicit-def: $vgpr71
                                        ; implicit-def: $vgpr72
                                        ; implicit-def: $vgpr73
                                        ; implicit-def: $vgpr74
                                        ; implicit-def: $vgpr75
                                        ; implicit-def: $vgpr76
                                        ; implicit-def: $vgpr77
                                        ; implicit-def: $sgpr7
	s_cbranch_execnz .LBB186_47
	s_branch .LBB186_55
.LBB186_43:
                                        ; implicit-def: $sgpr10_sgpr11
                                        ; implicit-def: $vgpr61
                                        ; implicit-def: $vgpr63
                                        ; implicit-def: $vgpr65
                                        ; implicit-def: $vgpr67
                                        ; implicit-def: $vgpr68
                                        ; implicit-def: $vgpr69
                                        ; implicit-def: $vgpr70
                                        ; implicit-def: $vgpr71
                                        ; implicit-def: $vgpr72
                                        ; implicit-def: $vgpr73
                                        ; implicit-def: $vgpr74
                                        ; implicit-def: $vgpr75
                                        ; implicit-def: $vgpr76
                                        ; implicit-def: $vgpr77
	s_cbranch_execz .LBB186_41
; %bb.44:
	v_cmp_ne_u16_sdwa s[10:11], v11, v1 src0_sel:BYTE_0 src1_sel:BYTE_0
	v_cndmask_b32_e64 v61, 0, 1, s[10:11]
	v_cmp_ne_u16_sdwa s[10:11], v21, v11 src0_sel:BYTE_0 src1_sel:BYTE_0
	v_cndmask_b32_e64 v63, 0, 1, s[10:11]
	;; [unrolled: 2-line block ×14, first 2 shown]
	v_cmp_ne_u32_e32 vcc, 0, v0
	ds_write_b8 v0, v1
	s_waitcnt lgkmcnt(0)
	s_barrier
	s_waitcnt lgkmcnt(0)
                                        ; implicit-def: $sgpr10_sgpr11
	s_and_saveexec_b64 s[14:15], vcc
	s_xor_b64 s[14:15], exec, s[14:15]
	s_cbranch_execz .LBB186_46
; %bb.45:
	v_add_u32_e32 v2, -1, v0
	ds_read_u8 v2, v2
	s_or_b64 s[8:9], s[8:9], exec
	s_waitcnt lgkmcnt(0)
	v_cmp_ne_u16_sdwa s[10:11], v2, v8 src0_sel:DWORD src1_sel:BYTE_0
	s_and_b64 s[10:11], s[10:11], exec
.LBB186_46:
	s_or_b64 exec, exec, s[14:15]
	s_mov_b32 s7, 1
	s_branch .LBB186_55
.LBB186_47:
	s_mul_hi_u32 s7, s2, 0xfffff100
	s_mulk_i32 s3, 0xf100
	s_sub_i32 s7, s7, s2
	s_add_i32 s7, s7, s3
	s_mulk_i32 s2, 0xf100
	s_add_u32 s2, s2, s44
	s_addc_u32 s3, s7, s45
	s_and_b64 vcc, exec, s[12:13]
	s_cbranch_vccz .LBB186_52
; %bb.48:
	v_mov_b32_e32 v3, 0
	global_load_ubyte v6, v3, s[0:1] offset:-1
	v_mad_u32_u24 v2, v0, 15, 14
	v_cmp_gt_u64_e32 vcc, s[2:3], v[2:3]
	v_cmp_ne_u16_sdwa s[0:1], v11, v1 src0_sel:BYTE_0 src1_sel:BYTE_0
	v_mad_u32_u24 v2, v0, 15, 13
	s_and_b64 s[0:1], vcc, s[0:1]
	v_cmp_gt_u64_e32 vcc, s[2:3], v[2:3]
	v_cmp_ne_u16_sdwa s[8:9], v21, v11 src0_sel:BYTE_0 src1_sel:BYTE_0
	v_mad_u32_u24 v2, v0, 15, 12
	s_and_b64 s[8:9], vcc, s[8:9]
	;; [unrolled: 4-line block ×13, first 2 shown]
	v_cmp_gt_u64_e32 vcc, s[2:3], v[2:3]
	v_cmp_ne_u16_sdwa s[40:41], v8, v66 src0_sel:BYTE_0 src1_sel:BYTE_0
	v_mul_u32_u24_e32 v4, 15, v0
	s_and_b64 s[40:41], vcc, s[40:41]
	v_cmp_ne_u32_e32 vcc, 0, v0
	ds_write_b8 v0, v1
	s_waitcnt lgkmcnt(0)
	s_barrier
	s_and_saveexec_b64 s[42:43], vcc
	s_cbranch_execz .LBB186_50
; %bb.49:
	v_add_u32_e32 v2, -1, v0
	s_waitcnt vmcnt(0)
	ds_read_u8 v6, v2
.LBB186_50:
	s_or_b64 exec, exec, s[42:43]
	v_mov_b32_e32 v5, v3
	s_waitcnt vmcnt(0) lgkmcnt(0)
	v_and_b32_e32 v2, 0xff, v6
	v_cndmask_b32_e64 v61, 0, 1, s[0:1]
	v_cmp_gt_u64_e32 vcc, s[2:3], v[4:5]
	v_cmp_ne_u16_sdwa s[0:1], v2, v8 src0_sel:DWORD src1_sel:BYTE_0
	v_cndmask_b32_e64 v63, 0, 1, s[8:9]
	v_cndmask_b32_e64 v65, 0, 1, s[10:11]
	;; [unrolled: 1-line block ×13, first 2 shown]
	s_and_b64 s[10:11], vcc, s[0:1]
	s_mov_b64 s[8:9], -1
.LBB186_51:
                                        ; implicit-def: $sgpr7
	v_mov_b32_e32 v78, s7
	s_and_saveexec_b64 s[0:1], s[8:9]
	s_cbranch_execnz .LBB186_56
	s_branch .LBB186_57
.LBB186_52:
                                        ; implicit-def: $sgpr10_sgpr11
                                        ; implicit-def: $vgpr61
                                        ; implicit-def: $vgpr63
                                        ; implicit-def: $vgpr65
                                        ; implicit-def: $vgpr67
                                        ; implicit-def: $vgpr68
                                        ; implicit-def: $vgpr69
                                        ; implicit-def: $vgpr70
                                        ; implicit-def: $vgpr71
                                        ; implicit-def: $vgpr72
                                        ; implicit-def: $vgpr73
                                        ; implicit-def: $vgpr74
                                        ; implicit-def: $vgpr75
                                        ; implicit-def: $vgpr76
                                        ; implicit-def: $vgpr77
	s_cbranch_execz .LBB186_51
; %bb.53:
	v_mad_u32_u24 v2, v0, 15, 14
	v_mov_b32_e32 v3, 0
	v_cmp_gt_u64_e32 vcc, s[2:3], v[2:3]
	v_cmp_ne_u16_sdwa s[0:1], v11, v1 src0_sel:BYTE_0 src1_sel:BYTE_0
	s_and_b64 s[0:1], vcc, s[0:1]
	v_mad_u32_u24 v2, v0, 15, 13
	v_cndmask_b32_e64 v61, 0, 1, s[0:1]
	v_cmp_gt_u64_e32 vcc, s[2:3], v[2:3]
	v_cmp_ne_u16_sdwa s[0:1], v21, v11 src0_sel:BYTE_0 src1_sel:BYTE_0
	s_and_b64 s[0:1], vcc, s[0:1]
	v_mad_u32_u24 v2, v0, 15, 12
	v_cndmask_b32_e64 v63, 0, 1, s[0:1]
	;; [unrolled: 5-line block ×13, first 2 shown]
	v_cmp_gt_u64_e32 vcc, s[2:3], v[2:3]
	v_cmp_ne_u16_sdwa s[0:1], v8, v66 src0_sel:BYTE_0 src1_sel:BYTE_0
	s_and_b64 s[0:1], vcc, s[0:1]
	s_mov_b32 s7, 1
	v_cndmask_b32_e64 v77, 0, 1, s[0:1]
	v_cmp_ne_u32_e32 vcc, 0, v0
	ds_write_b8 v0, v1
	s_waitcnt lgkmcnt(0)
	s_barrier
	s_waitcnt lgkmcnt(0)
                                        ; implicit-def: $sgpr10_sgpr11
	s_and_saveexec_b64 s[0:1], vcc
	s_cbranch_execz .LBB186_151
; %bb.54:
	v_add_u32_e32 v2, -1, v0
	ds_read_u8 v4, v2
	v_mul_u32_u24_e32 v2, 15, v0
	v_cmp_gt_u64_e32 vcc, s[2:3], v[2:3]
	s_or_b64 s[8:9], s[8:9], exec
	s_waitcnt lgkmcnt(0)
	v_and_b32_e32 v2, 0xff, v4
	v_cmp_ne_u16_sdwa s[2:3], v2, v8 src0_sel:DWORD src1_sel:BYTE_0
	s_and_b64 s[2:3], vcc, s[2:3]
	s_and_b64 s[10:11], s[2:3], exec
	s_or_b64 exec, exec, s[0:1]
.LBB186_55:
	v_mov_b32_e32 v78, s7
	s_and_saveexec_b64 s[0:1], s[8:9]
.LBB186_56:
	v_cndmask_b32_e64 v78, 0, 1, s[10:11]
.LBB186_57:
	s_or_b64 exec, exec, s[0:1]
	s_load_dwordx4 s[40:43], s[4:5], 0x20
	s_load_dwordx2 s[44:45], s[4:5], 0x30
	s_cmp_eq_u64 s[38:39], 0
	v_add3_u32 v2, v77, v78, v76
	s_cselect_b64 s[38:39], -1, 0
	s_cmp_lg_u32 s6, 0
	v_cmp_eq_u32_e64 s[24:25], 0, v77
	v_cmp_eq_u32_e64 s[22:23], 0, v76
	;; [unrolled: 1-line block ×3, first 2 shown]
	v_add3_u32 v81, v2, v75, v74
	v_cmp_eq_u32_e64 s[18:19], 0, v74
	v_cmp_eq_u32_e64 s[16:17], 0, v73
	;; [unrolled: 1-line block ×10, first 2 shown]
	v_cmp_eq_u32_e32 vcc, 0, v61
	v_mbcnt_lo_u32_b32 v80, -1, 0
	v_lshrrev_b32_e32 v54, 6, v0
	v_or_b32_e32 v79, 63, v0
	s_cbranch_scc0 .LBB186_88
; %bb.58:
	v_cndmask_b32_e64 v2, 0, v52, s[24:25]
	v_add_u32_e32 v2, v2, v52
	v_cndmask_b32_e64 v2, 0, v2, s[22:23]
	v_add_u32_e32 v2, v2, v52
	;; [unrolled: 2-line block ×11, first 2 shown]
	v_cndmask_b32_e64 v2, 0, v2, s[2:3]
	v_add3_u32 v3, v81, v73, v72
	v_add_u32_e32 v2, v2, v52
	v_add3_u32 v3, v3, v71, v70
	v_cndmask_b32_e64 v2, 0, v2, s[0:1]
	v_add3_u32 v3, v3, v69, v68
	v_add_u32_e32 v2, v2, v52
	v_add3_u32 v3, v3, v67, v65
	v_cndmask_b32_e32 v2, 0, v2, vcc
	v_add3_u32 v3, v3, v63, v61
	v_add_u32_e32 v2, v2, v53
	v_mbcnt_hi_u32_b32 v15, -1, v80
	v_and_b32_e32 v4, 15, v15
	v_mov_b32_dpp v6, v2 row_shr:1 row_mask:0xf bank_mask:0xf
	v_cmp_eq_u32_e32 vcc, 0, v3
	v_mov_b32_dpp v5, v3 row_shr:1 row_mask:0xf bank_mask:0xf
	v_cndmask_b32_e32 v6, 0, v6, vcc
	v_cmp_eq_u32_e32 vcc, 0, v4
	v_cndmask_b32_e64 v5, v5, 0, vcc
	v_add_u32_e32 v3, v5, v3
	v_cndmask_b32_e64 v5, v6, 0, vcc
	v_add_u32_e32 v2, v5, v2
	v_cmp_eq_u32_e32 vcc, 0, v3
	v_mov_b32_dpp v5, v3 row_shr:2 row_mask:0xf bank_mask:0xf
	v_cmp_lt_u32_e64 s[26:27], 1, v4
	v_mov_b32_dpp v6, v2 row_shr:2 row_mask:0xf bank_mask:0xf
	v_cndmask_b32_e64 v5, 0, v5, s[26:27]
	s_and_b64 vcc, s[26:27], vcc
	v_cndmask_b32_e32 v6, 0, v6, vcc
	v_add_u32_e32 v3, v3, v5
	v_add_u32_e32 v2, v6, v2
	v_cmp_eq_u32_e32 vcc, 0, v3
	v_mov_b32_dpp v5, v3 row_shr:4 row_mask:0xf bank_mask:0xf
	v_cmp_lt_u32_e64 s[26:27], 3, v4
	v_mov_b32_dpp v6, v2 row_shr:4 row_mask:0xf bank_mask:0xf
	v_cndmask_b32_e64 v5, 0, v5, s[26:27]
	s_and_b64 vcc, s[26:27], vcc
	v_cndmask_b32_e32 v6, 0, v6, vcc
	v_add_u32_e32 v3, v5, v3
	v_add_u32_e32 v2, v2, v6
	v_cmp_eq_u32_e32 vcc, 0, v3
	v_cmp_lt_u32_e64 s[26:27], 7, v4
	v_mov_b32_dpp v5, v3 row_shr:8 row_mask:0xf bank_mask:0xf
	v_mov_b32_dpp v6, v2 row_shr:8 row_mask:0xf bank_mask:0xf
	s_and_b64 vcc, s[26:27], vcc
	v_cndmask_b32_e64 v4, 0, v5, s[26:27]
	v_cndmask_b32_e32 v5, 0, v6, vcc
	v_add_u32_e32 v2, v5, v2
	v_add_u32_e32 v3, v4, v3
	v_bfe_i32 v6, v15, 4, 1
	v_mov_b32_dpp v5, v2 row_bcast:15 row_mask:0xf bank_mask:0xf
	v_mov_b32_dpp v4, v3 row_bcast:15 row_mask:0xf bank_mask:0xf
	v_cmp_eq_u32_e32 vcc, 0, v3
	v_cndmask_b32_e32 v5, 0, v5, vcc
	v_and_b32_e32 v4, v6, v4
	v_add_u32_e32 v3, v4, v3
	v_and_b32_e32 v4, v6, v5
	v_add_u32_e32 v4, v4, v2
	v_mov_b32_dpp v2, v3 row_bcast:31 row_mask:0xf bank_mask:0xf
	v_cmp_eq_u32_e32 vcc, 0, v3
	v_cmp_lt_u32_e64 s[26:27], 31, v15
	v_mov_b32_dpp v5, v4 row_bcast:31 row_mask:0xf bank_mask:0xf
	v_cndmask_b32_e64 v2, 0, v2, s[26:27]
	s_and_b64 vcc, s[26:27], vcc
	v_add_u32_e32 v2, v2, v3
	v_cndmask_b32_e32 v3, 0, v5, vcc
	v_add_u32_e32 v3, v3, v4
	v_cmp_eq_u32_e32 vcc, v79, v0
	v_lshlrev_b32_e32 v4, 3, v54
	s_and_saveexec_b64 s[26:27], vcc
	s_cbranch_execz .LBB186_60
; %bb.59:
	ds_write_b64 v4, v[2:3] offset:528
.LBB186_60:
	s_or_b64 exec, exec, s[26:27]
	v_cmp_gt_u32_e32 vcc, 4, v0
	s_waitcnt lgkmcnt(0)
	s_barrier
	s_and_saveexec_b64 s[30:31], vcc
	s_cbranch_execz .LBB186_62
; %bb.61:
	v_lshlrev_b32_e32 v5, 3, v0
	ds_read_b64 v[6:7], v5 offset:528
	v_and_b32_e32 v12, 3, v15
	v_cmp_lt_u32_e64 s[26:27], 1, v12
	s_waitcnt lgkmcnt(0)
	v_mov_b32_dpp v14, v7 row_shr:1 row_mask:0xf bank_mask:0xf
	v_cmp_eq_u32_e32 vcc, 0, v6
	v_mov_b32_dpp v13, v6 row_shr:1 row_mask:0xf bank_mask:0xf
	v_cndmask_b32_e32 v14, 0, v14, vcc
	v_cmp_eq_u32_e32 vcc, 0, v12
	v_cndmask_b32_e64 v13, v13, 0, vcc
	v_add_u32_e32 v6, v13, v6
	v_cndmask_b32_e64 v13, v14, 0, vcc
	v_add_u32_e32 v7, v13, v7
	v_cmp_eq_u32_e32 vcc, 0, v6
	v_mov_b32_dpp v13, v6 row_shr:2 row_mask:0xf bank_mask:0xf
	v_mov_b32_dpp v14, v7 row_shr:2 row_mask:0xf bank_mask:0xf
	v_cndmask_b32_e64 v12, 0, v13, s[26:27]
	s_and_b64 vcc, s[26:27], vcc
	v_add_u32_e32 v6, v12, v6
	v_cndmask_b32_e32 v12, 0, v14, vcc
	v_add_u32_e32 v7, v12, v7
	ds_write_b64 v5, v[6:7] offset:528
.LBB186_62:
	s_or_b64 exec, exec, s[30:31]
	v_cmp_gt_u32_e32 vcc, 64, v0
	v_cmp_lt_u32_e64 s[26:27], 63, v0
	v_mov_b32_e32 v12, 0
	v_mov_b32_e32 v13, 0
	s_waitcnt lgkmcnt(0)
	s_barrier
	s_and_saveexec_b64 s[30:31], s[26:27]
	s_cbranch_execz .LBB186_64
; %bb.63:
	ds_read_b64 v[12:13], v4 offset:520
	v_cmp_eq_u32_e64 s[26:27], 0, v2
	s_waitcnt lgkmcnt(0)
	v_add_u32_e32 v4, v12, v2
	v_cndmask_b32_e64 v2, 0, v13, s[26:27]
	v_add_u32_e32 v3, v2, v3
	v_mov_b32_e32 v2, v4
.LBB186_64:
	s_or_b64 exec, exec, s[30:31]
	v_add_u32_e32 v4, -1, v15
	v_and_b32_e32 v5, 64, v15
	v_cmp_lt_i32_e64 s[26:27], v4, v5
	v_cndmask_b32_e64 v4, v4, v15, s[26:27]
	v_lshlrev_b32_e32 v4, 2, v4
	ds_bpermute_b32 v20, v4, v2
	ds_bpermute_b32 v22, v4, v3
	v_cmp_eq_u32_e64 s[26:27], 0, v15
	s_and_saveexec_b64 s[52:53], vcc
	s_cbranch_execz .LBB186_87
; %bb.65:
	v_mov_b32_e32 v7, 0
	ds_read_b64 v[2:3], v7 offset:552
	s_waitcnt lgkmcnt(0)
	v_readfirstlane_b32 s7, v2
	v_readfirstlane_b32 s56, v3
	s_and_saveexec_b64 s[30:31], s[26:27]
	s_cbranch_execz .LBB186_67
; %bb.66:
	s_add_i32 s54, s6, 64
	s_mov_b32 s55, 0
	s_lshl_b64 s[58:59], s[54:55], 4
	s_add_u32 s58, s36, s58
	s_addc_u32 s59, s37, s59
	s_and_b32 s61, s56, 0xff000000
	s_mov_b32 s60, s55
	s_and_b32 s63, s56, 0xff0000
	s_mov_b32 s62, s55
	s_or_b64 s[60:61], s[62:63], s[60:61]
	s_and_b32 s63, s56, 0xff00
	s_or_b64 s[60:61], s[60:61], s[62:63]
	s_and_b32 s63, s56, 0xff
	s_or_b64 s[54:55], s[60:61], s[62:63]
	v_mov_b32_e32 v4, s7
	v_mov_b32_e32 v5, s55
	;; [unrolled: 1-line block ×3, first 2 shown]
	v_pk_mov_b32 v[2:3], s[58:59], s[58:59] op_sel:[0,1]
	;;#ASMSTART
	global_store_dwordx4 v[2:3], v[4:7] off	
s_waitcnt vmcnt(0)
	;;#ASMEND
.LBB186_67:
	s_or_b64 exec, exec, s[30:31]
	v_xad_u32 v14, v15, -1, s6
	v_add_u32_e32 v6, 64, v14
	v_lshlrev_b64 v[2:3], 4, v[6:7]
	v_mov_b32_e32 v4, s37
	v_add_co_u32_e32 v16, vcc, s36, v2
	v_addc_co_u32_e32 v17, vcc, v4, v3, vcc
	;;#ASMSTART
	global_load_dwordx4 v[2:5], v[16:17] off glc	
s_waitcnt vmcnt(0)
	;;#ASMEND
	v_and_b32_e32 v5, 0xff, v3
	v_and_b32_e32 v6, 0xff00, v3
	v_or3_b32 v5, 0, v5, v6
	v_or3_b32 v2, v2, 0, 0
	v_and_b32_e32 v6, 0xff000000, v3
	v_and_b32_e32 v3, 0xff0000, v3
	v_or3_b32 v3, v5, v3, v6
	v_or3_b32 v2, v2, 0, 0
	v_cmp_eq_u16_sdwa s[54:55], v4, v7 src0_sel:BYTE_0 src1_sel:DWORD
	s_and_saveexec_b64 s[30:31], s[54:55]
	s_cbranch_execz .LBB186_73
; %bb.68:
	s_mov_b32 s57, 1
	s_mov_b64 s[54:55], 0
	v_mov_b32_e32 v6, 0
.LBB186_69:                             ; =>This Loop Header: Depth=1
                                        ;     Child Loop BB186_70 Depth 2
	s_max_u32 s58, s57, 1
.LBB186_70:                             ;   Parent Loop BB186_69 Depth=1
                                        ; =>  This Inner Loop Header: Depth=2
	s_add_i32 s58, s58, -1
	s_cmp_eq_u32 s58, 0
	s_sleep 1
	s_cbranch_scc0 .LBB186_70
; %bb.71:                               ;   in Loop: Header=BB186_69 Depth=1
	s_cmp_lt_u32 s57, 32
	s_cselect_b64 s[58:59], -1, 0
	s_cmp_lg_u64 s[58:59], 0
	s_addc_u32 s57, s57, 0
	;;#ASMSTART
	global_load_dwordx4 v[2:5], v[16:17] off glc	
s_waitcnt vmcnt(0)
	;;#ASMEND
	v_cmp_ne_u16_sdwa s[58:59], v4, v6 src0_sel:BYTE_0 src1_sel:DWORD
	s_or_b64 s[54:55], s[58:59], s[54:55]
	s_andn2_b64 exec, exec, s[54:55]
	s_cbranch_execnz .LBB186_69
; %bb.72:
	s_or_b64 exec, exec, s[54:55]
.LBB186_73:
	s_or_b64 exec, exec, s[30:31]
	v_mov_b32_e32 v23, 2
	v_cmp_eq_u16_sdwa s[30:31], v4, v23 src0_sel:BYTE_0 src1_sel:DWORD
	v_lshlrev_b64 v[16:17], v15, -1
	v_and_b32_e32 v5, s31, v17
	v_and_b32_e32 v24, 63, v15
	v_or_b32_e32 v5, 0x80000000, v5
	v_cmp_ne_u32_e32 vcc, 63, v24
	v_and_b32_e32 v6, s30, v16
	v_ffbl_b32_e32 v5, v5
	v_addc_co_u32_e32 v7, vcc, 0, v15, vcc
	v_add_u32_e32 v5, 32, v5
	v_ffbl_b32_e32 v6, v6
	v_lshlrev_b32_e32 v25, 2, v7
	v_min_u32_e32 v5, v6, v5
	ds_bpermute_b32 v6, v25, v3
	v_cmp_eq_u32_e32 vcc, 0, v2
	v_cmp_lt_u32_e64 s[30:31], v24, v5
	ds_bpermute_b32 v7, v25, v2
	s_and_b64 vcc, s[30:31], vcc
	s_waitcnt lgkmcnt(1)
	v_cndmask_b32_e32 v6, 0, v6, vcc
	v_cmp_gt_u32_e32 vcc, 62, v24
	v_add_u32_e32 v3, v6, v3
	v_cndmask_b32_e64 v6, 0, 1, vcc
	v_lshlrev_b32_e32 v6, 1, v6
	v_add_lshl_u32 v26, v6, v15, 2
	s_waitcnt lgkmcnt(0)
	v_cndmask_b32_e64 v7, 0, v7, s[30:31]
	ds_bpermute_b32 v6, v26, v3
	v_add_u32_e32 v2, v7, v2
	ds_bpermute_b32 v7, v26, v2
	v_add_u32_e32 v27, 2, v24
	v_cmp_eq_u32_e32 vcc, 0, v2
	s_waitcnt lgkmcnt(1)
	v_cndmask_b32_e32 v6, 0, v6, vcc
	v_cmp_gt_u32_e32 vcc, v27, v5
	v_cndmask_b32_e64 v6, v6, 0, vcc
	v_add_u32_e32 v3, v6, v3
	s_waitcnt lgkmcnt(0)
	v_cndmask_b32_e64 v6, v7, 0, vcc
	v_cmp_gt_u32_e32 vcc, 60, v24
	v_cndmask_b32_e64 v7, 0, 1, vcc
	v_lshlrev_b32_e32 v7, 2, v7
	v_add_lshl_u32 v28, v7, v15, 2
	ds_bpermute_b32 v7, v28, v3
	v_add_u32_e32 v2, v2, v6
	ds_bpermute_b32 v6, v28, v2
	v_add_u32_e32 v29, 4, v24
	v_cmp_eq_u32_e32 vcc, 0, v2
	s_waitcnt lgkmcnt(1)
	v_cndmask_b32_e32 v7, 0, v7, vcc
	v_cmp_gt_u32_e32 vcc, v29, v5
	v_cndmask_b32_e64 v7, v7, 0, vcc
	s_waitcnt lgkmcnt(0)
	v_cndmask_b32_e64 v6, v6, 0, vcc
	v_cmp_gt_u32_e32 vcc, 56, v24
	v_add_u32_e32 v3, v3, v7
	v_cndmask_b32_e64 v7, 0, 1, vcc
	v_lshlrev_b32_e32 v7, 3, v7
	v_add_lshl_u32 v30, v7, v15, 2
	ds_bpermute_b32 v7, v30, v3
	v_add_u32_e32 v2, v2, v6
	ds_bpermute_b32 v6, v30, v2
	v_add_u32_e32 v31, 8, v24
	v_cmp_eq_u32_e32 vcc, 0, v2
	s_waitcnt lgkmcnt(1)
	v_cndmask_b32_e32 v7, 0, v7, vcc
	v_cmp_gt_u32_e32 vcc, v31, v5
	v_cndmask_b32_e64 v7, v7, 0, vcc
	s_waitcnt lgkmcnt(0)
	v_cndmask_b32_e64 v6, v6, 0, vcc
	v_cmp_gt_u32_e32 vcc, 48, v24
	v_add_u32_e32 v3, v3, v7
	;; [unrolled: 16-line block ×3, first 2 shown]
	v_cndmask_b32_e64 v7, 0, 1, vcc
	v_lshlrev_b32_e32 v7, 5, v7
	v_add_lshl_u32 v34, v7, v15, 2
	ds_bpermute_b32 v7, v34, v3
	v_add_u32_e32 v2, v2, v6
	ds_bpermute_b32 v6, v34, v2
	v_add_u32_e32 v35, 32, v24
	v_cmp_eq_u32_e32 vcc, 0, v2
	s_waitcnt lgkmcnt(1)
	v_cndmask_b32_e32 v7, 0, v7, vcc
	v_cmp_gt_u32_e32 vcc, v35, v5
	v_cndmask_b32_e64 v5, v7, 0, vcc
	v_add_u32_e32 v3, v5, v3
	s_waitcnt lgkmcnt(0)
	v_cndmask_b32_e64 v5, v6, 0, vcc
	v_add_u32_e32 v2, v5, v2
	v_mov_b32_e32 v15, 0
	s_branch .LBB186_75
.LBB186_74:                             ;   in Loop: Header=BB186_75 Depth=1
	s_or_b64 exec, exec, s[30:31]
	v_cmp_eq_u16_sdwa s[30:31], v4, v23 src0_sel:BYTE_0 src1_sel:DWORD
	v_and_b32_e32 v5, s31, v17
	v_or_b32_e32 v5, 0x80000000, v5
	v_and_b32_e32 v18, s30, v16
	v_ffbl_b32_e32 v5, v5
	v_add_u32_e32 v5, 32, v5
	v_ffbl_b32_e32 v18, v18
	v_min_u32_e32 v5, v18, v5
	ds_bpermute_b32 v18, v25, v3
	v_cmp_eq_u32_e32 vcc, 0, v2
	v_cmp_lt_u32_e64 s[30:31], v24, v5
	ds_bpermute_b32 v19, v25, v2
	s_and_b64 vcc, s[30:31], vcc
	s_waitcnt lgkmcnt(1)
	v_cndmask_b32_e32 v18, 0, v18, vcc
	v_add_u32_e32 v3, v18, v3
	ds_bpermute_b32 v18, v26, v3
	s_waitcnt lgkmcnt(1)
	v_cndmask_b32_e64 v19, 0, v19, s[30:31]
	v_add_u32_e32 v2, v19, v2
	v_cmp_eq_u32_e32 vcc, 0, v2
	ds_bpermute_b32 v19, v26, v2
	s_waitcnt lgkmcnt(1)
	v_cndmask_b32_e32 v18, 0, v18, vcc
	v_cmp_gt_u32_e32 vcc, v27, v5
	v_cndmask_b32_e64 v18, v18, 0, vcc
	v_add_u32_e32 v3, v18, v3
	ds_bpermute_b32 v18, v28, v3
	s_waitcnt lgkmcnt(1)
	v_cndmask_b32_e64 v19, v19, 0, vcc
	v_add_u32_e32 v2, v2, v19
	v_cmp_eq_u32_e32 vcc, 0, v2
	ds_bpermute_b32 v19, v28, v2
	s_waitcnt lgkmcnt(1)
	v_cndmask_b32_e32 v18, 0, v18, vcc
	v_cmp_gt_u32_e32 vcc, v29, v5
	v_cndmask_b32_e64 v18, v18, 0, vcc
	v_add_u32_e32 v3, v3, v18
	ds_bpermute_b32 v18, v30, v3
	s_waitcnt lgkmcnt(1)
	v_cndmask_b32_e64 v19, v19, 0, vcc
	v_add_u32_e32 v2, v2, v19
	ds_bpermute_b32 v19, v30, v2
	v_cmp_eq_u32_e32 vcc, 0, v2
	s_waitcnt lgkmcnt(1)
	v_cndmask_b32_e32 v18, 0, v18, vcc
	v_cmp_gt_u32_e32 vcc, v31, v5
	v_cndmask_b32_e64 v18, v18, 0, vcc
	v_add_u32_e32 v3, v3, v18
	ds_bpermute_b32 v18, v32, v3
	s_waitcnt lgkmcnt(1)
	v_cndmask_b32_e64 v19, v19, 0, vcc
	v_add_u32_e32 v2, v2, v19
	ds_bpermute_b32 v19, v32, v2
	v_cmp_eq_u32_e32 vcc, 0, v2
	;; [unrolled: 11-line block ×3, first 2 shown]
	s_waitcnt lgkmcnt(1)
	v_cndmask_b32_e32 v18, 0, v18, vcc
	v_cmp_gt_u32_e32 vcc, v35, v5
	v_cndmask_b32_e64 v5, v18, 0, vcc
	v_add_u32_e32 v3, v5, v3
	s_waitcnt lgkmcnt(0)
	v_cndmask_b32_e64 v5, v19, 0, vcc
	v_cmp_eq_u32_e32 vcc, 0, v6
	v_cndmask_b32_e32 v3, 0, v3, vcc
	v_subrev_u32_e32 v14, 64, v14
	v_add3_u32 v2, v2, v6, v5
	v_add_u32_e32 v3, v3, v7
.LBB186_75:                             ; =>This Loop Header: Depth=1
                                        ;     Child Loop BB186_78 Depth 2
                                        ;       Child Loop BB186_79 Depth 3
	v_cmp_ne_u16_sdwa s[30:31], v4, v23 src0_sel:BYTE_0 src1_sel:DWORD
	v_mov_b32_e32 v7, v3
	v_cndmask_b32_e64 v3, 0, 1, s[30:31]
	;;#ASMSTART
	;;#ASMEND
	v_cmp_ne_u32_e32 vcc, 0, v3
	s_cmp_lg_u64 vcc, exec
	v_mov_b32_e32 v6, v2
	s_cbranch_scc1 .LBB186_82
; %bb.76:                               ;   in Loop: Header=BB186_75 Depth=1
	v_lshlrev_b64 v[2:3], 4, v[14:15]
	v_mov_b32_e32 v4, s37
	v_add_co_u32_e32 v18, vcc, s36, v2
	v_addc_co_u32_e32 v19, vcc, v4, v3, vcc
	;;#ASMSTART
	global_load_dwordx4 v[2:5], v[18:19] off glc	
s_waitcnt vmcnt(0)
	;;#ASMEND
	v_and_b32_e32 v5, 0xff, v3
	v_and_b32_e32 v36, 0xff00, v3
	v_or3_b32 v5, 0, v5, v36
	v_or3_b32 v2, v2, 0, 0
	v_and_b32_e32 v36, 0xff000000, v3
	v_and_b32_e32 v3, 0xff0000, v3
	v_or3_b32 v3, v5, v3, v36
	v_or3_b32 v2, v2, 0, 0
	v_cmp_eq_u16_sdwa s[54:55], v4, v15 src0_sel:BYTE_0 src1_sel:DWORD
	s_and_saveexec_b64 s[30:31], s[54:55]
	s_cbranch_execz .LBB186_74
; %bb.77:                               ;   in Loop: Header=BB186_75 Depth=1
	s_mov_b32 s57, 1
	s_mov_b64 s[54:55], 0
.LBB186_78:                             ;   Parent Loop BB186_75 Depth=1
                                        ; =>  This Loop Header: Depth=2
                                        ;       Child Loop BB186_79 Depth 3
	s_max_u32 s58, s57, 1
.LBB186_79:                             ;   Parent Loop BB186_75 Depth=1
                                        ;     Parent Loop BB186_78 Depth=2
                                        ; =>    This Inner Loop Header: Depth=3
	s_add_i32 s58, s58, -1
	s_cmp_eq_u32 s58, 0
	s_sleep 1
	s_cbranch_scc0 .LBB186_79
; %bb.80:                               ;   in Loop: Header=BB186_78 Depth=2
	s_cmp_lt_u32 s57, 32
	s_cselect_b64 s[58:59], -1, 0
	s_cmp_lg_u64 s[58:59], 0
	s_addc_u32 s57, s57, 0
	;;#ASMSTART
	global_load_dwordx4 v[2:5], v[18:19] off glc	
s_waitcnt vmcnt(0)
	;;#ASMEND
	v_cmp_ne_u16_sdwa s[58:59], v4, v15 src0_sel:BYTE_0 src1_sel:DWORD
	s_or_b64 s[54:55], s[58:59], s[54:55]
	s_andn2_b64 exec, exec, s[54:55]
	s_cbranch_execnz .LBB186_78
; %bb.81:                               ;   in Loop: Header=BB186_75 Depth=1
	s_or_b64 exec, exec, s[54:55]
	s_branch .LBB186_74
.LBB186_82:                             ;   in Loop: Header=BB186_75 Depth=1
                                        ; implicit-def: $vgpr3
                                        ; implicit-def: $vgpr2
                                        ; implicit-def: $vgpr4
	s_cbranch_execz .LBB186_75
; %bb.83:
	s_and_saveexec_b64 s[30:31], s[26:27]
	s_cbranch_execz .LBB186_85
; %bb.84:
	s_cmp_eq_u32 s7, 0
	s_cselect_b64 vcc, -1, 0
	s_mov_b32 s55, 0
	v_cndmask_b32_e32 v2, 0, v7, vcc
	s_add_i32 s54, s6, 64
	v_add_u32_e32 v2, s56, v2
	s_lshl_b64 s[54:55], s[54:55], 4
	s_add_u32 s54, s36, s54
	v_and_b32_e32 v3, 0xff000000, v2
	v_and_b32_e32 v4, 0xff0000, v2
	s_addc_u32 s55, s37, s55
	v_or_b32_e32 v3, v4, v3
	v_and_b32_e32 v4, 0xff00, v2
	v_and_b32_e32 v2, 0xff, v2
	v_add_u32_e32 v14, s7, v6
	v_mov_b32_e32 v17, 0
	v_or3_b32 v15, v3, v4, v2
	v_mov_b32_e32 v16, 2
	v_pk_mov_b32 v[2:3], s[54:55], s[54:55] op_sel:[0,1]
	;;#ASMSTART
	global_store_dwordx4 v[2:3], v[14:17] off	
s_waitcnt vmcnt(0)
	;;#ASMEND
	v_mov_b32_e32 v4, s7
	v_mov_b32_e32 v5, s56
	ds_write_b128 v17, v[4:7] offset:512
.LBB186_85:
	s_or_b64 exec, exec, s[30:31]
	v_cmp_eq_u32_e32 vcc, 0, v0
	s_and_b64 exec, exec, vcc
	s_cbranch_execz .LBB186_87
; %bb.86:
	v_mov_b32_e32 v2, 0
	ds_write_b64 v2, v[6:7] offset:552
.LBB186_87:
	s_or_b64 exec, exec, s[52:53]
	v_mov_b32_e32 v4, 0
	s_waitcnt lgkmcnt(0)
	s_barrier
	ds_read_b64 v[2:3], v4 offset:552
	v_cndmask_b32_e64 v6, v20, v12, s[26:27]
	v_cmp_eq_u32_e32 vcc, 0, v6
	v_cndmask_b32_e64 v5, v22, v13, s[26:27]
	s_waitcnt lgkmcnt(0)
	v_cndmask_b32_e32 v7, 0, v3, vcc
	v_add_u32_e32 v5, v7, v5
	v_cmp_eq_u32_e32 vcc, 0, v0
	v_cndmask_b32_e32 v51, v5, v3, vcc
	v_cndmask_b32_e64 v3, v6, 0, vcc
	v_cmp_eq_u32_e32 vcc, 0, v78
	v_add_u32_e32 v50, v2, v3
	v_cndmask_b32_e32 v2, 0, v51, vcc
	v_add_u32_e32 v49, v2, v52
	v_cndmask_b32_e64 v2, 0, v49, s[24:25]
	v_add_u32_e32 v47, v2, v52
	v_cndmask_b32_e64 v2, 0, v47, s[22:23]
	;; [unrolled: 2-line block ×7, first 2 shown]
	v_add_u32_e32 v48, v50, v78
	v_add_u32_e32 v35, v2, v52
	v_add_u32_e32 v46, v48, v77
	v_cndmask_b32_e64 v2, 0, v35, s[10:11]
	v_add_u32_e32 v44, v46, v76
	v_add_u32_e32 v33, v2, v52
	v_add_u32_e32 v42, v44, v75
	v_cndmask_b32_e64 v2, 0, v33, s[8:9]
	;; [unrolled: 4-line block ×3, first 2 shown]
	v_add_u32_e32 v36, v38, v72
	v_add_u32_e32 v29, v2, v52
	s_barrier
	ds_read_b128 v[16:19], v4 offset:512
	v_add_u32_e32 v34, v36, v71
	v_cndmask_b32_e64 v2, 0, v29, s[4:5]
	v_add_u32_e32 v32, v34, v70
	v_add_u32_e32 v27, v2, v52
	v_add_u32_e32 v30, v32, v69
	v_cndmask_b32_e64 v2, 0, v27, s[2:3]
	v_add_u32_e32 v28, v30, v68
	v_add_u32_e32 v23, v2, v52
	;; [unrolled: 1-line block ×3, first 2 shown]
	v_cndmask_b32_e64 v2, 0, v23, s[0:1]
	s_waitcnt lgkmcnt(0)
	v_cmp_eq_u32_e32 vcc, 0, v16
	v_add_u32_e32 v22, v26, v65
	v_add_u32_e32 v25, v2, v52
	v_cndmask_b32_e32 v2, 0, v19, vcc
	v_add_u32_e32 v24, v22, v63
	v_add_u32_e32 v20, v2, v17
	s_branch .LBB186_100
.LBB186_88:
                                        ; implicit-def: $vgpr16
                                        ; implicit-def: $vgpr20
                                        ; implicit-def: $vgpr24_vgpr25
                                        ; implicit-def: $vgpr22_vgpr23
                                        ; implicit-def: $vgpr26_vgpr27
                                        ; implicit-def: $vgpr28_vgpr29
                                        ; implicit-def: $vgpr50_vgpr51
                                        ; implicit-def: $vgpr48_vgpr49
                                        ; implicit-def: $vgpr46_vgpr47
                                        ; implicit-def: $vgpr44_vgpr45
                                        ; implicit-def: $vgpr42_vgpr43
                                        ; implicit-def: $vgpr40_vgpr41
                                        ; implicit-def: $vgpr38_vgpr39
                                        ; implicit-def: $vgpr36_vgpr37
                                        ; implicit-def: $vgpr34_vgpr35
                                        ; implicit-def: $vgpr32_vgpr33
                                        ; implicit-def: $vgpr30_vgpr31
	s_cbranch_execz .LBB186_100
; %bb.89:
	s_and_b64 s[0:1], s[38:39], exec
	s_cselect_b32 s1, 0, s51
	s_cselect_b32 s0, 0, s50
	s_cmp_eq_u64 s[0:1], 0
	v_mov_b32_e32 v6, v52
	s_cbranch_scc1 .LBB186_91
; %bb.90:
	v_mov_b32_e32 v2, 0
	global_load_dword v6, v2, s[0:1]
.LBB186_91:
	v_cmp_eq_u32_e64 s[0:1], 0, v77
	v_cndmask_b32_e64 v2, 0, v52, s[0:1]
	v_add_u32_e32 v2, v2, v52
	v_cmp_eq_u32_e64 s[2:3], 0, v76
	v_cndmask_b32_e64 v2, 0, v2, s[2:3]
	v_add_u32_e32 v2, v2, v52
	;; [unrolled: 3-line block ×11, first 2 shown]
	v_cmp_eq_u32_e64 s[22:23], 0, v65
	v_cndmask_b32_e64 v2, 0, v2, s[22:23]
	v_add3_u32 v3, v81, v73, v72
	v_add_u32_e32 v2, v2, v52
	v_cmp_eq_u32_e32 vcc, 0, v63
	v_add3_u32 v3, v3, v71, v70
	v_cndmask_b32_e32 v2, 0, v2, vcc
	v_add3_u32 v3, v3, v69, v68
	v_add_u32_e32 v2, v2, v52
	v_cmp_eq_u32_e64 s[24:25], 0, v61
	v_add3_u32 v3, v3, v67, v65
	v_cndmask_b32_e64 v2, 0, v2, s[24:25]
	v_add3_u32 v3, v3, v63, v61
	v_add_u32_e32 v2, v2, v53
	v_mbcnt_hi_u32_b32 v7, -1, v80
	v_and_b32_e32 v4, 15, v7
	v_mov_b32_dpp v12, v2 row_shr:1 row_mask:0xf bank_mask:0xf
	v_cmp_eq_u32_e64 s[24:25], 0, v3
	v_mov_b32_dpp v5, v3 row_shr:1 row_mask:0xf bank_mask:0xf
	v_cndmask_b32_e64 v12, 0, v12, s[24:25]
	v_cmp_eq_u32_e64 s[24:25], 0, v4
	v_cndmask_b32_e64 v5, v5, 0, s[24:25]
	v_add_u32_e32 v3, v5, v3
	v_cndmask_b32_e64 v5, v12, 0, s[24:25]
	v_add_u32_e32 v2, v5, v2
	v_cmp_eq_u32_e64 s[24:25], 0, v3
	v_mov_b32_dpp v5, v3 row_shr:2 row_mask:0xf bank_mask:0xf
	v_cmp_lt_u32_e64 s[26:27], 1, v4
	v_mov_b32_dpp v12, v2 row_shr:2 row_mask:0xf bank_mask:0xf
	v_cndmask_b32_e64 v5, 0, v5, s[26:27]
	s_and_b64 s[24:25], s[26:27], s[24:25]
	v_cndmask_b32_e64 v12, 0, v12, s[24:25]
	v_add_u32_e32 v3, v3, v5
	v_add_u32_e32 v2, v12, v2
	v_cmp_eq_u32_e64 s[24:25], 0, v3
	v_mov_b32_dpp v5, v3 row_shr:4 row_mask:0xf bank_mask:0xf
	v_cmp_lt_u32_e64 s[26:27], 3, v4
	v_mov_b32_dpp v12, v2 row_shr:4 row_mask:0xf bank_mask:0xf
	v_cndmask_b32_e64 v5, 0, v5, s[26:27]
	s_and_b64 s[24:25], s[26:27], s[24:25]
	v_cndmask_b32_e64 v12, 0, v12, s[24:25]
	v_add_u32_e32 v3, v5, v3
	v_add_u32_e32 v2, v2, v12
	v_cmp_eq_u32_e64 s[24:25], 0, v3
	v_cmp_lt_u32_e64 s[26:27], 7, v4
	v_mov_b32_dpp v5, v3 row_shr:8 row_mask:0xf bank_mask:0xf
	v_mov_b32_dpp v12, v2 row_shr:8 row_mask:0xf bank_mask:0xf
	s_and_b64 s[24:25], s[26:27], s[24:25]
	v_cndmask_b32_e64 v4, 0, v5, s[26:27]
	v_cndmask_b32_e64 v5, 0, v12, s[24:25]
	v_add_u32_e32 v2, v5, v2
	v_add_u32_e32 v3, v4, v3
	v_bfe_i32 v12, v7, 4, 1
	v_mov_b32_dpp v5, v2 row_bcast:15 row_mask:0xf bank_mask:0xf
	v_mov_b32_dpp v4, v3 row_bcast:15 row_mask:0xf bank_mask:0xf
	v_cmp_eq_u32_e64 s[24:25], 0, v3
	v_cndmask_b32_e64 v5, 0, v5, s[24:25]
	v_and_b32_e32 v4, v12, v4
	v_add_u32_e32 v3, v4, v3
	v_and_b32_e32 v4, v12, v5
	v_add_u32_e32 v4, v4, v2
	v_mov_b32_dpp v2, v3 row_bcast:31 row_mask:0xf bank_mask:0xf
	v_cmp_eq_u32_e64 s[24:25], 0, v3
	v_cmp_lt_u32_e64 s[26:27], 31, v7
	v_mov_b32_dpp v5, v4 row_bcast:31 row_mask:0xf bank_mask:0xf
	v_cndmask_b32_e64 v2, 0, v2, s[26:27]
	s_and_b64 s[24:25], s[26:27], s[24:25]
	v_add_u32_e32 v2, v2, v3
	v_cndmask_b32_e64 v3, 0, v5, s[24:25]
	v_add_u32_e32 v3, v3, v4
	v_cmp_eq_u32_e64 s[24:25], v79, v0
	s_and_saveexec_b64 s[26:27], s[24:25]
	s_cbranch_execz .LBB186_93
; %bb.92:
	v_lshlrev_b32_e32 v4, 3, v54
	ds_write_b64 v4, v[2:3] offset:528
.LBB186_93:
	s_or_b64 exec, exec, s[26:27]
	v_cmp_gt_u32_e64 s[24:25], 4, v0
	s_waitcnt lgkmcnt(0)
	s_barrier
	s_and_saveexec_b64 s[28:29], s[24:25]
	s_cbranch_execz .LBB186_95
; %bb.94:
	v_lshlrev_b32_e32 v12, 3, v0
	ds_read_b64 v[4:5], v12 offset:528
	v_and_b32_e32 v13, 3, v7
	v_cmp_lt_u32_e64 s[26:27], 1, v13
	s_waitcnt lgkmcnt(0)
	v_mov_b32_dpp v15, v5 row_shr:1 row_mask:0xf bank_mask:0xf
	v_cmp_eq_u32_e64 s[24:25], 0, v4
	v_mov_b32_dpp v14, v4 row_shr:1 row_mask:0xf bank_mask:0xf
	v_cndmask_b32_e64 v15, 0, v15, s[24:25]
	v_cmp_eq_u32_e64 s[24:25], 0, v13
	v_cndmask_b32_e64 v14, v14, 0, s[24:25]
	v_add_u32_e32 v4, v14, v4
	v_cndmask_b32_e64 v14, v15, 0, s[24:25]
	v_add_u32_e32 v5, v14, v5
	v_cmp_eq_u32_e64 s[24:25], 0, v4
	v_mov_b32_dpp v14, v4 row_shr:2 row_mask:0xf bank_mask:0xf
	v_mov_b32_dpp v15, v5 row_shr:2 row_mask:0xf bank_mask:0xf
	v_cndmask_b32_e64 v13, 0, v14, s[26:27]
	s_and_b64 s[24:25], s[26:27], s[24:25]
	v_add_u32_e32 v4, v13, v4
	v_cndmask_b32_e64 v13, 0, v15, s[24:25]
	v_add_u32_e32 v5, v13, v5
	ds_write_b64 v12, v[4:5] offset:528
.LBB186_95:
	s_or_b64 exec, exec, s[28:29]
	v_cmp_lt_u32_e64 s[24:25], 63, v0
	v_mov_b32_e32 v12, 0
	v_mov_b32_e32 v4, 0
	s_waitcnt vmcnt(0)
	v_mov_b32_e32 v5, v6
	s_waitcnt lgkmcnt(0)
	s_barrier
	s_and_saveexec_b64 s[26:27], s[24:25]
	s_cbranch_execz .LBB186_97
; %bb.96:
	v_lshlrev_b32_e32 v4, 3, v54
	ds_read_b64 v[4:5], v4 offset:520
	s_waitcnt lgkmcnt(0)
	v_cmp_eq_u32_e64 s[24:25], 0, v4
	v_cndmask_b32_e64 v13, 0, v6, s[24:25]
	v_add_u32_e32 v5, v13, v5
.LBB186_97:
	s_or_b64 exec, exec, s[26:27]
	v_cmp_eq_u32_e64 s[24:25], 0, v2
	v_add_u32_e32 v13, v4, v2
	v_cndmask_b32_e64 v2, 0, v5, s[24:25]
	v_add_u32_e32 v2, v2, v3
	v_add_u32_e32 v3, -1, v7
	v_and_b32_e32 v14, 64, v7
	v_cmp_lt_i32_e64 s[24:25], v3, v14
	v_cndmask_b32_e64 v3, v3, v7, s[24:25]
	v_lshlrev_b32_e32 v3, 2, v3
	ds_bpermute_b32 v13, v3, v13
	ds_bpermute_b32 v2, v3, v2
	v_cmp_eq_u32_e64 s[24:25], 0, v7
	v_cmp_eq_u32_e64 s[26:27], 0, v78
	ds_read_b64 v[16:17], v12 offset:552
	s_waitcnt lgkmcnt(2)
	v_cndmask_b32_e64 v3, v13, v4, s[24:25]
	s_waitcnt lgkmcnt(1)
	v_cndmask_b32_e64 v2, v2, v5, s[24:25]
	v_cmp_eq_u32_e64 s[24:25], 0, v0
	v_cndmask_b32_e64 v51, v2, v6, s[24:25]
	v_cndmask_b32_e64 v2, 0, v51, s[26:27]
	v_add_u32_e32 v49, v2, v52
	v_cndmask_b32_e64 v2, 0, v49, s[0:1]
	v_add_u32_e32 v47, v2, v52
	;; [unrolled: 2-line block ×7, first 2 shown]
	v_cndmask_b32_e64 v50, v3, 0, s[24:25]
	v_cndmask_b32_e64 v2, 0, v37, s[12:13]
	v_add_u32_e32 v48, v50, v78
	v_add_u32_e32 v35, v2, v52
	v_add_u32_e32 v46, v48, v77
	v_cndmask_b32_e64 v2, 0, v35, s[14:15]
	v_add_u32_e32 v44, v46, v76
	v_add_u32_e32 v33, v2, v52
	v_add_u32_e32 v42, v44, v75
	;; [unrolled: 4-line block ×6, first 2 shown]
	v_cndmask_b32_e32 v2, 0, v23, vcc
	s_waitcnt lgkmcnt(0)
	v_cmp_eq_u32_e32 vcc, 0, v16
	v_add_u32_e32 v22, v26, v65
	v_add_u32_e32 v25, v2, v52
	v_cndmask_b32_e32 v2, 0, v6, vcc
	v_add_u32_e32 v24, v22, v63
	v_add_u32_e32 v20, v2, v17
	s_and_saveexec_b64 s[0:1], s[24:25]
	s_cbranch_execz .LBB186_99
; %bb.98:
	s_add_u32 s2, s36, 0x400
	v_and_b32_e32 v2, 0xff000000, v20
	v_and_b32_e32 v3, 0xff0000, v20
	s_addc_u32 s3, s37, 0
	v_or_b32_e32 v2, v3, v2
	v_and_b32_e32 v3, 0xff00, v20
	v_and_b32_e32 v4, 0xff, v20
	v_mov_b32_e32 v19, 0
	v_or3_b32 v17, v2, v3, v4
	v_mov_b32_e32 v18, 2
	v_pk_mov_b32 v[2:3], s[2:3], s[2:3] op_sel:[0,1]
	;;#ASMSTART
	global_store_dwordx4 v[2:3], v[16:19] off	
s_waitcnt vmcnt(0)
	;;#ASMEND
.LBB186_99:
	s_or_b64 exec, exec, s[0:1]
	v_mov_b32_e32 v18, 0
.LBB186_100:
	s_and_b64 s[0:1], s[38:39], exec
	s_cselect_b32 s1, 0, s47
	s_cselect_b32 s0, 0, s46
	s_cmp_eq_u64 s[0:1], 0
	v_pk_mov_b32 v[52:53], 0, 0
	s_waitcnt lgkmcnt(0)
	s_barrier
	s_cbranch_scc1 .LBB186_102
; %bb.101:
	v_mov_b32_e32 v2, 0
	global_load_dwordx2 v[52:53], v2, s[0:1]
.LBB186_102:
	v_mov_b32_e32 v2, s41
	s_waitcnt vmcnt(0)
	v_add_co_u32_e32 v3, vcc, s40, v52
	v_addc_co_u32_e32 v2, vcc, v2, v53, vcc
	v_add_co_u32_e32 v54, vcc, v3, v18
	v_addc_co_u32_e32 v17, vcc, 0, v2, vcc
	v_cmp_eq_u32_e32 vcc, 0, v78
	v_cndmask_b32_e64 v2, 1, 2, vcc
	v_cmp_eq_u32_e32 vcc, 0, v77
	v_cndmask_b32_e64 v3, 1, 2, vcc
	v_cmp_eq_u32_e32 vcc, 0, v76
	v_and_b32_e32 v2, v3, v2
	v_cndmask_b32_e64 v3, 1, 2, vcc
	v_cmp_eq_u32_e32 vcc, 0, v75
	v_and_b32_e32 v2, v2, v3
	;; [unrolled: 3-line block ×13, first 2 shown]
	v_cndmask_b32_e64 v3, 1, 2, vcc
	s_movk_i32 s30, 0x100
	v_and_b32_e32 v2, v2, v3
	v_cmp_gt_u32_e32 vcc, s30, v16
	v_mov_b32_e32 v19, 0
	v_cmp_ne_u32_e64 s[28:29], 0, v78
	v_cmp_ne_u32_e64 s[26:27], 0, v77
	;; [unrolled: 1-line block ×15, first 2 shown]
	s_mov_b64 s[36:37], -1
	v_cmp_gt_i16_e64 s[30:31], 2, v2
	s_cbranch_vccz .LBB186_109
; %bb.103:
	s_and_saveexec_b64 s[36:37], s[30:31]
	s_cbranch_execz .LBB186_108
; %bb.104:
	v_cmp_ne_u16_e32 vcc, 1, v2
	s_mov_b64 s[38:39], 0
	s_and_saveexec_b64 s[30:31], vcc
	s_xor_b64 s[30:31], exec, s[30:31]
	s_cbranch_execnz .LBB186_152
; %bb.105:
	s_andn2_saveexec_b64 s[30:31], s[30:31]
	s_cbranch_execnz .LBB186_168
.LBB186_106:
	s_or_b64 exec, exec, s[30:31]
	s_and_b64 exec, exec, s[38:39]
	s_cbranch_execz .LBB186_108
.LBB186_107:
	v_sub_u32_e32 v3, v24, v18
	v_readfirstlane_b32 s30, v54
	v_readfirstlane_b32 s31, v17
	s_nop 4
	global_store_byte v3, v1, s[30:31]
.LBB186_108:
	s_or_b64 exec, exec, s[36:37]
	s_mov_b64 s[36:37], 0
.LBB186_109:
	s_and_b64 vcc, exec, s[36:37]
	s_cbranch_vccz .LBB186_130
; %bb.110:
	v_cmp_gt_i16_e32 vcc, 2, v2
	s_and_saveexec_b64 s[30:31], vcc
	s_cbranch_execz .LBB186_115
; %bb.111:
	v_cmp_ne_u16_e32 vcc, 1, v2
	s_mov_b64 s[38:39], 0
	s_and_saveexec_b64 s[36:37], vcc
	s_xor_b64 s[36:37], exec, s[36:37]
	s_cbranch_execnz .LBB186_169
; %bb.112:
	s_andn2_saveexec_b64 s[0:1], s[36:37]
	s_cbranch_execnz .LBB186_185
.LBB186_113:
	s_or_b64 exec, exec, s[0:1]
	s_and_b64 exec, exec, s[38:39]
	s_cbranch_execz .LBB186_115
.LBB186_114:
	v_sub_u32_e32 v2, v24, v18
	ds_write_b8 v2, v1
.LBB186_115:
	s_or_b64 exec, exec, s[30:31]
	v_cmp_lt_u32_e32 vcc, v0, v16
	s_waitcnt lgkmcnt(0)
	s_barrier
	s_and_saveexec_b64 s[0:1], vcc
	s_cbranch_execz .LBB186_129
; %bb.116:
	v_xad_u32 v2, v0, -1, v16
	s_movk_i32 s2, 0x1700
	s_movk_i32 s4, 0x16ff
	v_cmp_gt_u32_e64 s[2:3], s2, v2
	v_cmp_lt_u32_e32 vcc, s4, v2
	v_mov_b32_e32 v1, v0
	s_and_saveexec_b64 s[4:5], vcc
	s_cbranch_execz .LBB186_126
; %bb.117:
	v_sub_u32_e32 v1, v0, v16
	v_or_b32_e32 v1, 0xff, v1
	v_cmp_ge_u32_e32 vcc, v1, v0
	s_mov_b64 s[8:9], -1
	v_mov_b32_e32 v1, v0
	s_and_saveexec_b64 s[6:7], vcc
	s_cbranch_execz .LBB186_125
; %bb.118:
	v_lshrrev_b32_e32 v21, 8, v2
	v_or_b32_e32 v7, 0x700, v0
	v_or_b32_e32 v6, 0x600, v0
	;; [unrolled: 1-line block ×7, first 2 shown]
	v_add_u32_e32 v55, -7, v21
	v_pk_mov_b32 v[14:15], v[6:7], v[6:7] op_sel:[0,1]
	v_cmp_lt_u32_e32 vcc, 7, v55
	v_mov_b32_e32 v58, 0
	v_pk_mov_b32 v[12:13], v[4:5], v[4:5] op_sel:[0,1]
	v_pk_mov_b32 v[10:11], v[2:3], v[2:3] op_sel:[0,1]
	;; [unrolled: 1-line block ×3, first 2 shown]
	s_and_saveexec_b64 s[8:9], vcc
	s_cbranch_execz .LBB186_122
; %bb.119:
	v_lshrrev_b32_e32 v8, 3, v55
	v_add_u32_e32 v8, 1, v8
	v_and_b32_e32 v56, 0x3ffffffe, v8
	v_pk_mov_b32 v[14:15], v[6:7], v[6:7] op_sel:[0,1]
	s_mov_b32 s12, 0
	s_mov_b64 s[10:11], 0
	v_mov_b32_e32 v57, v0
	v_pk_mov_b32 v[12:13], v[4:5], v[4:5] op_sel:[0,1]
	v_pk_mov_b32 v[10:11], v[2:3], v[2:3] op_sel:[0,1]
	;; [unrolled: 1-line block ×3, first 2 shown]
.LBB186_120:                            ; =>This Inner Loop Header: Depth=1
	v_add_co_u32_e32 v2, vcc, v54, v8
	v_addc_co_u32_e32 v3, vcc, 0, v17, vcc
	v_add_co_u32_e32 v4, vcc, v54, v9
	v_addc_co_u32_e32 v5, vcc, 0, v17, vcc
	;; [unrolled: 2-line block ×8, first 2 shown]
	v_add_u32_e32 v90, 0x800, v8
	v_add_co_u32_e32 v90, vcc, v54, v90
	v_add_u32_e32 v92, 0x800, v9
	v_addc_co_u32_e32 v91, vcc, 0, v17, vcc
	v_add_co_u32_e32 v92, vcc, v54, v92
	v_add_u32_e32 v94, 0x800, v10
	v_addc_co_u32_e32 v93, vcc, 0, v17, vcc
	;; [unrolled: 3-line block ×6, first 2 shown]
	v_add_co_u32_e32 v102, vcc, v54, v102
	ds_read_u8 v1, v57
	ds_read_u8 v59, v57 offset:256
	ds_read_u8 v60, v57 offset:512
	;; [unrolled: 1-line block ×7, first 2 shown]
	v_add_u32_e32 v58, 0x800, v15
	ds_read_u8 v107, v57 offset:2048
	ds_read_u8 v108, v57 offset:2304
	;; [unrolled: 1-line block ×8, first 2 shown]
	v_addc_co_u32_e32 v103, vcc, 0, v17, vcc
	v_add_co_u32_e32 v104, vcc, v54, v58
	v_add_u32_e32 v56, -2, v56
	v_addc_co_u32_e32 v105, vcc, 0, v17, vcc
	s_add_i32 s12, s12, 16
	v_cmp_eq_u32_e32 vcc, 0, v56
	v_add_u32_e32 v15, 0x1000, v15
	v_add_u32_e32 v14, 0x1000, v14
	;; [unrolled: 1-line block ×9, first 2 shown]
	v_mov_b32_e32 v58, s12
	s_or_b64 s[10:11], vcc, s[10:11]
	s_waitcnt lgkmcnt(14)
	global_store_byte v[2:3], v1, off
	global_store_byte v[4:5], v59, off
	s_waitcnt lgkmcnt(13)
	global_store_byte v[6:7], v60, off
	s_waitcnt lgkmcnt(12)
	;; [unrolled: 2-line block ×14, first 2 shown]
	global_store_byte v[104:105], v114, off
	s_andn2_b64 exec, exec, s[10:11]
	s_cbranch_execnz .LBB186_120
; %bb.121:
	s_or_b64 exec, exec, s[10:11]
.LBB186_122:
	s_or_b64 exec, exec, s[8:9]
	v_and_b32_e32 v1, 8, v55
	v_cmp_eq_u32_e32 vcc, 0, v1
	s_and_saveexec_b64 s[8:9], vcc
	s_cbranch_execz .LBB186_124
; %bb.123:
	v_add_co_u32_e32 v2, vcc, v54, v8
	v_addc_co_u32_e32 v3, vcc, 0, v17, vcc
	v_add_co_u32_e32 v4, vcc, v54, v9
	v_addc_co_u32_e32 v5, vcc, 0, v17, vcc
	;; [unrolled: 2-line block ×4, first 2 shown]
	v_add_co_u32_e32 v10, vcc, v54, v12
	v_lshl_or_b32 v1, v58, 8, v0
	v_addc_co_u32_e32 v11, vcc, 0, v17, vcc
	ds_read_u8 v55, v1
	ds_read_u8 v58, v1 offset:256
	ds_read_u8 v59, v1 offset:512
	;; [unrolled: 1-line block ×7, first 2 shown]
	v_add_co_u32_e32 v12, vcc, v54, v13
	v_addc_co_u32_e32 v13, vcc, 0, v17, vcc
	v_add_co_u32_e32 v56, vcc, v54, v14
	v_addc_co_u32_e32 v57, vcc, 0, v17, vcc
	;; [unrolled: 2-line block ×3, first 2 shown]
	s_waitcnt lgkmcnt(7)
	global_store_byte v[2:3], v55, off
	s_waitcnt lgkmcnt(6)
	global_store_byte v[4:5], v58, off
	;; [unrolled: 2-line block ×8, first 2 shown]
.LBB186_124:
	s_or_b64 exec, exec, s[8:9]
	v_add_u32_e32 v2, 1, v21
	v_and_b32_e32 v3, 0x1fffff8, v2
	v_cmp_ne_u32_e32 vcc, v2, v3
	v_lshl_or_b32 v1, v3, 8, v0
	s_orn2_b64 s[8:9], vcc, exec
.LBB186_125:
	s_or_b64 exec, exec, s[6:7]
	s_andn2_b64 s[2:3], s[2:3], exec
	s_and_b64 s[6:7], s[8:9], exec
	s_or_b64 s[2:3], s[2:3], s[6:7]
.LBB186_126:
	s_or_b64 exec, exec, s[4:5]
	s_and_b64 exec, exec, s[2:3]
	s_cbranch_execz .LBB186_129
; %bb.127:
	s_mov_b64 s[2:3], 0
.LBB186_128:                            ; =>This Inner Loop Header: Depth=1
	ds_read_u8 v2, v1
	v_readfirstlane_b32 s4, v54
	v_readfirstlane_b32 s5, v17
	s_waitcnt lgkmcnt(0)
	s_nop 3
	global_store_byte v1, v2, s[4:5]
	v_add_u32_e32 v1, 0x100, v1
	v_cmp_ge_u32_e32 vcc, v1, v16
	s_or_b64 s[2:3], vcc, s[2:3]
	s_andn2_b64 exec, exec, s[2:3]
	s_cbranch_execnz .LBB186_128
.LBB186_129:
	s_or_b64 exec, exec, s[0:1]
.LBB186_130:
	s_cmpk_lg_i32 s33, 0xf00
	s_cselect_b64 s[0:1], -1, 0
	v_cndmask_b32_e64 v8, 0, 1, s[48:49]
	s_and_b64 s[0:1], s[34:35], s[0:1]
	v_cmp_eq_u32_e32 vcc, 0, v0
	v_sub_u32_e32 v1, v16, v8
	v_cndmask_b32_e64 v2, 0, 1, s[0:1]
	s_and_b64 s[0:1], vcc, s[48:49]
	v_add_u32_e32 v1, v1, v2
	v_cndmask_b32_e64 v2, v78, 0, s[0:1]
	s_mul_hi_u32 s0, s33, 0x88888889
	s_lshr_b32 s0, s0, 3
	v_mad_i32_i24 v3, v0, -15, s33
	v_cmp_eq_u32_e32 vcc, s0, v0
	v_cmp_ne_u32_e64 s[0:1], 0, v3
	v_cndmask_b32_e64 v4, 1, v2, s[0:1]
	v_cmp_ne_u32_e64 s[0:1], 1, v3
	v_cndmask_b32_e64 v5, 1, v77, s[0:1]
	;; [unrolled: 2-line block ×15, first 2 shown]
	s_and_b64 vcc, s[34:35], vcc
	v_cndmask_b32_e32 v55, v61, v3, vcc
	v_cndmask_b32_e32 v59, v2, v4, vcc
	v_lshlrev_b64 v[2:3], 3, v[52:53]
	v_cndmask_b32_e32 v54, v63, v54, vcc
	v_cndmask_b32_e32 v21, v65, v21, vcc
	;; [unrolled: 1-line block ×13, first 2 shown]
	v_mov_b32_e32 v4, s43
	v_add_co_u32_e32 v5, vcc, s42, v2
	v_addc_co_u32_e32 v6, vcc, v4, v3, vcc
	v_lshlrev_b64 v[2:3], 3, v[18:19]
	v_add_co_u32_e32 v4, vcc, v5, v2
	v_addc_co_u32_e32 v5, vcc, v6, v3, vcc
	v_lshlrev_b32_e32 v2, 3, v8
	v_add_co_u32_e32 v2, vcc, v2, v4
	v_addc_co_u32_e32 v3, vcc, 0, v5, vcc
	v_add_co_u32_e32 v6, vcc, -8, v2
	v_addc_co_u32_e32 v7, vcc, -1, v3, vcc
	v_cmp_eq_u32_e32 vcc, 0, v59
	v_cndmask_b32_e64 v3, 1, 2, vcc
	v_cmp_eq_u32_e32 vcc, 0, v58
	v_add_u32_e32 v2, v18, v8
	v_cndmask_b32_e64 v8, 1, 2, vcc
	v_cmp_eq_u32_e32 vcc, 0, v57
	v_and_b32_e32 v3, v8, v3
	v_cndmask_b32_e64 v8, 1, 2, vcc
	v_cmp_eq_u32_e32 vcc, 0, v56
	v_and_b32_e32 v3, v3, v8
	;; [unrolled: 3-line block ×13, first 2 shown]
	v_cndmask_b32_e64 v8, 1, 2, vcc
	s_movk_i32 s30, 0x100
	v_and_b32_e32 v3, v3, v8
	v_cmp_gt_u32_e32 vcc, s30, v1
	v_cmp_ne_u32_e64 s[28:29], 0, v59
	v_cmp_ne_u32_e64 s[26:27], 0, v58
	;; [unrolled: 1-line block ×15, first 2 shown]
	s_mov_b64 s[36:37], -1
	v_cmp_gt_i16_e64 s[30:31], 2, v3
	s_barrier
	s_cbranch_vccz .LBB186_137
; %bb.131:
	s_and_saveexec_b64 s[36:37], s[30:31]
	s_cbranch_execz .LBB186_136
; %bb.132:
	v_cmp_ne_u16_e32 vcc, 1, v3
	s_mov_b64 s[38:39], 0
	s_and_saveexec_b64 s[30:31], vcc
	s_xor_b64 s[30:31], exec, s[30:31]
	s_cbranch_execnz .LBB186_186
; %bb.133:
	s_andn2_saveexec_b64 s[30:31], s[30:31]
	s_cbranch_execnz .LBB186_202
.LBB186_134:
	s_or_b64 exec, exec, s[30:31]
	s_and_b64 exec, exec, s[38:39]
	s_cbranch_execz .LBB186_136
.LBB186_135:
	v_mov_b32_e32 v9, 0
	v_sub_u32_e32 v10, v24, v2
	v_mov_b32_e32 v11, v9
	v_lshlrev_b64 v[10:11], 3, v[10:11]
	v_add_co_u32_e32 v10, vcc, v6, v10
	v_mov_b32_e32 v8, v25
	v_addc_co_u32_e32 v11, vcc, v7, v11, vcc
	global_store_dwordx2 v[10:11], v[8:9], off
.LBB186_136:
	s_or_b64 exec, exec, s[36:37]
	s_mov_b64 s[36:37], 0
.LBB186_137:
	s_and_b64 vcc, exec, s[36:37]
	s_cbranch_vccz .LBB186_147
; %bb.138:
	v_cmp_gt_i16_e32 vcc, 2, v3
	s_and_saveexec_b64 s[30:31], vcc
	s_cbranch_execz .LBB186_143
; %bb.139:
	v_cmp_ne_u16_e32 vcc, 1, v3
	s_mov_b64 s[38:39], 0
	s_and_saveexec_b64 s[36:37], vcc
	s_xor_b64 s[36:37], exec, s[36:37]
	s_cbranch_execnz .LBB186_203
; %bb.140:
	s_andn2_saveexec_b64 s[0:1], s[36:37]
	s_cbranch_execnz .LBB186_219
.LBB186_141:
	s_or_b64 exec, exec, s[0:1]
	s_and_b64 exec, exec, s[38:39]
	s_cbranch_execz .LBB186_143
.LBB186_142:
	v_sub_u32_e32 v2, v24, v2
	v_lshlrev_b32_e32 v2, 2, v2
	ds_write_b32 v2, v25
.LBB186_143:
	s_or_b64 exec, exec, s[30:31]
	v_cmp_lt_u32_e32 vcc, v0, v1
	s_waitcnt lgkmcnt(0)
	s_barrier
	s_and_saveexec_b64 s[0:1], vcc
	s_cbranch_execz .LBB186_146
; %bb.144:
	v_lshlrev_b32_e32 v8, 2, v0
	s_mov_b64 s[2:3], 0
	v_mov_b32_e32 v3, 0
	v_mov_b32_e32 v2, v0
.LBB186_145:                            ; =>This Inner Loop Header: Depth=1
	ds_read_b32 v10, v8
	v_lshlrev_b64 v[12:13], 3, v[2:3]
	v_add_co_u32_e32 v12, vcc, v6, v12
	v_add_u32_e32 v2, 0x100, v2
	v_addc_co_u32_e32 v13, vcc, v7, v13, vcc
	v_cmp_ge_u32_e32 vcc, v2, v1
	v_mov_b32_e32 v11, v3
	v_add_u32_e32 v8, 0x400, v8
	s_or_b64 s[2:3], vcc, s[2:3]
	s_waitcnt lgkmcnt(0)
	global_store_dwordx2 v[12:13], v[10:11], off
	s_andn2_b64 exec, exec, s[2:3]
	s_cbranch_execnz .LBB186_145
.LBB186_146:
	s_or_b64 exec, exec, s[0:1]
.LBB186_147:
	s_movk_i32 s0, 0xff
	v_cmp_eq_u32_e32 vcc, s0, v0
	s_and_b64 s[0:1], vcc, s[34:35]
	s_and_saveexec_b64 s[2:3], s[0:1]
	s_cbranch_execz .LBB186_150
; %bb.148:
	v_add_co_u32_e32 v0, vcc, v16, v18
	v_addc_co_u32_e64 v1, s[0:1], 0, 0, vcc
	v_add_co_u32_e32 v0, vcc, v0, v52
	v_mov_b32_e32 v17, 0
	v_addc_co_u32_e32 v1, vcc, v1, v53, vcc
	s_cmpk_lg_i32 s33, 0xf00
	global_store_dwordx2 v17, v[0:1], s[44:45]
	s_cbranch_scc1 .LBB186_150
; %bb.149:
	v_lshlrev_b64 v[0:1], 3, v[16:17]
	v_add_co_u32_e32 v0, vcc, v4, v0
	v_mov_b32_e32 v21, v17
	v_addc_co_u32_e32 v1, vcc, v5, v1, vcc
	global_store_dwordx2 v[0:1], v[20:21], off offset:-8
.LBB186_150:
	s_endpgm
.LBB186_151:
	s_or_b64 exec, exec, s[0:1]
	v_mov_b32_e32 v78, s7
	s_and_saveexec_b64 s[0:1], s[8:9]
	s_cbranch_execnz .LBB186_56
	s_branch .LBB186_57
.LBB186_152:
	s_and_saveexec_b64 s[38:39], s[28:29]
	s_cbranch_execnz .LBB186_220
; %bb.153:
	s_or_b64 exec, exec, s[38:39]
	s_and_saveexec_b64 s[38:39], s[26:27]
	s_cbranch_execnz .LBB186_221
.LBB186_154:
	s_or_b64 exec, exec, s[38:39]
	s_and_saveexec_b64 s[38:39], s[24:25]
	s_cbranch_execnz .LBB186_222
.LBB186_155:
	s_or_b64 exec, exec, s[38:39]
	s_and_saveexec_b64 s[38:39], s[22:23]
	s_cbranch_execnz .LBB186_223
.LBB186_156:
	s_or_b64 exec, exec, s[38:39]
	s_and_saveexec_b64 s[38:39], s[20:21]
	s_cbranch_execnz .LBB186_224
.LBB186_157:
	s_or_b64 exec, exec, s[38:39]
	s_and_saveexec_b64 s[38:39], s[18:19]
	s_cbranch_execnz .LBB186_225
.LBB186_158:
	s_or_b64 exec, exec, s[38:39]
	s_and_saveexec_b64 s[38:39], s[16:17]
	s_cbranch_execnz .LBB186_226
.LBB186_159:
	s_or_b64 exec, exec, s[38:39]
	s_and_saveexec_b64 s[38:39], s[14:15]
	s_cbranch_execnz .LBB186_227
.LBB186_160:
	s_or_b64 exec, exec, s[38:39]
	s_and_saveexec_b64 s[38:39], s[12:13]
	s_cbranch_execnz .LBB186_228
.LBB186_161:
	s_or_b64 exec, exec, s[38:39]
	s_and_saveexec_b64 s[38:39], s[10:11]
	s_cbranch_execnz .LBB186_229
.LBB186_162:
	s_or_b64 exec, exec, s[38:39]
	s_and_saveexec_b64 s[38:39], s[8:9]
	s_cbranch_execnz .LBB186_230
.LBB186_163:
	s_or_b64 exec, exec, s[38:39]
	s_and_saveexec_b64 s[38:39], s[6:7]
	s_cbranch_execnz .LBB186_231
.LBB186_164:
	s_or_b64 exec, exec, s[38:39]
	s_and_saveexec_b64 s[38:39], s[4:5]
	s_cbranch_execnz .LBB186_232
.LBB186_165:
	s_or_b64 exec, exec, s[38:39]
	s_and_saveexec_b64 s[38:39], s[2:3]
	s_cbranch_execz .LBB186_167
.LBB186_166:
	v_sub_u32_e32 v3, v22, v18
	v_readfirstlane_b32 s40, v54
	v_readfirstlane_b32 s41, v17
	s_nop 4
	global_store_byte v3, v11, s[40:41]
.LBB186_167:
	s_or_b64 exec, exec, s[38:39]
	s_and_b64 s[38:39], s[0:1], exec
	s_andn2_saveexec_b64 s[30:31], s[30:31]
	s_cbranch_execz .LBB186_106
.LBB186_168:
	v_sub_u32_e32 v3, v50, v18
	v_readfirstlane_b32 s40, v54
	v_readfirstlane_b32 s41, v17
	s_or_b64 s[38:39], s[38:39], exec
	s_nop 3
	global_store_byte v3, v8, s[40:41]
	v_sub_u32_e32 v3, v48, v18
	global_store_byte v3, v66, s[40:41]
	v_sub_u32_e32 v3, v46, v18
	;; [unrolled: 2-line block ×13, first 2 shown]
	global_store_byte v3, v11, s[40:41]
	s_or_b64 exec, exec, s[30:31]
	s_and_b64 exec, exec, s[38:39]
	s_cbranch_execnz .LBB186_107
	s_branch .LBB186_108
.LBB186_169:
	s_and_saveexec_b64 s[38:39], s[28:29]
	s_cbranch_execnz .LBB186_233
; %bb.170:
	s_or_b64 exec, exec, s[38:39]
	s_and_saveexec_b64 s[28:29], s[26:27]
	s_cbranch_execnz .LBB186_234
.LBB186_171:
	s_or_b64 exec, exec, s[28:29]
	s_and_saveexec_b64 s[26:27], s[24:25]
	s_cbranch_execnz .LBB186_235
.LBB186_172:
	s_or_b64 exec, exec, s[26:27]
	s_and_saveexec_b64 s[24:25], s[22:23]
	s_cbranch_execnz .LBB186_236
.LBB186_173:
	s_or_b64 exec, exec, s[24:25]
	s_and_saveexec_b64 s[22:23], s[20:21]
	s_cbranch_execnz .LBB186_237
.LBB186_174:
	s_or_b64 exec, exec, s[22:23]
	s_and_saveexec_b64 s[20:21], s[18:19]
	s_cbranch_execnz .LBB186_238
.LBB186_175:
	s_or_b64 exec, exec, s[20:21]
	s_and_saveexec_b64 s[18:19], s[16:17]
	s_cbranch_execnz .LBB186_239
.LBB186_176:
	s_or_b64 exec, exec, s[18:19]
	s_and_saveexec_b64 s[16:17], s[14:15]
	s_cbranch_execnz .LBB186_240
.LBB186_177:
	s_or_b64 exec, exec, s[16:17]
	s_and_saveexec_b64 s[14:15], s[12:13]
	s_cbranch_execnz .LBB186_241
.LBB186_178:
	s_or_b64 exec, exec, s[14:15]
	s_and_saveexec_b64 s[12:13], s[10:11]
	s_cbranch_execnz .LBB186_242
.LBB186_179:
	s_or_b64 exec, exec, s[12:13]
	s_and_saveexec_b64 s[10:11], s[8:9]
	s_cbranch_execnz .LBB186_243
.LBB186_180:
	s_or_b64 exec, exec, s[10:11]
	s_and_saveexec_b64 s[8:9], s[6:7]
	s_cbranch_execnz .LBB186_244
.LBB186_181:
	s_or_b64 exec, exec, s[8:9]
	s_and_saveexec_b64 s[6:7], s[4:5]
	s_cbranch_execnz .LBB186_245
.LBB186_182:
	s_or_b64 exec, exec, s[6:7]
	s_and_saveexec_b64 s[4:5], s[2:3]
	s_cbranch_execz .LBB186_184
.LBB186_183:
	v_sub_u32_e32 v2, v22, v18
	ds_write_b8 v2, v11
.LBB186_184:
	s_or_b64 exec, exec, s[4:5]
	s_and_b64 s[38:39], s[0:1], exec
                                        ; implicit-def: $vgpr11
                                        ; implicit-def: $vgpr21
                                        ; implicit-def: $vgpr55
                                        ; implicit-def: $vgpr56
                                        ; implicit-def: $vgpr57
                                        ; implicit-def: $vgpr10
                                        ; implicit-def: $vgpr58
                                        ; implicit-def: $vgpr59
                                        ; implicit-def: $vgpr60
                                        ; implicit-def: $vgpr62
                                        ; implicit-def: $vgpr64
                                        ; implicit-def: $vgpr66
	s_andn2_saveexec_b64 s[0:1], s[36:37]
	s_cbranch_execz .LBB186_113
.LBB186_185:
	v_sub_u32_e32 v2, v50, v18
	ds_write_b8 v2, v8
	v_sub_u32_e32 v2, v48, v18
	ds_write_b8 v2, v66
	;; [unrolled: 2-line block ×13, first 2 shown]
	v_sub_u32_e32 v2, v22, v18
	s_or_b64 s[38:39], s[38:39], exec
	ds_write_b8 v2, v11
	s_or_b64 exec, exec, s[0:1]
	s_and_b64 exec, exec, s[38:39]
	s_cbranch_execnz .LBB186_114
	s_branch .LBB186_115
.LBB186_186:
	s_and_saveexec_b64 s[38:39], s[28:29]
	s_cbranch_execnz .LBB186_246
; %bb.187:
	s_or_b64 exec, exec, s[38:39]
	s_and_saveexec_b64 s[38:39], s[26:27]
	s_cbranch_execnz .LBB186_247
.LBB186_188:
	s_or_b64 exec, exec, s[38:39]
	s_and_saveexec_b64 s[38:39], s[24:25]
	s_cbranch_execnz .LBB186_248
.LBB186_189:
	s_or_b64 exec, exec, s[38:39]
	s_and_saveexec_b64 s[38:39], s[22:23]
	s_cbranch_execnz .LBB186_249
.LBB186_190:
	s_or_b64 exec, exec, s[38:39]
	s_and_saveexec_b64 s[38:39], s[20:21]
	s_cbranch_execnz .LBB186_250
.LBB186_191:
	s_or_b64 exec, exec, s[38:39]
	s_and_saveexec_b64 s[38:39], s[18:19]
	s_cbranch_execnz .LBB186_251
.LBB186_192:
	s_or_b64 exec, exec, s[38:39]
	s_and_saveexec_b64 s[38:39], s[16:17]
	s_cbranch_execnz .LBB186_252
.LBB186_193:
	s_or_b64 exec, exec, s[38:39]
	s_and_saveexec_b64 s[38:39], s[14:15]
	s_cbranch_execnz .LBB186_253
.LBB186_194:
	s_or_b64 exec, exec, s[38:39]
	s_and_saveexec_b64 s[38:39], s[12:13]
	s_cbranch_execnz .LBB186_254
.LBB186_195:
	s_or_b64 exec, exec, s[38:39]
	s_and_saveexec_b64 s[38:39], s[10:11]
	s_cbranch_execnz .LBB186_255
.LBB186_196:
	s_or_b64 exec, exec, s[38:39]
	s_and_saveexec_b64 s[38:39], s[8:9]
	s_cbranch_execnz .LBB186_256
.LBB186_197:
	s_or_b64 exec, exec, s[38:39]
	s_and_saveexec_b64 s[38:39], s[6:7]
	s_cbranch_execnz .LBB186_257
.LBB186_198:
	s_or_b64 exec, exec, s[38:39]
	s_and_saveexec_b64 s[38:39], s[4:5]
	s_cbranch_execnz .LBB186_258
.LBB186_199:
	s_or_b64 exec, exec, s[38:39]
	s_and_saveexec_b64 s[38:39], s[2:3]
	s_cbranch_execz .LBB186_201
.LBB186_200:
	v_sub_u32_e32 v8, v22, v2
	v_mov_b32_e32 v9, 0
	v_lshlrev_b64 v[10:11], 3, v[8:9]
	v_add_co_u32_e32 v10, vcc, v6, v10
	v_addc_co_u32_e32 v11, vcc, v7, v11, vcc
	v_mov_b32_e32 v8, v23
	global_store_dwordx2 v[10:11], v[8:9], off
.LBB186_201:
	s_or_b64 exec, exec, s[38:39]
	s_and_b64 s[38:39], s[0:1], exec
	s_andn2_saveexec_b64 s[30:31], s[30:31]
	s_cbranch_execz .LBB186_134
.LBB186_202:
	v_mov_b32_e32 v9, 0
	v_sub_u32_e32 v10, v50, v2
	v_mov_b32_e32 v11, v9
	v_lshlrev_b64 v[10:11], 3, v[10:11]
	v_add_co_u32_e32 v10, vcc, v6, v10
	v_mov_b32_e32 v8, v51
	v_addc_co_u32_e32 v11, vcc, v7, v11, vcc
	global_store_dwordx2 v[10:11], v[8:9], off
	v_sub_u32_e32 v10, v48, v2
	v_mov_b32_e32 v11, v9
	v_lshlrev_b64 v[10:11], 3, v[10:11]
	v_add_co_u32_e32 v10, vcc, v6, v10
	v_mov_b32_e32 v8, v49
	v_addc_co_u32_e32 v11, vcc, v7, v11, vcc
	global_store_dwordx2 v[10:11], v[8:9], off
	;; [unrolled: 7-line block ×13, first 2 shown]
	v_sub_u32_e32 v10, v22, v2
	v_mov_b32_e32 v11, v9
	v_lshlrev_b64 v[10:11], 3, v[10:11]
	v_add_co_u32_e32 v10, vcc, v6, v10
	v_mov_b32_e32 v8, v23
	v_addc_co_u32_e32 v11, vcc, v7, v11, vcc
	s_or_b64 s[38:39], s[38:39], exec
	global_store_dwordx2 v[10:11], v[8:9], off
	s_or_b64 exec, exec, s[30:31]
	s_and_b64 exec, exec, s[38:39]
	s_cbranch_execnz .LBB186_135
	s_branch .LBB186_136
.LBB186_203:
	s_and_saveexec_b64 s[38:39], s[28:29]
	s_cbranch_execnz .LBB186_259
; %bb.204:
	s_or_b64 exec, exec, s[38:39]
	s_and_saveexec_b64 s[28:29], s[26:27]
	s_cbranch_execnz .LBB186_260
.LBB186_205:
	s_or_b64 exec, exec, s[28:29]
	s_and_saveexec_b64 s[26:27], s[24:25]
	s_cbranch_execnz .LBB186_261
.LBB186_206:
	s_or_b64 exec, exec, s[26:27]
	s_and_saveexec_b64 s[24:25], s[22:23]
	s_cbranch_execnz .LBB186_262
.LBB186_207:
	s_or_b64 exec, exec, s[24:25]
	s_and_saveexec_b64 s[22:23], s[20:21]
	s_cbranch_execnz .LBB186_263
.LBB186_208:
	s_or_b64 exec, exec, s[22:23]
	s_and_saveexec_b64 s[20:21], s[18:19]
	s_cbranch_execnz .LBB186_264
.LBB186_209:
	s_or_b64 exec, exec, s[20:21]
	s_and_saveexec_b64 s[18:19], s[16:17]
	s_cbranch_execnz .LBB186_265
.LBB186_210:
	s_or_b64 exec, exec, s[18:19]
	s_and_saveexec_b64 s[16:17], s[14:15]
	s_cbranch_execnz .LBB186_266
.LBB186_211:
	s_or_b64 exec, exec, s[16:17]
	s_and_saveexec_b64 s[14:15], s[12:13]
	s_cbranch_execnz .LBB186_267
.LBB186_212:
	s_or_b64 exec, exec, s[14:15]
	s_and_saveexec_b64 s[12:13], s[10:11]
	s_cbranch_execnz .LBB186_268
.LBB186_213:
	s_or_b64 exec, exec, s[12:13]
	s_and_saveexec_b64 s[10:11], s[8:9]
	s_cbranch_execnz .LBB186_269
.LBB186_214:
	s_or_b64 exec, exec, s[10:11]
	s_and_saveexec_b64 s[8:9], s[6:7]
	s_cbranch_execnz .LBB186_270
.LBB186_215:
	s_or_b64 exec, exec, s[8:9]
	s_and_saveexec_b64 s[6:7], s[4:5]
	s_cbranch_execnz .LBB186_271
.LBB186_216:
	s_or_b64 exec, exec, s[6:7]
	s_and_saveexec_b64 s[4:5], s[2:3]
	s_cbranch_execz .LBB186_218
.LBB186_217:
	v_sub_u32_e32 v3, v22, v2
	v_lshlrev_b32_e32 v3, 2, v3
	ds_write_b32 v3, v23
.LBB186_218:
	s_or_b64 exec, exec, s[4:5]
	s_and_b64 s[38:39], s[0:1], exec
                                        ; implicit-def: $vgpr22_vgpr23
                                        ; implicit-def: $vgpr26_vgpr27
                                        ; implicit-def: $vgpr28_vgpr29
                                        ; implicit-def: $vgpr50_vgpr51
                                        ; implicit-def: $vgpr48_vgpr49
                                        ; implicit-def: $vgpr46_vgpr47
                                        ; implicit-def: $vgpr44_vgpr45
                                        ; implicit-def: $vgpr42_vgpr43
                                        ; implicit-def: $vgpr40_vgpr41
                                        ; implicit-def: $vgpr38_vgpr39
                                        ; implicit-def: $vgpr36_vgpr37
                                        ; implicit-def: $vgpr34_vgpr35
                                        ; implicit-def: $vgpr32_vgpr33
                                        ; implicit-def: $vgpr30_vgpr31
	s_andn2_saveexec_b64 s[0:1], s[36:37]
	s_cbranch_execz .LBB186_141
.LBB186_219:
	v_sub_u32_e32 v3, v50, v2
	v_lshlrev_b32_e32 v3, 2, v3
	ds_write_b32 v3, v51
	v_sub_u32_e32 v3, v48, v2
	v_lshlrev_b32_e32 v3, 2, v3
	ds_write_b32 v3, v49
	;; [unrolled: 3-line block ×13, first 2 shown]
	v_sub_u32_e32 v3, v22, v2
	v_lshlrev_b32_e32 v3, 2, v3
	s_or_b64 s[38:39], s[38:39], exec
	ds_write_b32 v3, v23
	s_or_b64 exec, exec, s[0:1]
	s_and_b64 exec, exec, s[38:39]
	s_cbranch_execnz .LBB186_142
	s_branch .LBB186_143
.LBB186_220:
	v_sub_u32_e32 v3, v50, v18
	v_readfirstlane_b32 s40, v54
	v_readfirstlane_b32 s41, v17
	s_nop 4
	global_store_byte v3, v8, s[40:41]
	s_or_b64 exec, exec, s[38:39]
	s_and_saveexec_b64 s[38:39], s[26:27]
	s_cbranch_execz .LBB186_154
.LBB186_221:
	v_sub_u32_e32 v3, v48, v18
	v_readfirstlane_b32 s40, v54
	v_readfirstlane_b32 s41, v17
	s_nop 4
	global_store_byte v3, v66, s[40:41]
	s_or_b64 exec, exec, s[38:39]
	s_and_saveexec_b64 s[38:39], s[24:25]
	s_cbranch_execz .LBB186_155
.LBB186_222:
	v_sub_u32_e32 v3, v46, v18
	v_readfirstlane_b32 s40, v54
	v_readfirstlane_b32 s41, v17
	s_nop 4
	global_store_byte v3, v64, s[40:41]
	s_or_b64 exec, exec, s[38:39]
	s_and_saveexec_b64 s[38:39], s[22:23]
	s_cbranch_execz .LBB186_156
.LBB186_223:
	v_sub_u32_e32 v3, v44, v18
	v_readfirstlane_b32 s40, v54
	v_readfirstlane_b32 s41, v17
	s_nop 4
	global_store_byte v3, v62, s[40:41]
	s_or_b64 exec, exec, s[38:39]
	s_and_saveexec_b64 s[38:39], s[20:21]
	s_cbranch_execz .LBB186_157
.LBB186_224:
	v_sub_u32_e32 v3, v42, v18
	v_readfirstlane_b32 s40, v54
	v_readfirstlane_b32 s41, v17
	s_nop 4
	global_store_byte v3, v9, s[40:41]
	s_or_b64 exec, exec, s[38:39]
	s_and_saveexec_b64 s[38:39], s[18:19]
	s_cbranch_execz .LBB186_158
.LBB186_225:
	v_sub_u32_e32 v3, v40, v18
	v_readfirstlane_b32 s40, v54
	v_readfirstlane_b32 s41, v17
	s_nop 4
	global_store_byte v3, v60, s[40:41]
	s_or_b64 exec, exec, s[38:39]
	s_and_saveexec_b64 s[38:39], s[16:17]
	s_cbranch_execz .LBB186_159
.LBB186_226:
	v_sub_u32_e32 v3, v38, v18
	v_readfirstlane_b32 s40, v54
	v_readfirstlane_b32 s41, v17
	s_nop 4
	global_store_byte v3, v59, s[40:41]
	s_or_b64 exec, exec, s[38:39]
	s_and_saveexec_b64 s[38:39], s[14:15]
	s_cbranch_execz .LBB186_160
.LBB186_227:
	v_sub_u32_e32 v3, v36, v18
	v_readfirstlane_b32 s40, v54
	v_readfirstlane_b32 s41, v17
	s_nop 4
	global_store_byte v3, v58, s[40:41]
	s_or_b64 exec, exec, s[38:39]
	s_and_saveexec_b64 s[38:39], s[12:13]
	s_cbranch_execz .LBB186_161
.LBB186_228:
	v_sub_u32_e32 v3, v34, v18
	v_readfirstlane_b32 s40, v54
	v_readfirstlane_b32 s41, v17
	s_nop 4
	global_store_byte v3, v10, s[40:41]
	s_or_b64 exec, exec, s[38:39]
	s_and_saveexec_b64 s[38:39], s[10:11]
	s_cbranch_execz .LBB186_162
.LBB186_229:
	v_sub_u32_e32 v3, v32, v18
	v_readfirstlane_b32 s40, v54
	v_readfirstlane_b32 s41, v17
	s_nop 4
	global_store_byte v3, v57, s[40:41]
	s_or_b64 exec, exec, s[38:39]
	s_and_saveexec_b64 s[38:39], s[8:9]
	s_cbranch_execz .LBB186_163
.LBB186_230:
	v_sub_u32_e32 v3, v30, v18
	v_readfirstlane_b32 s40, v54
	v_readfirstlane_b32 s41, v17
	s_nop 4
	global_store_byte v3, v56, s[40:41]
	s_or_b64 exec, exec, s[38:39]
	s_and_saveexec_b64 s[38:39], s[6:7]
	s_cbranch_execz .LBB186_164
.LBB186_231:
	v_sub_u32_e32 v3, v28, v18
	v_readfirstlane_b32 s40, v54
	v_readfirstlane_b32 s41, v17
	s_nop 4
	global_store_byte v3, v55, s[40:41]
	s_or_b64 exec, exec, s[38:39]
	s_and_saveexec_b64 s[38:39], s[4:5]
	s_cbranch_execz .LBB186_165
.LBB186_232:
	v_sub_u32_e32 v3, v26, v18
	v_readfirstlane_b32 s40, v54
	v_readfirstlane_b32 s41, v17
	s_nop 4
	global_store_byte v3, v21, s[40:41]
	s_or_b64 exec, exec, s[38:39]
	s_and_saveexec_b64 s[38:39], s[2:3]
	s_cbranch_execnz .LBB186_166
	s_branch .LBB186_167
.LBB186_233:
	v_sub_u32_e32 v2, v50, v18
	ds_write_b8 v2, v8
	s_or_b64 exec, exec, s[38:39]
	s_and_saveexec_b64 s[28:29], s[26:27]
	s_cbranch_execz .LBB186_171
.LBB186_234:
	v_sub_u32_e32 v2, v48, v18
	ds_write_b8 v2, v66
	s_or_b64 exec, exec, s[28:29]
	s_and_saveexec_b64 s[26:27], s[24:25]
	s_cbranch_execz .LBB186_172
.LBB186_235:
	v_sub_u32_e32 v2, v46, v18
	ds_write_b8 v2, v64
	s_or_b64 exec, exec, s[26:27]
	s_and_saveexec_b64 s[24:25], s[22:23]
	s_cbranch_execz .LBB186_173
.LBB186_236:
	v_sub_u32_e32 v2, v44, v18
	ds_write_b8 v2, v62
	s_or_b64 exec, exec, s[24:25]
	s_and_saveexec_b64 s[22:23], s[20:21]
	s_cbranch_execz .LBB186_174
.LBB186_237:
	v_sub_u32_e32 v2, v42, v18
	ds_write_b8 v2, v9
	s_or_b64 exec, exec, s[22:23]
	s_and_saveexec_b64 s[20:21], s[18:19]
	s_cbranch_execz .LBB186_175
.LBB186_238:
	v_sub_u32_e32 v2, v40, v18
	ds_write_b8 v2, v60
	s_or_b64 exec, exec, s[20:21]
	s_and_saveexec_b64 s[18:19], s[16:17]
	s_cbranch_execz .LBB186_176
.LBB186_239:
	v_sub_u32_e32 v2, v38, v18
	ds_write_b8 v2, v59
	s_or_b64 exec, exec, s[18:19]
	s_and_saveexec_b64 s[16:17], s[14:15]
	s_cbranch_execz .LBB186_177
.LBB186_240:
	v_sub_u32_e32 v2, v36, v18
	ds_write_b8 v2, v58
	s_or_b64 exec, exec, s[16:17]
	s_and_saveexec_b64 s[14:15], s[12:13]
	s_cbranch_execz .LBB186_178
.LBB186_241:
	v_sub_u32_e32 v2, v34, v18
	ds_write_b8 v2, v10
	s_or_b64 exec, exec, s[14:15]
	s_and_saveexec_b64 s[12:13], s[10:11]
	s_cbranch_execz .LBB186_179
.LBB186_242:
	v_sub_u32_e32 v2, v32, v18
	ds_write_b8 v2, v57
	s_or_b64 exec, exec, s[12:13]
	s_and_saveexec_b64 s[10:11], s[8:9]
	s_cbranch_execz .LBB186_180
.LBB186_243:
	v_sub_u32_e32 v2, v30, v18
	ds_write_b8 v2, v56
	s_or_b64 exec, exec, s[10:11]
	s_and_saveexec_b64 s[8:9], s[6:7]
	s_cbranch_execz .LBB186_181
.LBB186_244:
	v_sub_u32_e32 v2, v28, v18
	ds_write_b8 v2, v55
	s_or_b64 exec, exec, s[8:9]
	s_and_saveexec_b64 s[6:7], s[4:5]
	s_cbranch_execz .LBB186_182
.LBB186_245:
	v_sub_u32_e32 v2, v26, v18
	ds_write_b8 v2, v21
	s_or_b64 exec, exec, s[6:7]
	s_and_saveexec_b64 s[4:5], s[2:3]
	s_cbranch_execnz .LBB186_183
	s_branch .LBB186_184
.LBB186_246:
	v_sub_u32_e32 v8, v50, v2
	v_mov_b32_e32 v9, 0
	v_lshlrev_b64 v[10:11], 3, v[8:9]
	v_add_co_u32_e32 v10, vcc, v6, v10
	v_addc_co_u32_e32 v11, vcc, v7, v11, vcc
	v_mov_b32_e32 v8, v51
	global_store_dwordx2 v[10:11], v[8:9], off
	s_or_b64 exec, exec, s[38:39]
	s_and_saveexec_b64 s[38:39], s[26:27]
	s_cbranch_execz .LBB186_188
.LBB186_247:
	v_sub_u32_e32 v8, v48, v2
	v_mov_b32_e32 v9, 0
	v_lshlrev_b64 v[10:11], 3, v[8:9]
	v_add_co_u32_e32 v10, vcc, v6, v10
	v_addc_co_u32_e32 v11, vcc, v7, v11, vcc
	v_mov_b32_e32 v8, v49
	global_store_dwordx2 v[10:11], v[8:9], off
	s_or_b64 exec, exec, s[38:39]
	s_and_saveexec_b64 s[38:39], s[24:25]
	s_cbranch_execz .LBB186_189
.LBB186_248:
	v_sub_u32_e32 v8, v46, v2
	v_mov_b32_e32 v9, 0
	v_lshlrev_b64 v[10:11], 3, v[8:9]
	v_add_co_u32_e32 v10, vcc, v6, v10
	v_addc_co_u32_e32 v11, vcc, v7, v11, vcc
	v_mov_b32_e32 v8, v47
	global_store_dwordx2 v[10:11], v[8:9], off
	s_or_b64 exec, exec, s[38:39]
	s_and_saveexec_b64 s[38:39], s[22:23]
	s_cbranch_execz .LBB186_190
.LBB186_249:
	v_sub_u32_e32 v8, v44, v2
	v_mov_b32_e32 v9, 0
	v_lshlrev_b64 v[10:11], 3, v[8:9]
	v_add_co_u32_e32 v10, vcc, v6, v10
	v_addc_co_u32_e32 v11, vcc, v7, v11, vcc
	v_mov_b32_e32 v8, v45
	global_store_dwordx2 v[10:11], v[8:9], off
	s_or_b64 exec, exec, s[38:39]
	s_and_saveexec_b64 s[38:39], s[20:21]
	s_cbranch_execz .LBB186_191
.LBB186_250:
	v_sub_u32_e32 v8, v42, v2
	v_mov_b32_e32 v9, 0
	v_lshlrev_b64 v[10:11], 3, v[8:9]
	v_add_co_u32_e32 v10, vcc, v6, v10
	v_addc_co_u32_e32 v11, vcc, v7, v11, vcc
	v_mov_b32_e32 v8, v43
	global_store_dwordx2 v[10:11], v[8:9], off
	s_or_b64 exec, exec, s[38:39]
	s_and_saveexec_b64 s[38:39], s[18:19]
	s_cbranch_execz .LBB186_192
.LBB186_251:
	v_sub_u32_e32 v8, v40, v2
	v_mov_b32_e32 v9, 0
	v_lshlrev_b64 v[10:11], 3, v[8:9]
	v_add_co_u32_e32 v10, vcc, v6, v10
	v_addc_co_u32_e32 v11, vcc, v7, v11, vcc
	v_mov_b32_e32 v8, v41
	global_store_dwordx2 v[10:11], v[8:9], off
	s_or_b64 exec, exec, s[38:39]
	s_and_saveexec_b64 s[38:39], s[16:17]
	s_cbranch_execz .LBB186_193
.LBB186_252:
	v_sub_u32_e32 v8, v38, v2
	v_mov_b32_e32 v9, 0
	v_lshlrev_b64 v[10:11], 3, v[8:9]
	v_add_co_u32_e32 v10, vcc, v6, v10
	v_addc_co_u32_e32 v11, vcc, v7, v11, vcc
	v_mov_b32_e32 v8, v39
	global_store_dwordx2 v[10:11], v[8:9], off
	s_or_b64 exec, exec, s[38:39]
	s_and_saveexec_b64 s[38:39], s[14:15]
	s_cbranch_execz .LBB186_194
.LBB186_253:
	v_sub_u32_e32 v8, v36, v2
	v_mov_b32_e32 v9, 0
	v_lshlrev_b64 v[10:11], 3, v[8:9]
	v_add_co_u32_e32 v10, vcc, v6, v10
	v_addc_co_u32_e32 v11, vcc, v7, v11, vcc
	v_mov_b32_e32 v8, v37
	global_store_dwordx2 v[10:11], v[8:9], off
	s_or_b64 exec, exec, s[38:39]
	s_and_saveexec_b64 s[38:39], s[12:13]
	s_cbranch_execz .LBB186_195
.LBB186_254:
	v_sub_u32_e32 v8, v34, v2
	v_mov_b32_e32 v9, 0
	v_lshlrev_b64 v[10:11], 3, v[8:9]
	v_add_co_u32_e32 v10, vcc, v6, v10
	v_addc_co_u32_e32 v11, vcc, v7, v11, vcc
	v_mov_b32_e32 v8, v35
	global_store_dwordx2 v[10:11], v[8:9], off
	s_or_b64 exec, exec, s[38:39]
	s_and_saveexec_b64 s[38:39], s[10:11]
	s_cbranch_execz .LBB186_196
.LBB186_255:
	v_sub_u32_e32 v8, v32, v2
	v_mov_b32_e32 v9, 0
	v_lshlrev_b64 v[10:11], 3, v[8:9]
	v_add_co_u32_e32 v10, vcc, v6, v10
	v_addc_co_u32_e32 v11, vcc, v7, v11, vcc
	v_mov_b32_e32 v8, v33
	global_store_dwordx2 v[10:11], v[8:9], off
	s_or_b64 exec, exec, s[38:39]
	s_and_saveexec_b64 s[38:39], s[8:9]
	s_cbranch_execz .LBB186_197
.LBB186_256:
	v_sub_u32_e32 v8, v30, v2
	v_mov_b32_e32 v9, 0
	v_lshlrev_b64 v[10:11], 3, v[8:9]
	v_add_co_u32_e32 v10, vcc, v6, v10
	v_addc_co_u32_e32 v11, vcc, v7, v11, vcc
	v_mov_b32_e32 v8, v31
	global_store_dwordx2 v[10:11], v[8:9], off
	s_or_b64 exec, exec, s[38:39]
	s_and_saveexec_b64 s[38:39], s[6:7]
	s_cbranch_execz .LBB186_198
.LBB186_257:
	v_sub_u32_e32 v8, v28, v2
	v_mov_b32_e32 v9, 0
	v_lshlrev_b64 v[10:11], 3, v[8:9]
	v_add_co_u32_e32 v10, vcc, v6, v10
	v_addc_co_u32_e32 v11, vcc, v7, v11, vcc
	v_mov_b32_e32 v8, v29
	global_store_dwordx2 v[10:11], v[8:9], off
	s_or_b64 exec, exec, s[38:39]
	s_and_saveexec_b64 s[38:39], s[4:5]
	s_cbranch_execz .LBB186_199
.LBB186_258:
	v_sub_u32_e32 v8, v26, v2
	v_mov_b32_e32 v9, 0
	v_lshlrev_b64 v[10:11], 3, v[8:9]
	v_add_co_u32_e32 v10, vcc, v6, v10
	v_addc_co_u32_e32 v11, vcc, v7, v11, vcc
	v_mov_b32_e32 v8, v27
	global_store_dwordx2 v[10:11], v[8:9], off
	s_or_b64 exec, exec, s[38:39]
	s_and_saveexec_b64 s[38:39], s[2:3]
	s_cbranch_execnz .LBB186_200
	s_branch .LBB186_201
.LBB186_259:
	v_sub_u32_e32 v3, v50, v2
	v_lshlrev_b32_e32 v3, 2, v3
	ds_write_b32 v3, v51
	s_or_b64 exec, exec, s[38:39]
	s_and_saveexec_b64 s[28:29], s[26:27]
	s_cbranch_execz .LBB186_205
.LBB186_260:
	v_sub_u32_e32 v3, v48, v2
	v_lshlrev_b32_e32 v3, 2, v3
	ds_write_b32 v3, v49
	s_or_b64 exec, exec, s[28:29]
	s_and_saveexec_b64 s[26:27], s[24:25]
	s_cbranch_execz .LBB186_206
.LBB186_261:
	v_sub_u32_e32 v3, v46, v2
	v_lshlrev_b32_e32 v3, 2, v3
	ds_write_b32 v3, v47
	s_or_b64 exec, exec, s[26:27]
	s_and_saveexec_b64 s[24:25], s[22:23]
	s_cbranch_execz .LBB186_207
.LBB186_262:
	v_sub_u32_e32 v3, v44, v2
	v_lshlrev_b32_e32 v3, 2, v3
	ds_write_b32 v3, v45
	s_or_b64 exec, exec, s[24:25]
	s_and_saveexec_b64 s[22:23], s[20:21]
	s_cbranch_execz .LBB186_208
.LBB186_263:
	v_sub_u32_e32 v3, v42, v2
	v_lshlrev_b32_e32 v3, 2, v3
	ds_write_b32 v3, v43
	s_or_b64 exec, exec, s[22:23]
	s_and_saveexec_b64 s[20:21], s[18:19]
	s_cbranch_execz .LBB186_209
.LBB186_264:
	v_sub_u32_e32 v3, v40, v2
	v_lshlrev_b32_e32 v3, 2, v3
	ds_write_b32 v3, v41
	s_or_b64 exec, exec, s[20:21]
	s_and_saveexec_b64 s[18:19], s[16:17]
	s_cbranch_execz .LBB186_210
.LBB186_265:
	v_sub_u32_e32 v3, v38, v2
	v_lshlrev_b32_e32 v3, 2, v3
	ds_write_b32 v3, v39
	s_or_b64 exec, exec, s[18:19]
	s_and_saveexec_b64 s[16:17], s[14:15]
	s_cbranch_execz .LBB186_211
.LBB186_266:
	v_sub_u32_e32 v3, v36, v2
	v_lshlrev_b32_e32 v3, 2, v3
	ds_write_b32 v3, v37
	s_or_b64 exec, exec, s[16:17]
	s_and_saveexec_b64 s[14:15], s[12:13]
	s_cbranch_execz .LBB186_212
.LBB186_267:
	v_sub_u32_e32 v3, v34, v2
	v_lshlrev_b32_e32 v3, 2, v3
	ds_write_b32 v3, v35
	s_or_b64 exec, exec, s[14:15]
	s_and_saveexec_b64 s[12:13], s[10:11]
	s_cbranch_execz .LBB186_213
.LBB186_268:
	v_sub_u32_e32 v3, v32, v2
	v_lshlrev_b32_e32 v3, 2, v3
	ds_write_b32 v3, v33
	s_or_b64 exec, exec, s[12:13]
	s_and_saveexec_b64 s[10:11], s[8:9]
	s_cbranch_execz .LBB186_214
.LBB186_269:
	v_sub_u32_e32 v3, v30, v2
	v_lshlrev_b32_e32 v3, 2, v3
	ds_write_b32 v3, v31
	s_or_b64 exec, exec, s[10:11]
	s_and_saveexec_b64 s[8:9], s[6:7]
	s_cbranch_execz .LBB186_215
.LBB186_270:
	v_sub_u32_e32 v3, v28, v2
	v_lshlrev_b32_e32 v3, 2, v3
	ds_write_b32 v3, v29
	s_or_b64 exec, exec, s[8:9]
	s_and_saveexec_b64 s[6:7], s[4:5]
	s_cbranch_execz .LBB186_216
.LBB186_271:
	v_sub_u32_e32 v3, v26, v2
	v_lshlrev_b32_e32 v3, 2, v3
	ds_write_b32 v3, v27
	s_or_b64 exec, exec, s[6:7]
	s_and_saveexec_b64 s[4:5], s[2:3]
	s_cbranch_execnz .LBB186_217
	s_branch .LBB186_218
	.section	.rodata,"a",@progbits
	.p2align	6, 0x0
	.amdhsa_kernel _ZN7rocprim17ROCPRIM_400000_NS6detail17trampoline_kernelINS0_14default_configENS1_33run_length_encode_config_selectorIhjNS0_4plusIjEEEEZZNS1_33reduce_by_key_impl_wrapped_configILNS1_25lookback_scan_determinismE0ES3_S7_PKhNS0_17constant_iteratorIjlEEPhPlSF_S6_NS0_8equal_toIhEEEE10hipError_tPvRmT2_T3_mT4_T5_T6_T7_T8_P12ihipStream_tbENKUlT_T0_E_clISt17integral_constantIbLb1EESY_IbLb0EEEEDaSU_SV_EUlSU_E_NS1_11comp_targetILNS1_3genE4ELNS1_11target_archE910ELNS1_3gpuE8ELNS1_3repE0EEENS1_30default_config_static_selectorELNS0_4arch9wavefront6targetE1EEEvT1_
		.amdhsa_group_segment_fixed_size 15360
		.amdhsa_private_segment_fixed_size 0
		.amdhsa_kernarg_size 128
		.amdhsa_user_sgpr_count 6
		.amdhsa_user_sgpr_private_segment_buffer 1
		.amdhsa_user_sgpr_dispatch_ptr 0
		.amdhsa_user_sgpr_queue_ptr 0
		.amdhsa_user_sgpr_kernarg_segment_ptr 1
		.amdhsa_user_sgpr_dispatch_id 0
		.amdhsa_user_sgpr_flat_scratch_init 0
		.amdhsa_user_sgpr_kernarg_preload_length 0
		.amdhsa_user_sgpr_kernarg_preload_offset 0
		.amdhsa_user_sgpr_private_segment_size 0
		.amdhsa_uses_dynamic_stack 0
		.amdhsa_system_sgpr_private_segment_wavefront_offset 0
		.amdhsa_system_sgpr_workgroup_id_x 1
		.amdhsa_system_sgpr_workgroup_id_y 0
		.amdhsa_system_sgpr_workgroup_id_z 0
		.amdhsa_system_sgpr_workgroup_info 0
		.amdhsa_system_vgpr_workitem_id 0
		.amdhsa_next_free_vgpr 115
		.amdhsa_next_free_sgpr 64
		.amdhsa_accum_offset 116
		.amdhsa_reserve_vcc 1
		.amdhsa_reserve_flat_scratch 0
		.amdhsa_float_round_mode_32 0
		.amdhsa_float_round_mode_16_64 0
		.amdhsa_float_denorm_mode_32 3
		.amdhsa_float_denorm_mode_16_64 3
		.amdhsa_dx10_clamp 1
		.amdhsa_ieee_mode 1
		.amdhsa_fp16_overflow 0
		.amdhsa_tg_split 0
		.amdhsa_exception_fp_ieee_invalid_op 0
		.amdhsa_exception_fp_denorm_src 0
		.amdhsa_exception_fp_ieee_div_zero 0
		.amdhsa_exception_fp_ieee_overflow 0
		.amdhsa_exception_fp_ieee_underflow 0
		.amdhsa_exception_fp_ieee_inexact 0
		.amdhsa_exception_int_div_zero 0
	.end_amdhsa_kernel
	.section	.text._ZN7rocprim17ROCPRIM_400000_NS6detail17trampoline_kernelINS0_14default_configENS1_33run_length_encode_config_selectorIhjNS0_4plusIjEEEEZZNS1_33reduce_by_key_impl_wrapped_configILNS1_25lookback_scan_determinismE0ES3_S7_PKhNS0_17constant_iteratorIjlEEPhPlSF_S6_NS0_8equal_toIhEEEE10hipError_tPvRmT2_T3_mT4_T5_T6_T7_T8_P12ihipStream_tbENKUlT_T0_E_clISt17integral_constantIbLb1EESY_IbLb0EEEEDaSU_SV_EUlSU_E_NS1_11comp_targetILNS1_3genE4ELNS1_11target_archE910ELNS1_3gpuE8ELNS1_3repE0EEENS1_30default_config_static_selectorELNS0_4arch9wavefront6targetE1EEEvT1_,"axG",@progbits,_ZN7rocprim17ROCPRIM_400000_NS6detail17trampoline_kernelINS0_14default_configENS1_33run_length_encode_config_selectorIhjNS0_4plusIjEEEEZZNS1_33reduce_by_key_impl_wrapped_configILNS1_25lookback_scan_determinismE0ES3_S7_PKhNS0_17constant_iteratorIjlEEPhPlSF_S6_NS0_8equal_toIhEEEE10hipError_tPvRmT2_T3_mT4_T5_T6_T7_T8_P12ihipStream_tbENKUlT_T0_E_clISt17integral_constantIbLb1EESY_IbLb0EEEEDaSU_SV_EUlSU_E_NS1_11comp_targetILNS1_3genE4ELNS1_11target_archE910ELNS1_3gpuE8ELNS1_3repE0EEENS1_30default_config_static_selectorELNS0_4arch9wavefront6targetE1EEEvT1_,comdat
.Lfunc_end186:
	.size	_ZN7rocprim17ROCPRIM_400000_NS6detail17trampoline_kernelINS0_14default_configENS1_33run_length_encode_config_selectorIhjNS0_4plusIjEEEEZZNS1_33reduce_by_key_impl_wrapped_configILNS1_25lookback_scan_determinismE0ES3_S7_PKhNS0_17constant_iteratorIjlEEPhPlSF_S6_NS0_8equal_toIhEEEE10hipError_tPvRmT2_T3_mT4_T5_T6_T7_T8_P12ihipStream_tbENKUlT_T0_E_clISt17integral_constantIbLb1EESY_IbLb0EEEEDaSU_SV_EUlSU_E_NS1_11comp_targetILNS1_3genE4ELNS1_11target_archE910ELNS1_3gpuE8ELNS1_3repE0EEENS1_30default_config_static_selectorELNS0_4arch9wavefront6targetE1EEEvT1_, .Lfunc_end186-_ZN7rocprim17ROCPRIM_400000_NS6detail17trampoline_kernelINS0_14default_configENS1_33run_length_encode_config_selectorIhjNS0_4plusIjEEEEZZNS1_33reduce_by_key_impl_wrapped_configILNS1_25lookback_scan_determinismE0ES3_S7_PKhNS0_17constant_iteratorIjlEEPhPlSF_S6_NS0_8equal_toIhEEEE10hipError_tPvRmT2_T3_mT4_T5_T6_T7_T8_P12ihipStream_tbENKUlT_T0_E_clISt17integral_constantIbLb1EESY_IbLb0EEEEDaSU_SV_EUlSU_E_NS1_11comp_targetILNS1_3genE4ELNS1_11target_archE910ELNS1_3gpuE8ELNS1_3repE0EEENS1_30default_config_static_selectorELNS0_4arch9wavefront6targetE1EEEvT1_
                                        ; -- End function
	.section	.AMDGPU.csdata,"",@progbits
; Kernel info:
; codeLenInByte = 14588
; NumSgprs: 68
; NumVgprs: 115
; NumAgprs: 0
; TotalNumVgprs: 115
; ScratchSize: 0
; MemoryBound: 0
; FloatMode: 240
; IeeeMode: 1
; LDSByteSize: 15360 bytes/workgroup (compile time only)
; SGPRBlocks: 8
; VGPRBlocks: 14
; NumSGPRsForWavesPerEU: 68
; NumVGPRsForWavesPerEU: 115
; AccumOffset: 116
; Occupancy: 4
; WaveLimiterHint : 1
; COMPUTE_PGM_RSRC2:SCRATCH_EN: 0
; COMPUTE_PGM_RSRC2:USER_SGPR: 6
; COMPUTE_PGM_RSRC2:TRAP_HANDLER: 0
; COMPUTE_PGM_RSRC2:TGID_X_EN: 1
; COMPUTE_PGM_RSRC2:TGID_Y_EN: 0
; COMPUTE_PGM_RSRC2:TGID_Z_EN: 0
; COMPUTE_PGM_RSRC2:TIDIG_COMP_CNT: 0
; COMPUTE_PGM_RSRC3_GFX90A:ACCUM_OFFSET: 28
; COMPUTE_PGM_RSRC3_GFX90A:TG_SPLIT: 0
	.section	.text._ZN7rocprim17ROCPRIM_400000_NS6detail17trampoline_kernelINS0_14default_configENS1_33run_length_encode_config_selectorIhjNS0_4plusIjEEEEZZNS1_33reduce_by_key_impl_wrapped_configILNS1_25lookback_scan_determinismE0ES3_S7_PKhNS0_17constant_iteratorIjlEEPhPlSF_S6_NS0_8equal_toIhEEEE10hipError_tPvRmT2_T3_mT4_T5_T6_T7_T8_P12ihipStream_tbENKUlT_T0_E_clISt17integral_constantIbLb1EESY_IbLb0EEEEDaSU_SV_EUlSU_E_NS1_11comp_targetILNS1_3genE3ELNS1_11target_archE908ELNS1_3gpuE7ELNS1_3repE0EEENS1_30default_config_static_selectorELNS0_4arch9wavefront6targetE1EEEvT1_,"axG",@progbits,_ZN7rocprim17ROCPRIM_400000_NS6detail17trampoline_kernelINS0_14default_configENS1_33run_length_encode_config_selectorIhjNS0_4plusIjEEEEZZNS1_33reduce_by_key_impl_wrapped_configILNS1_25lookback_scan_determinismE0ES3_S7_PKhNS0_17constant_iteratorIjlEEPhPlSF_S6_NS0_8equal_toIhEEEE10hipError_tPvRmT2_T3_mT4_T5_T6_T7_T8_P12ihipStream_tbENKUlT_T0_E_clISt17integral_constantIbLb1EESY_IbLb0EEEEDaSU_SV_EUlSU_E_NS1_11comp_targetILNS1_3genE3ELNS1_11target_archE908ELNS1_3gpuE7ELNS1_3repE0EEENS1_30default_config_static_selectorELNS0_4arch9wavefront6targetE1EEEvT1_,comdat
	.protected	_ZN7rocprim17ROCPRIM_400000_NS6detail17trampoline_kernelINS0_14default_configENS1_33run_length_encode_config_selectorIhjNS0_4plusIjEEEEZZNS1_33reduce_by_key_impl_wrapped_configILNS1_25lookback_scan_determinismE0ES3_S7_PKhNS0_17constant_iteratorIjlEEPhPlSF_S6_NS0_8equal_toIhEEEE10hipError_tPvRmT2_T3_mT4_T5_T6_T7_T8_P12ihipStream_tbENKUlT_T0_E_clISt17integral_constantIbLb1EESY_IbLb0EEEEDaSU_SV_EUlSU_E_NS1_11comp_targetILNS1_3genE3ELNS1_11target_archE908ELNS1_3gpuE7ELNS1_3repE0EEENS1_30default_config_static_selectorELNS0_4arch9wavefront6targetE1EEEvT1_ ; -- Begin function _ZN7rocprim17ROCPRIM_400000_NS6detail17trampoline_kernelINS0_14default_configENS1_33run_length_encode_config_selectorIhjNS0_4plusIjEEEEZZNS1_33reduce_by_key_impl_wrapped_configILNS1_25lookback_scan_determinismE0ES3_S7_PKhNS0_17constant_iteratorIjlEEPhPlSF_S6_NS0_8equal_toIhEEEE10hipError_tPvRmT2_T3_mT4_T5_T6_T7_T8_P12ihipStream_tbENKUlT_T0_E_clISt17integral_constantIbLb1EESY_IbLb0EEEEDaSU_SV_EUlSU_E_NS1_11comp_targetILNS1_3genE3ELNS1_11target_archE908ELNS1_3gpuE7ELNS1_3repE0EEENS1_30default_config_static_selectorELNS0_4arch9wavefront6targetE1EEEvT1_
	.globl	_ZN7rocprim17ROCPRIM_400000_NS6detail17trampoline_kernelINS0_14default_configENS1_33run_length_encode_config_selectorIhjNS0_4plusIjEEEEZZNS1_33reduce_by_key_impl_wrapped_configILNS1_25lookback_scan_determinismE0ES3_S7_PKhNS0_17constant_iteratorIjlEEPhPlSF_S6_NS0_8equal_toIhEEEE10hipError_tPvRmT2_T3_mT4_T5_T6_T7_T8_P12ihipStream_tbENKUlT_T0_E_clISt17integral_constantIbLb1EESY_IbLb0EEEEDaSU_SV_EUlSU_E_NS1_11comp_targetILNS1_3genE3ELNS1_11target_archE908ELNS1_3gpuE7ELNS1_3repE0EEENS1_30default_config_static_selectorELNS0_4arch9wavefront6targetE1EEEvT1_
	.p2align	8
	.type	_ZN7rocprim17ROCPRIM_400000_NS6detail17trampoline_kernelINS0_14default_configENS1_33run_length_encode_config_selectorIhjNS0_4plusIjEEEEZZNS1_33reduce_by_key_impl_wrapped_configILNS1_25lookback_scan_determinismE0ES3_S7_PKhNS0_17constant_iteratorIjlEEPhPlSF_S6_NS0_8equal_toIhEEEE10hipError_tPvRmT2_T3_mT4_T5_T6_T7_T8_P12ihipStream_tbENKUlT_T0_E_clISt17integral_constantIbLb1EESY_IbLb0EEEEDaSU_SV_EUlSU_E_NS1_11comp_targetILNS1_3genE3ELNS1_11target_archE908ELNS1_3gpuE7ELNS1_3repE0EEENS1_30default_config_static_selectorELNS0_4arch9wavefront6targetE1EEEvT1_,@function
_ZN7rocprim17ROCPRIM_400000_NS6detail17trampoline_kernelINS0_14default_configENS1_33run_length_encode_config_selectorIhjNS0_4plusIjEEEEZZNS1_33reduce_by_key_impl_wrapped_configILNS1_25lookback_scan_determinismE0ES3_S7_PKhNS0_17constant_iteratorIjlEEPhPlSF_S6_NS0_8equal_toIhEEEE10hipError_tPvRmT2_T3_mT4_T5_T6_T7_T8_P12ihipStream_tbENKUlT_T0_E_clISt17integral_constantIbLb1EESY_IbLb0EEEEDaSU_SV_EUlSU_E_NS1_11comp_targetILNS1_3genE3ELNS1_11target_archE908ELNS1_3gpuE7ELNS1_3repE0EEENS1_30default_config_static_selectorELNS0_4arch9wavefront6targetE1EEEvT1_: ; @_ZN7rocprim17ROCPRIM_400000_NS6detail17trampoline_kernelINS0_14default_configENS1_33run_length_encode_config_selectorIhjNS0_4plusIjEEEEZZNS1_33reduce_by_key_impl_wrapped_configILNS1_25lookback_scan_determinismE0ES3_S7_PKhNS0_17constant_iteratorIjlEEPhPlSF_S6_NS0_8equal_toIhEEEE10hipError_tPvRmT2_T3_mT4_T5_T6_T7_T8_P12ihipStream_tbENKUlT_T0_E_clISt17integral_constantIbLb1EESY_IbLb0EEEEDaSU_SV_EUlSU_E_NS1_11comp_targetILNS1_3genE3ELNS1_11target_archE908ELNS1_3gpuE7ELNS1_3repE0EEENS1_30default_config_static_selectorELNS0_4arch9wavefront6targetE1EEEvT1_
; %bb.0:
	.section	.rodata,"a",@progbits
	.p2align	6, 0x0
	.amdhsa_kernel _ZN7rocprim17ROCPRIM_400000_NS6detail17trampoline_kernelINS0_14default_configENS1_33run_length_encode_config_selectorIhjNS0_4plusIjEEEEZZNS1_33reduce_by_key_impl_wrapped_configILNS1_25lookback_scan_determinismE0ES3_S7_PKhNS0_17constant_iteratorIjlEEPhPlSF_S6_NS0_8equal_toIhEEEE10hipError_tPvRmT2_T3_mT4_T5_T6_T7_T8_P12ihipStream_tbENKUlT_T0_E_clISt17integral_constantIbLb1EESY_IbLb0EEEEDaSU_SV_EUlSU_E_NS1_11comp_targetILNS1_3genE3ELNS1_11target_archE908ELNS1_3gpuE7ELNS1_3repE0EEENS1_30default_config_static_selectorELNS0_4arch9wavefront6targetE1EEEvT1_
		.amdhsa_group_segment_fixed_size 0
		.amdhsa_private_segment_fixed_size 0
		.amdhsa_kernarg_size 128
		.amdhsa_user_sgpr_count 6
		.amdhsa_user_sgpr_private_segment_buffer 1
		.amdhsa_user_sgpr_dispatch_ptr 0
		.amdhsa_user_sgpr_queue_ptr 0
		.amdhsa_user_sgpr_kernarg_segment_ptr 1
		.amdhsa_user_sgpr_dispatch_id 0
		.amdhsa_user_sgpr_flat_scratch_init 0
		.amdhsa_user_sgpr_kernarg_preload_length 0
		.amdhsa_user_sgpr_kernarg_preload_offset 0
		.amdhsa_user_sgpr_private_segment_size 0
		.amdhsa_uses_dynamic_stack 0
		.amdhsa_system_sgpr_private_segment_wavefront_offset 0
		.amdhsa_system_sgpr_workgroup_id_x 1
		.amdhsa_system_sgpr_workgroup_id_y 0
		.amdhsa_system_sgpr_workgroup_id_z 0
		.amdhsa_system_sgpr_workgroup_info 0
		.amdhsa_system_vgpr_workitem_id 0
		.amdhsa_next_free_vgpr 1
		.amdhsa_next_free_sgpr 0
		.amdhsa_accum_offset 4
		.amdhsa_reserve_vcc 0
		.amdhsa_reserve_flat_scratch 0
		.amdhsa_float_round_mode_32 0
		.amdhsa_float_round_mode_16_64 0
		.amdhsa_float_denorm_mode_32 3
		.amdhsa_float_denorm_mode_16_64 3
		.amdhsa_dx10_clamp 1
		.amdhsa_ieee_mode 1
		.amdhsa_fp16_overflow 0
		.amdhsa_tg_split 0
		.amdhsa_exception_fp_ieee_invalid_op 0
		.amdhsa_exception_fp_denorm_src 0
		.amdhsa_exception_fp_ieee_div_zero 0
		.amdhsa_exception_fp_ieee_overflow 0
		.amdhsa_exception_fp_ieee_underflow 0
		.amdhsa_exception_fp_ieee_inexact 0
		.amdhsa_exception_int_div_zero 0
	.end_amdhsa_kernel
	.section	.text._ZN7rocprim17ROCPRIM_400000_NS6detail17trampoline_kernelINS0_14default_configENS1_33run_length_encode_config_selectorIhjNS0_4plusIjEEEEZZNS1_33reduce_by_key_impl_wrapped_configILNS1_25lookback_scan_determinismE0ES3_S7_PKhNS0_17constant_iteratorIjlEEPhPlSF_S6_NS0_8equal_toIhEEEE10hipError_tPvRmT2_T3_mT4_T5_T6_T7_T8_P12ihipStream_tbENKUlT_T0_E_clISt17integral_constantIbLb1EESY_IbLb0EEEEDaSU_SV_EUlSU_E_NS1_11comp_targetILNS1_3genE3ELNS1_11target_archE908ELNS1_3gpuE7ELNS1_3repE0EEENS1_30default_config_static_selectorELNS0_4arch9wavefront6targetE1EEEvT1_,"axG",@progbits,_ZN7rocprim17ROCPRIM_400000_NS6detail17trampoline_kernelINS0_14default_configENS1_33run_length_encode_config_selectorIhjNS0_4plusIjEEEEZZNS1_33reduce_by_key_impl_wrapped_configILNS1_25lookback_scan_determinismE0ES3_S7_PKhNS0_17constant_iteratorIjlEEPhPlSF_S6_NS0_8equal_toIhEEEE10hipError_tPvRmT2_T3_mT4_T5_T6_T7_T8_P12ihipStream_tbENKUlT_T0_E_clISt17integral_constantIbLb1EESY_IbLb0EEEEDaSU_SV_EUlSU_E_NS1_11comp_targetILNS1_3genE3ELNS1_11target_archE908ELNS1_3gpuE7ELNS1_3repE0EEENS1_30default_config_static_selectorELNS0_4arch9wavefront6targetE1EEEvT1_,comdat
.Lfunc_end187:
	.size	_ZN7rocprim17ROCPRIM_400000_NS6detail17trampoline_kernelINS0_14default_configENS1_33run_length_encode_config_selectorIhjNS0_4plusIjEEEEZZNS1_33reduce_by_key_impl_wrapped_configILNS1_25lookback_scan_determinismE0ES3_S7_PKhNS0_17constant_iteratorIjlEEPhPlSF_S6_NS0_8equal_toIhEEEE10hipError_tPvRmT2_T3_mT4_T5_T6_T7_T8_P12ihipStream_tbENKUlT_T0_E_clISt17integral_constantIbLb1EESY_IbLb0EEEEDaSU_SV_EUlSU_E_NS1_11comp_targetILNS1_3genE3ELNS1_11target_archE908ELNS1_3gpuE7ELNS1_3repE0EEENS1_30default_config_static_selectorELNS0_4arch9wavefront6targetE1EEEvT1_, .Lfunc_end187-_ZN7rocprim17ROCPRIM_400000_NS6detail17trampoline_kernelINS0_14default_configENS1_33run_length_encode_config_selectorIhjNS0_4plusIjEEEEZZNS1_33reduce_by_key_impl_wrapped_configILNS1_25lookback_scan_determinismE0ES3_S7_PKhNS0_17constant_iteratorIjlEEPhPlSF_S6_NS0_8equal_toIhEEEE10hipError_tPvRmT2_T3_mT4_T5_T6_T7_T8_P12ihipStream_tbENKUlT_T0_E_clISt17integral_constantIbLb1EESY_IbLb0EEEEDaSU_SV_EUlSU_E_NS1_11comp_targetILNS1_3genE3ELNS1_11target_archE908ELNS1_3gpuE7ELNS1_3repE0EEENS1_30default_config_static_selectorELNS0_4arch9wavefront6targetE1EEEvT1_
                                        ; -- End function
	.section	.AMDGPU.csdata,"",@progbits
; Kernel info:
; codeLenInByte = 0
; NumSgprs: 4
; NumVgprs: 0
; NumAgprs: 0
; TotalNumVgprs: 0
; ScratchSize: 0
; MemoryBound: 0
; FloatMode: 240
; IeeeMode: 1
; LDSByteSize: 0 bytes/workgroup (compile time only)
; SGPRBlocks: 0
; VGPRBlocks: 0
; NumSGPRsForWavesPerEU: 4
; NumVGPRsForWavesPerEU: 1
; AccumOffset: 4
; Occupancy: 8
; WaveLimiterHint : 0
; COMPUTE_PGM_RSRC2:SCRATCH_EN: 0
; COMPUTE_PGM_RSRC2:USER_SGPR: 6
; COMPUTE_PGM_RSRC2:TRAP_HANDLER: 0
; COMPUTE_PGM_RSRC2:TGID_X_EN: 1
; COMPUTE_PGM_RSRC2:TGID_Y_EN: 0
; COMPUTE_PGM_RSRC2:TGID_Z_EN: 0
; COMPUTE_PGM_RSRC2:TIDIG_COMP_CNT: 0
; COMPUTE_PGM_RSRC3_GFX90A:ACCUM_OFFSET: 0
; COMPUTE_PGM_RSRC3_GFX90A:TG_SPLIT: 0
	.section	.text._ZN7rocprim17ROCPRIM_400000_NS6detail17trampoline_kernelINS0_14default_configENS1_33run_length_encode_config_selectorIhjNS0_4plusIjEEEEZZNS1_33reduce_by_key_impl_wrapped_configILNS1_25lookback_scan_determinismE0ES3_S7_PKhNS0_17constant_iteratorIjlEEPhPlSF_S6_NS0_8equal_toIhEEEE10hipError_tPvRmT2_T3_mT4_T5_T6_T7_T8_P12ihipStream_tbENKUlT_T0_E_clISt17integral_constantIbLb1EESY_IbLb0EEEEDaSU_SV_EUlSU_E_NS1_11comp_targetILNS1_3genE2ELNS1_11target_archE906ELNS1_3gpuE6ELNS1_3repE0EEENS1_30default_config_static_selectorELNS0_4arch9wavefront6targetE1EEEvT1_,"axG",@progbits,_ZN7rocprim17ROCPRIM_400000_NS6detail17trampoline_kernelINS0_14default_configENS1_33run_length_encode_config_selectorIhjNS0_4plusIjEEEEZZNS1_33reduce_by_key_impl_wrapped_configILNS1_25lookback_scan_determinismE0ES3_S7_PKhNS0_17constant_iteratorIjlEEPhPlSF_S6_NS0_8equal_toIhEEEE10hipError_tPvRmT2_T3_mT4_T5_T6_T7_T8_P12ihipStream_tbENKUlT_T0_E_clISt17integral_constantIbLb1EESY_IbLb0EEEEDaSU_SV_EUlSU_E_NS1_11comp_targetILNS1_3genE2ELNS1_11target_archE906ELNS1_3gpuE6ELNS1_3repE0EEENS1_30default_config_static_selectorELNS0_4arch9wavefront6targetE1EEEvT1_,comdat
	.protected	_ZN7rocprim17ROCPRIM_400000_NS6detail17trampoline_kernelINS0_14default_configENS1_33run_length_encode_config_selectorIhjNS0_4plusIjEEEEZZNS1_33reduce_by_key_impl_wrapped_configILNS1_25lookback_scan_determinismE0ES3_S7_PKhNS0_17constant_iteratorIjlEEPhPlSF_S6_NS0_8equal_toIhEEEE10hipError_tPvRmT2_T3_mT4_T5_T6_T7_T8_P12ihipStream_tbENKUlT_T0_E_clISt17integral_constantIbLb1EESY_IbLb0EEEEDaSU_SV_EUlSU_E_NS1_11comp_targetILNS1_3genE2ELNS1_11target_archE906ELNS1_3gpuE6ELNS1_3repE0EEENS1_30default_config_static_selectorELNS0_4arch9wavefront6targetE1EEEvT1_ ; -- Begin function _ZN7rocprim17ROCPRIM_400000_NS6detail17trampoline_kernelINS0_14default_configENS1_33run_length_encode_config_selectorIhjNS0_4plusIjEEEEZZNS1_33reduce_by_key_impl_wrapped_configILNS1_25lookback_scan_determinismE0ES3_S7_PKhNS0_17constant_iteratorIjlEEPhPlSF_S6_NS0_8equal_toIhEEEE10hipError_tPvRmT2_T3_mT4_T5_T6_T7_T8_P12ihipStream_tbENKUlT_T0_E_clISt17integral_constantIbLb1EESY_IbLb0EEEEDaSU_SV_EUlSU_E_NS1_11comp_targetILNS1_3genE2ELNS1_11target_archE906ELNS1_3gpuE6ELNS1_3repE0EEENS1_30default_config_static_selectorELNS0_4arch9wavefront6targetE1EEEvT1_
	.globl	_ZN7rocprim17ROCPRIM_400000_NS6detail17trampoline_kernelINS0_14default_configENS1_33run_length_encode_config_selectorIhjNS0_4plusIjEEEEZZNS1_33reduce_by_key_impl_wrapped_configILNS1_25lookback_scan_determinismE0ES3_S7_PKhNS0_17constant_iteratorIjlEEPhPlSF_S6_NS0_8equal_toIhEEEE10hipError_tPvRmT2_T3_mT4_T5_T6_T7_T8_P12ihipStream_tbENKUlT_T0_E_clISt17integral_constantIbLb1EESY_IbLb0EEEEDaSU_SV_EUlSU_E_NS1_11comp_targetILNS1_3genE2ELNS1_11target_archE906ELNS1_3gpuE6ELNS1_3repE0EEENS1_30default_config_static_selectorELNS0_4arch9wavefront6targetE1EEEvT1_
	.p2align	8
	.type	_ZN7rocprim17ROCPRIM_400000_NS6detail17trampoline_kernelINS0_14default_configENS1_33run_length_encode_config_selectorIhjNS0_4plusIjEEEEZZNS1_33reduce_by_key_impl_wrapped_configILNS1_25lookback_scan_determinismE0ES3_S7_PKhNS0_17constant_iteratorIjlEEPhPlSF_S6_NS0_8equal_toIhEEEE10hipError_tPvRmT2_T3_mT4_T5_T6_T7_T8_P12ihipStream_tbENKUlT_T0_E_clISt17integral_constantIbLb1EESY_IbLb0EEEEDaSU_SV_EUlSU_E_NS1_11comp_targetILNS1_3genE2ELNS1_11target_archE906ELNS1_3gpuE6ELNS1_3repE0EEENS1_30default_config_static_selectorELNS0_4arch9wavefront6targetE1EEEvT1_,@function
_ZN7rocprim17ROCPRIM_400000_NS6detail17trampoline_kernelINS0_14default_configENS1_33run_length_encode_config_selectorIhjNS0_4plusIjEEEEZZNS1_33reduce_by_key_impl_wrapped_configILNS1_25lookback_scan_determinismE0ES3_S7_PKhNS0_17constant_iteratorIjlEEPhPlSF_S6_NS0_8equal_toIhEEEE10hipError_tPvRmT2_T3_mT4_T5_T6_T7_T8_P12ihipStream_tbENKUlT_T0_E_clISt17integral_constantIbLb1EESY_IbLb0EEEEDaSU_SV_EUlSU_E_NS1_11comp_targetILNS1_3genE2ELNS1_11target_archE906ELNS1_3gpuE6ELNS1_3repE0EEENS1_30default_config_static_selectorELNS0_4arch9wavefront6targetE1EEEvT1_: ; @_ZN7rocprim17ROCPRIM_400000_NS6detail17trampoline_kernelINS0_14default_configENS1_33run_length_encode_config_selectorIhjNS0_4plusIjEEEEZZNS1_33reduce_by_key_impl_wrapped_configILNS1_25lookback_scan_determinismE0ES3_S7_PKhNS0_17constant_iteratorIjlEEPhPlSF_S6_NS0_8equal_toIhEEEE10hipError_tPvRmT2_T3_mT4_T5_T6_T7_T8_P12ihipStream_tbENKUlT_T0_E_clISt17integral_constantIbLb1EESY_IbLb0EEEEDaSU_SV_EUlSU_E_NS1_11comp_targetILNS1_3genE2ELNS1_11target_archE906ELNS1_3gpuE6ELNS1_3repE0EEENS1_30default_config_static_selectorELNS0_4arch9wavefront6targetE1EEEvT1_
; %bb.0:
	.section	.rodata,"a",@progbits
	.p2align	6, 0x0
	.amdhsa_kernel _ZN7rocprim17ROCPRIM_400000_NS6detail17trampoline_kernelINS0_14default_configENS1_33run_length_encode_config_selectorIhjNS0_4plusIjEEEEZZNS1_33reduce_by_key_impl_wrapped_configILNS1_25lookback_scan_determinismE0ES3_S7_PKhNS0_17constant_iteratorIjlEEPhPlSF_S6_NS0_8equal_toIhEEEE10hipError_tPvRmT2_T3_mT4_T5_T6_T7_T8_P12ihipStream_tbENKUlT_T0_E_clISt17integral_constantIbLb1EESY_IbLb0EEEEDaSU_SV_EUlSU_E_NS1_11comp_targetILNS1_3genE2ELNS1_11target_archE906ELNS1_3gpuE6ELNS1_3repE0EEENS1_30default_config_static_selectorELNS0_4arch9wavefront6targetE1EEEvT1_
		.amdhsa_group_segment_fixed_size 0
		.amdhsa_private_segment_fixed_size 0
		.amdhsa_kernarg_size 128
		.amdhsa_user_sgpr_count 6
		.amdhsa_user_sgpr_private_segment_buffer 1
		.amdhsa_user_sgpr_dispatch_ptr 0
		.amdhsa_user_sgpr_queue_ptr 0
		.amdhsa_user_sgpr_kernarg_segment_ptr 1
		.amdhsa_user_sgpr_dispatch_id 0
		.amdhsa_user_sgpr_flat_scratch_init 0
		.amdhsa_user_sgpr_kernarg_preload_length 0
		.amdhsa_user_sgpr_kernarg_preload_offset 0
		.amdhsa_user_sgpr_private_segment_size 0
		.amdhsa_uses_dynamic_stack 0
		.amdhsa_system_sgpr_private_segment_wavefront_offset 0
		.amdhsa_system_sgpr_workgroup_id_x 1
		.amdhsa_system_sgpr_workgroup_id_y 0
		.amdhsa_system_sgpr_workgroup_id_z 0
		.amdhsa_system_sgpr_workgroup_info 0
		.amdhsa_system_vgpr_workitem_id 0
		.amdhsa_next_free_vgpr 1
		.amdhsa_next_free_sgpr 0
		.amdhsa_accum_offset 4
		.amdhsa_reserve_vcc 0
		.amdhsa_reserve_flat_scratch 0
		.amdhsa_float_round_mode_32 0
		.amdhsa_float_round_mode_16_64 0
		.amdhsa_float_denorm_mode_32 3
		.amdhsa_float_denorm_mode_16_64 3
		.amdhsa_dx10_clamp 1
		.amdhsa_ieee_mode 1
		.amdhsa_fp16_overflow 0
		.amdhsa_tg_split 0
		.amdhsa_exception_fp_ieee_invalid_op 0
		.amdhsa_exception_fp_denorm_src 0
		.amdhsa_exception_fp_ieee_div_zero 0
		.amdhsa_exception_fp_ieee_overflow 0
		.amdhsa_exception_fp_ieee_underflow 0
		.amdhsa_exception_fp_ieee_inexact 0
		.amdhsa_exception_int_div_zero 0
	.end_amdhsa_kernel
	.section	.text._ZN7rocprim17ROCPRIM_400000_NS6detail17trampoline_kernelINS0_14default_configENS1_33run_length_encode_config_selectorIhjNS0_4plusIjEEEEZZNS1_33reduce_by_key_impl_wrapped_configILNS1_25lookback_scan_determinismE0ES3_S7_PKhNS0_17constant_iteratorIjlEEPhPlSF_S6_NS0_8equal_toIhEEEE10hipError_tPvRmT2_T3_mT4_T5_T6_T7_T8_P12ihipStream_tbENKUlT_T0_E_clISt17integral_constantIbLb1EESY_IbLb0EEEEDaSU_SV_EUlSU_E_NS1_11comp_targetILNS1_3genE2ELNS1_11target_archE906ELNS1_3gpuE6ELNS1_3repE0EEENS1_30default_config_static_selectorELNS0_4arch9wavefront6targetE1EEEvT1_,"axG",@progbits,_ZN7rocprim17ROCPRIM_400000_NS6detail17trampoline_kernelINS0_14default_configENS1_33run_length_encode_config_selectorIhjNS0_4plusIjEEEEZZNS1_33reduce_by_key_impl_wrapped_configILNS1_25lookback_scan_determinismE0ES3_S7_PKhNS0_17constant_iteratorIjlEEPhPlSF_S6_NS0_8equal_toIhEEEE10hipError_tPvRmT2_T3_mT4_T5_T6_T7_T8_P12ihipStream_tbENKUlT_T0_E_clISt17integral_constantIbLb1EESY_IbLb0EEEEDaSU_SV_EUlSU_E_NS1_11comp_targetILNS1_3genE2ELNS1_11target_archE906ELNS1_3gpuE6ELNS1_3repE0EEENS1_30default_config_static_selectorELNS0_4arch9wavefront6targetE1EEEvT1_,comdat
.Lfunc_end188:
	.size	_ZN7rocprim17ROCPRIM_400000_NS6detail17trampoline_kernelINS0_14default_configENS1_33run_length_encode_config_selectorIhjNS0_4plusIjEEEEZZNS1_33reduce_by_key_impl_wrapped_configILNS1_25lookback_scan_determinismE0ES3_S7_PKhNS0_17constant_iteratorIjlEEPhPlSF_S6_NS0_8equal_toIhEEEE10hipError_tPvRmT2_T3_mT4_T5_T6_T7_T8_P12ihipStream_tbENKUlT_T0_E_clISt17integral_constantIbLb1EESY_IbLb0EEEEDaSU_SV_EUlSU_E_NS1_11comp_targetILNS1_3genE2ELNS1_11target_archE906ELNS1_3gpuE6ELNS1_3repE0EEENS1_30default_config_static_selectorELNS0_4arch9wavefront6targetE1EEEvT1_, .Lfunc_end188-_ZN7rocprim17ROCPRIM_400000_NS6detail17trampoline_kernelINS0_14default_configENS1_33run_length_encode_config_selectorIhjNS0_4plusIjEEEEZZNS1_33reduce_by_key_impl_wrapped_configILNS1_25lookback_scan_determinismE0ES3_S7_PKhNS0_17constant_iteratorIjlEEPhPlSF_S6_NS0_8equal_toIhEEEE10hipError_tPvRmT2_T3_mT4_T5_T6_T7_T8_P12ihipStream_tbENKUlT_T0_E_clISt17integral_constantIbLb1EESY_IbLb0EEEEDaSU_SV_EUlSU_E_NS1_11comp_targetILNS1_3genE2ELNS1_11target_archE906ELNS1_3gpuE6ELNS1_3repE0EEENS1_30default_config_static_selectorELNS0_4arch9wavefront6targetE1EEEvT1_
                                        ; -- End function
	.section	.AMDGPU.csdata,"",@progbits
; Kernel info:
; codeLenInByte = 0
; NumSgprs: 4
; NumVgprs: 0
; NumAgprs: 0
; TotalNumVgprs: 0
; ScratchSize: 0
; MemoryBound: 0
; FloatMode: 240
; IeeeMode: 1
; LDSByteSize: 0 bytes/workgroup (compile time only)
; SGPRBlocks: 0
; VGPRBlocks: 0
; NumSGPRsForWavesPerEU: 4
; NumVGPRsForWavesPerEU: 1
; AccumOffset: 4
; Occupancy: 8
; WaveLimiterHint : 0
; COMPUTE_PGM_RSRC2:SCRATCH_EN: 0
; COMPUTE_PGM_RSRC2:USER_SGPR: 6
; COMPUTE_PGM_RSRC2:TRAP_HANDLER: 0
; COMPUTE_PGM_RSRC2:TGID_X_EN: 1
; COMPUTE_PGM_RSRC2:TGID_Y_EN: 0
; COMPUTE_PGM_RSRC2:TGID_Z_EN: 0
; COMPUTE_PGM_RSRC2:TIDIG_COMP_CNT: 0
; COMPUTE_PGM_RSRC3_GFX90A:ACCUM_OFFSET: 0
; COMPUTE_PGM_RSRC3_GFX90A:TG_SPLIT: 0
	.section	.text._ZN7rocprim17ROCPRIM_400000_NS6detail17trampoline_kernelINS0_14default_configENS1_33run_length_encode_config_selectorIhjNS0_4plusIjEEEEZZNS1_33reduce_by_key_impl_wrapped_configILNS1_25lookback_scan_determinismE0ES3_S7_PKhNS0_17constant_iteratorIjlEEPhPlSF_S6_NS0_8equal_toIhEEEE10hipError_tPvRmT2_T3_mT4_T5_T6_T7_T8_P12ihipStream_tbENKUlT_T0_E_clISt17integral_constantIbLb1EESY_IbLb0EEEEDaSU_SV_EUlSU_E_NS1_11comp_targetILNS1_3genE10ELNS1_11target_archE1201ELNS1_3gpuE5ELNS1_3repE0EEENS1_30default_config_static_selectorELNS0_4arch9wavefront6targetE1EEEvT1_,"axG",@progbits,_ZN7rocprim17ROCPRIM_400000_NS6detail17trampoline_kernelINS0_14default_configENS1_33run_length_encode_config_selectorIhjNS0_4plusIjEEEEZZNS1_33reduce_by_key_impl_wrapped_configILNS1_25lookback_scan_determinismE0ES3_S7_PKhNS0_17constant_iteratorIjlEEPhPlSF_S6_NS0_8equal_toIhEEEE10hipError_tPvRmT2_T3_mT4_T5_T6_T7_T8_P12ihipStream_tbENKUlT_T0_E_clISt17integral_constantIbLb1EESY_IbLb0EEEEDaSU_SV_EUlSU_E_NS1_11comp_targetILNS1_3genE10ELNS1_11target_archE1201ELNS1_3gpuE5ELNS1_3repE0EEENS1_30default_config_static_selectorELNS0_4arch9wavefront6targetE1EEEvT1_,comdat
	.protected	_ZN7rocprim17ROCPRIM_400000_NS6detail17trampoline_kernelINS0_14default_configENS1_33run_length_encode_config_selectorIhjNS0_4plusIjEEEEZZNS1_33reduce_by_key_impl_wrapped_configILNS1_25lookback_scan_determinismE0ES3_S7_PKhNS0_17constant_iteratorIjlEEPhPlSF_S6_NS0_8equal_toIhEEEE10hipError_tPvRmT2_T3_mT4_T5_T6_T7_T8_P12ihipStream_tbENKUlT_T0_E_clISt17integral_constantIbLb1EESY_IbLb0EEEEDaSU_SV_EUlSU_E_NS1_11comp_targetILNS1_3genE10ELNS1_11target_archE1201ELNS1_3gpuE5ELNS1_3repE0EEENS1_30default_config_static_selectorELNS0_4arch9wavefront6targetE1EEEvT1_ ; -- Begin function _ZN7rocprim17ROCPRIM_400000_NS6detail17trampoline_kernelINS0_14default_configENS1_33run_length_encode_config_selectorIhjNS0_4plusIjEEEEZZNS1_33reduce_by_key_impl_wrapped_configILNS1_25lookback_scan_determinismE0ES3_S7_PKhNS0_17constant_iteratorIjlEEPhPlSF_S6_NS0_8equal_toIhEEEE10hipError_tPvRmT2_T3_mT4_T5_T6_T7_T8_P12ihipStream_tbENKUlT_T0_E_clISt17integral_constantIbLb1EESY_IbLb0EEEEDaSU_SV_EUlSU_E_NS1_11comp_targetILNS1_3genE10ELNS1_11target_archE1201ELNS1_3gpuE5ELNS1_3repE0EEENS1_30default_config_static_selectorELNS0_4arch9wavefront6targetE1EEEvT1_
	.globl	_ZN7rocprim17ROCPRIM_400000_NS6detail17trampoline_kernelINS0_14default_configENS1_33run_length_encode_config_selectorIhjNS0_4plusIjEEEEZZNS1_33reduce_by_key_impl_wrapped_configILNS1_25lookback_scan_determinismE0ES3_S7_PKhNS0_17constant_iteratorIjlEEPhPlSF_S6_NS0_8equal_toIhEEEE10hipError_tPvRmT2_T3_mT4_T5_T6_T7_T8_P12ihipStream_tbENKUlT_T0_E_clISt17integral_constantIbLb1EESY_IbLb0EEEEDaSU_SV_EUlSU_E_NS1_11comp_targetILNS1_3genE10ELNS1_11target_archE1201ELNS1_3gpuE5ELNS1_3repE0EEENS1_30default_config_static_selectorELNS0_4arch9wavefront6targetE1EEEvT1_
	.p2align	8
	.type	_ZN7rocprim17ROCPRIM_400000_NS6detail17trampoline_kernelINS0_14default_configENS1_33run_length_encode_config_selectorIhjNS0_4plusIjEEEEZZNS1_33reduce_by_key_impl_wrapped_configILNS1_25lookback_scan_determinismE0ES3_S7_PKhNS0_17constant_iteratorIjlEEPhPlSF_S6_NS0_8equal_toIhEEEE10hipError_tPvRmT2_T3_mT4_T5_T6_T7_T8_P12ihipStream_tbENKUlT_T0_E_clISt17integral_constantIbLb1EESY_IbLb0EEEEDaSU_SV_EUlSU_E_NS1_11comp_targetILNS1_3genE10ELNS1_11target_archE1201ELNS1_3gpuE5ELNS1_3repE0EEENS1_30default_config_static_selectorELNS0_4arch9wavefront6targetE1EEEvT1_,@function
_ZN7rocprim17ROCPRIM_400000_NS6detail17trampoline_kernelINS0_14default_configENS1_33run_length_encode_config_selectorIhjNS0_4plusIjEEEEZZNS1_33reduce_by_key_impl_wrapped_configILNS1_25lookback_scan_determinismE0ES3_S7_PKhNS0_17constant_iteratorIjlEEPhPlSF_S6_NS0_8equal_toIhEEEE10hipError_tPvRmT2_T3_mT4_T5_T6_T7_T8_P12ihipStream_tbENKUlT_T0_E_clISt17integral_constantIbLb1EESY_IbLb0EEEEDaSU_SV_EUlSU_E_NS1_11comp_targetILNS1_3genE10ELNS1_11target_archE1201ELNS1_3gpuE5ELNS1_3repE0EEENS1_30default_config_static_selectorELNS0_4arch9wavefront6targetE1EEEvT1_: ; @_ZN7rocprim17ROCPRIM_400000_NS6detail17trampoline_kernelINS0_14default_configENS1_33run_length_encode_config_selectorIhjNS0_4plusIjEEEEZZNS1_33reduce_by_key_impl_wrapped_configILNS1_25lookback_scan_determinismE0ES3_S7_PKhNS0_17constant_iteratorIjlEEPhPlSF_S6_NS0_8equal_toIhEEEE10hipError_tPvRmT2_T3_mT4_T5_T6_T7_T8_P12ihipStream_tbENKUlT_T0_E_clISt17integral_constantIbLb1EESY_IbLb0EEEEDaSU_SV_EUlSU_E_NS1_11comp_targetILNS1_3genE10ELNS1_11target_archE1201ELNS1_3gpuE5ELNS1_3repE0EEENS1_30default_config_static_selectorELNS0_4arch9wavefront6targetE1EEEvT1_
; %bb.0:
	.section	.rodata,"a",@progbits
	.p2align	6, 0x0
	.amdhsa_kernel _ZN7rocprim17ROCPRIM_400000_NS6detail17trampoline_kernelINS0_14default_configENS1_33run_length_encode_config_selectorIhjNS0_4plusIjEEEEZZNS1_33reduce_by_key_impl_wrapped_configILNS1_25lookback_scan_determinismE0ES3_S7_PKhNS0_17constant_iteratorIjlEEPhPlSF_S6_NS0_8equal_toIhEEEE10hipError_tPvRmT2_T3_mT4_T5_T6_T7_T8_P12ihipStream_tbENKUlT_T0_E_clISt17integral_constantIbLb1EESY_IbLb0EEEEDaSU_SV_EUlSU_E_NS1_11comp_targetILNS1_3genE10ELNS1_11target_archE1201ELNS1_3gpuE5ELNS1_3repE0EEENS1_30default_config_static_selectorELNS0_4arch9wavefront6targetE1EEEvT1_
		.amdhsa_group_segment_fixed_size 0
		.amdhsa_private_segment_fixed_size 0
		.amdhsa_kernarg_size 128
		.amdhsa_user_sgpr_count 6
		.amdhsa_user_sgpr_private_segment_buffer 1
		.amdhsa_user_sgpr_dispatch_ptr 0
		.amdhsa_user_sgpr_queue_ptr 0
		.amdhsa_user_sgpr_kernarg_segment_ptr 1
		.amdhsa_user_sgpr_dispatch_id 0
		.amdhsa_user_sgpr_flat_scratch_init 0
		.amdhsa_user_sgpr_kernarg_preload_length 0
		.amdhsa_user_sgpr_kernarg_preload_offset 0
		.amdhsa_user_sgpr_private_segment_size 0
		.amdhsa_uses_dynamic_stack 0
		.amdhsa_system_sgpr_private_segment_wavefront_offset 0
		.amdhsa_system_sgpr_workgroup_id_x 1
		.amdhsa_system_sgpr_workgroup_id_y 0
		.amdhsa_system_sgpr_workgroup_id_z 0
		.amdhsa_system_sgpr_workgroup_info 0
		.amdhsa_system_vgpr_workitem_id 0
		.amdhsa_next_free_vgpr 1
		.amdhsa_next_free_sgpr 0
		.amdhsa_accum_offset 4
		.amdhsa_reserve_vcc 0
		.amdhsa_reserve_flat_scratch 0
		.amdhsa_float_round_mode_32 0
		.amdhsa_float_round_mode_16_64 0
		.amdhsa_float_denorm_mode_32 3
		.amdhsa_float_denorm_mode_16_64 3
		.amdhsa_dx10_clamp 1
		.amdhsa_ieee_mode 1
		.amdhsa_fp16_overflow 0
		.amdhsa_tg_split 0
		.amdhsa_exception_fp_ieee_invalid_op 0
		.amdhsa_exception_fp_denorm_src 0
		.amdhsa_exception_fp_ieee_div_zero 0
		.amdhsa_exception_fp_ieee_overflow 0
		.amdhsa_exception_fp_ieee_underflow 0
		.amdhsa_exception_fp_ieee_inexact 0
		.amdhsa_exception_int_div_zero 0
	.end_amdhsa_kernel
	.section	.text._ZN7rocprim17ROCPRIM_400000_NS6detail17trampoline_kernelINS0_14default_configENS1_33run_length_encode_config_selectorIhjNS0_4plusIjEEEEZZNS1_33reduce_by_key_impl_wrapped_configILNS1_25lookback_scan_determinismE0ES3_S7_PKhNS0_17constant_iteratorIjlEEPhPlSF_S6_NS0_8equal_toIhEEEE10hipError_tPvRmT2_T3_mT4_T5_T6_T7_T8_P12ihipStream_tbENKUlT_T0_E_clISt17integral_constantIbLb1EESY_IbLb0EEEEDaSU_SV_EUlSU_E_NS1_11comp_targetILNS1_3genE10ELNS1_11target_archE1201ELNS1_3gpuE5ELNS1_3repE0EEENS1_30default_config_static_selectorELNS0_4arch9wavefront6targetE1EEEvT1_,"axG",@progbits,_ZN7rocprim17ROCPRIM_400000_NS6detail17trampoline_kernelINS0_14default_configENS1_33run_length_encode_config_selectorIhjNS0_4plusIjEEEEZZNS1_33reduce_by_key_impl_wrapped_configILNS1_25lookback_scan_determinismE0ES3_S7_PKhNS0_17constant_iteratorIjlEEPhPlSF_S6_NS0_8equal_toIhEEEE10hipError_tPvRmT2_T3_mT4_T5_T6_T7_T8_P12ihipStream_tbENKUlT_T0_E_clISt17integral_constantIbLb1EESY_IbLb0EEEEDaSU_SV_EUlSU_E_NS1_11comp_targetILNS1_3genE10ELNS1_11target_archE1201ELNS1_3gpuE5ELNS1_3repE0EEENS1_30default_config_static_selectorELNS0_4arch9wavefront6targetE1EEEvT1_,comdat
.Lfunc_end189:
	.size	_ZN7rocprim17ROCPRIM_400000_NS6detail17trampoline_kernelINS0_14default_configENS1_33run_length_encode_config_selectorIhjNS0_4plusIjEEEEZZNS1_33reduce_by_key_impl_wrapped_configILNS1_25lookback_scan_determinismE0ES3_S7_PKhNS0_17constant_iteratorIjlEEPhPlSF_S6_NS0_8equal_toIhEEEE10hipError_tPvRmT2_T3_mT4_T5_T6_T7_T8_P12ihipStream_tbENKUlT_T0_E_clISt17integral_constantIbLb1EESY_IbLb0EEEEDaSU_SV_EUlSU_E_NS1_11comp_targetILNS1_3genE10ELNS1_11target_archE1201ELNS1_3gpuE5ELNS1_3repE0EEENS1_30default_config_static_selectorELNS0_4arch9wavefront6targetE1EEEvT1_, .Lfunc_end189-_ZN7rocprim17ROCPRIM_400000_NS6detail17trampoline_kernelINS0_14default_configENS1_33run_length_encode_config_selectorIhjNS0_4plusIjEEEEZZNS1_33reduce_by_key_impl_wrapped_configILNS1_25lookback_scan_determinismE0ES3_S7_PKhNS0_17constant_iteratorIjlEEPhPlSF_S6_NS0_8equal_toIhEEEE10hipError_tPvRmT2_T3_mT4_T5_T6_T7_T8_P12ihipStream_tbENKUlT_T0_E_clISt17integral_constantIbLb1EESY_IbLb0EEEEDaSU_SV_EUlSU_E_NS1_11comp_targetILNS1_3genE10ELNS1_11target_archE1201ELNS1_3gpuE5ELNS1_3repE0EEENS1_30default_config_static_selectorELNS0_4arch9wavefront6targetE1EEEvT1_
                                        ; -- End function
	.section	.AMDGPU.csdata,"",@progbits
; Kernel info:
; codeLenInByte = 0
; NumSgprs: 4
; NumVgprs: 0
; NumAgprs: 0
; TotalNumVgprs: 0
; ScratchSize: 0
; MemoryBound: 0
; FloatMode: 240
; IeeeMode: 1
; LDSByteSize: 0 bytes/workgroup (compile time only)
; SGPRBlocks: 0
; VGPRBlocks: 0
; NumSGPRsForWavesPerEU: 4
; NumVGPRsForWavesPerEU: 1
; AccumOffset: 4
; Occupancy: 8
; WaveLimiterHint : 0
; COMPUTE_PGM_RSRC2:SCRATCH_EN: 0
; COMPUTE_PGM_RSRC2:USER_SGPR: 6
; COMPUTE_PGM_RSRC2:TRAP_HANDLER: 0
; COMPUTE_PGM_RSRC2:TGID_X_EN: 1
; COMPUTE_PGM_RSRC2:TGID_Y_EN: 0
; COMPUTE_PGM_RSRC2:TGID_Z_EN: 0
; COMPUTE_PGM_RSRC2:TIDIG_COMP_CNT: 0
; COMPUTE_PGM_RSRC3_GFX90A:ACCUM_OFFSET: 0
; COMPUTE_PGM_RSRC3_GFX90A:TG_SPLIT: 0
	.section	.text._ZN7rocprim17ROCPRIM_400000_NS6detail17trampoline_kernelINS0_14default_configENS1_33run_length_encode_config_selectorIhjNS0_4plusIjEEEEZZNS1_33reduce_by_key_impl_wrapped_configILNS1_25lookback_scan_determinismE0ES3_S7_PKhNS0_17constant_iteratorIjlEEPhPlSF_S6_NS0_8equal_toIhEEEE10hipError_tPvRmT2_T3_mT4_T5_T6_T7_T8_P12ihipStream_tbENKUlT_T0_E_clISt17integral_constantIbLb1EESY_IbLb0EEEEDaSU_SV_EUlSU_E_NS1_11comp_targetILNS1_3genE10ELNS1_11target_archE1200ELNS1_3gpuE4ELNS1_3repE0EEENS1_30default_config_static_selectorELNS0_4arch9wavefront6targetE1EEEvT1_,"axG",@progbits,_ZN7rocprim17ROCPRIM_400000_NS6detail17trampoline_kernelINS0_14default_configENS1_33run_length_encode_config_selectorIhjNS0_4plusIjEEEEZZNS1_33reduce_by_key_impl_wrapped_configILNS1_25lookback_scan_determinismE0ES3_S7_PKhNS0_17constant_iteratorIjlEEPhPlSF_S6_NS0_8equal_toIhEEEE10hipError_tPvRmT2_T3_mT4_T5_T6_T7_T8_P12ihipStream_tbENKUlT_T0_E_clISt17integral_constantIbLb1EESY_IbLb0EEEEDaSU_SV_EUlSU_E_NS1_11comp_targetILNS1_3genE10ELNS1_11target_archE1200ELNS1_3gpuE4ELNS1_3repE0EEENS1_30default_config_static_selectorELNS0_4arch9wavefront6targetE1EEEvT1_,comdat
	.protected	_ZN7rocprim17ROCPRIM_400000_NS6detail17trampoline_kernelINS0_14default_configENS1_33run_length_encode_config_selectorIhjNS0_4plusIjEEEEZZNS1_33reduce_by_key_impl_wrapped_configILNS1_25lookback_scan_determinismE0ES3_S7_PKhNS0_17constant_iteratorIjlEEPhPlSF_S6_NS0_8equal_toIhEEEE10hipError_tPvRmT2_T3_mT4_T5_T6_T7_T8_P12ihipStream_tbENKUlT_T0_E_clISt17integral_constantIbLb1EESY_IbLb0EEEEDaSU_SV_EUlSU_E_NS1_11comp_targetILNS1_3genE10ELNS1_11target_archE1200ELNS1_3gpuE4ELNS1_3repE0EEENS1_30default_config_static_selectorELNS0_4arch9wavefront6targetE1EEEvT1_ ; -- Begin function _ZN7rocprim17ROCPRIM_400000_NS6detail17trampoline_kernelINS0_14default_configENS1_33run_length_encode_config_selectorIhjNS0_4plusIjEEEEZZNS1_33reduce_by_key_impl_wrapped_configILNS1_25lookback_scan_determinismE0ES3_S7_PKhNS0_17constant_iteratorIjlEEPhPlSF_S6_NS0_8equal_toIhEEEE10hipError_tPvRmT2_T3_mT4_T5_T6_T7_T8_P12ihipStream_tbENKUlT_T0_E_clISt17integral_constantIbLb1EESY_IbLb0EEEEDaSU_SV_EUlSU_E_NS1_11comp_targetILNS1_3genE10ELNS1_11target_archE1200ELNS1_3gpuE4ELNS1_3repE0EEENS1_30default_config_static_selectorELNS0_4arch9wavefront6targetE1EEEvT1_
	.globl	_ZN7rocprim17ROCPRIM_400000_NS6detail17trampoline_kernelINS0_14default_configENS1_33run_length_encode_config_selectorIhjNS0_4plusIjEEEEZZNS1_33reduce_by_key_impl_wrapped_configILNS1_25lookback_scan_determinismE0ES3_S7_PKhNS0_17constant_iteratorIjlEEPhPlSF_S6_NS0_8equal_toIhEEEE10hipError_tPvRmT2_T3_mT4_T5_T6_T7_T8_P12ihipStream_tbENKUlT_T0_E_clISt17integral_constantIbLb1EESY_IbLb0EEEEDaSU_SV_EUlSU_E_NS1_11comp_targetILNS1_3genE10ELNS1_11target_archE1200ELNS1_3gpuE4ELNS1_3repE0EEENS1_30default_config_static_selectorELNS0_4arch9wavefront6targetE1EEEvT1_
	.p2align	8
	.type	_ZN7rocprim17ROCPRIM_400000_NS6detail17trampoline_kernelINS0_14default_configENS1_33run_length_encode_config_selectorIhjNS0_4plusIjEEEEZZNS1_33reduce_by_key_impl_wrapped_configILNS1_25lookback_scan_determinismE0ES3_S7_PKhNS0_17constant_iteratorIjlEEPhPlSF_S6_NS0_8equal_toIhEEEE10hipError_tPvRmT2_T3_mT4_T5_T6_T7_T8_P12ihipStream_tbENKUlT_T0_E_clISt17integral_constantIbLb1EESY_IbLb0EEEEDaSU_SV_EUlSU_E_NS1_11comp_targetILNS1_3genE10ELNS1_11target_archE1200ELNS1_3gpuE4ELNS1_3repE0EEENS1_30default_config_static_selectorELNS0_4arch9wavefront6targetE1EEEvT1_,@function
_ZN7rocprim17ROCPRIM_400000_NS6detail17trampoline_kernelINS0_14default_configENS1_33run_length_encode_config_selectorIhjNS0_4plusIjEEEEZZNS1_33reduce_by_key_impl_wrapped_configILNS1_25lookback_scan_determinismE0ES3_S7_PKhNS0_17constant_iteratorIjlEEPhPlSF_S6_NS0_8equal_toIhEEEE10hipError_tPvRmT2_T3_mT4_T5_T6_T7_T8_P12ihipStream_tbENKUlT_T0_E_clISt17integral_constantIbLb1EESY_IbLb0EEEEDaSU_SV_EUlSU_E_NS1_11comp_targetILNS1_3genE10ELNS1_11target_archE1200ELNS1_3gpuE4ELNS1_3repE0EEENS1_30default_config_static_selectorELNS0_4arch9wavefront6targetE1EEEvT1_: ; @_ZN7rocprim17ROCPRIM_400000_NS6detail17trampoline_kernelINS0_14default_configENS1_33run_length_encode_config_selectorIhjNS0_4plusIjEEEEZZNS1_33reduce_by_key_impl_wrapped_configILNS1_25lookback_scan_determinismE0ES3_S7_PKhNS0_17constant_iteratorIjlEEPhPlSF_S6_NS0_8equal_toIhEEEE10hipError_tPvRmT2_T3_mT4_T5_T6_T7_T8_P12ihipStream_tbENKUlT_T0_E_clISt17integral_constantIbLb1EESY_IbLb0EEEEDaSU_SV_EUlSU_E_NS1_11comp_targetILNS1_3genE10ELNS1_11target_archE1200ELNS1_3gpuE4ELNS1_3repE0EEENS1_30default_config_static_selectorELNS0_4arch9wavefront6targetE1EEEvT1_
; %bb.0:
	.section	.rodata,"a",@progbits
	.p2align	6, 0x0
	.amdhsa_kernel _ZN7rocprim17ROCPRIM_400000_NS6detail17trampoline_kernelINS0_14default_configENS1_33run_length_encode_config_selectorIhjNS0_4plusIjEEEEZZNS1_33reduce_by_key_impl_wrapped_configILNS1_25lookback_scan_determinismE0ES3_S7_PKhNS0_17constant_iteratorIjlEEPhPlSF_S6_NS0_8equal_toIhEEEE10hipError_tPvRmT2_T3_mT4_T5_T6_T7_T8_P12ihipStream_tbENKUlT_T0_E_clISt17integral_constantIbLb1EESY_IbLb0EEEEDaSU_SV_EUlSU_E_NS1_11comp_targetILNS1_3genE10ELNS1_11target_archE1200ELNS1_3gpuE4ELNS1_3repE0EEENS1_30default_config_static_selectorELNS0_4arch9wavefront6targetE1EEEvT1_
		.amdhsa_group_segment_fixed_size 0
		.amdhsa_private_segment_fixed_size 0
		.amdhsa_kernarg_size 128
		.amdhsa_user_sgpr_count 6
		.amdhsa_user_sgpr_private_segment_buffer 1
		.amdhsa_user_sgpr_dispatch_ptr 0
		.amdhsa_user_sgpr_queue_ptr 0
		.amdhsa_user_sgpr_kernarg_segment_ptr 1
		.amdhsa_user_sgpr_dispatch_id 0
		.amdhsa_user_sgpr_flat_scratch_init 0
		.amdhsa_user_sgpr_kernarg_preload_length 0
		.amdhsa_user_sgpr_kernarg_preload_offset 0
		.amdhsa_user_sgpr_private_segment_size 0
		.amdhsa_uses_dynamic_stack 0
		.amdhsa_system_sgpr_private_segment_wavefront_offset 0
		.amdhsa_system_sgpr_workgroup_id_x 1
		.amdhsa_system_sgpr_workgroup_id_y 0
		.amdhsa_system_sgpr_workgroup_id_z 0
		.amdhsa_system_sgpr_workgroup_info 0
		.amdhsa_system_vgpr_workitem_id 0
		.amdhsa_next_free_vgpr 1
		.amdhsa_next_free_sgpr 0
		.amdhsa_accum_offset 4
		.amdhsa_reserve_vcc 0
		.amdhsa_reserve_flat_scratch 0
		.amdhsa_float_round_mode_32 0
		.amdhsa_float_round_mode_16_64 0
		.amdhsa_float_denorm_mode_32 3
		.amdhsa_float_denorm_mode_16_64 3
		.amdhsa_dx10_clamp 1
		.amdhsa_ieee_mode 1
		.amdhsa_fp16_overflow 0
		.amdhsa_tg_split 0
		.amdhsa_exception_fp_ieee_invalid_op 0
		.amdhsa_exception_fp_denorm_src 0
		.amdhsa_exception_fp_ieee_div_zero 0
		.amdhsa_exception_fp_ieee_overflow 0
		.amdhsa_exception_fp_ieee_underflow 0
		.amdhsa_exception_fp_ieee_inexact 0
		.amdhsa_exception_int_div_zero 0
	.end_amdhsa_kernel
	.section	.text._ZN7rocprim17ROCPRIM_400000_NS6detail17trampoline_kernelINS0_14default_configENS1_33run_length_encode_config_selectorIhjNS0_4plusIjEEEEZZNS1_33reduce_by_key_impl_wrapped_configILNS1_25lookback_scan_determinismE0ES3_S7_PKhNS0_17constant_iteratorIjlEEPhPlSF_S6_NS0_8equal_toIhEEEE10hipError_tPvRmT2_T3_mT4_T5_T6_T7_T8_P12ihipStream_tbENKUlT_T0_E_clISt17integral_constantIbLb1EESY_IbLb0EEEEDaSU_SV_EUlSU_E_NS1_11comp_targetILNS1_3genE10ELNS1_11target_archE1200ELNS1_3gpuE4ELNS1_3repE0EEENS1_30default_config_static_selectorELNS0_4arch9wavefront6targetE1EEEvT1_,"axG",@progbits,_ZN7rocprim17ROCPRIM_400000_NS6detail17trampoline_kernelINS0_14default_configENS1_33run_length_encode_config_selectorIhjNS0_4plusIjEEEEZZNS1_33reduce_by_key_impl_wrapped_configILNS1_25lookback_scan_determinismE0ES3_S7_PKhNS0_17constant_iteratorIjlEEPhPlSF_S6_NS0_8equal_toIhEEEE10hipError_tPvRmT2_T3_mT4_T5_T6_T7_T8_P12ihipStream_tbENKUlT_T0_E_clISt17integral_constantIbLb1EESY_IbLb0EEEEDaSU_SV_EUlSU_E_NS1_11comp_targetILNS1_3genE10ELNS1_11target_archE1200ELNS1_3gpuE4ELNS1_3repE0EEENS1_30default_config_static_selectorELNS0_4arch9wavefront6targetE1EEEvT1_,comdat
.Lfunc_end190:
	.size	_ZN7rocprim17ROCPRIM_400000_NS6detail17trampoline_kernelINS0_14default_configENS1_33run_length_encode_config_selectorIhjNS0_4plusIjEEEEZZNS1_33reduce_by_key_impl_wrapped_configILNS1_25lookback_scan_determinismE0ES3_S7_PKhNS0_17constant_iteratorIjlEEPhPlSF_S6_NS0_8equal_toIhEEEE10hipError_tPvRmT2_T3_mT4_T5_T6_T7_T8_P12ihipStream_tbENKUlT_T0_E_clISt17integral_constantIbLb1EESY_IbLb0EEEEDaSU_SV_EUlSU_E_NS1_11comp_targetILNS1_3genE10ELNS1_11target_archE1200ELNS1_3gpuE4ELNS1_3repE0EEENS1_30default_config_static_selectorELNS0_4arch9wavefront6targetE1EEEvT1_, .Lfunc_end190-_ZN7rocprim17ROCPRIM_400000_NS6detail17trampoline_kernelINS0_14default_configENS1_33run_length_encode_config_selectorIhjNS0_4plusIjEEEEZZNS1_33reduce_by_key_impl_wrapped_configILNS1_25lookback_scan_determinismE0ES3_S7_PKhNS0_17constant_iteratorIjlEEPhPlSF_S6_NS0_8equal_toIhEEEE10hipError_tPvRmT2_T3_mT4_T5_T6_T7_T8_P12ihipStream_tbENKUlT_T0_E_clISt17integral_constantIbLb1EESY_IbLb0EEEEDaSU_SV_EUlSU_E_NS1_11comp_targetILNS1_3genE10ELNS1_11target_archE1200ELNS1_3gpuE4ELNS1_3repE0EEENS1_30default_config_static_selectorELNS0_4arch9wavefront6targetE1EEEvT1_
                                        ; -- End function
	.section	.AMDGPU.csdata,"",@progbits
; Kernel info:
; codeLenInByte = 0
; NumSgprs: 4
; NumVgprs: 0
; NumAgprs: 0
; TotalNumVgprs: 0
; ScratchSize: 0
; MemoryBound: 0
; FloatMode: 240
; IeeeMode: 1
; LDSByteSize: 0 bytes/workgroup (compile time only)
; SGPRBlocks: 0
; VGPRBlocks: 0
; NumSGPRsForWavesPerEU: 4
; NumVGPRsForWavesPerEU: 1
; AccumOffset: 4
; Occupancy: 8
; WaveLimiterHint : 0
; COMPUTE_PGM_RSRC2:SCRATCH_EN: 0
; COMPUTE_PGM_RSRC2:USER_SGPR: 6
; COMPUTE_PGM_RSRC2:TRAP_HANDLER: 0
; COMPUTE_PGM_RSRC2:TGID_X_EN: 1
; COMPUTE_PGM_RSRC2:TGID_Y_EN: 0
; COMPUTE_PGM_RSRC2:TGID_Z_EN: 0
; COMPUTE_PGM_RSRC2:TIDIG_COMP_CNT: 0
; COMPUTE_PGM_RSRC3_GFX90A:ACCUM_OFFSET: 0
; COMPUTE_PGM_RSRC3_GFX90A:TG_SPLIT: 0
	.section	.text._ZN7rocprim17ROCPRIM_400000_NS6detail17trampoline_kernelINS0_14default_configENS1_33run_length_encode_config_selectorIhjNS0_4plusIjEEEEZZNS1_33reduce_by_key_impl_wrapped_configILNS1_25lookback_scan_determinismE0ES3_S7_PKhNS0_17constant_iteratorIjlEEPhPlSF_S6_NS0_8equal_toIhEEEE10hipError_tPvRmT2_T3_mT4_T5_T6_T7_T8_P12ihipStream_tbENKUlT_T0_E_clISt17integral_constantIbLb1EESY_IbLb0EEEEDaSU_SV_EUlSU_E_NS1_11comp_targetILNS1_3genE9ELNS1_11target_archE1100ELNS1_3gpuE3ELNS1_3repE0EEENS1_30default_config_static_selectorELNS0_4arch9wavefront6targetE1EEEvT1_,"axG",@progbits,_ZN7rocprim17ROCPRIM_400000_NS6detail17trampoline_kernelINS0_14default_configENS1_33run_length_encode_config_selectorIhjNS0_4plusIjEEEEZZNS1_33reduce_by_key_impl_wrapped_configILNS1_25lookback_scan_determinismE0ES3_S7_PKhNS0_17constant_iteratorIjlEEPhPlSF_S6_NS0_8equal_toIhEEEE10hipError_tPvRmT2_T3_mT4_T5_T6_T7_T8_P12ihipStream_tbENKUlT_T0_E_clISt17integral_constantIbLb1EESY_IbLb0EEEEDaSU_SV_EUlSU_E_NS1_11comp_targetILNS1_3genE9ELNS1_11target_archE1100ELNS1_3gpuE3ELNS1_3repE0EEENS1_30default_config_static_selectorELNS0_4arch9wavefront6targetE1EEEvT1_,comdat
	.protected	_ZN7rocprim17ROCPRIM_400000_NS6detail17trampoline_kernelINS0_14default_configENS1_33run_length_encode_config_selectorIhjNS0_4plusIjEEEEZZNS1_33reduce_by_key_impl_wrapped_configILNS1_25lookback_scan_determinismE0ES3_S7_PKhNS0_17constant_iteratorIjlEEPhPlSF_S6_NS0_8equal_toIhEEEE10hipError_tPvRmT2_T3_mT4_T5_T6_T7_T8_P12ihipStream_tbENKUlT_T0_E_clISt17integral_constantIbLb1EESY_IbLb0EEEEDaSU_SV_EUlSU_E_NS1_11comp_targetILNS1_3genE9ELNS1_11target_archE1100ELNS1_3gpuE3ELNS1_3repE0EEENS1_30default_config_static_selectorELNS0_4arch9wavefront6targetE1EEEvT1_ ; -- Begin function _ZN7rocprim17ROCPRIM_400000_NS6detail17trampoline_kernelINS0_14default_configENS1_33run_length_encode_config_selectorIhjNS0_4plusIjEEEEZZNS1_33reduce_by_key_impl_wrapped_configILNS1_25lookback_scan_determinismE0ES3_S7_PKhNS0_17constant_iteratorIjlEEPhPlSF_S6_NS0_8equal_toIhEEEE10hipError_tPvRmT2_T3_mT4_T5_T6_T7_T8_P12ihipStream_tbENKUlT_T0_E_clISt17integral_constantIbLb1EESY_IbLb0EEEEDaSU_SV_EUlSU_E_NS1_11comp_targetILNS1_3genE9ELNS1_11target_archE1100ELNS1_3gpuE3ELNS1_3repE0EEENS1_30default_config_static_selectorELNS0_4arch9wavefront6targetE1EEEvT1_
	.globl	_ZN7rocprim17ROCPRIM_400000_NS6detail17trampoline_kernelINS0_14default_configENS1_33run_length_encode_config_selectorIhjNS0_4plusIjEEEEZZNS1_33reduce_by_key_impl_wrapped_configILNS1_25lookback_scan_determinismE0ES3_S7_PKhNS0_17constant_iteratorIjlEEPhPlSF_S6_NS0_8equal_toIhEEEE10hipError_tPvRmT2_T3_mT4_T5_T6_T7_T8_P12ihipStream_tbENKUlT_T0_E_clISt17integral_constantIbLb1EESY_IbLb0EEEEDaSU_SV_EUlSU_E_NS1_11comp_targetILNS1_3genE9ELNS1_11target_archE1100ELNS1_3gpuE3ELNS1_3repE0EEENS1_30default_config_static_selectorELNS0_4arch9wavefront6targetE1EEEvT1_
	.p2align	8
	.type	_ZN7rocprim17ROCPRIM_400000_NS6detail17trampoline_kernelINS0_14default_configENS1_33run_length_encode_config_selectorIhjNS0_4plusIjEEEEZZNS1_33reduce_by_key_impl_wrapped_configILNS1_25lookback_scan_determinismE0ES3_S7_PKhNS0_17constant_iteratorIjlEEPhPlSF_S6_NS0_8equal_toIhEEEE10hipError_tPvRmT2_T3_mT4_T5_T6_T7_T8_P12ihipStream_tbENKUlT_T0_E_clISt17integral_constantIbLb1EESY_IbLb0EEEEDaSU_SV_EUlSU_E_NS1_11comp_targetILNS1_3genE9ELNS1_11target_archE1100ELNS1_3gpuE3ELNS1_3repE0EEENS1_30default_config_static_selectorELNS0_4arch9wavefront6targetE1EEEvT1_,@function
_ZN7rocprim17ROCPRIM_400000_NS6detail17trampoline_kernelINS0_14default_configENS1_33run_length_encode_config_selectorIhjNS0_4plusIjEEEEZZNS1_33reduce_by_key_impl_wrapped_configILNS1_25lookback_scan_determinismE0ES3_S7_PKhNS0_17constant_iteratorIjlEEPhPlSF_S6_NS0_8equal_toIhEEEE10hipError_tPvRmT2_T3_mT4_T5_T6_T7_T8_P12ihipStream_tbENKUlT_T0_E_clISt17integral_constantIbLb1EESY_IbLb0EEEEDaSU_SV_EUlSU_E_NS1_11comp_targetILNS1_3genE9ELNS1_11target_archE1100ELNS1_3gpuE3ELNS1_3repE0EEENS1_30default_config_static_selectorELNS0_4arch9wavefront6targetE1EEEvT1_: ; @_ZN7rocprim17ROCPRIM_400000_NS6detail17trampoline_kernelINS0_14default_configENS1_33run_length_encode_config_selectorIhjNS0_4plusIjEEEEZZNS1_33reduce_by_key_impl_wrapped_configILNS1_25lookback_scan_determinismE0ES3_S7_PKhNS0_17constant_iteratorIjlEEPhPlSF_S6_NS0_8equal_toIhEEEE10hipError_tPvRmT2_T3_mT4_T5_T6_T7_T8_P12ihipStream_tbENKUlT_T0_E_clISt17integral_constantIbLb1EESY_IbLb0EEEEDaSU_SV_EUlSU_E_NS1_11comp_targetILNS1_3genE9ELNS1_11target_archE1100ELNS1_3gpuE3ELNS1_3repE0EEENS1_30default_config_static_selectorELNS0_4arch9wavefront6targetE1EEEvT1_
; %bb.0:
	.section	.rodata,"a",@progbits
	.p2align	6, 0x0
	.amdhsa_kernel _ZN7rocprim17ROCPRIM_400000_NS6detail17trampoline_kernelINS0_14default_configENS1_33run_length_encode_config_selectorIhjNS0_4plusIjEEEEZZNS1_33reduce_by_key_impl_wrapped_configILNS1_25lookback_scan_determinismE0ES3_S7_PKhNS0_17constant_iteratorIjlEEPhPlSF_S6_NS0_8equal_toIhEEEE10hipError_tPvRmT2_T3_mT4_T5_T6_T7_T8_P12ihipStream_tbENKUlT_T0_E_clISt17integral_constantIbLb1EESY_IbLb0EEEEDaSU_SV_EUlSU_E_NS1_11comp_targetILNS1_3genE9ELNS1_11target_archE1100ELNS1_3gpuE3ELNS1_3repE0EEENS1_30default_config_static_selectorELNS0_4arch9wavefront6targetE1EEEvT1_
		.amdhsa_group_segment_fixed_size 0
		.amdhsa_private_segment_fixed_size 0
		.amdhsa_kernarg_size 128
		.amdhsa_user_sgpr_count 6
		.amdhsa_user_sgpr_private_segment_buffer 1
		.amdhsa_user_sgpr_dispatch_ptr 0
		.amdhsa_user_sgpr_queue_ptr 0
		.amdhsa_user_sgpr_kernarg_segment_ptr 1
		.amdhsa_user_sgpr_dispatch_id 0
		.amdhsa_user_sgpr_flat_scratch_init 0
		.amdhsa_user_sgpr_kernarg_preload_length 0
		.amdhsa_user_sgpr_kernarg_preload_offset 0
		.amdhsa_user_sgpr_private_segment_size 0
		.amdhsa_uses_dynamic_stack 0
		.amdhsa_system_sgpr_private_segment_wavefront_offset 0
		.amdhsa_system_sgpr_workgroup_id_x 1
		.amdhsa_system_sgpr_workgroup_id_y 0
		.amdhsa_system_sgpr_workgroup_id_z 0
		.amdhsa_system_sgpr_workgroup_info 0
		.amdhsa_system_vgpr_workitem_id 0
		.amdhsa_next_free_vgpr 1
		.amdhsa_next_free_sgpr 0
		.amdhsa_accum_offset 4
		.amdhsa_reserve_vcc 0
		.amdhsa_reserve_flat_scratch 0
		.amdhsa_float_round_mode_32 0
		.amdhsa_float_round_mode_16_64 0
		.amdhsa_float_denorm_mode_32 3
		.amdhsa_float_denorm_mode_16_64 3
		.amdhsa_dx10_clamp 1
		.amdhsa_ieee_mode 1
		.amdhsa_fp16_overflow 0
		.amdhsa_tg_split 0
		.amdhsa_exception_fp_ieee_invalid_op 0
		.amdhsa_exception_fp_denorm_src 0
		.amdhsa_exception_fp_ieee_div_zero 0
		.amdhsa_exception_fp_ieee_overflow 0
		.amdhsa_exception_fp_ieee_underflow 0
		.amdhsa_exception_fp_ieee_inexact 0
		.amdhsa_exception_int_div_zero 0
	.end_amdhsa_kernel
	.section	.text._ZN7rocprim17ROCPRIM_400000_NS6detail17trampoline_kernelINS0_14default_configENS1_33run_length_encode_config_selectorIhjNS0_4plusIjEEEEZZNS1_33reduce_by_key_impl_wrapped_configILNS1_25lookback_scan_determinismE0ES3_S7_PKhNS0_17constant_iteratorIjlEEPhPlSF_S6_NS0_8equal_toIhEEEE10hipError_tPvRmT2_T3_mT4_T5_T6_T7_T8_P12ihipStream_tbENKUlT_T0_E_clISt17integral_constantIbLb1EESY_IbLb0EEEEDaSU_SV_EUlSU_E_NS1_11comp_targetILNS1_3genE9ELNS1_11target_archE1100ELNS1_3gpuE3ELNS1_3repE0EEENS1_30default_config_static_selectorELNS0_4arch9wavefront6targetE1EEEvT1_,"axG",@progbits,_ZN7rocprim17ROCPRIM_400000_NS6detail17trampoline_kernelINS0_14default_configENS1_33run_length_encode_config_selectorIhjNS0_4plusIjEEEEZZNS1_33reduce_by_key_impl_wrapped_configILNS1_25lookback_scan_determinismE0ES3_S7_PKhNS0_17constant_iteratorIjlEEPhPlSF_S6_NS0_8equal_toIhEEEE10hipError_tPvRmT2_T3_mT4_T5_T6_T7_T8_P12ihipStream_tbENKUlT_T0_E_clISt17integral_constantIbLb1EESY_IbLb0EEEEDaSU_SV_EUlSU_E_NS1_11comp_targetILNS1_3genE9ELNS1_11target_archE1100ELNS1_3gpuE3ELNS1_3repE0EEENS1_30default_config_static_selectorELNS0_4arch9wavefront6targetE1EEEvT1_,comdat
.Lfunc_end191:
	.size	_ZN7rocprim17ROCPRIM_400000_NS6detail17trampoline_kernelINS0_14default_configENS1_33run_length_encode_config_selectorIhjNS0_4plusIjEEEEZZNS1_33reduce_by_key_impl_wrapped_configILNS1_25lookback_scan_determinismE0ES3_S7_PKhNS0_17constant_iteratorIjlEEPhPlSF_S6_NS0_8equal_toIhEEEE10hipError_tPvRmT2_T3_mT4_T5_T6_T7_T8_P12ihipStream_tbENKUlT_T0_E_clISt17integral_constantIbLb1EESY_IbLb0EEEEDaSU_SV_EUlSU_E_NS1_11comp_targetILNS1_3genE9ELNS1_11target_archE1100ELNS1_3gpuE3ELNS1_3repE0EEENS1_30default_config_static_selectorELNS0_4arch9wavefront6targetE1EEEvT1_, .Lfunc_end191-_ZN7rocprim17ROCPRIM_400000_NS6detail17trampoline_kernelINS0_14default_configENS1_33run_length_encode_config_selectorIhjNS0_4plusIjEEEEZZNS1_33reduce_by_key_impl_wrapped_configILNS1_25lookback_scan_determinismE0ES3_S7_PKhNS0_17constant_iteratorIjlEEPhPlSF_S6_NS0_8equal_toIhEEEE10hipError_tPvRmT2_T3_mT4_T5_T6_T7_T8_P12ihipStream_tbENKUlT_T0_E_clISt17integral_constantIbLb1EESY_IbLb0EEEEDaSU_SV_EUlSU_E_NS1_11comp_targetILNS1_3genE9ELNS1_11target_archE1100ELNS1_3gpuE3ELNS1_3repE0EEENS1_30default_config_static_selectorELNS0_4arch9wavefront6targetE1EEEvT1_
                                        ; -- End function
	.section	.AMDGPU.csdata,"",@progbits
; Kernel info:
; codeLenInByte = 0
; NumSgprs: 4
; NumVgprs: 0
; NumAgprs: 0
; TotalNumVgprs: 0
; ScratchSize: 0
; MemoryBound: 0
; FloatMode: 240
; IeeeMode: 1
; LDSByteSize: 0 bytes/workgroup (compile time only)
; SGPRBlocks: 0
; VGPRBlocks: 0
; NumSGPRsForWavesPerEU: 4
; NumVGPRsForWavesPerEU: 1
; AccumOffset: 4
; Occupancy: 8
; WaveLimiterHint : 0
; COMPUTE_PGM_RSRC2:SCRATCH_EN: 0
; COMPUTE_PGM_RSRC2:USER_SGPR: 6
; COMPUTE_PGM_RSRC2:TRAP_HANDLER: 0
; COMPUTE_PGM_RSRC2:TGID_X_EN: 1
; COMPUTE_PGM_RSRC2:TGID_Y_EN: 0
; COMPUTE_PGM_RSRC2:TGID_Z_EN: 0
; COMPUTE_PGM_RSRC2:TIDIG_COMP_CNT: 0
; COMPUTE_PGM_RSRC3_GFX90A:ACCUM_OFFSET: 0
; COMPUTE_PGM_RSRC3_GFX90A:TG_SPLIT: 0
	.section	.text._ZN7rocprim17ROCPRIM_400000_NS6detail17trampoline_kernelINS0_14default_configENS1_33run_length_encode_config_selectorIhjNS0_4plusIjEEEEZZNS1_33reduce_by_key_impl_wrapped_configILNS1_25lookback_scan_determinismE0ES3_S7_PKhNS0_17constant_iteratorIjlEEPhPlSF_S6_NS0_8equal_toIhEEEE10hipError_tPvRmT2_T3_mT4_T5_T6_T7_T8_P12ihipStream_tbENKUlT_T0_E_clISt17integral_constantIbLb1EESY_IbLb0EEEEDaSU_SV_EUlSU_E_NS1_11comp_targetILNS1_3genE8ELNS1_11target_archE1030ELNS1_3gpuE2ELNS1_3repE0EEENS1_30default_config_static_selectorELNS0_4arch9wavefront6targetE1EEEvT1_,"axG",@progbits,_ZN7rocprim17ROCPRIM_400000_NS6detail17trampoline_kernelINS0_14default_configENS1_33run_length_encode_config_selectorIhjNS0_4plusIjEEEEZZNS1_33reduce_by_key_impl_wrapped_configILNS1_25lookback_scan_determinismE0ES3_S7_PKhNS0_17constant_iteratorIjlEEPhPlSF_S6_NS0_8equal_toIhEEEE10hipError_tPvRmT2_T3_mT4_T5_T6_T7_T8_P12ihipStream_tbENKUlT_T0_E_clISt17integral_constantIbLb1EESY_IbLb0EEEEDaSU_SV_EUlSU_E_NS1_11comp_targetILNS1_3genE8ELNS1_11target_archE1030ELNS1_3gpuE2ELNS1_3repE0EEENS1_30default_config_static_selectorELNS0_4arch9wavefront6targetE1EEEvT1_,comdat
	.protected	_ZN7rocprim17ROCPRIM_400000_NS6detail17trampoline_kernelINS0_14default_configENS1_33run_length_encode_config_selectorIhjNS0_4plusIjEEEEZZNS1_33reduce_by_key_impl_wrapped_configILNS1_25lookback_scan_determinismE0ES3_S7_PKhNS0_17constant_iteratorIjlEEPhPlSF_S6_NS0_8equal_toIhEEEE10hipError_tPvRmT2_T3_mT4_T5_T6_T7_T8_P12ihipStream_tbENKUlT_T0_E_clISt17integral_constantIbLb1EESY_IbLb0EEEEDaSU_SV_EUlSU_E_NS1_11comp_targetILNS1_3genE8ELNS1_11target_archE1030ELNS1_3gpuE2ELNS1_3repE0EEENS1_30default_config_static_selectorELNS0_4arch9wavefront6targetE1EEEvT1_ ; -- Begin function _ZN7rocprim17ROCPRIM_400000_NS6detail17trampoline_kernelINS0_14default_configENS1_33run_length_encode_config_selectorIhjNS0_4plusIjEEEEZZNS1_33reduce_by_key_impl_wrapped_configILNS1_25lookback_scan_determinismE0ES3_S7_PKhNS0_17constant_iteratorIjlEEPhPlSF_S6_NS0_8equal_toIhEEEE10hipError_tPvRmT2_T3_mT4_T5_T6_T7_T8_P12ihipStream_tbENKUlT_T0_E_clISt17integral_constantIbLb1EESY_IbLb0EEEEDaSU_SV_EUlSU_E_NS1_11comp_targetILNS1_3genE8ELNS1_11target_archE1030ELNS1_3gpuE2ELNS1_3repE0EEENS1_30default_config_static_selectorELNS0_4arch9wavefront6targetE1EEEvT1_
	.globl	_ZN7rocprim17ROCPRIM_400000_NS6detail17trampoline_kernelINS0_14default_configENS1_33run_length_encode_config_selectorIhjNS0_4plusIjEEEEZZNS1_33reduce_by_key_impl_wrapped_configILNS1_25lookback_scan_determinismE0ES3_S7_PKhNS0_17constant_iteratorIjlEEPhPlSF_S6_NS0_8equal_toIhEEEE10hipError_tPvRmT2_T3_mT4_T5_T6_T7_T8_P12ihipStream_tbENKUlT_T0_E_clISt17integral_constantIbLb1EESY_IbLb0EEEEDaSU_SV_EUlSU_E_NS1_11comp_targetILNS1_3genE8ELNS1_11target_archE1030ELNS1_3gpuE2ELNS1_3repE0EEENS1_30default_config_static_selectorELNS0_4arch9wavefront6targetE1EEEvT1_
	.p2align	8
	.type	_ZN7rocprim17ROCPRIM_400000_NS6detail17trampoline_kernelINS0_14default_configENS1_33run_length_encode_config_selectorIhjNS0_4plusIjEEEEZZNS1_33reduce_by_key_impl_wrapped_configILNS1_25lookback_scan_determinismE0ES3_S7_PKhNS0_17constant_iteratorIjlEEPhPlSF_S6_NS0_8equal_toIhEEEE10hipError_tPvRmT2_T3_mT4_T5_T6_T7_T8_P12ihipStream_tbENKUlT_T0_E_clISt17integral_constantIbLb1EESY_IbLb0EEEEDaSU_SV_EUlSU_E_NS1_11comp_targetILNS1_3genE8ELNS1_11target_archE1030ELNS1_3gpuE2ELNS1_3repE0EEENS1_30default_config_static_selectorELNS0_4arch9wavefront6targetE1EEEvT1_,@function
_ZN7rocprim17ROCPRIM_400000_NS6detail17trampoline_kernelINS0_14default_configENS1_33run_length_encode_config_selectorIhjNS0_4plusIjEEEEZZNS1_33reduce_by_key_impl_wrapped_configILNS1_25lookback_scan_determinismE0ES3_S7_PKhNS0_17constant_iteratorIjlEEPhPlSF_S6_NS0_8equal_toIhEEEE10hipError_tPvRmT2_T3_mT4_T5_T6_T7_T8_P12ihipStream_tbENKUlT_T0_E_clISt17integral_constantIbLb1EESY_IbLb0EEEEDaSU_SV_EUlSU_E_NS1_11comp_targetILNS1_3genE8ELNS1_11target_archE1030ELNS1_3gpuE2ELNS1_3repE0EEENS1_30default_config_static_selectorELNS0_4arch9wavefront6targetE1EEEvT1_: ; @_ZN7rocprim17ROCPRIM_400000_NS6detail17trampoline_kernelINS0_14default_configENS1_33run_length_encode_config_selectorIhjNS0_4plusIjEEEEZZNS1_33reduce_by_key_impl_wrapped_configILNS1_25lookback_scan_determinismE0ES3_S7_PKhNS0_17constant_iteratorIjlEEPhPlSF_S6_NS0_8equal_toIhEEEE10hipError_tPvRmT2_T3_mT4_T5_T6_T7_T8_P12ihipStream_tbENKUlT_T0_E_clISt17integral_constantIbLb1EESY_IbLb0EEEEDaSU_SV_EUlSU_E_NS1_11comp_targetILNS1_3genE8ELNS1_11target_archE1030ELNS1_3gpuE2ELNS1_3repE0EEENS1_30default_config_static_selectorELNS0_4arch9wavefront6targetE1EEEvT1_
; %bb.0:
	.section	.rodata,"a",@progbits
	.p2align	6, 0x0
	.amdhsa_kernel _ZN7rocprim17ROCPRIM_400000_NS6detail17trampoline_kernelINS0_14default_configENS1_33run_length_encode_config_selectorIhjNS0_4plusIjEEEEZZNS1_33reduce_by_key_impl_wrapped_configILNS1_25lookback_scan_determinismE0ES3_S7_PKhNS0_17constant_iteratorIjlEEPhPlSF_S6_NS0_8equal_toIhEEEE10hipError_tPvRmT2_T3_mT4_T5_T6_T7_T8_P12ihipStream_tbENKUlT_T0_E_clISt17integral_constantIbLb1EESY_IbLb0EEEEDaSU_SV_EUlSU_E_NS1_11comp_targetILNS1_3genE8ELNS1_11target_archE1030ELNS1_3gpuE2ELNS1_3repE0EEENS1_30default_config_static_selectorELNS0_4arch9wavefront6targetE1EEEvT1_
		.amdhsa_group_segment_fixed_size 0
		.amdhsa_private_segment_fixed_size 0
		.amdhsa_kernarg_size 128
		.amdhsa_user_sgpr_count 6
		.amdhsa_user_sgpr_private_segment_buffer 1
		.amdhsa_user_sgpr_dispatch_ptr 0
		.amdhsa_user_sgpr_queue_ptr 0
		.amdhsa_user_sgpr_kernarg_segment_ptr 1
		.amdhsa_user_sgpr_dispatch_id 0
		.amdhsa_user_sgpr_flat_scratch_init 0
		.amdhsa_user_sgpr_kernarg_preload_length 0
		.amdhsa_user_sgpr_kernarg_preload_offset 0
		.amdhsa_user_sgpr_private_segment_size 0
		.amdhsa_uses_dynamic_stack 0
		.amdhsa_system_sgpr_private_segment_wavefront_offset 0
		.amdhsa_system_sgpr_workgroup_id_x 1
		.amdhsa_system_sgpr_workgroup_id_y 0
		.amdhsa_system_sgpr_workgroup_id_z 0
		.amdhsa_system_sgpr_workgroup_info 0
		.amdhsa_system_vgpr_workitem_id 0
		.amdhsa_next_free_vgpr 1
		.amdhsa_next_free_sgpr 0
		.amdhsa_accum_offset 4
		.amdhsa_reserve_vcc 0
		.amdhsa_reserve_flat_scratch 0
		.amdhsa_float_round_mode_32 0
		.amdhsa_float_round_mode_16_64 0
		.amdhsa_float_denorm_mode_32 3
		.amdhsa_float_denorm_mode_16_64 3
		.amdhsa_dx10_clamp 1
		.amdhsa_ieee_mode 1
		.amdhsa_fp16_overflow 0
		.amdhsa_tg_split 0
		.amdhsa_exception_fp_ieee_invalid_op 0
		.amdhsa_exception_fp_denorm_src 0
		.amdhsa_exception_fp_ieee_div_zero 0
		.amdhsa_exception_fp_ieee_overflow 0
		.amdhsa_exception_fp_ieee_underflow 0
		.amdhsa_exception_fp_ieee_inexact 0
		.amdhsa_exception_int_div_zero 0
	.end_amdhsa_kernel
	.section	.text._ZN7rocprim17ROCPRIM_400000_NS6detail17trampoline_kernelINS0_14default_configENS1_33run_length_encode_config_selectorIhjNS0_4plusIjEEEEZZNS1_33reduce_by_key_impl_wrapped_configILNS1_25lookback_scan_determinismE0ES3_S7_PKhNS0_17constant_iteratorIjlEEPhPlSF_S6_NS0_8equal_toIhEEEE10hipError_tPvRmT2_T3_mT4_T5_T6_T7_T8_P12ihipStream_tbENKUlT_T0_E_clISt17integral_constantIbLb1EESY_IbLb0EEEEDaSU_SV_EUlSU_E_NS1_11comp_targetILNS1_3genE8ELNS1_11target_archE1030ELNS1_3gpuE2ELNS1_3repE0EEENS1_30default_config_static_selectorELNS0_4arch9wavefront6targetE1EEEvT1_,"axG",@progbits,_ZN7rocprim17ROCPRIM_400000_NS6detail17trampoline_kernelINS0_14default_configENS1_33run_length_encode_config_selectorIhjNS0_4plusIjEEEEZZNS1_33reduce_by_key_impl_wrapped_configILNS1_25lookback_scan_determinismE0ES3_S7_PKhNS0_17constant_iteratorIjlEEPhPlSF_S6_NS0_8equal_toIhEEEE10hipError_tPvRmT2_T3_mT4_T5_T6_T7_T8_P12ihipStream_tbENKUlT_T0_E_clISt17integral_constantIbLb1EESY_IbLb0EEEEDaSU_SV_EUlSU_E_NS1_11comp_targetILNS1_3genE8ELNS1_11target_archE1030ELNS1_3gpuE2ELNS1_3repE0EEENS1_30default_config_static_selectorELNS0_4arch9wavefront6targetE1EEEvT1_,comdat
.Lfunc_end192:
	.size	_ZN7rocprim17ROCPRIM_400000_NS6detail17trampoline_kernelINS0_14default_configENS1_33run_length_encode_config_selectorIhjNS0_4plusIjEEEEZZNS1_33reduce_by_key_impl_wrapped_configILNS1_25lookback_scan_determinismE0ES3_S7_PKhNS0_17constant_iteratorIjlEEPhPlSF_S6_NS0_8equal_toIhEEEE10hipError_tPvRmT2_T3_mT4_T5_T6_T7_T8_P12ihipStream_tbENKUlT_T0_E_clISt17integral_constantIbLb1EESY_IbLb0EEEEDaSU_SV_EUlSU_E_NS1_11comp_targetILNS1_3genE8ELNS1_11target_archE1030ELNS1_3gpuE2ELNS1_3repE0EEENS1_30default_config_static_selectorELNS0_4arch9wavefront6targetE1EEEvT1_, .Lfunc_end192-_ZN7rocprim17ROCPRIM_400000_NS6detail17trampoline_kernelINS0_14default_configENS1_33run_length_encode_config_selectorIhjNS0_4plusIjEEEEZZNS1_33reduce_by_key_impl_wrapped_configILNS1_25lookback_scan_determinismE0ES3_S7_PKhNS0_17constant_iteratorIjlEEPhPlSF_S6_NS0_8equal_toIhEEEE10hipError_tPvRmT2_T3_mT4_T5_T6_T7_T8_P12ihipStream_tbENKUlT_T0_E_clISt17integral_constantIbLb1EESY_IbLb0EEEEDaSU_SV_EUlSU_E_NS1_11comp_targetILNS1_3genE8ELNS1_11target_archE1030ELNS1_3gpuE2ELNS1_3repE0EEENS1_30default_config_static_selectorELNS0_4arch9wavefront6targetE1EEEvT1_
                                        ; -- End function
	.section	.AMDGPU.csdata,"",@progbits
; Kernel info:
; codeLenInByte = 0
; NumSgprs: 4
; NumVgprs: 0
; NumAgprs: 0
; TotalNumVgprs: 0
; ScratchSize: 0
; MemoryBound: 0
; FloatMode: 240
; IeeeMode: 1
; LDSByteSize: 0 bytes/workgroup (compile time only)
; SGPRBlocks: 0
; VGPRBlocks: 0
; NumSGPRsForWavesPerEU: 4
; NumVGPRsForWavesPerEU: 1
; AccumOffset: 4
; Occupancy: 8
; WaveLimiterHint : 0
; COMPUTE_PGM_RSRC2:SCRATCH_EN: 0
; COMPUTE_PGM_RSRC2:USER_SGPR: 6
; COMPUTE_PGM_RSRC2:TRAP_HANDLER: 0
; COMPUTE_PGM_RSRC2:TGID_X_EN: 1
; COMPUTE_PGM_RSRC2:TGID_Y_EN: 0
; COMPUTE_PGM_RSRC2:TGID_Z_EN: 0
; COMPUTE_PGM_RSRC2:TIDIG_COMP_CNT: 0
; COMPUTE_PGM_RSRC3_GFX90A:ACCUM_OFFSET: 0
; COMPUTE_PGM_RSRC3_GFX90A:TG_SPLIT: 0
	.section	.text._ZN7rocprim17ROCPRIM_400000_NS6detail17trampoline_kernelINS0_14default_configENS1_33run_length_encode_config_selectorIhjNS0_4plusIjEEEEZZNS1_33reduce_by_key_impl_wrapped_configILNS1_25lookback_scan_determinismE0ES3_S7_PKhNS0_17constant_iteratorIjlEEPhPlSF_S6_NS0_8equal_toIhEEEE10hipError_tPvRmT2_T3_mT4_T5_T6_T7_T8_P12ihipStream_tbENKUlT_T0_E_clISt17integral_constantIbLb0EESY_IbLb1EEEEDaSU_SV_EUlSU_E_NS1_11comp_targetILNS1_3genE0ELNS1_11target_archE4294967295ELNS1_3gpuE0ELNS1_3repE0EEENS1_30default_config_static_selectorELNS0_4arch9wavefront6targetE1EEEvT1_,"axG",@progbits,_ZN7rocprim17ROCPRIM_400000_NS6detail17trampoline_kernelINS0_14default_configENS1_33run_length_encode_config_selectorIhjNS0_4plusIjEEEEZZNS1_33reduce_by_key_impl_wrapped_configILNS1_25lookback_scan_determinismE0ES3_S7_PKhNS0_17constant_iteratorIjlEEPhPlSF_S6_NS0_8equal_toIhEEEE10hipError_tPvRmT2_T3_mT4_T5_T6_T7_T8_P12ihipStream_tbENKUlT_T0_E_clISt17integral_constantIbLb0EESY_IbLb1EEEEDaSU_SV_EUlSU_E_NS1_11comp_targetILNS1_3genE0ELNS1_11target_archE4294967295ELNS1_3gpuE0ELNS1_3repE0EEENS1_30default_config_static_selectorELNS0_4arch9wavefront6targetE1EEEvT1_,comdat
	.protected	_ZN7rocprim17ROCPRIM_400000_NS6detail17trampoline_kernelINS0_14default_configENS1_33run_length_encode_config_selectorIhjNS0_4plusIjEEEEZZNS1_33reduce_by_key_impl_wrapped_configILNS1_25lookback_scan_determinismE0ES3_S7_PKhNS0_17constant_iteratorIjlEEPhPlSF_S6_NS0_8equal_toIhEEEE10hipError_tPvRmT2_T3_mT4_T5_T6_T7_T8_P12ihipStream_tbENKUlT_T0_E_clISt17integral_constantIbLb0EESY_IbLb1EEEEDaSU_SV_EUlSU_E_NS1_11comp_targetILNS1_3genE0ELNS1_11target_archE4294967295ELNS1_3gpuE0ELNS1_3repE0EEENS1_30default_config_static_selectorELNS0_4arch9wavefront6targetE1EEEvT1_ ; -- Begin function _ZN7rocprim17ROCPRIM_400000_NS6detail17trampoline_kernelINS0_14default_configENS1_33run_length_encode_config_selectorIhjNS0_4plusIjEEEEZZNS1_33reduce_by_key_impl_wrapped_configILNS1_25lookback_scan_determinismE0ES3_S7_PKhNS0_17constant_iteratorIjlEEPhPlSF_S6_NS0_8equal_toIhEEEE10hipError_tPvRmT2_T3_mT4_T5_T6_T7_T8_P12ihipStream_tbENKUlT_T0_E_clISt17integral_constantIbLb0EESY_IbLb1EEEEDaSU_SV_EUlSU_E_NS1_11comp_targetILNS1_3genE0ELNS1_11target_archE4294967295ELNS1_3gpuE0ELNS1_3repE0EEENS1_30default_config_static_selectorELNS0_4arch9wavefront6targetE1EEEvT1_
	.globl	_ZN7rocprim17ROCPRIM_400000_NS6detail17trampoline_kernelINS0_14default_configENS1_33run_length_encode_config_selectorIhjNS0_4plusIjEEEEZZNS1_33reduce_by_key_impl_wrapped_configILNS1_25lookback_scan_determinismE0ES3_S7_PKhNS0_17constant_iteratorIjlEEPhPlSF_S6_NS0_8equal_toIhEEEE10hipError_tPvRmT2_T3_mT4_T5_T6_T7_T8_P12ihipStream_tbENKUlT_T0_E_clISt17integral_constantIbLb0EESY_IbLb1EEEEDaSU_SV_EUlSU_E_NS1_11comp_targetILNS1_3genE0ELNS1_11target_archE4294967295ELNS1_3gpuE0ELNS1_3repE0EEENS1_30default_config_static_selectorELNS0_4arch9wavefront6targetE1EEEvT1_
	.p2align	8
	.type	_ZN7rocprim17ROCPRIM_400000_NS6detail17trampoline_kernelINS0_14default_configENS1_33run_length_encode_config_selectorIhjNS0_4plusIjEEEEZZNS1_33reduce_by_key_impl_wrapped_configILNS1_25lookback_scan_determinismE0ES3_S7_PKhNS0_17constant_iteratorIjlEEPhPlSF_S6_NS0_8equal_toIhEEEE10hipError_tPvRmT2_T3_mT4_T5_T6_T7_T8_P12ihipStream_tbENKUlT_T0_E_clISt17integral_constantIbLb0EESY_IbLb1EEEEDaSU_SV_EUlSU_E_NS1_11comp_targetILNS1_3genE0ELNS1_11target_archE4294967295ELNS1_3gpuE0ELNS1_3repE0EEENS1_30default_config_static_selectorELNS0_4arch9wavefront6targetE1EEEvT1_,@function
_ZN7rocprim17ROCPRIM_400000_NS6detail17trampoline_kernelINS0_14default_configENS1_33run_length_encode_config_selectorIhjNS0_4plusIjEEEEZZNS1_33reduce_by_key_impl_wrapped_configILNS1_25lookback_scan_determinismE0ES3_S7_PKhNS0_17constant_iteratorIjlEEPhPlSF_S6_NS0_8equal_toIhEEEE10hipError_tPvRmT2_T3_mT4_T5_T6_T7_T8_P12ihipStream_tbENKUlT_T0_E_clISt17integral_constantIbLb0EESY_IbLb1EEEEDaSU_SV_EUlSU_E_NS1_11comp_targetILNS1_3genE0ELNS1_11target_archE4294967295ELNS1_3gpuE0ELNS1_3repE0EEENS1_30default_config_static_selectorELNS0_4arch9wavefront6targetE1EEEvT1_: ; @_ZN7rocprim17ROCPRIM_400000_NS6detail17trampoline_kernelINS0_14default_configENS1_33run_length_encode_config_selectorIhjNS0_4plusIjEEEEZZNS1_33reduce_by_key_impl_wrapped_configILNS1_25lookback_scan_determinismE0ES3_S7_PKhNS0_17constant_iteratorIjlEEPhPlSF_S6_NS0_8equal_toIhEEEE10hipError_tPvRmT2_T3_mT4_T5_T6_T7_T8_P12ihipStream_tbENKUlT_T0_E_clISt17integral_constantIbLb0EESY_IbLb1EEEEDaSU_SV_EUlSU_E_NS1_11comp_targetILNS1_3genE0ELNS1_11target_archE4294967295ELNS1_3gpuE0ELNS1_3repE0EEENS1_30default_config_static_selectorELNS0_4arch9wavefront6targetE1EEEvT1_
; %bb.0:
	.section	.rodata,"a",@progbits
	.p2align	6, 0x0
	.amdhsa_kernel _ZN7rocprim17ROCPRIM_400000_NS6detail17trampoline_kernelINS0_14default_configENS1_33run_length_encode_config_selectorIhjNS0_4plusIjEEEEZZNS1_33reduce_by_key_impl_wrapped_configILNS1_25lookback_scan_determinismE0ES3_S7_PKhNS0_17constant_iteratorIjlEEPhPlSF_S6_NS0_8equal_toIhEEEE10hipError_tPvRmT2_T3_mT4_T5_T6_T7_T8_P12ihipStream_tbENKUlT_T0_E_clISt17integral_constantIbLb0EESY_IbLb1EEEEDaSU_SV_EUlSU_E_NS1_11comp_targetILNS1_3genE0ELNS1_11target_archE4294967295ELNS1_3gpuE0ELNS1_3repE0EEENS1_30default_config_static_selectorELNS0_4arch9wavefront6targetE1EEEvT1_
		.amdhsa_group_segment_fixed_size 0
		.amdhsa_private_segment_fixed_size 0
		.amdhsa_kernarg_size 128
		.amdhsa_user_sgpr_count 6
		.amdhsa_user_sgpr_private_segment_buffer 1
		.amdhsa_user_sgpr_dispatch_ptr 0
		.amdhsa_user_sgpr_queue_ptr 0
		.amdhsa_user_sgpr_kernarg_segment_ptr 1
		.amdhsa_user_sgpr_dispatch_id 0
		.amdhsa_user_sgpr_flat_scratch_init 0
		.amdhsa_user_sgpr_kernarg_preload_length 0
		.amdhsa_user_sgpr_kernarg_preload_offset 0
		.amdhsa_user_sgpr_private_segment_size 0
		.amdhsa_uses_dynamic_stack 0
		.amdhsa_system_sgpr_private_segment_wavefront_offset 0
		.amdhsa_system_sgpr_workgroup_id_x 1
		.amdhsa_system_sgpr_workgroup_id_y 0
		.amdhsa_system_sgpr_workgroup_id_z 0
		.amdhsa_system_sgpr_workgroup_info 0
		.amdhsa_system_vgpr_workitem_id 0
		.amdhsa_next_free_vgpr 1
		.amdhsa_next_free_sgpr 0
		.amdhsa_accum_offset 4
		.amdhsa_reserve_vcc 0
		.amdhsa_reserve_flat_scratch 0
		.amdhsa_float_round_mode_32 0
		.amdhsa_float_round_mode_16_64 0
		.amdhsa_float_denorm_mode_32 3
		.amdhsa_float_denorm_mode_16_64 3
		.amdhsa_dx10_clamp 1
		.amdhsa_ieee_mode 1
		.amdhsa_fp16_overflow 0
		.amdhsa_tg_split 0
		.amdhsa_exception_fp_ieee_invalid_op 0
		.amdhsa_exception_fp_denorm_src 0
		.amdhsa_exception_fp_ieee_div_zero 0
		.amdhsa_exception_fp_ieee_overflow 0
		.amdhsa_exception_fp_ieee_underflow 0
		.amdhsa_exception_fp_ieee_inexact 0
		.amdhsa_exception_int_div_zero 0
	.end_amdhsa_kernel
	.section	.text._ZN7rocprim17ROCPRIM_400000_NS6detail17trampoline_kernelINS0_14default_configENS1_33run_length_encode_config_selectorIhjNS0_4plusIjEEEEZZNS1_33reduce_by_key_impl_wrapped_configILNS1_25lookback_scan_determinismE0ES3_S7_PKhNS0_17constant_iteratorIjlEEPhPlSF_S6_NS0_8equal_toIhEEEE10hipError_tPvRmT2_T3_mT4_T5_T6_T7_T8_P12ihipStream_tbENKUlT_T0_E_clISt17integral_constantIbLb0EESY_IbLb1EEEEDaSU_SV_EUlSU_E_NS1_11comp_targetILNS1_3genE0ELNS1_11target_archE4294967295ELNS1_3gpuE0ELNS1_3repE0EEENS1_30default_config_static_selectorELNS0_4arch9wavefront6targetE1EEEvT1_,"axG",@progbits,_ZN7rocprim17ROCPRIM_400000_NS6detail17trampoline_kernelINS0_14default_configENS1_33run_length_encode_config_selectorIhjNS0_4plusIjEEEEZZNS1_33reduce_by_key_impl_wrapped_configILNS1_25lookback_scan_determinismE0ES3_S7_PKhNS0_17constant_iteratorIjlEEPhPlSF_S6_NS0_8equal_toIhEEEE10hipError_tPvRmT2_T3_mT4_T5_T6_T7_T8_P12ihipStream_tbENKUlT_T0_E_clISt17integral_constantIbLb0EESY_IbLb1EEEEDaSU_SV_EUlSU_E_NS1_11comp_targetILNS1_3genE0ELNS1_11target_archE4294967295ELNS1_3gpuE0ELNS1_3repE0EEENS1_30default_config_static_selectorELNS0_4arch9wavefront6targetE1EEEvT1_,comdat
.Lfunc_end193:
	.size	_ZN7rocprim17ROCPRIM_400000_NS6detail17trampoline_kernelINS0_14default_configENS1_33run_length_encode_config_selectorIhjNS0_4plusIjEEEEZZNS1_33reduce_by_key_impl_wrapped_configILNS1_25lookback_scan_determinismE0ES3_S7_PKhNS0_17constant_iteratorIjlEEPhPlSF_S6_NS0_8equal_toIhEEEE10hipError_tPvRmT2_T3_mT4_T5_T6_T7_T8_P12ihipStream_tbENKUlT_T0_E_clISt17integral_constantIbLb0EESY_IbLb1EEEEDaSU_SV_EUlSU_E_NS1_11comp_targetILNS1_3genE0ELNS1_11target_archE4294967295ELNS1_3gpuE0ELNS1_3repE0EEENS1_30default_config_static_selectorELNS0_4arch9wavefront6targetE1EEEvT1_, .Lfunc_end193-_ZN7rocprim17ROCPRIM_400000_NS6detail17trampoline_kernelINS0_14default_configENS1_33run_length_encode_config_selectorIhjNS0_4plusIjEEEEZZNS1_33reduce_by_key_impl_wrapped_configILNS1_25lookback_scan_determinismE0ES3_S7_PKhNS0_17constant_iteratorIjlEEPhPlSF_S6_NS0_8equal_toIhEEEE10hipError_tPvRmT2_T3_mT4_T5_T6_T7_T8_P12ihipStream_tbENKUlT_T0_E_clISt17integral_constantIbLb0EESY_IbLb1EEEEDaSU_SV_EUlSU_E_NS1_11comp_targetILNS1_3genE0ELNS1_11target_archE4294967295ELNS1_3gpuE0ELNS1_3repE0EEENS1_30default_config_static_selectorELNS0_4arch9wavefront6targetE1EEEvT1_
                                        ; -- End function
	.section	.AMDGPU.csdata,"",@progbits
; Kernel info:
; codeLenInByte = 0
; NumSgprs: 4
; NumVgprs: 0
; NumAgprs: 0
; TotalNumVgprs: 0
; ScratchSize: 0
; MemoryBound: 0
; FloatMode: 240
; IeeeMode: 1
; LDSByteSize: 0 bytes/workgroup (compile time only)
; SGPRBlocks: 0
; VGPRBlocks: 0
; NumSGPRsForWavesPerEU: 4
; NumVGPRsForWavesPerEU: 1
; AccumOffset: 4
; Occupancy: 8
; WaveLimiterHint : 0
; COMPUTE_PGM_RSRC2:SCRATCH_EN: 0
; COMPUTE_PGM_RSRC2:USER_SGPR: 6
; COMPUTE_PGM_RSRC2:TRAP_HANDLER: 0
; COMPUTE_PGM_RSRC2:TGID_X_EN: 1
; COMPUTE_PGM_RSRC2:TGID_Y_EN: 0
; COMPUTE_PGM_RSRC2:TGID_Z_EN: 0
; COMPUTE_PGM_RSRC2:TIDIG_COMP_CNT: 0
; COMPUTE_PGM_RSRC3_GFX90A:ACCUM_OFFSET: 0
; COMPUTE_PGM_RSRC3_GFX90A:TG_SPLIT: 0
	.section	.text._ZN7rocprim17ROCPRIM_400000_NS6detail17trampoline_kernelINS0_14default_configENS1_33run_length_encode_config_selectorIhjNS0_4plusIjEEEEZZNS1_33reduce_by_key_impl_wrapped_configILNS1_25lookback_scan_determinismE0ES3_S7_PKhNS0_17constant_iteratorIjlEEPhPlSF_S6_NS0_8equal_toIhEEEE10hipError_tPvRmT2_T3_mT4_T5_T6_T7_T8_P12ihipStream_tbENKUlT_T0_E_clISt17integral_constantIbLb0EESY_IbLb1EEEEDaSU_SV_EUlSU_E_NS1_11comp_targetILNS1_3genE5ELNS1_11target_archE942ELNS1_3gpuE9ELNS1_3repE0EEENS1_30default_config_static_selectorELNS0_4arch9wavefront6targetE1EEEvT1_,"axG",@progbits,_ZN7rocprim17ROCPRIM_400000_NS6detail17trampoline_kernelINS0_14default_configENS1_33run_length_encode_config_selectorIhjNS0_4plusIjEEEEZZNS1_33reduce_by_key_impl_wrapped_configILNS1_25lookback_scan_determinismE0ES3_S7_PKhNS0_17constant_iteratorIjlEEPhPlSF_S6_NS0_8equal_toIhEEEE10hipError_tPvRmT2_T3_mT4_T5_T6_T7_T8_P12ihipStream_tbENKUlT_T0_E_clISt17integral_constantIbLb0EESY_IbLb1EEEEDaSU_SV_EUlSU_E_NS1_11comp_targetILNS1_3genE5ELNS1_11target_archE942ELNS1_3gpuE9ELNS1_3repE0EEENS1_30default_config_static_selectorELNS0_4arch9wavefront6targetE1EEEvT1_,comdat
	.protected	_ZN7rocprim17ROCPRIM_400000_NS6detail17trampoline_kernelINS0_14default_configENS1_33run_length_encode_config_selectorIhjNS0_4plusIjEEEEZZNS1_33reduce_by_key_impl_wrapped_configILNS1_25lookback_scan_determinismE0ES3_S7_PKhNS0_17constant_iteratorIjlEEPhPlSF_S6_NS0_8equal_toIhEEEE10hipError_tPvRmT2_T3_mT4_T5_T6_T7_T8_P12ihipStream_tbENKUlT_T0_E_clISt17integral_constantIbLb0EESY_IbLb1EEEEDaSU_SV_EUlSU_E_NS1_11comp_targetILNS1_3genE5ELNS1_11target_archE942ELNS1_3gpuE9ELNS1_3repE0EEENS1_30default_config_static_selectorELNS0_4arch9wavefront6targetE1EEEvT1_ ; -- Begin function _ZN7rocprim17ROCPRIM_400000_NS6detail17trampoline_kernelINS0_14default_configENS1_33run_length_encode_config_selectorIhjNS0_4plusIjEEEEZZNS1_33reduce_by_key_impl_wrapped_configILNS1_25lookback_scan_determinismE0ES3_S7_PKhNS0_17constant_iteratorIjlEEPhPlSF_S6_NS0_8equal_toIhEEEE10hipError_tPvRmT2_T3_mT4_T5_T6_T7_T8_P12ihipStream_tbENKUlT_T0_E_clISt17integral_constantIbLb0EESY_IbLb1EEEEDaSU_SV_EUlSU_E_NS1_11comp_targetILNS1_3genE5ELNS1_11target_archE942ELNS1_3gpuE9ELNS1_3repE0EEENS1_30default_config_static_selectorELNS0_4arch9wavefront6targetE1EEEvT1_
	.globl	_ZN7rocprim17ROCPRIM_400000_NS6detail17trampoline_kernelINS0_14default_configENS1_33run_length_encode_config_selectorIhjNS0_4plusIjEEEEZZNS1_33reduce_by_key_impl_wrapped_configILNS1_25lookback_scan_determinismE0ES3_S7_PKhNS0_17constant_iteratorIjlEEPhPlSF_S6_NS0_8equal_toIhEEEE10hipError_tPvRmT2_T3_mT4_T5_T6_T7_T8_P12ihipStream_tbENKUlT_T0_E_clISt17integral_constantIbLb0EESY_IbLb1EEEEDaSU_SV_EUlSU_E_NS1_11comp_targetILNS1_3genE5ELNS1_11target_archE942ELNS1_3gpuE9ELNS1_3repE0EEENS1_30default_config_static_selectorELNS0_4arch9wavefront6targetE1EEEvT1_
	.p2align	8
	.type	_ZN7rocprim17ROCPRIM_400000_NS6detail17trampoline_kernelINS0_14default_configENS1_33run_length_encode_config_selectorIhjNS0_4plusIjEEEEZZNS1_33reduce_by_key_impl_wrapped_configILNS1_25lookback_scan_determinismE0ES3_S7_PKhNS0_17constant_iteratorIjlEEPhPlSF_S6_NS0_8equal_toIhEEEE10hipError_tPvRmT2_T3_mT4_T5_T6_T7_T8_P12ihipStream_tbENKUlT_T0_E_clISt17integral_constantIbLb0EESY_IbLb1EEEEDaSU_SV_EUlSU_E_NS1_11comp_targetILNS1_3genE5ELNS1_11target_archE942ELNS1_3gpuE9ELNS1_3repE0EEENS1_30default_config_static_selectorELNS0_4arch9wavefront6targetE1EEEvT1_,@function
_ZN7rocprim17ROCPRIM_400000_NS6detail17trampoline_kernelINS0_14default_configENS1_33run_length_encode_config_selectorIhjNS0_4plusIjEEEEZZNS1_33reduce_by_key_impl_wrapped_configILNS1_25lookback_scan_determinismE0ES3_S7_PKhNS0_17constant_iteratorIjlEEPhPlSF_S6_NS0_8equal_toIhEEEE10hipError_tPvRmT2_T3_mT4_T5_T6_T7_T8_P12ihipStream_tbENKUlT_T0_E_clISt17integral_constantIbLb0EESY_IbLb1EEEEDaSU_SV_EUlSU_E_NS1_11comp_targetILNS1_3genE5ELNS1_11target_archE942ELNS1_3gpuE9ELNS1_3repE0EEENS1_30default_config_static_selectorELNS0_4arch9wavefront6targetE1EEEvT1_: ; @_ZN7rocprim17ROCPRIM_400000_NS6detail17trampoline_kernelINS0_14default_configENS1_33run_length_encode_config_selectorIhjNS0_4plusIjEEEEZZNS1_33reduce_by_key_impl_wrapped_configILNS1_25lookback_scan_determinismE0ES3_S7_PKhNS0_17constant_iteratorIjlEEPhPlSF_S6_NS0_8equal_toIhEEEE10hipError_tPvRmT2_T3_mT4_T5_T6_T7_T8_P12ihipStream_tbENKUlT_T0_E_clISt17integral_constantIbLb0EESY_IbLb1EEEEDaSU_SV_EUlSU_E_NS1_11comp_targetILNS1_3genE5ELNS1_11target_archE942ELNS1_3gpuE9ELNS1_3repE0EEENS1_30default_config_static_selectorELNS0_4arch9wavefront6targetE1EEEvT1_
; %bb.0:
	.section	.rodata,"a",@progbits
	.p2align	6, 0x0
	.amdhsa_kernel _ZN7rocprim17ROCPRIM_400000_NS6detail17trampoline_kernelINS0_14default_configENS1_33run_length_encode_config_selectorIhjNS0_4plusIjEEEEZZNS1_33reduce_by_key_impl_wrapped_configILNS1_25lookback_scan_determinismE0ES3_S7_PKhNS0_17constant_iteratorIjlEEPhPlSF_S6_NS0_8equal_toIhEEEE10hipError_tPvRmT2_T3_mT4_T5_T6_T7_T8_P12ihipStream_tbENKUlT_T0_E_clISt17integral_constantIbLb0EESY_IbLb1EEEEDaSU_SV_EUlSU_E_NS1_11comp_targetILNS1_3genE5ELNS1_11target_archE942ELNS1_3gpuE9ELNS1_3repE0EEENS1_30default_config_static_selectorELNS0_4arch9wavefront6targetE1EEEvT1_
		.amdhsa_group_segment_fixed_size 0
		.amdhsa_private_segment_fixed_size 0
		.amdhsa_kernarg_size 128
		.amdhsa_user_sgpr_count 6
		.amdhsa_user_sgpr_private_segment_buffer 1
		.amdhsa_user_sgpr_dispatch_ptr 0
		.amdhsa_user_sgpr_queue_ptr 0
		.amdhsa_user_sgpr_kernarg_segment_ptr 1
		.amdhsa_user_sgpr_dispatch_id 0
		.amdhsa_user_sgpr_flat_scratch_init 0
		.amdhsa_user_sgpr_kernarg_preload_length 0
		.amdhsa_user_sgpr_kernarg_preload_offset 0
		.amdhsa_user_sgpr_private_segment_size 0
		.amdhsa_uses_dynamic_stack 0
		.amdhsa_system_sgpr_private_segment_wavefront_offset 0
		.amdhsa_system_sgpr_workgroup_id_x 1
		.amdhsa_system_sgpr_workgroup_id_y 0
		.amdhsa_system_sgpr_workgroup_id_z 0
		.amdhsa_system_sgpr_workgroup_info 0
		.amdhsa_system_vgpr_workitem_id 0
		.amdhsa_next_free_vgpr 1
		.amdhsa_next_free_sgpr 0
		.amdhsa_accum_offset 4
		.amdhsa_reserve_vcc 0
		.amdhsa_reserve_flat_scratch 0
		.amdhsa_float_round_mode_32 0
		.amdhsa_float_round_mode_16_64 0
		.amdhsa_float_denorm_mode_32 3
		.amdhsa_float_denorm_mode_16_64 3
		.amdhsa_dx10_clamp 1
		.amdhsa_ieee_mode 1
		.amdhsa_fp16_overflow 0
		.amdhsa_tg_split 0
		.amdhsa_exception_fp_ieee_invalid_op 0
		.amdhsa_exception_fp_denorm_src 0
		.amdhsa_exception_fp_ieee_div_zero 0
		.amdhsa_exception_fp_ieee_overflow 0
		.amdhsa_exception_fp_ieee_underflow 0
		.amdhsa_exception_fp_ieee_inexact 0
		.amdhsa_exception_int_div_zero 0
	.end_amdhsa_kernel
	.section	.text._ZN7rocprim17ROCPRIM_400000_NS6detail17trampoline_kernelINS0_14default_configENS1_33run_length_encode_config_selectorIhjNS0_4plusIjEEEEZZNS1_33reduce_by_key_impl_wrapped_configILNS1_25lookback_scan_determinismE0ES3_S7_PKhNS0_17constant_iteratorIjlEEPhPlSF_S6_NS0_8equal_toIhEEEE10hipError_tPvRmT2_T3_mT4_T5_T6_T7_T8_P12ihipStream_tbENKUlT_T0_E_clISt17integral_constantIbLb0EESY_IbLb1EEEEDaSU_SV_EUlSU_E_NS1_11comp_targetILNS1_3genE5ELNS1_11target_archE942ELNS1_3gpuE9ELNS1_3repE0EEENS1_30default_config_static_selectorELNS0_4arch9wavefront6targetE1EEEvT1_,"axG",@progbits,_ZN7rocprim17ROCPRIM_400000_NS6detail17trampoline_kernelINS0_14default_configENS1_33run_length_encode_config_selectorIhjNS0_4plusIjEEEEZZNS1_33reduce_by_key_impl_wrapped_configILNS1_25lookback_scan_determinismE0ES3_S7_PKhNS0_17constant_iteratorIjlEEPhPlSF_S6_NS0_8equal_toIhEEEE10hipError_tPvRmT2_T3_mT4_T5_T6_T7_T8_P12ihipStream_tbENKUlT_T0_E_clISt17integral_constantIbLb0EESY_IbLb1EEEEDaSU_SV_EUlSU_E_NS1_11comp_targetILNS1_3genE5ELNS1_11target_archE942ELNS1_3gpuE9ELNS1_3repE0EEENS1_30default_config_static_selectorELNS0_4arch9wavefront6targetE1EEEvT1_,comdat
.Lfunc_end194:
	.size	_ZN7rocprim17ROCPRIM_400000_NS6detail17trampoline_kernelINS0_14default_configENS1_33run_length_encode_config_selectorIhjNS0_4plusIjEEEEZZNS1_33reduce_by_key_impl_wrapped_configILNS1_25lookback_scan_determinismE0ES3_S7_PKhNS0_17constant_iteratorIjlEEPhPlSF_S6_NS0_8equal_toIhEEEE10hipError_tPvRmT2_T3_mT4_T5_T6_T7_T8_P12ihipStream_tbENKUlT_T0_E_clISt17integral_constantIbLb0EESY_IbLb1EEEEDaSU_SV_EUlSU_E_NS1_11comp_targetILNS1_3genE5ELNS1_11target_archE942ELNS1_3gpuE9ELNS1_3repE0EEENS1_30default_config_static_selectorELNS0_4arch9wavefront6targetE1EEEvT1_, .Lfunc_end194-_ZN7rocprim17ROCPRIM_400000_NS6detail17trampoline_kernelINS0_14default_configENS1_33run_length_encode_config_selectorIhjNS0_4plusIjEEEEZZNS1_33reduce_by_key_impl_wrapped_configILNS1_25lookback_scan_determinismE0ES3_S7_PKhNS0_17constant_iteratorIjlEEPhPlSF_S6_NS0_8equal_toIhEEEE10hipError_tPvRmT2_T3_mT4_T5_T6_T7_T8_P12ihipStream_tbENKUlT_T0_E_clISt17integral_constantIbLb0EESY_IbLb1EEEEDaSU_SV_EUlSU_E_NS1_11comp_targetILNS1_3genE5ELNS1_11target_archE942ELNS1_3gpuE9ELNS1_3repE0EEENS1_30default_config_static_selectorELNS0_4arch9wavefront6targetE1EEEvT1_
                                        ; -- End function
	.section	.AMDGPU.csdata,"",@progbits
; Kernel info:
; codeLenInByte = 0
; NumSgprs: 4
; NumVgprs: 0
; NumAgprs: 0
; TotalNumVgprs: 0
; ScratchSize: 0
; MemoryBound: 0
; FloatMode: 240
; IeeeMode: 1
; LDSByteSize: 0 bytes/workgroup (compile time only)
; SGPRBlocks: 0
; VGPRBlocks: 0
; NumSGPRsForWavesPerEU: 4
; NumVGPRsForWavesPerEU: 1
; AccumOffset: 4
; Occupancy: 8
; WaveLimiterHint : 0
; COMPUTE_PGM_RSRC2:SCRATCH_EN: 0
; COMPUTE_PGM_RSRC2:USER_SGPR: 6
; COMPUTE_PGM_RSRC2:TRAP_HANDLER: 0
; COMPUTE_PGM_RSRC2:TGID_X_EN: 1
; COMPUTE_PGM_RSRC2:TGID_Y_EN: 0
; COMPUTE_PGM_RSRC2:TGID_Z_EN: 0
; COMPUTE_PGM_RSRC2:TIDIG_COMP_CNT: 0
; COMPUTE_PGM_RSRC3_GFX90A:ACCUM_OFFSET: 0
; COMPUTE_PGM_RSRC3_GFX90A:TG_SPLIT: 0
	.section	.text._ZN7rocprim17ROCPRIM_400000_NS6detail17trampoline_kernelINS0_14default_configENS1_33run_length_encode_config_selectorIhjNS0_4plusIjEEEEZZNS1_33reduce_by_key_impl_wrapped_configILNS1_25lookback_scan_determinismE0ES3_S7_PKhNS0_17constant_iteratorIjlEEPhPlSF_S6_NS0_8equal_toIhEEEE10hipError_tPvRmT2_T3_mT4_T5_T6_T7_T8_P12ihipStream_tbENKUlT_T0_E_clISt17integral_constantIbLb0EESY_IbLb1EEEEDaSU_SV_EUlSU_E_NS1_11comp_targetILNS1_3genE4ELNS1_11target_archE910ELNS1_3gpuE8ELNS1_3repE0EEENS1_30default_config_static_selectorELNS0_4arch9wavefront6targetE1EEEvT1_,"axG",@progbits,_ZN7rocprim17ROCPRIM_400000_NS6detail17trampoline_kernelINS0_14default_configENS1_33run_length_encode_config_selectorIhjNS0_4plusIjEEEEZZNS1_33reduce_by_key_impl_wrapped_configILNS1_25lookback_scan_determinismE0ES3_S7_PKhNS0_17constant_iteratorIjlEEPhPlSF_S6_NS0_8equal_toIhEEEE10hipError_tPvRmT2_T3_mT4_T5_T6_T7_T8_P12ihipStream_tbENKUlT_T0_E_clISt17integral_constantIbLb0EESY_IbLb1EEEEDaSU_SV_EUlSU_E_NS1_11comp_targetILNS1_3genE4ELNS1_11target_archE910ELNS1_3gpuE8ELNS1_3repE0EEENS1_30default_config_static_selectorELNS0_4arch9wavefront6targetE1EEEvT1_,comdat
	.protected	_ZN7rocprim17ROCPRIM_400000_NS6detail17trampoline_kernelINS0_14default_configENS1_33run_length_encode_config_selectorIhjNS0_4plusIjEEEEZZNS1_33reduce_by_key_impl_wrapped_configILNS1_25lookback_scan_determinismE0ES3_S7_PKhNS0_17constant_iteratorIjlEEPhPlSF_S6_NS0_8equal_toIhEEEE10hipError_tPvRmT2_T3_mT4_T5_T6_T7_T8_P12ihipStream_tbENKUlT_T0_E_clISt17integral_constantIbLb0EESY_IbLb1EEEEDaSU_SV_EUlSU_E_NS1_11comp_targetILNS1_3genE4ELNS1_11target_archE910ELNS1_3gpuE8ELNS1_3repE0EEENS1_30default_config_static_selectorELNS0_4arch9wavefront6targetE1EEEvT1_ ; -- Begin function _ZN7rocprim17ROCPRIM_400000_NS6detail17trampoline_kernelINS0_14default_configENS1_33run_length_encode_config_selectorIhjNS0_4plusIjEEEEZZNS1_33reduce_by_key_impl_wrapped_configILNS1_25lookback_scan_determinismE0ES3_S7_PKhNS0_17constant_iteratorIjlEEPhPlSF_S6_NS0_8equal_toIhEEEE10hipError_tPvRmT2_T3_mT4_T5_T6_T7_T8_P12ihipStream_tbENKUlT_T0_E_clISt17integral_constantIbLb0EESY_IbLb1EEEEDaSU_SV_EUlSU_E_NS1_11comp_targetILNS1_3genE4ELNS1_11target_archE910ELNS1_3gpuE8ELNS1_3repE0EEENS1_30default_config_static_selectorELNS0_4arch9wavefront6targetE1EEEvT1_
	.globl	_ZN7rocprim17ROCPRIM_400000_NS6detail17trampoline_kernelINS0_14default_configENS1_33run_length_encode_config_selectorIhjNS0_4plusIjEEEEZZNS1_33reduce_by_key_impl_wrapped_configILNS1_25lookback_scan_determinismE0ES3_S7_PKhNS0_17constant_iteratorIjlEEPhPlSF_S6_NS0_8equal_toIhEEEE10hipError_tPvRmT2_T3_mT4_T5_T6_T7_T8_P12ihipStream_tbENKUlT_T0_E_clISt17integral_constantIbLb0EESY_IbLb1EEEEDaSU_SV_EUlSU_E_NS1_11comp_targetILNS1_3genE4ELNS1_11target_archE910ELNS1_3gpuE8ELNS1_3repE0EEENS1_30default_config_static_selectorELNS0_4arch9wavefront6targetE1EEEvT1_
	.p2align	8
	.type	_ZN7rocprim17ROCPRIM_400000_NS6detail17trampoline_kernelINS0_14default_configENS1_33run_length_encode_config_selectorIhjNS0_4plusIjEEEEZZNS1_33reduce_by_key_impl_wrapped_configILNS1_25lookback_scan_determinismE0ES3_S7_PKhNS0_17constant_iteratorIjlEEPhPlSF_S6_NS0_8equal_toIhEEEE10hipError_tPvRmT2_T3_mT4_T5_T6_T7_T8_P12ihipStream_tbENKUlT_T0_E_clISt17integral_constantIbLb0EESY_IbLb1EEEEDaSU_SV_EUlSU_E_NS1_11comp_targetILNS1_3genE4ELNS1_11target_archE910ELNS1_3gpuE8ELNS1_3repE0EEENS1_30default_config_static_selectorELNS0_4arch9wavefront6targetE1EEEvT1_,@function
_ZN7rocprim17ROCPRIM_400000_NS6detail17trampoline_kernelINS0_14default_configENS1_33run_length_encode_config_selectorIhjNS0_4plusIjEEEEZZNS1_33reduce_by_key_impl_wrapped_configILNS1_25lookback_scan_determinismE0ES3_S7_PKhNS0_17constant_iteratorIjlEEPhPlSF_S6_NS0_8equal_toIhEEEE10hipError_tPvRmT2_T3_mT4_T5_T6_T7_T8_P12ihipStream_tbENKUlT_T0_E_clISt17integral_constantIbLb0EESY_IbLb1EEEEDaSU_SV_EUlSU_E_NS1_11comp_targetILNS1_3genE4ELNS1_11target_archE910ELNS1_3gpuE8ELNS1_3repE0EEENS1_30default_config_static_selectorELNS0_4arch9wavefront6targetE1EEEvT1_: ; @_ZN7rocprim17ROCPRIM_400000_NS6detail17trampoline_kernelINS0_14default_configENS1_33run_length_encode_config_selectorIhjNS0_4plusIjEEEEZZNS1_33reduce_by_key_impl_wrapped_configILNS1_25lookback_scan_determinismE0ES3_S7_PKhNS0_17constant_iteratorIjlEEPhPlSF_S6_NS0_8equal_toIhEEEE10hipError_tPvRmT2_T3_mT4_T5_T6_T7_T8_P12ihipStream_tbENKUlT_T0_E_clISt17integral_constantIbLb0EESY_IbLb1EEEEDaSU_SV_EUlSU_E_NS1_11comp_targetILNS1_3genE4ELNS1_11target_archE910ELNS1_3gpuE8ELNS1_3repE0EEENS1_30default_config_static_selectorELNS0_4arch9wavefront6targetE1EEEvT1_
; %bb.0:
	s_load_dword s12, s[4:5], 0x10
	s_load_dwordx4 s[44:47], s[4:5], 0x20
	s_load_dwordx2 s[52:53], s[4:5], 0x30
	s_load_dwordx2 s[34:35], s[4:5], 0x70
	s_load_dwordx4 s[48:51], s[4:5], 0x60
	s_load_dwordx8 s[36:43], s[4:5], 0x40
	v_cmp_ne_u32_e64 s[2:3], 0, v0
	v_cmp_eq_u32_e64 s[0:1], 0, v0
	s_and_saveexec_b64 s[6:7], s[0:1]
	s_cbranch_execz .LBB195_4
; %bb.1:
	s_mov_b64 s[10:11], exec
	v_mbcnt_lo_u32_b32 v1, s10, 0
	v_mbcnt_hi_u32_b32 v1, s11, v1
	v_cmp_eq_u32_e32 vcc, 0, v1
                                        ; implicit-def: $vgpr2
	s_and_saveexec_b64 s[8:9], vcc
	s_cbranch_execz .LBB195_3
; %bb.2:
	s_load_dwordx2 s[14:15], s[4:5], 0x78
	s_bcnt1_i32_b64 s10, s[10:11]
	v_mov_b32_e32 v2, 0
	v_mov_b32_e32 v3, s10
	s_waitcnt lgkmcnt(0)
	global_atomic_add v2, v2, v3, s[14:15] glc
.LBB195_3:
	s_or_b64 exec, exec, s[8:9]
	s_waitcnt vmcnt(0)
	v_readfirstlane_b32 s8, v2
	v_add_u32_e32 v1, s8, v1
	v_mov_b32_e32 v2, 0
	ds_write_b32 v2, v1
.LBB195_4:
	s_or_b64 exec, exec, s[6:7]
	s_load_dwordx4 s[4:7], s[4:5], 0x0
	v_mov_b32_e32 v1, 0
	s_waitcnt lgkmcnt(0)
	s_barrier
	ds_read_b32 v1, v1
	s_mul_i32 s8, s40, s39
	s_mul_hi_u32 s9, s40, s38
	s_add_i32 s8, s9, s8
	s_mul_i32 s9, s41, s38
	s_add_i32 s8, s8, s9
	s_add_u32 s4, s4, s6
	s_movk_i32 s6, 0xf00
	s_mul_i32 s9, s40, s38
	s_addc_u32 s5, s5, s7
	s_waitcnt lgkmcnt(0)
	v_readfirstlane_b32 s60, v1
	v_mul_lo_u32 v1, v1, s6
	v_add_co_u32_e32 v2, vcc, s4, v1
	s_add_u32 s4, s9, s60
	v_mov_b32_e32 v3, s5
	s_addc_u32 s5, s8, 0
	s_add_u32 s6, s42, -1
	s_addc_u32 s7, s43, -1
	s_cmp_eq_u64 s[4:5], s[6:7]
	v_addc_co_u32_e32 v3, vcc, 0, v3, vcc
	s_cselect_b64 s[40:41], -1, 0
	s_cmp_lg_u64 s[4:5], s[6:7]
	s_mov_b64 s[10:11], -1
	s_cselect_b64 s[8:9], -1, 0
	s_mul_i32 s33, s6, 0xfffff100
	s_and_b64 vcc, exec, s[40:41]
	v_mad_u32_u24 v4, v0, 14, v0
	s_barrier
	s_cbranch_vccnz .LBB195_6
; %bb.5:
	v_readfirstlane_b32 s6, v2
	v_readfirstlane_b32 s7, v3
	s_nop 4
	global_load_ubyte v1, v0, s[6:7]
	global_load_ubyte v5, v0, s[6:7] offset:256
	global_load_ubyte v6, v0, s[6:7] offset:512
	;; [unrolled: 1-line block ×14, first 2 shown]
	s_mov_b64 s[6:7], -1
	s_waitcnt vmcnt(14)
	ds_write_b8 v0, v1
	s_waitcnt vmcnt(13)
	ds_write_b8 v0, v5 offset:256
	s_waitcnt vmcnt(12)
	ds_write_b8 v0, v6 offset:512
	;; [unrolled: 2-line block ×14, first 2 shown]
	s_waitcnt lgkmcnt(0)
	s_barrier
	ds_read_b96 v[8:10], v4
	ds_read_u8 v55, v4 offset:12
	ds_read_u8 v11, v4 offset:13
	;; [unrolled: 1-line block ×3, first 2 shown]
	s_waitcnt lgkmcnt(3)
	v_lshrrev_b32_e32 v67, 8, v8
	v_lshrrev_b32_e32 v65, 16, v8
	;; [unrolled: 1-line block ×9, first 2 shown]
	s_add_i32 s33, s33, s48
	s_cbranch_execz .LBB195_7
	s_branch .LBB195_38
.LBB195_6:
	s_mov_b64 s[6:7], 0
                                        ; implicit-def: $vgpr8
                                        ; implicit-def: $vgpr67
                                        ; implicit-def: $vgpr65
                                        ; implicit-def: $vgpr64
                                        ; implicit-def: $vgpr61
                                        ; implicit-def: $vgpr60
                                        ; implicit-def: $vgpr59
                                        ; implicit-def: $vgpr58
                                        ; implicit-def: $vgpr57
                                        ; implicit-def: $vgpr56
                                        ; implicit-def: $vgpr55
                                        ; implicit-def: $vgpr11
                                        ; implicit-def: $vgpr1
	s_add_i32 s33, s33, s48
	s_andn2_b64 vcc, exec, s[10:11]
	s_cbranch_vccnz .LBB195_38
.LBB195_7:
	v_cmp_gt_u32_e32 vcc, s33, v0
                                        ; implicit-def: $vgpr1
	s_and_saveexec_b64 s[6:7], vcc
	s_cbranch_execz .LBB195_9
; %bb.8:
	v_readfirstlane_b32 s10, v2
	v_readfirstlane_b32 s11, v3
	s_waitcnt lgkmcnt(0)
	s_nop 3
	global_load_ubyte v1, v0, s[10:11]
.LBB195_9:
	s_or_b64 exec, exec, s[6:7]
	v_or_b32_e32 v5, 0x100, v0
	v_cmp_gt_u32_e32 vcc, s33, v5
                                        ; implicit-def: $vgpr5
	s_and_saveexec_b64 s[6:7], vcc
	s_cbranch_execz .LBB195_11
; %bb.10:
	v_readfirstlane_b32 s10, v2
	v_readfirstlane_b32 s11, v3
	s_nop 4
	global_load_ubyte v5, v0, s[10:11] offset:256
.LBB195_11:
	s_or_b64 exec, exec, s[6:7]
	v_or_b32_e32 v6, 0x200, v0
	v_cmp_gt_u32_e32 vcc, s33, v6
                                        ; implicit-def: $vgpr6
	s_and_saveexec_b64 s[6:7], vcc
	s_cbranch_execz .LBB195_13
; %bb.12:
	v_readfirstlane_b32 s10, v2
	v_readfirstlane_b32 s11, v3
	s_nop 4
	global_load_ubyte v6, v0, s[10:11] offset:512
.LBB195_13:
	s_or_b64 exec, exec, s[6:7]
	v_or_b32_e32 v7, 0x300, v0
	v_cmp_gt_u32_e32 vcc, s33, v7
                                        ; implicit-def: $vgpr7
	s_and_saveexec_b64 s[6:7], vcc
	s_cbranch_execz .LBB195_15
; %bb.14:
	v_readfirstlane_b32 s10, v2
	v_readfirstlane_b32 s11, v3
	s_nop 4
	global_load_ubyte v7, v0, s[10:11] offset:768
.LBB195_15:
	s_or_b64 exec, exec, s[6:7]
	v_or_b32_e32 v8, 0x400, v0
	v_cmp_gt_u32_e32 vcc, s33, v8
                                        ; implicit-def: $vgpr8
	s_and_saveexec_b64 s[6:7], vcc
	s_cbranch_execz .LBB195_17
; %bb.16:
	v_readfirstlane_b32 s10, v2
	v_readfirstlane_b32 s11, v3
	s_nop 4
	global_load_ubyte v8, v0, s[10:11] offset:1024
.LBB195_17:
	s_or_b64 exec, exec, s[6:7]
	v_or_b32_e32 v9, 0x500, v0
	v_cmp_gt_u32_e32 vcc, s33, v9
                                        ; implicit-def: $vgpr9
	s_and_saveexec_b64 s[6:7], vcc
	s_cbranch_execz .LBB195_19
; %bb.18:
	v_readfirstlane_b32 s10, v2
	v_readfirstlane_b32 s11, v3
	s_nop 4
	global_load_ubyte v9, v0, s[10:11] offset:1280
.LBB195_19:
	s_or_b64 exec, exec, s[6:7]
	v_or_b32_e32 v10, 0x600, v0
	v_cmp_gt_u32_e32 vcc, s33, v10
                                        ; implicit-def: $vgpr10
	s_and_saveexec_b64 s[6:7], vcc
	s_cbranch_execz .LBB195_21
; %bb.20:
	v_readfirstlane_b32 s10, v2
	v_readfirstlane_b32 s11, v3
	s_nop 4
	global_load_ubyte v10, v0, s[10:11] offset:1536
.LBB195_21:
	s_or_b64 exec, exec, s[6:7]
	s_waitcnt lgkmcnt(1)
	v_or_b32_e32 v11, 0x700, v0
	v_cmp_gt_u32_e32 vcc, s33, v11
                                        ; implicit-def: $vgpr11
	s_and_saveexec_b64 s[6:7], vcc
	s_cbranch_execz .LBB195_23
; %bb.22:
	v_readfirstlane_b32 s10, v2
	v_readfirstlane_b32 s11, v3
	s_nop 4
	global_load_ubyte v11, v0, s[10:11] offset:1792
.LBB195_23:
	s_or_b64 exec, exec, s[6:7]
	v_or_b32_e32 v12, 0x800, v0
	v_cmp_gt_u32_e32 vcc, s33, v12
                                        ; implicit-def: $vgpr12
	s_and_saveexec_b64 s[6:7], vcc
	s_cbranch_execz .LBB195_25
; %bb.24:
	v_readfirstlane_b32 s10, v2
	v_readfirstlane_b32 s11, v3
	s_nop 4
	global_load_ubyte v12, v0, s[10:11] offset:2048
.LBB195_25:
	s_or_b64 exec, exec, s[6:7]
	v_or_b32_e32 v13, 0x900, v0
	v_cmp_gt_u32_e32 vcc, s33, v13
                                        ; implicit-def: $vgpr13
	s_and_saveexec_b64 s[6:7], vcc
	s_cbranch_execz .LBB195_27
; %bb.26:
	v_readfirstlane_b32 s10, v2
	v_readfirstlane_b32 s11, v3
	s_nop 4
	global_load_ubyte v13, v0, s[10:11] offset:2304
.LBB195_27:
	s_or_b64 exec, exec, s[6:7]
	v_or_b32_e32 v14, 0xa00, v0
	v_cmp_gt_u32_e32 vcc, s33, v14
                                        ; implicit-def: $vgpr14
	s_and_saveexec_b64 s[6:7], vcc
	s_cbranch_execz .LBB195_29
; %bb.28:
	v_readfirstlane_b32 s10, v2
	v_readfirstlane_b32 s11, v3
	s_nop 4
	global_load_ubyte v14, v0, s[10:11] offset:2560
.LBB195_29:
	s_or_b64 exec, exec, s[6:7]
	v_or_b32_e32 v15, 0xb00, v0
	v_cmp_gt_u32_e32 vcc, s33, v15
                                        ; implicit-def: $vgpr15
	s_and_saveexec_b64 s[6:7], vcc
	s_cbranch_execz .LBB195_31
; %bb.30:
	v_readfirstlane_b32 s10, v2
	v_readfirstlane_b32 s11, v3
	s_nop 4
	global_load_ubyte v15, v0, s[10:11] offset:2816
.LBB195_31:
	s_or_b64 exec, exec, s[6:7]
	v_or_b32_e32 v16, 0xc00, v0
	v_cmp_gt_u32_e32 vcc, s33, v16
                                        ; implicit-def: $vgpr16
	s_and_saveexec_b64 s[6:7], vcc
	s_cbranch_execz .LBB195_33
; %bb.32:
	v_readfirstlane_b32 s10, v2
	v_readfirstlane_b32 s11, v3
	s_nop 4
	global_load_ubyte v16, v0, s[10:11] offset:3072
.LBB195_33:
	s_or_b64 exec, exec, s[6:7]
	v_or_b32_e32 v17, 0xd00, v0
	v_cmp_gt_u32_e32 vcc, s33, v17
                                        ; implicit-def: $vgpr17
	s_and_saveexec_b64 s[6:7], vcc
	s_cbranch_execz .LBB195_35
; %bb.34:
	v_readfirstlane_b32 s10, v2
	v_readfirstlane_b32 s11, v3
	s_nop 4
	global_load_ubyte v17, v0, s[10:11] offset:3328
.LBB195_35:
	s_or_b64 exec, exec, s[6:7]
	v_or_b32_e32 v18, 0xe00, v0
	v_cmp_gt_u32_e32 vcc, s33, v18
                                        ; implicit-def: $vgpr18
	s_and_saveexec_b64 s[6:7], vcc
	s_cbranch_execz .LBB195_37
; %bb.36:
	v_readfirstlane_b32 s10, v2
	v_readfirstlane_b32 s11, v3
	s_nop 4
	global_load_ubyte v18, v0, s[10:11] offset:3584
.LBB195_37:
	s_or_b64 exec, exec, s[6:7]
	s_waitcnt vmcnt(0) lgkmcnt(0)
	ds_write_b8 v0, v1
	ds_write_b8 v0, v5 offset:256
	ds_write_b8 v0, v6 offset:512
	;; [unrolled: 1-line block ×14, first 2 shown]
	s_waitcnt lgkmcnt(0)
	s_barrier
	ds_read_b96 v[8:10], v4
	ds_read_u8 v55, v4 offset:12
	ds_read_u8 v11, v4 offset:13
	;; [unrolled: 1-line block ×3, first 2 shown]
	v_mad_u32_u24 v4, v0, 15, 14
	s_waitcnt lgkmcnt(3)
	v_lshrrev_b32_e32 v67, 8, v8
	v_lshrrev_b32_e32 v65, 16, v8
	;; [unrolled: 1-line block ×9, first 2 shown]
	v_cmp_gt_u32_e64 s[6:7], s33, v4
.LBB195_38:
	v_mov_b32_e32 v52, s12
                                        ; implicit-def: $vgpr53
	s_and_saveexec_b64 s[10:11], s[6:7]
; %bb.39:
	v_mov_b32_e32 v53, s12
; %bb.40:
	s_or_b64 exec, exec, s[10:11]
	s_cmp_eq_u64 s[4:5], 0
	s_cselect_b64 s[42:43], -1, 0
	s_cmp_lg_u64 s[4:5], 0
	s_mov_b64 s[6:7], 0
	s_cselect_b64 s[10:11], -1, 0
	s_and_b64 vcc, exec, s[8:9]
	s_waitcnt lgkmcnt(0)
	s_barrier
	s_cbranch_vccz .LBB195_46
; %bb.41:
	s_and_b64 vcc, exec, s[10:11]
	s_cbranch_vccz .LBB195_47
; %bb.42:
	global_load_ubyte v4, v[2:3], off offset:-1
	v_cmp_ne_u16_sdwa s[6:7], v11, v1 src0_sel:BYTE_0 src1_sel:BYTE_0
	v_cmp_ne_u16_sdwa s[8:9], v55, v11 src0_sel:BYTE_0 src1_sel:BYTE_0
	;; [unrolled: 1-line block ×14, first 2 shown]
	ds_write_b8 v0, v1
	s_waitcnt lgkmcnt(0)
	s_barrier
	s_and_saveexec_b64 s[58:59], s[2:3]
	s_cbranch_execz .LBB195_44
; %bb.43:
	s_waitcnt vmcnt(0)
	v_add_u32_e32 v4, -1, v0
	ds_read_u8 v4, v4
.LBB195_44:
	s_or_b64 exec, exec, s[58:59]
	s_waitcnt vmcnt(0) lgkmcnt(0)
	v_and_b32_e32 v4, 0xff, v4
	v_cndmask_b32_e64 v62, 0, 1, s[6:7]
	v_cndmask_b32_e64 v63, 0, 1, s[8:9]
	;; [unrolled: 1-line block ×14, first 2 shown]
	v_cmp_ne_u16_sdwa s[8:9], v4, v8 src0_sel:DWORD src1_sel:BYTE_0
	s_mov_b64 s[6:7], -1
.LBB195_45:
                                        ; implicit-def: $sgpr14
	s_branch .LBB195_59
.LBB195_46:
                                        ; implicit-def: $sgpr8_sgpr9
                                        ; implicit-def: $vgpr62
                                        ; implicit-def: $vgpr63
                                        ; implicit-def: $vgpr66
                                        ; implicit-def: $vgpr68
                                        ; implicit-def: $vgpr69
                                        ; implicit-def: $vgpr70
                                        ; implicit-def: $vgpr71
                                        ; implicit-def: $vgpr72
                                        ; implicit-def: $vgpr21
                                        ; implicit-def: $vgpr73
                                        ; implicit-def: $vgpr74
                                        ; implicit-def: $vgpr75
                                        ; implicit-def: $vgpr76
                                        ; implicit-def: $vgpr77
                                        ; implicit-def: $sgpr14
	s_cbranch_execnz .LBB195_51
	s_branch .LBB195_59
.LBB195_47:
                                        ; implicit-def: $sgpr8_sgpr9
                                        ; implicit-def: $vgpr62
                                        ; implicit-def: $vgpr63
                                        ; implicit-def: $vgpr66
                                        ; implicit-def: $vgpr68
                                        ; implicit-def: $vgpr69
                                        ; implicit-def: $vgpr70
                                        ; implicit-def: $vgpr71
                                        ; implicit-def: $vgpr72
                                        ; implicit-def: $vgpr21
                                        ; implicit-def: $vgpr73
                                        ; implicit-def: $vgpr74
                                        ; implicit-def: $vgpr75
                                        ; implicit-def: $vgpr76
                                        ; implicit-def: $vgpr77
	s_cbranch_execz .LBB195_45
; %bb.48:
	v_cmp_ne_u16_sdwa s[8:9], v11, v1 src0_sel:BYTE_0 src1_sel:BYTE_0
	v_cndmask_b32_e64 v62, 0, 1, s[8:9]
	v_cmp_ne_u16_sdwa s[8:9], v55, v11 src0_sel:BYTE_0 src1_sel:BYTE_0
	v_cndmask_b32_e64 v63, 0, 1, s[8:9]
	;; [unrolled: 2-line block ×14, first 2 shown]
	ds_write_b8 v0, v1
	s_waitcnt lgkmcnt(0)
	s_barrier
	s_waitcnt lgkmcnt(0)
                                        ; implicit-def: $sgpr8_sgpr9
	s_and_saveexec_b64 s[12:13], s[2:3]
	s_xor_b64 s[12:13], exec, s[12:13]
	s_cbranch_execz .LBB195_50
; %bb.49:
	v_add_u32_e32 v4, -1, v0
	ds_read_u8 v4, v4
	s_or_b64 s[6:7], s[6:7], exec
	s_waitcnt lgkmcnt(0)
	v_cmp_ne_u16_sdwa s[8:9], v4, v8 src0_sel:DWORD src1_sel:BYTE_0
	s_and_b64 s[8:9], s[8:9], exec
.LBB195_50:
	s_or_b64 exec, exec, s[12:13]
	s_mov_b32 s14, 1
	s_branch .LBB195_59
.LBB195_51:
	s_mul_hi_u32 s8, s4, 0xfffff100
	s_mulk_i32 s5, 0xf100
	s_sub_i32 s8, s8, s4
	s_add_i32 s8, s8, s5
	s_mulk_i32 s4, 0xf100
	s_add_u32 s4, s4, s48
	s_addc_u32 s5, s8, s49
	s_and_b64 vcc, exec, s[10:11]
	v_mad_u32_u24 v4, v0, 15, 14
	v_cmp_ne_u16_sdwa s[54:55], v11, v1 src0_sel:BYTE_0 src1_sel:BYTE_0
	v_mad_u32_u24 v34, v0, 15, 13
	v_cmp_ne_u16_sdwa s[8:9], v55, v11 src0_sel:BYTE_0 src1_sel:BYTE_0
	;; [unrolled: 2-line block ×14, first 2 shown]
	s_cbranch_vccz .LBB195_56
; %bb.52:
	global_load_ubyte v36, v[2:3], off offset:-1
	v_mov_b32_e32 v5, 0
	v_cmp_gt_u64_e32 vcc, s[4:5], v[4:5]
	v_mov_b32_e32 v35, v5
	s_and_b64 s[6:7], vcc, s[54:55]
	v_cmp_gt_u64_e32 vcc, s[4:5], v[34:35]
	v_mov_b32_e32 v33, v5
	s_and_b64 s[8:9], vcc, s[8:9]
	;; [unrolled: 3-line block ×13, first 2 shown]
	v_cmp_gt_u64_e32 vcc, s[4:5], v[6:7]
	v_mul_u32_u24_e32 v2, 15, v0
	s_and_b64 s[12:13], vcc, s[12:13]
	ds_write_b8 v0, v1
	s_waitcnt lgkmcnt(0)
	s_barrier
	s_and_saveexec_b64 s[54:55], s[2:3]
	s_cbranch_execz .LBB195_54
; %bb.53:
	v_add_u32_e32 v3, -1, v0
	s_waitcnt vmcnt(0)
	ds_read_u8 v36, v3
.LBB195_54:
	s_or_b64 exec, exec, s[54:55]
	v_mov_b32_e32 v3, v5
	v_cmp_gt_u64_e32 vcc, s[4:5], v[2:3]
	s_waitcnt vmcnt(0) lgkmcnt(0)
	v_and_b32_e32 v2, 0xff, v36
	v_cndmask_b32_e64 v62, 0, 1, s[6:7]
	v_cmp_ne_u16_sdwa s[6:7], v2, v8 src0_sel:DWORD src1_sel:BYTE_0
	v_cndmask_b32_e64 v63, 0, 1, s[8:9]
	v_cndmask_b32_e64 v66, 0, 1, s[10:11]
	;; [unrolled: 1-line block ×13, first 2 shown]
	s_and_b64 s[8:9], vcc, s[6:7]
	s_mov_b64 s[6:7], -1
.LBB195_55:
                                        ; implicit-def: $sgpr14
	v_mov_b32_e32 v78, s14
	s_and_saveexec_b64 s[2:3], s[6:7]
	s_cbranch_execnz .LBB195_60
	s_branch .LBB195_61
.LBB195_56:
                                        ; implicit-def: $sgpr8_sgpr9
                                        ; implicit-def: $vgpr62
                                        ; implicit-def: $vgpr63
                                        ; implicit-def: $vgpr66
                                        ; implicit-def: $vgpr68
                                        ; implicit-def: $vgpr69
                                        ; implicit-def: $vgpr70
                                        ; implicit-def: $vgpr71
                                        ; implicit-def: $vgpr72
                                        ; implicit-def: $vgpr21
                                        ; implicit-def: $vgpr73
                                        ; implicit-def: $vgpr74
                                        ; implicit-def: $vgpr75
                                        ; implicit-def: $vgpr76
                                        ; implicit-def: $vgpr77
	s_cbranch_execz .LBB195_55
; %bb.57:
	v_mov_b32_e32 v5, 0
	v_cmp_gt_u64_e32 vcc, s[4:5], v[4:5]
	v_cmp_ne_u16_sdwa s[8:9], v11, v1 src0_sel:BYTE_0 src1_sel:BYTE_0
	s_and_b64 s[8:9], vcc, s[8:9]
	v_mov_b32_e32 v35, v5
	v_cndmask_b32_e64 v62, 0, 1, s[8:9]
	v_cmp_gt_u64_e32 vcc, s[4:5], v[34:35]
	v_cmp_ne_u16_sdwa s[8:9], v55, v11 src0_sel:BYTE_0 src1_sel:BYTE_0
	s_and_b64 s[8:9], vcc, s[8:9]
	v_mov_b32_e32 v33, v5
	v_cndmask_b32_e64 v63, 0, 1, s[8:9]
	;; [unrolled: 5-line block ×13, first 2 shown]
	v_cmp_gt_u64_e32 vcc, s[4:5], v[6:7]
	v_cmp_ne_u16_sdwa s[8:9], v8, v67 src0_sel:BYTE_0 src1_sel:BYTE_0
	s_and_b64 s[8:9], vcc, s[8:9]
	s_mov_b32 s14, 1
	v_cndmask_b32_e64 v77, 0, 1, s[8:9]
	ds_write_b8 v0, v1
	s_waitcnt lgkmcnt(0)
	s_barrier
	s_waitcnt lgkmcnt(0)
                                        ; implicit-def: $sgpr8_sgpr9
	s_and_saveexec_b64 s[10:11], s[2:3]
	s_cbranch_execz .LBB195_151
; %bb.58:
	v_add_u32_e32 v2, -1, v0
	ds_read_u8 v2, v2
	v_mul_u32_u24_e32 v4, 15, v0
	v_cmp_gt_u64_e32 vcc, s[4:5], v[4:5]
	s_or_b64 s[6:7], s[6:7], exec
	s_waitcnt lgkmcnt(0)
	v_and_b32_e32 v2, 0xff, v2
	v_cmp_ne_u16_sdwa s[2:3], v2, v8 src0_sel:DWORD src1_sel:BYTE_0
	s_and_b64 s[2:3], vcc, s[2:3]
	s_and_b64 s[8:9], s[2:3], exec
	s_or_b64 exec, exec, s[10:11]
.LBB195_59:
	v_mov_b32_e32 v78, s14
	s_and_saveexec_b64 s[2:3], s[6:7]
.LBB195_60:
	v_cndmask_b32_e64 v78, 0, 1, s[8:9]
.LBB195_61:
	s_or_b64 exec, exec, s[2:3]
	s_cmp_eq_u64 s[38:39], 0
	v_add3_u32 v2, v77, v78, v76
	s_cselect_b64 s[38:39], -1, 0
	s_cmp_lg_u32 s60, 0
	v_cmp_eq_u32_e64 s[26:27], 0, v77
	v_cmp_eq_u32_e64 s[24:25], 0, v76
	;; [unrolled: 1-line block ×3, first 2 shown]
	v_add3_u32 v81, v2, v75, v74
	v_cmp_eq_u32_e64 s[20:21], 0, v74
	v_cmp_eq_u32_e64 s[18:19], 0, v73
	;; [unrolled: 1-line block ×10, first 2 shown]
	v_cmp_eq_u32_e32 vcc, 0, v62
	v_mbcnt_lo_u32_b32 v80, -1, 0
	v_lshrrev_b32_e32 v54, 6, v0
	v_or_b32_e32 v79, 63, v0
	s_cbranch_scc0 .LBB195_88
; %bb.62:
	v_cndmask_b32_e64 v2, 0, v52, s[26:27]
	v_add_u32_e32 v2, v2, v52
	v_cndmask_b32_e64 v2, 0, v2, s[24:25]
	v_add_u32_e32 v2, v2, v52
	;; [unrolled: 2-line block ×11, first 2 shown]
	v_cndmask_b32_e64 v2, 0, v2, s[4:5]
	v_add3_u32 v3, v81, v73, v21
	v_add_u32_e32 v2, v2, v52
	v_add3_u32 v3, v3, v72, v71
	v_cndmask_b32_e64 v2, 0, v2, s[2:3]
	v_add3_u32 v3, v3, v70, v69
	v_add_u32_e32 v2, v2, v52
	v_add3_u32 v3, v3, v68, v66
	v_cndmask_b32_e32 v2, 0, v2, vcc
	v_add3_u32 v3, v3, v63, v62
	v_add_u32_e32 v2, v2, v53
	v_mbcnt_hi_u32_b32 v15, -1, v80
	v_and_b32_e32 v4, 15, v15
	v_mov_b32_dpp v6, v2 row_shr:1 row_mask:0xf bank_mask:0xf
	v_cmp_eq_u32_e32 vcc, 0, v3
	v_mov_b32_dpp v5, v3 row_shr:1 row_mask:0xf bank_mask:0xf
	v_cndmask_b32_e32 v6, 0, v6, vcc
	v_cmp_eq_u32_e32 vcc, 0, v4
	v_cndmask_b32_e64 v5, v5, 0, vcc
	v_add_u32_e32 v3, v5, v3
	v_cndmask_b32_e64 v5, v6, 0, vcc
	v_add_u32_e32 v2, v5, v2
	v_cmp_eq_u32_e32 vcc, 0, v3
	v_mov_b32_dpp v5, v3 row_shr:2 row_mask:0xf bank_mask:0xf
	v_cmp_lt_u32_e64 s[28:29], 1, v4
	v_mov_b32_dpp v6, v2 row_shr:2 row_mask:0xf bank_mask:0xf
	v_cndmask_b32_e64 v5, 0, v5, s[28:29]
	s_and_b64 vcc, s[28:29], vcc
	v_cndmask_b32_e32 v6, 0, v6, vcc
	v_add_u32_e32 v3, v3, v5
	v_add_u32_e32 v2, v6, v2
	v_cmp_eq_u32_e32 vcc, 0, v3
	v_mov_b32_dpp v5, v3 row_shr:4 row_mask:0xf bank_mask:0xf
	v_cmp_lt_u32_e64 s[28:29], 3, v4
	v_mov_b32_dpp v6, v2 row_shr:4 row_mask:0xf bank_mask:0xf
	v_cndmask_b32_e64 v5, 0, v5, s[28:29]
	s_and_b64 vcc, s[28:29], vcc
	v_cndmask_b32_e32 v6, 0, v6, vcc
	v_add_u32_e32 v3, v5, v3
	v_add_u32_e32 v2, v2, v6
	v_cmp_eq_u32_e32 vcc, 0, v3
	v_cmp_lt_u32_e64 s[28:29], 7, v4
	v_mov_b32_dpp v5, v3 row_shr:8 row_mask:0xf bank_mask:0xf
	v_mov_b32_dpp v6, v2 row_shr:8 row_mask:0xf bank_mask:0xf
	s_and_b64 vcc, s[28:29], vcc
	v_cndmask_b32_e64 v4, 0, v5, s[28:29]
	v_cndmask_b32_e32 v5, 0, v6, vcc
	v_add_u32_e32 v2, v5, v2
	v_add_u32_e32 v3, v4, v3
	v_bfe_i32 v6, v15, 4, 1
	v_mov_b32_dpp v5, v2 row_bcast:15 row_mask:0xf bank_mask:0xf
	v_mov_b32_dpp v4, v3 row_bcast:15 row_mask:0xf bank_mask:0xf
	v_cmp_eq_u32_e32 vcc, 0, v3
	v_cndmask_b32_e32 v5, 0, v5, vcc
	v_and_b32_e32 v4, v6, v4
	v_add_u32_e32 v3, v4, v3
	v_and_b32_e32 v4, v6, v5
	v_add_u32_e32 v4, v4, v2
	v_mov_b32_dpp v2, v3 row_bcast:31 row_mask:0xf bank_mask:0xf
	v_cmp_eq_u32_e32 vcc, 0, v3
	v_cmp_lt_u32_e64 s[28:29], 31, v15
	v_mov_b32_dpp v5, v4 row_bcast:31 row_mask:0xf bank_mask:0xf
	v_cndmask_b32_e64 v2, 0, v2, s[28:29]
	s_and_b64 vcc, s[28:29], vcc
	v_add_u32_e32 v2, v2, v3
	v_cndmask_b32_e32 v3, 0, v5, vcc
	v_add_u32_e32 v3, v3, v4
	v_cmp_eq_u32_e32 vcc, v79, v0
	v_lshlrev_b32_e32 v4, 3, v54
	s_and_saveexec_b64 s[28:29], vcc
	s_cbranch_execz .LBB195_64
; %bb.63:
	ds_write_b64 v4, v[2:3] offset:528
.LBB195_64:
	s_or_b64 exec, exec, s[28:29]
	v_cmp_gt_u32_e32 vcc, 4, v0
	s_waitcnt lgkmcnt(0)
	s_barrier
	s_and_saveexec_b64 s[30:31], vcc
	s_cbranch_execz .LBB195_66
; %bb.65:
	v_lshlrev_b32_e32 v5, 3, v0
	ds_read_b64 v[6:7], v5 offset:528
	v_and_b32_e32 v12, 3, v15
	v_cmp_lt_u32_e64 s[28:29], 1, v12
	s_waitcnt lgkmcnt(0)
	v_mov_b32_dpp v14, v7 row_shr:1 row_mask:0xf bank_mask:0xf
	v_cmp_eq_u32_e32 vcc, 0, v6
	v_mov_b32_dpp v13, v6 row_shr:1 row_mask:0xf bank_mask:0xf
	v_cndmask_b32_e32 v14, 0, v14, vcc
	v_cmp_eq_u32_e32 vcc, 0, v12
	v_cndmask_b32_e64 v13, v13, 0, vcc
	v_add_u32_e32 v6, v13, v6
	v_cndmask_b32_e64 v13, v14, 0, vcc
	v_add_u32_e32 v7, v13, v7
	v_cmp_eq_u32_e32 vcc, 0, v6
	v_mov_b32_dpp v13, v6 row_shr:2 row_mask:0xf bank_mask:0xf
	v_mov_b32_dpp v14, v7 row_shr:2 row_mask:0xf bank_mask:0xf
	v_cndmask_b32_e64 v12, 0, v13, s[28:29]
	s_and_b64 vcc, s[28:29], vcc
	v_add_u32_e32 v6, v12, v6
	v_cndmask_b32_e32 v12, 0, v14, vcc
	v_add_u32_e32 v7, v12, v7
	ds_write_b64 v5, v[6:7] offset:528
.LBB195_66:
	s_or_b64 exec, exec, s[30:31]
	v_cmp_gt_u32_e32 vcc, 64, v0
	v_cmp_lt_u32_e64 s[28:29], 63, v0
	v_mov_b32_e32 v12, 0
	v_mov_b32_e32 v13, 0
	s_waitcnt lgkmcnt(0)
	s_barrier
	s_and_saveexec_b64 s[30:31], s[28:29]
	s_cbranch_execz .LBB195_68
; %bb.67:
	ds_read_b64 v[12:13], v4 offset:520
	v_cmp_eq_u32_e64 s[28:29], 0, v2
	s_waitcnt lgkmcnt(0)
	v_add_u32_e32 v4, v12, v2
	v_cndmask_b32_e64 v2, 0, v13, s[28:29]
	v_add_u32_e32 v3, v2, v3
	v_mov_b32_e32 v2, v4
.LBB195_68:
	s_or_b64 exec, exec, s[30:31]
	v_add_u32_e32 v4, -1, v15
	v_and_b32_e32 v5, 64, v15
	v_cmp_lt_i32_e64 s[28:29], v4, v5
	v_cndmask_b32_e64 v4, v4, v15, s[28:29]
	v_lshlrev_b32_e32 v4, 2, v4
	ds_bpermute_b32 v20, v4, v2
	ds_bpermute_b32 v22, v4, v3
	v_cmp_eq_u32_e64 s[28:29], 0, v15
	s_and_saveexec_b64 s[48:49], vcc
	s_cbranch_execz .LBB195_87
; %bb.69:
	v_mov_b32_e32 v7, 0
	ds_read_b64 v[2:3], v7 offset:552
	s_waitcnt lgkmcnt(0)
	v_readfirstlane_b32 s56, v2
	v_readfirstlane_b32 s57, v3
	s_and_saveexec_b64 s[30:31], s[28:29]
	s_cbranch_execz .LBB195_71
; %bb.70:
	s_add_i32 s54, s60, 64
	s_mov_b32 s55, 0
	s_lshl_b64 s[58:59], s[54:55], 4
	s_add_u32 s58, s36, s58
	s_addc_u32 s59, s37, s59
	s_and_b32 s63, s57, 0xff000000
	s_mov_b32 s62, s55
	s_and_b32 s65, s57, 0xff0000
	s_mov_b32 s64, s55
	s_or_b64 s[62:63], s[64:65], s[62:63]
	s_and_b32 s65, s57, 0xff00
	s_or_b64 s[62:63], s[62:63], s[64:65]
	s_and_b32 s65, s57, 0xff
	s_or_b64 s[54:55], s[62:63], s[64:65]
	v_mov_b32_e32 v4, s56
	v_mov_b32_e32 v5, s55
	v_mov_b32_e32 v6, 1
	v_pk_mov_b32 v[2:3], s[58:59], s[58:59] op_sel:[0,1]
	;;#ASMSTART
	global_store_dwordx4 v[2:3], v[4:7] off	
s_waitcnt vmcnt(0)
	;;#ASMEND
.LBB195_71:
	s_or_b64 exec, exec, s[30:31]
	v_xad_u32 v14, v15, -1, s60
	v_add_u32_e32 v6, 64, v14
	v_lshlrev_b64 v[2:3], 4, v[6:7]
	v_mov_b32_e32 v4, s37
	v_add_co_u32_e32 v16, vcc, s36, v2
	v_addc_co_u32_e32 v17, vcc, v4, v3, vcc
	;;#ASMSTART
	global_load_dwordx4 v[2:5], v[16:17] off glc	
s_waitcnt vmcnt(0)
	;;#ASMEND
	v_and_b32_e32 v5, 0xff, v3
	v_and_b32_e32 v6, 0xff00, v3
	v_or3_b32 v5, 0, v5, v6
	v_or3_b32 v2, v2, 0, 0
	v_and_b32_e32 v6, 0xff000000, v3
	v_and_b32_e32 v3, 0xff0000, v3
	v_or3_b32 v3, v5, v3, v6
	v_or3_b32 v2, v2, 0, 0
	v_cmp_eq_u16_sdwa s[54:55], v4, v7 src0_sel:BYTE_0 src1_sel:DWORD
	s_and_saveexec_b64 s[30:31], s[54:55]
	s_cbranch_execz .LBB195_75
; %bb.72:
	s_mov_b64 s[54:55], 0
	v_mov_b32_e32 v6, 0
.LBB195_73:                             ; =>This Inner Loop Header: Depth=1
	;;#ASMSTART
	global_load_dwordx4 v[2:5], v[16:17] off glc	
s_waitcnt vmcnt(0)
	;;#ASMEND
	v_cmp_ne_u16_sdwa s[58:59], v4, v6 src0_sel:BYTE_0 src1_sel:DWORD
	s_or_b64 s[54:55], s[58:59], s[54:55]
	s_andn2_b64 exec, exec, s[54:55]
	s_cbranch_execnz .LBB195_73
; %bb.74:
	s_or_b64 exec, exec, s[54:55]
.LBB195_75:
	s_or_b64 exec, exec, s[30:31]
	v_mov_b32_e32 v23, 2
	v_cmp_eq_u16_sdwa s[30:31], v4, v23 src0_sel:BYTE_0 src1_sel:DWORD
	v_lshlrev_b64 v[16:17], v15, -1
	v_and_b32_e32 v5, s31, v17
	v_and_b32_e32 v24, 63, v15
	v_or_b32_e32 v5, 0x80000000, v5
	v_cmp_ne_u32_e32 vcc, 63, v24
	v_and_b32_e32 v6, s30, v16
	v_ffbl_b32_e32 v5, v5
	v_addc_co_u32_e32 v7, vcc, 0, v15, vcc
	v_add_u32_e32 v5, 32, v5
	v_ffbl_b32_e32 v6, v6
	v_lshlrev_b32_e32 v25, 2, v7
	v_min_u32_e32 v5, v6, v5
	ds_bpermute_b32 v6, v25, v3
	v_cmp_eq_u32_e32 vcc, 0, v2
	v_cmp_lt_u32_e64 s[30:31], v24, v5
	ds_bpermute_b32 v7, v25, v2
	s_and_b64 vcc, s[30:31], vcc
	s_waitcnt lgkmcnt(1)
	v_cndmask_b32_e32 v6, 0, v6, vcc
	v_cmp_gt_u32_e32 vcc, 62, v24
	v_add_u32_e32 v3, v6, v3
	v_cndmask_b32_e64 v6, 0, 1, vcc
	v_lshlrev_b32_e32 v6, 1, v6
	v_add_lshl_u32 v26, v6, v15, 2
	s_waitcnt lgkmcnt(0)
	v_cndmask_b32_e64 v7, 0, v7, s[30:31]
	ds_bpermute_b32 v6, v26, v3
	v_add_u32_e32 v2, v7, v2
	ds_bpermute_b32 v7, v26, v2
	v_add_u32_e32 v27, 2, v24
	v_cmp_eq_u32_e32 vcc, 0, v2
	s_waitcnt lgkmcnt(1)
	v_cndmask_b32_e32 v6, 0, v6, vcc
	v_cmp_gt_u32_e32 vcc, v27, v5
	v_cndmask_b32_e64 v6, v6, 0, vcc
	v_add_u32_e32 v3, v6, v3
	s_waitcnt lgkmcnt(0)
	v_cndmask_b32_e64 v6, v7, 0, vcc
	v_cmp_gt_u32_e32 vcc, 60, v24
	v_cndmask_b32_e64 v7, 0, 1, vcc
	v_lshlrev_b32_e32 v7, 2, v7
	v_add_lshl_u32 v28, v7, v15, 2
	ds_bpermute_b32 v7, v28, v3
	v_add_u32_e32 v2, v2, v6
	ds_bpermute_b32 v6, v28, v2
	v_add_u32_e32 v29, 4, v24
	v_cmp_eq_u32_e32 vcc, 0, v2
	s_waitcnt lgkmcnt(1)
	v_cndmask_b32_e32 v7, 0, v7, vcc
	v_cmp_gt_u32_e32 vcc, v29, v5
	v_cndmask_b32_e64 v7, v7, 0, vcc
	s_waitcnt lgkmcnt(0)
	v_cndmask_b32_e64 v6, v6, 0, vcc
	v_cmp_gt_u32_e32 vcc, 56, v24
	v_add_u32_e32 v3, v3, v7
	v_cndmask_b32_e64 v7, 0, 1, vcc
	v_lshlrev_b32_e32 v7, 3, v7
	v_add_lshl_u32 v30, v7, v15, 2
	ds_bpermute_b32 v7, v30, v3
	v_add_u32_e32 v2, v2, v6
	ds_bpermute_b32 v6, v30, v2
	v_add_u32_e32 v31, 8, v24
	v_cmp_eq_u32_e32 vcc, 0, v2
	s_waitcnt lgkmcnt(1)
	v_cndmask_b32_e32 v7, 0, v7, vcc
	v_cmp_gt_u32_e32 vcc, v31, v5
	v_cndmask_b32_e64 v7, v7, 0, vcc
	s_waitcnt lgkmcnt(0)
	v_cndmask_b32_e64 v6, v6, 0, vcc
	v_cmp_gt_u32_e32 vcc, 48, v24
	v_add_u32_e32 v3, v3, v7
	;; [unrolled: 16-line block ×3, first 2 shown]
	v_cndmask_b32_e64 v7, 0, 1, vcc
	v_lshlrev_b32_e32 v7, 5, v7
	v_add_lshl_u32 v34, v7, v15, 2
	ds_bpermute_b32 v7, v34, v3
	v_add_u32_e32 v2, v2, v6
	ds_bpermute_b32 v6, v34, v2
	v_add_u32_e32 v35, 32, v24
	v_cmp_eq_u32_e32 vcc, 0, v2
	s_waitcnt lgkmcnt(1)
	v_cndmask_b32_e32 v7, 0, v7, vcc
	v_cmp_gt_u32_e32 vcc, v35, v5
	v_cndmask_b32_e64 v5, v7, 0, vcc
	v_add_u32_e32 v3, v5, v3
	s_waitcnt lgkmcnt(0)
	v_cndmask_b32_e64 v5, v6, 0, vcc
	v_add_u32_e32 v2, v5, v2
	v_mov_b32_e32 v15, 0
	s_branch .LBB195_77
.LBB195_76:                             ;   in Loop: Header=BB195_77 Depth=1
	s_or_b64 exec, exec, s[30:31]
	v_cmp_eq_u16_sdwa s[30:31], v4, v23 src0_sel:BYTE_0 src1_sel:DWORD
	v_and_b32_e32 v5, s31, v17
	v_or_b32_e32 v5, 0x80000000, v5
	v_and_b32_e32 v18, s30, v16
	v_ffbl_b32_e32 v5, v5
	v_add_u32_e32 v5, 32, v5
	v_ffbl_b32_e32 v18, v18
	v_min_u32_e32 v5, v18, v5
	ds_bpermute_b32 v18, v25, v3
	v_cmp_eq_u32_e32 vcc, 0, v2
	v_cmp_lt_u32_e64 s[30:31], v24, v5
	ds_bpermute_b32 v19, v25, v2
	s_and_b64 vcc, s[30:31], vcc
	s_waitcnt lgkmcnt(1)
	v_cndmask_b32_e32 v18, 0, v18, vcc
	v_add_u32_e32 v3, v18, v3
	ds_bpermute_b32 v18, v26, v3
	s_waitcnt lgkmcnt(1)
	v_cndmask_b32_e64 v19, 0, v19, s[30:31]
	v_add_u32_e32 v2, v19, v2
	v_cmp_eq_u32_e32 vcc, 0, v2
	ds_bpermute_b32 v19, v26, v2
	s_waitcnt lgkmcnt(1)
	v_cndmask_b32_e32 v18, 0, v18, vcc
	v_cmp_gt_u32_e32 vcc, v27, v5
	v_cndmask_b32_e64 v18, v18, 0, vcc
	v_add_u32_e32 v3, v18, v3
	ds_bpermute_b32 v18, v28, v3
	s_waitcnt lgkmcnt(1)
	v_cndmask_b32_e64 v19, v19, 0, vcc
	v_add_u32_e32 v2, v2, v19
	v_cmp_eq_u32_e32 vcc, 0, v2
	ds_bpermute_b32 v19, v28, v2
	s_waitcnt lgkmcnt(1)
	v_cndmask_b32_e32 v18, 0, v18, vcc
	v_cmp_gt_u32_e32 vcc, v29, v5
	v_cndmask_b32_e64 v18, v18, 0, vcc
	v_add_u32_e32 v3, v3, v18
	ds_bpermute_b32 v18, v30, v3
	s_waitcnt lgkmcnt(1)
	v_cndmask_b32_e64 v19, v19, 0, vcc
	v_add_u32_e32 v2, v2, v19
	ds_bpermute_b32 v19, v30, v2
	v_cmp_eq_u32_e32 vcc, 0, v2
	s_waitcnt lgkmcnt(1)
	v_cndmask_b32_e32 v18, 0, v18, vcc
	v_cmp_gt_u32_e32 vcc, v31, v5
	v_cndmask_b32_e64 v18, v18, 0, vcc
	v_add_u32_e32 v3, v3, v18
	ds_bpermute_b32 v18, v32, v3
	s_waitcnt lgkmcnt(1)
	v_cndmask_b32_e64 v19, v19, 0, vcc
	v_add_u32_e32 v2, v2, v19
	ds_bpermute_b32 v19, v32, v2
	v_cmp_eq_u32_e32 vcc, 0, v2
	;; [unrolled: 11-line block ×3, first 2 shown]
	s_waitcnt lgkmcnt(1)
	v_cndmask_b32_e32 v18, 0, v18, vcc
	v_cmp_gt_u32_e32 vcc, v35, v5
	v_cndmask_b32_e64 v5, v18, 0, vcc
	v_add_u32_e32 v3, v5, v3
	s_waitcnt lgkmcnt(0)
	v_cndmask_b32_e64 v5, v19, 0, vcc
	v_cmp_eq_u32_e32 vcc, 0, v6
	v_cndmask_b32_e32 v3, 0, v3, vcc
	v_subrev_u32_e32 v14, 64, v14
	v_add3_u32 v2, v2, v6, v5
	v_add_u32_e32 v3, v3, v7
.LBB195_77:                             ; =>This Loop Header: Depth=1
                                        ;     Child Loop BB195_80 Depth 2
	v_cmp_ne_u16_sdwa s[30:31], v4, v23 src0_sel:BYTE_0 src1_sel:DWORD
	v_mov_b32_e32 v7, v3
	v_cndmask_b32_e64 v3, 0, 1, s[30:31]
	;;#ASMSTART
	;;#ASMEND
	v_cmp_ne_u32_e32 vcc, 0, v3
	s_cmp_lg_u64 vcc, exec
	v_mov_b32_e32 v6, v2
	s_cbranch_scc1 .LBB195_82
; %bb.78:                               ;   in Loop: Header=BB195_77 Depth=1
	v_lshlrev_b64 v[2:3], 4, v[14:15]
	v_mov_b32_e32 v4, s37
	v_add_co_u32_e32 v18, vcc, s36, v2
	v_addc_co_u32_e32 v19, vcc, v4, v3, vcc
	;;#ASMSTART
	global_load_dwordx4 v[2:5], v[18:19] off glc	
s_waitcnt vmcnt(0)
	;;#ASMEND
	v_and_b32_e32 v5, 0xff, v3
	v_and_b32_e32 v36, 0xff00, v3
	v_or3_b32 v5, 0, v5, v36
	v_or3_b32 v2, v2, 0, 0
	v_and_b32_e32 v36, 0xff000000, v3
	v_and_b32_e32 v3, 0xff0000, v3
	v_or3_b32 v3, v5, v3, v36
	v_or3_b32 v2, v2, 0, 0
	v_cmp_eq_u16_sdwa s[54:55], v4, v15 src0_sel:BYTE_0 src1_sel:DWORD
	s_and_saveexec_b64 s[30:31], s[54:55]
	s_cbranch_execz .LBB195_76
; %bb.79:                               ;   in Loop: Header=BB195_77 Depth=1
	s_mov_b64 s[54:55], 0
.LBB195_80:                             ;   Parent Loop BB195_77 Depth=1
                                        ; =>  This Inner Loop Header: Depth=2
	;;#ASMSTART
	global_load_dwordx4 v[2:5], v[18:19] off glc	
s_waitcnt vmcnt(0)
	;;#ASMEND
	v_cmp_ne_u16_sdwa s[58:59], v4, v15 src0_sel:BYTE_0 src1_sel:DWORD
	s_or_b64 s[54:55], s[58:59], s[54:55]
	s_andn2_b64 exec, exec, s[54:55]
	s_cbranch_execnz .LBB195_80
; %bb.81:                               ;   in Loop: Header=BB195_77 Depth=1
	s_or_b64 exec, exec, s[54:55]
	s_branch .LBB195_76
.LBB195_82:                             ;   in Loop: Header=BB195_77 Depth=1
                                        ; implicit-def: $vgpr3
                                        ; implicit-def: $vgpr2
                                        ; implicit-def: $vgpr4
	s_cbranch_execz .LBB195_77
; %bb.83:
	s_and_saveexec_b64 s[30:31], s[28:29]
	s_cbranch_execz .LBB195_85
; %bb.84:
	s_cmp_eq_u32 s56, 0
	s_cselect_b64 vcc, -1, 0
	s_mov_b32 s55, 0
	v_cndmask_b32_e32 v2, 0, v7, vcc
	s_add_i32 s54, s60, 64
	v_add_u32_e32 v2, s57, v2
	s_lshl_b64 s[54:55], s[54:55], 4
	s_add_u32 s54, s36, s54
	v_and_b32_e32 v3, 0xff000000, v2
	v_and_b32_e32 v4, 0xff0000, v2
	s_addc_u32 s55, s37, s55
	v_or_b32_e32 v3, v4, v3
	v_and_b32_e32 v4, 0xff00, v2
	v_and_b32_e32 v2, 0xff, v2
	v_add_u32_e32 v14, s56, v6
	v_mov_b32_e32 v17, 0
	v_or3_b32 v15, v3, v4, v2
	v_mov_b32_e32 v16, 2
	v_pk_mov_b32 v[2:3], s[54:55], s[54:55] op_sel:[0,1]
	;;#ASMSTART
	global_store_dwordx4 v[2:3], v[14:17] off	
s_waitcnt vmcnt(0)
	;;#ASMEND
	v_mov_b32_e32 v4, s56
	v_mov_b32_e32 v5, s57
	ds_write_b128 v17, v[4:7] offset:512
.LBB195_85:
	s_or_b64 exec, exec, s[30:31]
	s_and_b64 exec, exec, s[0:1]
	s_cbranch_execz .LBB195_87
; %bb.86:
	v_mov_b32_e32 v2, 0
	ds_write_b64 v2, v[6:7] offset:552
.LBB195_87:
	s_or_b64 exec, exec, s[48:49]
	v_mov_b32_e32 v4, 0
	s_waitcnt lgkmcnt(0)
	s_barrier
	ds_read_b64 v[2:3], v4 offset:552
	v_cndmask_b32_e64 v6, v20, v12, s[28:29]
	v_cmp_eq_u32_e32 vcc, 0, v6
	v_cndmask_b32_e64 v5, v22, v13, s[28:29]
	s_waitcnt lgkmcnt(0)
	v_cndmask_b32_e32 v7, 0, v3, vcc
	v_add_u32_e32 v5, v7, v5
	v_cndmask_b32_e64 v51, v5, v3, s[0:1]
	v_cndmask_b32_e64 v3, v6, 0, s[0:1]
	v_cmp_eq_u32_e32 vcc, 0, v78
	v_add_u32_e32 v50, v2, v3
	v_cndmask_b32_e32 v2, 0, v51, vcc
	v_add_u32_e32 v49, v2, v52
	v_cndmask_b32_e64 v2, 0, v49, s[26:27]
	v_add_u32_e32 v47, v2, v52
	v_cndmask_b32_e64 v2, 0, v47, s[24:25]
	;; [unrolled: 2-line block ×7, first 2 shown]
	v_add_u32_e32 v48, v50, v78
	v_add_u32_e32 v35, v2, v52
	v_add_u32_e32 v46, v48, v77
	v_cndmask_b32_e64 v2, 0, v35, s[12:13]
	v_add_u32_e32 v44, v46, v76
	v_add_u32_e32 v33, v2, v52
	v_add_u32_e32 v42, v44, v75
	v_cndmask_b32_e64 v2, 0, v33, s[10:11]
	;; [unrolled: 4-line block ×3, first 2 shown]
	v_add_u32_e32 v36, v38, v21
	v_add_u32_e32 v29, v2, v52
	s_barrier
	ds_read_b128 v[16:19], v4 offset:512
	v_add_u32_e32 v34, v36, v72
	v_cndmask_b32_e64 v2, 0, v29, s[6:7]
	v_add_u32_e32 v32, v34, v71
	v_add_u32_e32 v27, v2, v52
	;; [unrolled: 1-line block ×3, first 2 shown]
	v_cndmask_b32_e64 v2, 0, v27, s[4:5]
	v_add_u32_e32 v28, v30, v69
	v_add_u32_e32 v23, v2, v52
	;; [unrolled: 1-line block ×3, first 2 shown]
	v_cndmask_b32_e64 v2, 0, v23, s[2:3]
	s_waitcnt lgkmcnt(0)
	v_cmp_eq_u32_e32 vcc, 0, v16
	v_add_u32_e32 v22, v26, v66
	v_add_u32_e32 v25, v2, v52
	v_cndmask_b32_e32 v2, 0, v19, vcc
	v_add_u32_e32 v24, v22, v63
	v_add_u32_e32 v20, v2, v17
	s_branch .LBB195_100
.LBB195_88:
                                        ; implicit-def: $vgpr16
                                        ; implicit-def: $vgpr20
                                        ; implicit-def: $vgpr24_vgpr25
                                        ; implicit-def: $vgpr22_vgpr23
                                        ; implicit-def: $vgpr26_vgpr27
                                        ; implicit-def: $vgpr28_vgpr29
                                        ; implicit-def: $vgpr50_vgpr51
                                        ; implicit-def: $vgpr48_vgpr49
                                        ; implicit-def: $vgpr46_vgpr47
                                        ; implicit-def: $vgpr44_vgpr45
                                        ; implicit-def: $vgpr42_vgpr43
                                        ; implicit-def: $vgpr40_vgpr41
                                        ; implicit-def: $vgpr38_vgpr39
                                        ; implicit-def: $vgpr36_vgpr37
                                        ; implicit-def: $vgpr34_vgpr35
                                        ; implicit-def: $vgpr32_vgpr33
                                        ; implicit-def: $vgpr30_vgpr31
	s_cbranch_execz .LBB195_100
; %bb.89:
	s_and_b64 s[2:3], s[38:39], exec
	s_cselect_b32 s3, 0, s35
	s_cselect_b32 s2, 0, s34
	s_cmp_eq_u64 s[2:3], 0
	v_mov_b32_e32 v6, v52
	s_cbranch_scc1 .LBB195_91
; %bb.90:
	v_mov_b32_e32 v2, 0
	global_load_dword v6, v2, s[2:3]
.LBB195_91:
	v_cmp_eq_u32_e64 s[2:3], 0, v77
	v_cndmask_b32_e64 v2, 0, v52, s[2:3]
	v_add_u32_e32 v2, v2, v52
	v_cmp_eq_u32_e64 s[4:5], 0, v76
	v_cndmask_b32_e64 v2, 0, v2, s[4:5]
	v_add_u32_e32 v2, v2, v52
	;; [unrolled: 3-line block ×11, first 2 shown]
	v_cmp_eq_u32_e64 s[24:25], 0, v66
	v_cndmask_b32_e64 v2, 0, v2, s[24:25]
	v_add3_u32 v3, v81, v73, v21
	v_add_u32_e32 v2, v2, v52
	v_cmp_eq_u32_e32 vcc, 0, v63
	v_add3_u32 v3, v3, v72, v71
	v_cndmask_b32_e32 v2, 0, v2, vcc
	v_add3_u32 v3, v3, v70, v69
	v_add_u32_e32 v2, v2, v52
	v_cmp_eq_u32_e64 s[26:27], 0, v62
	v_add3_u32 v3, v3, v68, v66
	v_cndmask_b32_e64 v2, 0, v2, s[26:27]
	v_add3_u32 v3, v3, v63, v62
	v_add_u32_e32 v2, v2, v53
	v_mbcnt_hi_u32_b32 v7, -1, v80
	v_and_b32_e32 v4, 15, v7
	v_mov_b32_dpp v12, v2 row_shr:1 row_mask:0xf bank_mask:0xf
	v_cmp_eq_u32_e64 s[26:27], 0, v3
	v_mov_b32_dpp v5, v3 row_shr:1 row_mask:0xf bank_mask:0xf
	v_cndmask_b32_e64 v12, 0, v12, s[26:27]
	v_cmp_eq_u32_e64 s[26:27], 0, v4
	v_cndmask_b32_e64 v5, v5, 0, s[26:27]
	v_add_u32_e32 v3, v5, v3
	v_cndmask_b32_e64 v5, v12, 0, s[26:27]
	v_add_u32_e32 v2, v5, v2
	v_cmp_eq_u32_e64 s[26:27], 0, v3
	v_mov_b32_dpp v5, v3 row_shr:2 row_mask:0xf bank_mask:0xf
	v_cmp_lt_u32_e64 s[28:29], 1, v4
	v_mov_b32_dpp v12, v2 row_shr:2 row_mask:0xf bank_mask:0xf
	v_cndmask_b32_e64 v5, 0, v5, s[28:29]
	s_and_b64 s[26:27], s[28:29], s[26:27]
	v_cndmask_b32_e64 v12, 0, v12, s[26:27]
	v_add_u32_e32 v3, v3, v5
	v_add_u32_e32 v2, v12, v2
	v_cmp_eq_u32_e64 s[26:27], 0, v3
	v_mov_b32_dpp v5, v3 row_shr:4 row_mask:0xf bank_mask:0xf
	v_cmp_lt_u32_e64 s[28:29], 3, v4
	v_mov_b32_dpp v12, v2 row_shr:4 row_mask:0xf bank_mask:0xf
	v_cndmask_b32_e64 v5, 0, v5, s[28:29]
	s_and_b64 s[26:27], s[28:29], s[26:27]
	v_cndmask_b32_e64 v12, 0, v12, s[26:27]
	v_add_u32_e32 v3, v5, v3
	v_add_u32_e32 v2, v2, v12
	v_cmp_eq_u32_e64 s[26:27], 0, v3
	v_cmp_lt_u32_e64 s[28:29], 7, v4
	v_mov_b32_dpp v5, v3 row_shr:8 row_mask:0xf bank_mask:0xf
	v_mov_b32_dpp v12, v2 row_shr:8 row_mask:0xf bank_mask:0xf
	s_and_b64 s[26:27], s[28:29], s[26:27]
	v_cndmask_b32_e64 v4, 0, v5, s[28:29]
	v_cndmask_b32_e64 v5, 0, v12, s[26:27]
	v_add_u32_e32 v2, v5, v2
	v_add_u32_e32 v3, v4, v3
	v_bfe_i32 v12, v7, 4, 1
	v_mov_b32_dpp v5, v2 row_bcast:15 row_mask:0xf bank_mask:0xf
	v_mov_b32_dpp v4, v3 row_bcast:15 row_mask:0xf bank_mask:0xf
	v_cmp_eq_u32_e64 s[26:27], 0, v3
	v_cndmask_b32_e64 v5, 0, v5, s[26:27]
	v_and_b32_e32 v4, v12, v4
	v_add_u32_e32 v3, v4, v3
	v_and_b32_e32 v4, v12, v5
	v_add_u32_e32 v4, v4, v2
	v_mov_b32_dpp v2, v3 row_bcast:31 row_mask:0xf bank_mask:0xf
	v_cmp_eq_u32_e64 s[26:27], 0, v3
	v_cmp_lt_u32_e64 s[28:29], 31, v7
	v_mov_b32_dpp v5, v4 row_bcast:31 row_mask:0xf bank_mask:0xf
	v_cndmask_b32_e64 v2, 0, v2, s[28:29]
	s_and_b64 s[26:27], s[28:29], s[26:27]
	v_add_u32_e32 v2, v2, v3
	v_cndmask_b32_e64 v3, 0, v5, s[26:27]
	v_add_u32_e32 v3, v3, v4
	v_cmp_eq_u32_e64 s[26:27], v79, v0
	v_lshlrev_b32_e32 v5, 3, v54
	s_and_saveexec_b64 s[28:29], s[26:27]
	s_cbranch_execz .LBB195_93
; %bb.92:
	ds_write_b64 v5, v[2:3] offset:528
.LBB195_93:
	s_or_b64 exec, exec, s[28:29]
	v_cmp_gt_u32_e64 s[26:27], 4, v0
	s_waitcnt lgkmcnt(0)
	s_barrier
	s_and_saveexec_b64 s[30:31], s[26:27]
	s_cbranch_execz .LBB195_95
; %bb.94:
	v_lshlrev_b32_e32 v4, 3, v0
	ds_read_b64 v[12:13], v4 offset:528
	v_and_b32_e32 v14, 3, v7
	v_cmp_lt_u32_e64 s[28:29], 1, v14
	s_waitcnt lgkmcnt(0)
	v_mov_b32_dpp v16, v13 row_shr:1 row_mask:0xf bank_mask:0xf
	v_cmp_eq_u32_e64 s[26:27], 0, v12
	v_mov_b32_dpp v15, v12 row_shr:1 row_mask:0xf bank_mask:0xf
	v_cndmask_b32_e64 v16, 0, v16, s[26:27]
	v_cmp_eq_u32_e64 s[26:27], 0, v14
	v_cndmask_b32_e64 v15, v15, 0, s[26:27]
	v_add_u32_e32 v12, v15, v12
	v_cndmask_b32_e64 v15, v16, 0, s[26:27]
	v_add_u32_e32 v13, v15, v13
	v_cmp_eq_u32_e64 s[26:27], 0, v12
	v_mov_b32_dpp v15, v12 row_shr:2 row_mask:0xf bank_mask:0xf
	v_mov_b32_dpp v16, v13 row_shr:2 row_mask:0xf bank_mask:0xf
	v_cndmask_b32_e64 v14, 0, v15, s[28:29]
	s_and_b64 s[26:27], s[28:29], s[26:27]
	v_add_u32_e32 v12, v14, v12
	v_cndmask_b32_e64 v14, 0, v16, s[26:27]
	v_add_u32_e32 v13, v14, v13
	ds_write_b64 v4, v[12:13] offset:528
.LBB195_95:
	s_or_b64 exec, exec, s[30:31]
	v_cmp_lt_u32_e64 s[26:27], 63, v0
	v_mov_b32_e32 v12, 0
	v_mov_b32_e32 v4, 0
	s_waitcnt vmcnt(0)
	v_mov_b32_e32 v13, v6
	s_waitcnt lgkmcnt(0)
	s_barrier
	s_and_saveexec_b64 s[28:29], s[26:27]
	s_cbranch_execz .LBB195_97
; %bb.96:
	ds_read_b64 v[4:5], v5 offset:520
	s_waitcnt lgkmcnt(0)
	v_cmp_eq_u32_e64 s[26:27], 0, v4
	v_cndmask_b32_e64 v13, 0, v6, s[26:27]
	v_add_u32_e32 v13, v13, v5
.LBB195_97:
	s_or_b64 exec, exec, s[28:29]
	v_cmp_eq_u32_e64 s[26:27], 0, v2
	v_add_u32_e32 v5, v4, v2
	v_cndmask_b32_e64 v2, 0, v13, s[26:27]
	v_add_u32_e32 v2, v2, v3
	v_add_u32_e32 v3, -1, v7
	v_and_b32_e32 v14, 64, v7
	v_cmp_lt_i32_e64 s[26:27], v3, v14
	v_cndmask_b32_e64 v3, v3, v7, s[26:27]
	v_lshlrev_b32_e32 v3, 2, v3
	ds_bpermute_b32 v2, v3, v2
	ds_bpermute_b32 v5, v3, v5
	v_cmp_eq_u32_e64 s[26:27], 0, v7
	ds_read_b64 v[16:17], v12 offset:552
	s_waitcnt lgkmcnt(2)
	v_cndmask_b32_e64 v2, v2, v13, s[26:27]
	s_waitcnt lgkmcnt(1)
	v_cndmask_b32_e64 v3, v5, v4, s[26:27]
	v_cndmask_b32_e64 v51, v2, v6, s[0:1]
	v_cmp_eq_u32_e64 s[26:27], 0, v78
	v_cndmask_b32_e64 v2, 0, v51, s[26:27]
	v_add_u32_e32 v49, v2, v52
	v_cndmask_b32_e64 v2, 0, v49, s[2:3]
	v_add_u32_e32 v47, v2, v52
	v_cndmask_b32_e64 v2, 0, v47, s[4:5]
	v_add_u32_e32 v45, v2, v52
	v_cndmask_b32_e64 v2, 0, v45, s[6:7]
	v_add_u32_e32 v43, v2, v52
	v_cndmask_b32_e64 v2, 0, v43, s[8:9]
	v_add_u32_e32 v41, v2, v52
	v_cndmask_b32_e64 v2, 0, v41, s[10:11]
	v_add_u32_e32 v39, v2, v52
	v_cndmask_b32_e64 v2, 0, v39, s[12:13]
	v_add_u32_e32 v37, v2, v52
	v_cndmask_b32_e64 v50, v3, 0, s[0:1]
	v_cndmask_b32_e64 v2, 0, v37, s[14:15]
	v_add_u32_e32 v48, v50, v78
	v_add_u32_e32 v35, v2, v52
	v_add_u32_e32 v46, v48, v77
	v_cndmask_b32_e64 v2, 0, v35, s[16:17]
	v_add_u32_e32 v44, v46, v76
	v_add_u32_e32 v33, v2, v52
	v_add_u32_e32 v42, v44, v75
	;; [unrolled: 4-line block ×6, first 2 shown]
	v_cndmask_b32_e32 v2, 0, v23, vcc
	s_waitcnt lgkmcnt(0)
	v_cmp_eq_u32_e32 vcc, 0, v16
	v_add_u32_e32 v22, v26, v66
	v_add_u32_e32 v25, v2, v52
	v_cndmask_b32_e32 v2, 0, v6, vcc
	v_add_u32_e32 v24, v22, v63
	v_add_u32_e32 v20, v2, v17
	s_and_saveexec_b64 s[2:3], s[0:1]
	s_cbranch_execz .LBB195_99
; %bb.98:
	s_add_u32 s4, s36, 0x400
	v_and_b32_e32 v2, 0xff000000, v20
	v_and_b32_e32 v3, 0xff0000, v20
	s_addc_u32 s5, s37, 0
	v_or_b32_e32 v2, v3, v2
	v_and_b32_e32 v3, 0xff00, v20
	v_and_b32_e32 v4, 0xff, v20
	v_mov_b32_e32 v19, 0
	v_or3_b32 v17, v2, v3, v4
	v_mov_b32_e32 v18, 2
	v_pk_mov_b32 v[2:3], s[4:5], s[4:5] op_sel:[0,1]
	;;#ASMSTART
	global_store_dwordx4 v[2:3], v[16:19] off	
s_waitcnt vmcnt(0)
	;;#ASMEND
.LBB195_99:
	s_or_b64 exec, exec, s[2:3]
	v_mov_b32_e32 v18, 0
.LBB195_100:
	s_and_b64 s[2:3], s[38:39], exec
	s_cselect_b32 s3, 0, s51
	s_cselect_b32 s2, 0, s50
	s_cmp_eq_u64 s[2:3], 0
	v_pk_mov_b32 v[52:53], 0, 0
	s_barrier
	s_cbranch_scc1 .LBB195_102
; %bb.101:
	v_mov_b32_e32 v2, 0
	global_load_dwordx2 v[52:53], v2, s[2:3]
.LBB195_102:
	v_mov_b32_e32 v2, s45
	s_waitcnt vmcnt(0)
	v_add_co_u32_e32 v3, vcc, s44, v52
	v_addc_co_u32_e32 v2, vcc, v2, v53, vcc
	v_add_co_u32_e32 v54, vcc, v3, v18
	v_addc_co_u32_e32 v17, vcc, 0, v2, vcc
	v_cmp_eq_u32_e32 vcc, 0, v78
	v_cndmask_b32_e64 v2, 1, 2, vcc
	v_cmp_eq_u32_e32 vcc, 0, v77
	v_cndmask_b32_e64 v3, 1, 2, vcc
	v_cmp_eq_u32_e32 vcc, 0, v76
	v_and_b32_e32 v2, v3, v2
	v_cndmask_b32_e64 v3, 1, 2, vcc
	v_cmp_eq_u32_e32 vcc, 0, v75
	v_and_b32_e32 v2, v2, v3
	;; [unrolled: 3-line block ×13, first 2 shown]
	v_cndmask_b32_e64 v3, 1, 2, vcc
	s_movk_i32 s34, 0x100
	v_and_b32_e32 v2, v2, v3
	v_cmp_gt_u32_e32 vcc, s34, v16
	v_mov_b32_e32 v19, 0
	v_cmp_ne_u32_e64 s[30:31], 0, v78
	v_cmp_ne_u32_e64 s[28:29], 0, v77
	;; [unrolled: 1-line block ×15, first 2 shown]
	s_mov_b64 s[36:37], -1
	v_cmp_gt_i16_e64 s[34:35], 2, v2
	s_cbranch_vccz .LBB195_109
; %bb.103:
	s_and_saveexec_b64 s[36:37], s[34:35]
	s_cbranch_execz .LBB195_108
; %bb.104:
	v_cmp_ne_u16_e32 vcc, 1, v2
	s_mov_b64 s[38:39], 0
	s_and_saveexec_b64 s[34:35], vcc
	s_xor_b64 s[34:35], exec, s[34:35]
	s_cbranch_execnz .LBB195_152
; %bb.105:
	s_andn2_saveexec_b64 s[34:35], s[34:35]
	s_cbranch_execnz .LBB195_168
.LBB195_106:
	s_or_b64 exec, exec, s[34:35]
	s_and_b64 exec, exec, s[38:39]
	s_cbranch_execz .LBB195_108
.LBB195_107:
	v_sub_u32_e32 v3, v24, v18
	v_readfirstlane_b32 s34, v54
	v_readfirstlane_b32 s35, v17
	s_nop 4
	global_store_byte v3, v1, s[34:35]
.LBB195_108:
	s_or_b64 exec, exec, s[36:37]
	s_mov_b64 s[36:37], 0
.LBB195_109:
	s_and_b64 vcc, exec, s[36:37]
	s_cbranch_vccz .LBB195_130
; %bb.110:
	v_cmp_gt_i16_e32 vcc, 2, v2
	s_and_saveexec_b64 s[34:35], vcc
	s_cbranch_execz .LBB195_115
; %bb.111:
	v_cmp_ne_u16_e32 vcc, 1, v2
	s_mov_b64 s[38:39], 0
	s_and_saveexec_b64 s[36:37], vcc
	s_xor_b64 s[36:37], exec, s[36:37]
	s_cbranch_execnz .LBB195_169
; %bb.112:
	s_andn2_saveexec_b64 s[2:3], s[36:37]
	s_cbranch_execnz .LBB195_185
.LBB195_113:
	s_or_b64 exec, exec, s[2:3]
	s_and_b64 exec, exec, s[38:39]
	s_cbranch_execz .LBB195_115
.LBB195_114:
	v_sub_u32_e32 v2, v24, v18
	ds_write_b8 v2, v1
.LBB195_115:
	s_or_b64 exec, exec, s[34:35]
	v_cmp_lt_u32_e32 vcc, v0, v16
	s_waitcnt lgkmcnt(0)
	s_barrier
	s_and_saveexec_b64 s[2:3], vcc
	s_cbranch_execz .LBB195_129
; %bb.116:
	v_xad_u32 v2, v0, -1, v16
	s_movk_i32 s4, 0x1700
	s_movk_i32 s6, 0x16ff
	v_cmp_gt_u32_e64 s[4:5], s4, v2
	v_cmp_lt_u32_e32 vcc, s6, v2
	v_mov_b32_e32 v1, v0
	s_and_saveexec_b64 s[6:7], vcc
	s_cbranch_execz .LBB195_126
; %bb.117:
	v_sub_u32_e32 v1, v0, v16
	v_or_b32_e32 v1, 0xff, v1
	v_cmp_ge_u32_e32 vcc, v1, v0
	s_mov_b64 s[10:11], -1
	v_mov_b32_e32 v1, v0
	s_and_saveexec_b64 s[8:9], vcc
	s_cbranch_execz .LBB195_125
; %bb.118:
	v_lshrrev_b32_e32 v55, 8, v2
	v_or_b32_e32 v7, 0x700, v0
	v_or_b32_e32 v6, 0x600, v0
	;; [unrolled: 1-line block ×7, first 2 shown]
	v_add_u32_e32 v56, -7, v55
	v_pk_mov_b32 v[14:15], v[6:7], v[6:7] op_sel:[0,1]
	v_cmp_lt_u32_e32 vcc, 7, v56
	v_mov_b32_e32 v59, 0
	v_pk_mov_b32 v[12:13], v[4:5], v[4:5] op_sel:[0,1]
	v_pk_mov_b32 v[10:11], v[2:3], v[2:3] op_sel:[0,1]
	;; [unrolled: 1-line block ×3, first 2 shown]
	s_and_saveexec_b64 s[10:11], vcc
	s_cbranch_execz .LBB195_122
; %bb.119:
	v_lshrrev_b32_e32 v8, 3, v56
	v_add_u32_e32 v8, 1, v8
	v_and_b32_e32 v57, 0x3ffffffe, v8
	v_pk_mov_b32 v[14:15], v[6:7], v[6:7] op_sel:[0,1]
	s_mov_b32 s14, 0
	s_mov_b64 s[12:13], 0
	v_mov_b32_e32 v58, v0
	v_pk_mov_b32 v[12:13], v[4:5], v[4:5] op_sel:[0,1]
	v_pk_mov_b32 v[10:11], v[2:3], v[2:3] op_sel:[0,1]
	;; [unrolled: 1-line block ×3, first 2 shown]
.LBB195_120:                            ; =>This Inner Loop Header: Depth=1
	v_add_co_u32_e32 v2, vcc, v54, v8
	v_addc_co_u32_e32 v3, vcc, 0, v17, vcc
	v_add_co_u32_e32 v4, vcc, v54, v9
	v_addc_co_u32_e32 v5, vcc, 0, v17, vcc
	;; [unrolled: 2-line block ×8, first 2 shown]
	v_add_u32_e32 v86, 0x800, v8
	v_add_co_u32_e32 v86, vcc, v54, v86
	v_add_u32_e32 v88, 0x800, v9
	v_addc_co_u32_e32 v87, vcc, 0, v17, vcc
	v_add_co_u32_e32 v88, vcc, v54, v88
	v_add_u32_e32 v90, 0x800, v10
	v_addc_co_u32_e32 v89, vcc, 0, v17, vcc
	;; [unrolled: 3-line block ×6, first 2 shown]
	v_add_co_u32_e32 v98, vcc, v54, v98
	ds_read_u8 v1, v58
	ds_read_u8 v67, v58 offset:256
	ds_read_u8 v79, v58 offset:512
	;; [unrolled: 1-line block ×7, first 2 shown]
	v_add_u32_e32 v59, 0x800, v15
	ds_read_u8 v107, v58 offset:2048
	ds_read_u8 v108, v58 offset:2304
	;; [unrolled: 1-line block ×8, first 2 shown]
	v_addc_co_u32_e32 v99, vcc, 0, v17, vcc
	v_add_co_u32_e32 v100, vcc, v54, v59
	v_add_u32_e32 v57, -2, v57
	v_addc_co_u32_e32 v101, vcc, 0, v17, vcc
	s_add_i32 s14, s14, 16
	v_cmp_eq_u32_e32 vcc, 0, v57
	v_add_u32_e32 v15, 0x1000, v15
	v_add_u32_e32 v14, 0x1000, v14
	;; [unrolled: 1-line block ×9, first 2 shown]
	v_mov_b32_e32 v59, s14
	s_or_b64 s[12:13], vcc, s[12:13]
	s_waitcnt lgkmcnt(14)
	global_store_byte v[2:3], v1, off
	global_store_byte v[4:5], v67, off
	s_waitcnt lgkmcnt(13)
	global_store_byte v[6:7], v79, off
	s_waitcnt lgkmcnt(12)
	;; [unrolled: 2-line block ×14, first 2 shown]
	global_store_byte v[100:101], v114, off
	s_andn2_b64 exec, exec, s[12:13]
	s_cbranch_execnz .LBB195_120
; %bb.121:
	s_or_b64 exec, exec, s[12:13]
.LBB195_122:
	s_or_b64 exec, exec, s[10:11]
	v_and_b32_e32 v1, 8, v56
	v_cmp_eq_u32_e32 vcc, 0, v1
	s_and_saveexec_b64 s[10:11], vcc
	s_cbranch_execz .LBB195_124
; %bb.123:
	v_add_co_u32_e32 v2, vcc, v54, v8
	v_addc_co_u32_e32 v3, vcc, 0, v17, vcc
	v_add_co_u32_e32 v4, vcc, v54, v9
	v_addc_co_u32_e32 v5, vcc, 0, v17, vcc
	v_add_co_u32_e32 v6, vcc, v54, v10
	v_addc_co_u32_e32 v7, vcc, 0, v17, vcc
	v_add_co_u32_e32 v8, vcc, v54, v11
	v_addc_co_u32_e32 v9, vcc, 0, v17, vcc
	v_add_co_u32_e32 v10, vcc, v54, v12
	v_lshl_or_b32 v1, v59, 8, v0
	v_addc_co_u32_e32 v11, vcc, 0, v17, vcc
	ds_read_u8 v58, v1
	ds_read_u8 v59, v1 offset:256
	ds_read_u8 v60, v1 offset:512
	;; [unrolled: 1-line block ×7, first 2 shown]
	v_add_co_u32_e32 v12, vcc, v54, v13
	v_addc_co_u32_e32 v13, vcc, 0, v17, vcc
	v_add_co_u32_e32 v56, vcc, v54, v14
	v_addc_co_u32_e32 v57, vcc, 0, v17, vcc
	;; [unrolled: 2-line block ×3, first 2 shown]
	s_waitcnt lgkmcnt(7)
	global_store_byte v[2:3], v58, off
	s_waitcnt lgkmcnt(6)
	global_store_byte v[4:5], v59, off
	;; [unrolled: 2-line block ×8, first 2 shown]
.LBB195_124:
	s_or_b64 exec, exec, s[10:11]
	v_add_u32_e32 v2, 1, v55
	v_and_b32_e32 v3, 0x1fffff8, v2
	v_cmp_ne_u32_e32 vcc, v2, v3
	v_lshl_or_b32 v1, v3, 8, v0
	s_orn2_b64 s[10:11], vcc, exec
.LBB195_125:
	s_or_b64 exec, exec, s[8:9]
	s_andn2_b64 s[4:5], s[4:5], exec
	s_and_b64 s[8:9], s[10:11], exec
	s_or_b64 s[4:5], s[4:5], s[8:9]
.LBB195_126:
	s_or_b64 exec, exec, s[6:7]
	s_and_b64 exec, exec, s[4:5]
	s_cbranch_execz .LBB195_129
; %bb.127:
	s_mov_b64 s[4:5], 0
.LBB195_128:                            ; =>This Inner Loop Header: Depth=1
	ds_read_u8 v2, v1
	v_readfirstlane_b32 s6, v54
	v_readfirstlane_b32 s7, v17
	s_waitcnt lgkmcnt(0)
	s_nop 3
	global_store_byte v1, v2, s[6:7]
	v_add_u32_e32 v1, 0x100, v1
	v_cmp_ge_u32_e32 vcc, v1, v16
	s_or_b64 s[4:5], vcc, s[4:5]
	s_andn2_b64 exec, exec, s[4:5]
	s_cbranch_execnz .LBB195_128
.LBB195_129:
	s_or_b64 exec, exec, s[2:3]
.LBB195_130:
	s_cmpk_lg_i32 s33, 0xf00
	s_cselect_b64 s[2:3], -1, 0
	v_cndmask_b32_e64 v8, 0, 1, s[42:43]
	s_and_b64 s[2:3], s[2:3], s[40:41]
	v_sub_u32_e32 v1, v16, v8
	v_cndmask_b32_e64 v2, 0, 1, s[2:3]
	s_and_b64 s[0:1], s[0:1], s[42:43]
	v_add_u32_e32 v1, v1, v2
	v_cndmask_b32_e64 v2, v78, 0, s[0:1]
	s_mul_hi_u32 s0, s33, 0x88888889
	s_lshr_b32 s0, s0, 3
	v_mad_i32_i24 v3, v0, -15, s33
	v_cmp_eq_u32_e32 vcc, s0, v0
	v_cmp_ne_u32_e64 s[0:1], 0, v3
	v_cndmask_b32_e64 v4, 1, v2, s[0:1]
	v_cmp_ne_u32_e64 s[0:1], 1, v3
	v_cndmask_b32_e64 v5, 1, v77, s[0:1]
	;; [unrolled: 2-line block ×15, first 2 shown]
	s_and_b64 vcc, vcc, s[40:41]
	v_cndmask_b32_e32 v56, v62, v3, vcc
	v_cndmask_b32_e32 v59, v2, v4, vcc
	v_lshlrev_b64 v[2:3], 3, v[52:53]
	v_cndmask_b32_e32 v55, v63, v55, vcc
	v_cndmask_b32_e32 v54, v66, v54, vcc
	;; [unrolled: 1-line block ×13, first 2 shown]
	v_mov_b32_e32 v4, s47
	v_add_co_u32_e32 v5, vcc, s46, v2
	v_addc_co_u32_e32 v6, vcc, v4, v3, vcc
	v_lshlrev_b64 v[2:3], 3, v[18:19]
	v_add_co_u32_e32 v4, vcc, v5, v2
	v_addc_co_u32_e32 v5, vcc, v6, v3, vcc
	v_lshlrev_b32_e32 v2, 3, v8
	v_add_co_u32_e32 v2, vcc, v2, v4
	v_addc_co_u32_e32 v3, vcc, 0, v5, vcc
	v_add_co_u32_e32 v6, vcc, -8, v2
	v_addc_co_u32_e32 v7, vcc, -1, v3, vcc
	v_cmp_eq_u32_e32 vcc, 0, v59
	v_cndmask_b32_e64 v3, 1, 2, vcc
	v_cmp_eq_u32_e32 vcc, 0, v58
	v_add_u32_e32 v2, v18, v8
	v_cndmask_b32_e64 v8, 1, 2, vcc
	v_cmp_eq_u32_e32 vcc, 0, v57
	v_and_b32_e32 v3, v8, v3
	v_cndmask_b32_e64 v8, 1, 2, vcc
	v_cmp_eq_u32_e32 vcc, 0, v21
	v_and_b32_e32 v3, v3, v8
	;; [unrolled: 3-line block ×13, first 2 shown]
	v_cndmask_b32_e64 v8, 1, 2, vcc
	s_movk_i32 s30, 0x100
	v_and_b32_e32 v3, v3, v8
	v_cmp_gt_u32_e32 vcc, s30, v1
	v_cmp_ne_u32_e64 s[28:29], 0, v59
	v_cmp_ne_u32_e64 s[26:27], 0, v58
	;; [unrolled: 1-line block ×15, first 2 shown]
	s_mov_b64 s[34:35], -1
	v_cmp_gt_i16_e64 s[30:31], 2, v3
	s_barrier
	s_cbranch_vccz .LBB195_137
; %bb.131:
	s_and_saveexec_b64 s[34:35], s[30:31]
	s_cbranch_execz .LBB195_136
; %bb.132:
	v_cmp_ne_u16_e32 vcc, 1, v3
	s_mov_b64 s[36:37], 0
	s_and_saveexec_b64 s[30:31], vcc
	s_xor_b64 s[30:31], exec, s[30:31]
	s_cbranch_execnz .LBB195_186
; %bb.133:
	s_andn2_saveexec_b64 s[30:31], s[30:31]
	s_cbranch_execnz .LBB195_202
.LBB195_134:
	s_or_b64 exec, exec, s[30:31]
	s_and_b64 exec, exec, s[36:37]
	s_cbranch_execz .LBB195_136
.LBB195_135:
	v_mov_b32_e32 v9, 0
	v_sub_u32_e32 v10, v24, v2
	v_mov_b32_e32 v11, v9
	v_lshlrev_b64 v[10:11], 3, v[10:11]
	v_add_co_u32_e32 v10, vcc, v6, v10
	v_mov_b32_e32 v8, v25
	v_addc_co_u32_e32 v11, vcc, v7, v11, vcc
	global_store_dwordx2 v[10:11], v[8:9], off
.LBB195_136:
	s_or_b64 exec, exec, s[34:35]
	s_mov_b64 s[34:35], 0
.LBB195_137:
	s_and_b64 vcc, exec, s[34:35]
	s_cbranch_vccz .LBB195_147
; %bb.138:
	v_cmp_gt_i16_e32 vcc, 2, v3
	s_and_saveexec_b64 s[30:31], vcc
	s_cbranch_execz .LBB195_143
; %bb.139:
	v_cmp_ne_u16_e32 vcc, 1, v3
	s_mov_b64 s[36:37], 0
	s_and_saveexec_b64 s[34:35], vcc
	s_xor_b64 s[34:35], exec, s[34:35]
	s_cbranch_execnz .LBB195_203
; %bb.140:
	s_andn2_saveexec_b64 s[0:1], s[34:35]
	s_cbranch_execnz .LBB195_219
.LBB195_141:
	s_or_b64 exec, exec, s[0:1]
	s_and_b64 exec, exec, s[36:37]
	s_cbranch_execz .LBB195_143
.LBB195_142:
	v_sub_u32_e32 v2, v24, v2
	v_lshlrev_b32_e32 v2, 2, v2
	ds_write_b32 v2, v25
.LBB195_143:
	s_or_b64 exec, exec, s[30:31]
	v_cmp_lt_u32_e32 vcc, v0, v1
	s_waitcnt lgkmcnt(0)
	s_barrier
	s_and_saveexec_b64 s[0:1], vcc
	s_cbranch_execz .LBB195_146
; %bb.144:
	v_lshlrev_b32_e32 v8, 2, v0
	s_mov_b64 s[2:3], 0
	v_mov_b32_e32 v3, 0
	v_mov_b32_e32 v2, v0
.LBB195_145:                            ; =>This Inner Loop Header: Depth=1
	ds_read_b32 v10, v8
	v_lshlrev_b64 v[12:13], 3, v[2:3]
	v_add_co_u32_e32 v12, vcc, v6, v12
	v_add_u32_e32 v2, 0x100, v2
	v_addc_co_u32_e32 v13, vcc, v7, v13, vcc
	v_cmp_ge_u32_e32 vcc, v2, v1
	v_mov_b32_e32 v11, v3
	v_add_u32_e32 v8, 0x400, v8
	s_or_b64 s[2:3], vcc, s[2:3]
	s_waitcnt lgkmcnt(0)
	global_store_dwordx2 v[12:13], v[10:11], off
	s_andn2_b64 exec, exec, s[2:3]
	s_cbranch_execnz .LBB195_145
.LBB195_146:
	s_or_b64 exec, exec, s[0:1]
.LBB195_147:
	s_movk_i32 s0, 0xff
	v_cmp_eq_u32_e32 vcc, s0, v0
	s_and_b64 s[0:1], vcc, s[40:41]
	s_and_saveexec_b64 s[2:3], s[0:1]
	s_cbranch_execz .LBB195_150
; %bb.148:
	v_add_co_u32_e32 v0, vcc, v16, v18
	v_addc_co_u32_e64 v1, s[0:1], 0, 0, vcc
	v_add_co_u32_e32 v0, vcc, v0, v52
	v_mov_b32_e32 v17, 0
	v_addc_co_u32_e32 v1, vcc, v1, v53, vcc
	s_cmpk_lg_i32 s33, 0xf00
	global_store_dwordx2 v17, v[0:1], s[52:53]
	s_cbranch_scc1 .LBB195_150
; %bb.149:
	v_lshlrev_b64 v[0:1], 3, v[16:17]
	v_add_co_u32_e32 v0, vcc, v4, v0
	v_mov_b32_e32 v21, v17
	v_addc_co_u32_e32 v1, vcc, v5, v1, vcc
	global_store_dwordx2 v[0:1], v[20:21], off offset:-8
.LBB195_150:
	s_endpgm
.LBB195_151:
	s_or_b64 exec, exec, s[10:11]
	v_mov_b32_e32 v78, s14
	s_and_saveexec_b64 s[2:3], s[6:7]
	s_cbranch_execnz .LBB195_60
	s_branch .LBB195_61
.LBB195_152:
	s_and_saveexec_b64 s[38:39], s[30:31]
	s_cbranch_execnz .LBB195_220
; %bb.153:
	s_or_b64 exec, exec, s[38:39]
	s_and_saveexec_b64 s[38:39], s[28:29]
	s_cbranch_execnz .LBB195_221
.LBB195_154:
	s_or_b64 exec, exec, s[38:39]
	s_and_saveexec_b64 s[38:39], s[26:27]
	s_cbranch_execnz .LBB195_222
.LBB195_155:
	s_or_b64 exec, exec, s[38:39]
	s_and_saveexec_b64 s[38:39], s[24:25]
	s_cbranch_execnz .LBB195_223
.LBB195_156:
	s_or_b64 exec, exec, s[38:39]
	s_and_saveexec_b64 s[38:39], s[22:23]
	s_cbranch_execnz .LBB195_224
.LBB195_157:
	s_or_b64 exec, exec, s[38:39]
	s_and_saveexec_b64 s[38:39], s[20:21]
	s_cbranch_execnz .LBB195_225
.LBB195_158:
	s_or_b64 exec, exec, s[38:39]
	s_and_saveexec_b64 s[38:39], s[18:19]
	s_cbranch_execnz .LBB195_226
.LBB195_159:
	s_or_b64 exec, exec, s[38:39]
	s_and_saveexec_b64 s[38:39], s[16:17]
	s_cbranch_execnz .LBB195_227
.LBB195_160:
	s_or_b64 exec, exec, s[38:39]
	s_and_saveexec_b64 s[38:39], s[14:15]
	s_cbranch_execnz .LBB195_228
.LBB195_161:
	s_or_b64 exec, exec, s[38:39]
	s_and_saveexec_b64 s[38:39], s[12:13]
	s_cbranch_execnz .LBB195_229
.LBB195_162:
	s_or_b64 exec, exec, s[38:39]
	s_and_saveexec_b64 s[38:39], s[10:11]
	s_cbranch_execnz .LBB195_230
.LBB195_163:
	s_or_b64 exec, exec, s[38:39]
	s_and_saveexec_b64 s[38:39], s[8:9]
	s_cbranch_execnz .LBB195_231
.LBB195_164:
	s_or_b64 exec, exec, s[38:39]
	s_and_saveexec_b64 s[38:39], s[6:7]
	s_cbranch_execnz .LBB195_232
.LBB195_165:
	s_or_b64 exec, exec, s[38:39]
	s_and_saveexec_b64 s[38:39], s[4:5]
	s_cbranch_execz .LBB195_167
.LBB195_166:
	v_sub_u32_e32 v3, v22, v18
	v_readfirstlane_b32 s44, v54
	v_readfirstlane_b32 s45, v17
	s_nop 4
	global_store_byte v3, v11, s[44:45]
.LBB195_167:
	s_or_b64 exec, exec, s[38:39]
	s_and_b64 s[38:39], s[2:3], exec
	s_andn2_saveexec_b64 s[34:35], s[34:35]
	s_cbranch_execz .LBB195_106
.LBB195_168:
	v_sub_u32_e32 v3, v50, v18
	v_readfirstlane_b32 s44, v54
	v_readfirstlane_b32 s45, v17
	s_or_b64 s[38:39], s[38:39], exec
	s_nop 3
	global_store_byte v3, v8, s[44:45]
	v_sub_u32_e32 v3, v48, v18
	global_store_byte v3, v67, s[44:45]
	v_sub_u32_e32 v3, v46, v18
	;; [unrolled: 2-line block ×13, first 2 shown]
	global_store_byte v3, v11, s[44:45]
	s_or_b64 exec, exec, s[34:35]
	s_and_b64 exec, exec, s[38:39]
	s_cbranch_execnz .LBB195_107
	s_branch .LBB195_108
.LBB195_169:
	s_and_saveexec_b64 s[38:39], s[30:31]
	s_cbranch_execnz .LBB195_233
; %bb.170:
	s_or_b64 exec, exec, s[38:39]
	s_and_saveexec_b64 s[30:31], s[28:29]
	s_cbranch_execnz .LBB195_234
.LBB195_171:
	s_or_b64 exec, exec, s[30:31]
	s_and_saveexec_b64 s[28:29], s[26:27]
	s_cbranch_execnz .LBB195_235
.LBB195_172:
	s_or_b64 exec, exec, s[28:29]
	s_and_saveexec_b64 s[26:27], s[24:25]
	s_cbranch_execnz .LBB195_236
.LBB195_173:
	s_or_b64 exec, exec, s[26:27]
	s_and_saveexec_b64 s[24:25], s[22:23]
	s_cbranch_execnz .LBB195_237
.LBB195_174:
	s_or_b64 exec, exec, s[24:25]
	s_and_saveexec_b64 s[22:23], s[20:21]
	s_cbranch_execnz .LBB195_238
.LBB195_175:
	s_or_b64 exec, exec, s[22:23]
	s_and_saveexec_b64 s[20:21], s[18:19]
	s_cbranch_execnz .LBB195_239
.LBB195_176:
	s_or_b64 exec, exec, s[20:21]
	s_and_saveexec_b64 s[18:19], s[16:17]
	s_cbranch_execnz .LBB195_240
.LBB195_177:
	s_or_b64 exec, exec, s[18:19]
	s_and_saveexec_b64 s[16:17], s[14:15]
	s_cbranch_execnz .LBB195_241
.LBB195_178:
	s_or_b64 exec, exec, s[16:17]
	s_and_saveexec_b64 s[14:15], s[12:13]
	s_cbranch_execnz .LBB195_242
.LBB195_179:
	s_or_b64 exec, exec, s[14:15]
	s_and_saveexec_b64 s[12:13], s[10:11]
	s_cbranch_execnz .LBB195_243
.LBB195_180:
	s_or_b64 exec, exec, s[12:13]
	s_and_saveexec_b64 s[10:11], s[8:9]
	s_cbranch_execnz .LBB195_244
.LBB195_181:
	s_or_b64 exec, exec, s[10:11]
	s_and_saveexec_b64 s[8:9], s[6:7]
	s_cbranch_execnz .LBB195_245
.LBB195_182:
	s_or_b64 exec, exec, s[8:9]
	s_and_saveexec_b64 s[6:7], s[4:5]
	s_cbranch_execz .LBB195_184
.LBB195_183:
	v_sub_u32_e32 v2, v22, v18
	ds_write_b8 v2, v11
.LBB195_184:
	s_or_b64 exec, exec, s[6:7]
	s_and_b64 s[38:39], s[2:3], exec
                                        ; implicit-def: $vgpr11
                                        ; implicit-def: $vgpr55
                                        ; implicit-def: $vgpr56
                                        ; implicit-def: $vgpr57
                                        ; implicit-def: $vgpr58
                                        ; implicit-def: $vgpr10
                                        ; implicit-def: $vgpr59
                                        ; implicit-def: $vgpr60
                                        ; implicit-def: $vgpr61
                                        ; implicit-def: $vgpr64
                                        ; implicit-def: $vgpr65
                                        ; implicit-def: $vgpr67
	s_andn2_saveexec_b64 s[2:3], s[36:37]
	s_cbranch_execz .LBB195_113
.LBB195_185:
	v_sub_u32_e32 v2, v50, v18
	ds_write_b8 v2, v8
	v_sub_u32_e32 v2, v48, v18
	ds_write_b8 v2, v67
	;; [unrolled: 2-line block ×13, first 2 shown]
	v_sub_u32_e32 v2, v22, v18
	s_or_b64 s[38:39], s[38:39], exec
	ds_write_b8 v2, v11
	s_or_b64 exec, exec, s[2:3]
	s_and_b64 exec, exec, s[38:39]
	s_cbranch_execnz .LBB195_114
	s_branch .LBB195_115
.LBB195_186:
	s_and_saveexec_b64 s[36:37], s[28:29]
	s_cbranch_execnz .LBB195_246
; %bb.187:
	s_or_b64 exec, exec, s[36:37]
	s_and_saveexec_b64 s[36:37], s[26:27]
	s_cbranch_execnz .LBB195_247
.LBB195_188:
	s_or_b64 exec, exec, s[36:37]
	s_and_saveexec_b64 s[36:37], s[24:25]
	s_cbranch_execnz .LBB195_248
.LBB195_189:
	s_or_b64 exec, exec, s[36:37]
	s_and_saveexec_b64 s[36:37], s[22:23]
	s_cbranch_execnz .LBB195_249
.LBB195_190:
	s_or_b64 exec, exec, s[36:37]
	s_and_saveexec_b64 s[36:37], s[20:21]
	s_cbranch_execnz .LBB195_250
.LBB195_191:
	s_or_b64 exec, exec, s[36:37]
	s_and_saveexec_b64 s[36:37], s[18:19]
	s_cbranch_execnz .LBB195_251
.LBB195_192:
	s_or_b64 exec, exec, s[36:37]
	s_and_saveexec_b64 s[36:37], s[16:17]
	s_cbranch_execnz .LBB195_252
.LBB195_193:
	s_or_b64 exec, exec, s[36:37]
	s_and_saveexec_b64 s[36:37], s[14:15]
	s_cbranch_execnz .LBB195_253
.LBB195_194:
	s_or_b64 exec, exec, s[36:37]
	s_and_saveexec_b64 s[36:37], s[12:13]
	s_cbranch_execnz .LBB195_254
.LBB195_195:
	s_or_b64 exec, exec, s[36:37]
	s_and_saveexec_b64 s[36:37], s[10:11]
	s_cbranch_execnz .LBB195_255
.LBB195_196:
	s_or_b64 exec, exec, s[36:37]
	s_and_saveexec_b64 s[36:37], s[8:9]
	s_cbranch_execnz .LBB195_256
.LBB195_197:
	s_or_b64 exec, exec, s[36:37]
	s_and_saveexec_b64 s[36:37], s[6:7]
	s_cbranch_execnz .LBB195_257
.LBB195_198:
	s_or_b64 exec, exec, s[36:37]
	s_and_saveexec_b64 s[36:37], s[4:5]
	s_cbranch_execnz .LBB195_258
.LBB195_199:
	s_or_b64 exec, exec, s[36:37]
	s_and_saveexec_b64 s[36:37], s[2:3]
	s_cbranch_execz .LBB195_201
.LBB195_200:
	v_sub_u32_e32 v8, v22, v2
	v_mov_b32_e32 v9, 0
	v_lshlrev_b64 v[10:11], 3, v[8:9]
	v_add_co_u32_e32 v10, vcc, v6, v10
	v_addc_co_u32_e32 v11, vcc, v7, v11, vcc
	v_mov_b32_e32 v8, v23
	global_store_dwordx2 v[10:11], v[8:9], off
.LBB195_201:
	s_or_b64 exec, exec, s[36:37]
	s_and_b64 s[36:37], s[0:1], exec
	s_andn2_saveexec_b64 s[30:31], s[30:31]
	s_cbranch_execz .LBB195_134
.LBB195_202:
	v_mov_b32_e32 v9, 0
	v_sub_u32_e32 v10, v50, v2
	v_mov_b32_e32 v11, v9
	v_lshlrev_b64 v[10:11], 3, v[10:11]
	v_add_co_u32_e32 v10, vcc, v6, v10
	v_mov_b32_e32 v8, v51
	v_addc_co_u32_e32 v11, vcc, v7, v11, vcc
	global_store_dwordx2 v[10:11], v[8:9], off
	v_sub_u32_e32 v10, v48, v2
	v_mov_b32_e32 v11, v9
	v_lshlrev_b64 v[10:11], 3, v[10:11]
	v_add_co_u32_e32 v10, vcc, v6, v10
	v_mov_b32_e32 v8, v49
	v_addc_co_u32_e32 v11, vcc, v7, v11, vcc
	global_store_dwordx2 v[10:11], v[8:9], off
	v_sub_u32_e32 v10, v46, v2
	v_mov_b32_e32 v11, v9
	v_lshlrev_b64 v[10:11], 3, v[10:11]
	v_add_co_u32_e32 v10, vcc, v6, v10
	v_mov_b32_e32 v8, v47
	v_addc_co_u32_e32 v11, vcc, v7, v11, vcc
	global_store_dwordx2 v[10:11], v[8:9], off
	v_sub_u32_e32 v10, v44, v2
	v_mov_b32_e32 v11, v9
	v_lshlrev_b64 v[10:11], 3, v[10:11]
	v_add_co_u32_e32 v10, vcc, v6, v10
	v_mov_b32_e32 v8, v45
	v_addc_co_u32_e32 v11, vcc, v7, v11, vcc
	global_store_dwordx2 v[10:11], v[8:9], off
	v_sub_u32_e32 v10, v42, v2
	v_mov_b32_e32 v11, v9
	v_lshlrev_b64 v[10:11], 3, v[10:11]
	v_add_co_u32_e32 v10, vcc, v6, v10
	v_mov_b32_e32 v8, v43
	v_addc_co_u32_e32 v11, vcc, v7, v11, vcc
	global_store_dwordx2 v[10:11], v[8:9], off
	v_sub_u32_e32 v10, v40, v2
	v_mov_b32_e32 v11, v9
	v_lshlrev_b64 v[10:11], 3, v[10:11]
	v_add_co_u32_e32 v10, vcc, v6, v10
	v_mov_b32_e32 v8, v41
	v_addc_co_u32_e32 v11, vcc, v7, v11, vcc
	global_store_dwordx2 v[10:11], v[8:9], off
	v_sub_u32_e32 v10, v38, v2
	v_mov_b32_e32 v11, v9
	v_lshlrev_b64 v[10:11], 3, v[10:11]
	v_add_co_u32_e32 v10, vcc, v6, v10
	v_mov_b32_e32 v8, v39
	v_addc_co_u32_e32 v11, vcc, v7, v11, vcc
	global_store_dwordx2 v[10:11], v[8:9], off
	v_sub_u32_e32 v10, v36, v2
	v_mov_b32_e32 v11, v9
	v_lshlrev_b64 v[10:11], 3, v[10:11]
	v_add_co_u32_e32 v10, vcc, v6, v10
	v_mov_b32_e32 v8, v37
	v_addc_co_u32_e32 v11, vcc, v7, v11, vcc
	global_store_dwordx2 v[10:11], v[8:9], off
	v_sub_u32_e32 v10, v34, v2
	v_mov_b32_e32 v11, v9
	v_lshlrev_b64 v[10:11], 3, v[10:11]
	v_add_co_u32_e32 v10, vcc, v6, v10
	v_mov_b32_e32 v8, v35
	v_addc_co_u32_e32 v11, vcc, v7, v11, vcc
	global_store_dwordx2 v[10:11], v[8:9], off
	v_sub_u32_e32 v10, v32, v2
	v_mov_b32_e32 v11, v9
	v_lshlrev_b64 v[10:11], 3, v[10:11]
	v_add_co_u32_e32 v10, vcc, v6, v10
	v_mov_b32_e32 v8, v33
	v_addc_co_u32_e32 v11, vcc, v7, v11, vcc
	global_store_dwordx2 v[10:11], v[8:9], off
	v_sub_u32_e32 v10, v30, v2
	v_mov_b32_e32 v11, v9
	v_lshlrev_b64 v[10:11], 3, v[10:11]
	v_add_co_u32_e32 v10, vcc, v6, v10
	v_mov_b32_e32 v8, v31
	v_addc_co_u32_e32 v11, vcc, v7, v11, vcc
	global_store_dwordx2 v[10:11], v[8:9], off
	v_sub_u32_e32 v10, v28, v2
	v_mov_b32_e32 v11, v9
	v_lshlrev_b64 v[10:11], 3, v[10:11]
	v_add_co_u32_e32 v10, vcc, v6, v10
	v_mov_b32_e32 v8, v29
	v_addc_co_u32_e32 v11, vcc, v7, v11, vcc
	global_store_dwordx2 v[10:11], v[8:9], off
	v_sub_u32_e32 v10, v26, v2
	v_mov_b32_e32 v11, v9
	v_lshlrev_b64 v[10:11], 3, v[10:11]
	v_add_co_u32_e32 v10, vcc, v6, v10
	v_mov_b32_e32 v8, v27
	v_addc_co_u32_e32 v11, vcc, v7, v11, vcc
	global_store_dwordx2 v[10:11], v[8:9], off
	v_sub_u32_e32 v10, v22, v2
	v_mov_b32_e32 v11, v9
	v_lshlrev_b64 v[10:11], 3, v[10:11]
	v_add_co_u32_e32 v10, vcc, v6, v10
	v_mov_b32_e32 v8, v23
	v_addc_co_u32_e32 v11, vcc, v7, v11, vcc
	s_or_b64 s[36:37], s[36:37], exec
	global_store_dwordx2 v[10:11], v[8:9], off
	s_or_b64 exec, exec, s[30:31]
	s_and_b64 exec, exec, s[36:37]
	s_cbranch_execnz .LBB195_135
	s_branch .LBB195_136
.LBB195_203:
	s_and_saveexec_b64 s[36:37], s[28:29]
	s_cbranch_execnz .LBB195_259
; %bb.204:
	s_or_b64 exec, exec, s[36:37]
	s_and_saveexec_b64 s[28:29], s[26:27]
	s_cbranch_execnz .LBB195_260
.LBB195_205:
	s_or_b64 exec, exec, s[28:29]
	s_and_saveexec_b64 s[26:27], s[24:25]
	s_cbranch_execnz .LBB195_261
.LBB195_206:
	s_or_b64 exec, exec, s[26:27]
	s_and_saveexec_b64 s[24:25], s[22:23]
	s_cbranch_execnz .LBB195_262
.LBB195_207:
	s_or_b64 exec, exec, s[24:25]
	s_and_saveexec_b64 s[22:23], s[20:21]
	s_cbranch_execnz .LBB195_263
.LBB195_208:
	s_or_b64 exec, exec, s[22:23]
	s_and_saveexec_b64 s[20:21], s[18:19]
	s_cbranch_execnz .LBB195_264
.LBB195_209:
	s_or_b64 exec, exec, s[20:21]
	s_and_saveexec_b64 s[18:19], s[16:17]
	s_cbranch_execnz .LBB195_265
.LBB195_210:
	s_or_b64 exec, exec, s[18:19]
	s_and_saveexec_b64 s[16:17], s[14:15]
	s_cbranch_execnz .LBB195_266
.LBB195_211:
	s_or_b64 exec, exec, s[16:17]
	s_and_saveexec_b64 s[14:15], s[12:13]
	s_cbranch_execnz .LBB195_267
.LBB195_212:
	s_or_b64 exec, exec, s[14:15]
	s_and_saveexec_b64 s[12:13], s[10:11]
	s_cbranch_execnz .LBB195_268
.LBB195_213:
	s_or_b64 exec, exec, s[12:13]
	s_and_saveexec_b64 s[10:11], s[8:9]
	s_cbranch_execnz .LBB195_269
.LBB195_214:
	s_or_b64 exec, exec, s[10:11]
	s_and_saveexec_b64 s[8:9], s[6:7]
	s_cbranch_execnz .LBB195_270
.LBB195_215:
	s_or_b64 exec, exec, s[8:9]
	s_and_saveexec_b64 s[6:7], s[4:5]
	s_cbranch_execnz .LBB195_271
.LBB195_216:
	s_or_b64 exec, exec, s[6:7]
	s_and_saveexec_b64 s[4:5], s[2:3]
	s_cbranch_execz .LBB195_218
.LBB195_217:
	v_sub_u32_e32 v3, v22, v2
	v_lshlrev_b32_e32 v3, 2, v3
	ds_write_b32 v3, v23
.LBB195_218:
	s_or_b64 exec, exec, s[4:5]
	s_and_b64 s[36:37], s[0:1], exec
                                        ; implicit-def: $vgpr22_vgpr23
                                        ; implicit-def: $vgpr26_vgpr27
                                        ; implicit-def: $vgpr28_vgpr29
                                        ; implicit-def: $vgpr50_vgpr51
                                        ; implicit-def: $vgpr48_vgpr49
                                        ; implicit-def: $vgpr46_vgpr47
                                        ; implicit-def: $vgpr44_vgpr45
                                        ; implicit-def: $vgpr42_vgpr43
                                        ; implicit-def: $vgpr40_vgpr41
                                        ; implicit-def: $vgpr38_vgpr39
                                        ; implicit-def: $vgpr36_vgpr37
                                        ; implicit-def: $vgpr34_vgpr35
                                        ; implicit-def: $vgpr32_vgpr33
                                        ; implicit-def: $vgpr30_vgpr31
	s_andn2_saveexec_b64 s[0:1], s[34:35]
	s_cbranch_execz .LBB195_141
.LBB195_219:
	v_sub_u32_e32 v3, v50, v2
	v_lshlrev_b32_e32 v3, 2, v3
	ds_write_b32 v3, v51
	v_sub_u32_e32 v3, v48, v2
	v_lshlrev_b32_e32 v3, 2, v3
	ds_write_b32 v3, v49
	;; [unrolled: 3-line block ×13, first 2 shown]
	v_sub_u32_e32 v3, v22, v2
	v_lshlrev_b32_e32 v3, 2, v3
	s_or_b64 s[36:37], s[36:37], exec
	ds_write_b32 v3, v23
	s_or_b64 exec, exec, s[0:1]
	s_and_b64 exec, exec, s[36:37]
	s_cbranch_execnz .LBB195_142
	s_branch .LBB195_143
.LBB195_220:
	v_sub_u32_e32 v3, v50, v18
	v_readfirstlane_b32 s44, v54
	v_readfirstlane_b32 s45, v17
	s_nop 4
	global_store_byte v3, v8, s[44:45]
	s_or_b64 exec, exec, s[38:39]
	s_and_saveexec_b64 s[38:39], s[28:29]
	s_cbranch_execz .LBB195_154
.LBB195_221:
	v_sub_u32_e32 v3, v48, v18
	v_readfirstlane_b32 s44, v54
	v_readfirstlane_b32 s45, v17
	s_nop 4
	global_store_byte v3, v67, s[44:45]
	s_or_b64 exec, exec, s[38:39]
	s_and_saveexec_b64 s[38:39], s[26:27]
	s_cbranch_execz .LBB195_155
.LBB195_222:
	v_sub_u32_e32 v3, v46, v18
	v_readfirstlane_b32 s44, v54
	v_readfirstlane_b32 s45, v17
	s_nop 4
	global_store_byte v3, v65, s[44:45]
	s_or_b64 exec, exec, s[38:39]
	s_and_saveexec_b64 s[38:39], s[24:25]
	s_cbranch_execz .LBB195_156
.LBB195_223:
	v_sub_u32_e32 v3, v44, v18
	v_readfirstlane_b32 s44, v54
	v_readfirstlane_b32 s45, v17
	s_nop 4
	global_store_byte v3, v64, s[44:45]
	s_or_b64 exec, exec, s[38:39]
	s_and_saveexec_b64 s[38:39], s[22:23]
	s_cbranch_execz .LBB195_157
.LBB195_224:
	v_sub_u32_e32 v3, v42, v18
	v_readfirstlane_b32 s44, v54
	v_readfirstlane_b32 s45, v17
	s_nop 4
	global_store_byte v3, v9, s[44:45]
	s_or_b64 exec, exec, s[38:39]
	s_and_saveexec_b64 s[38:39], s[20:21]
	s_cbranch_execz .LBB195_158
.LBB195_225:
	v_sub_u32_e32 v3, v40, v18
	v_readfirstlane_b32 s44, v54
	v_readfirstlane_b32 s45, v17
	s_nop 4
	global_store_byte v3, v61, s[44:45]
	s_or_b64 exec, exec, s[38:39]
	s_and_saveexec_b64 s[38:39], s[18:19]
	s_cbranch_execz .LBB195_159
.LBB195_226:
	v_sub_u32_e32 v3, v38, v18
	v_readfirstlane_b32 s44, v54
	v_readfirstlane_b32 s45, v17
	s_nop 4
	global_store_byte v3, v60, s[44:45]
	s_or_b64 exec, exec, s[38:39]
	s_and_saveexec_b64 s[38:39], s[16:17]
	s_cbranch_execz .LBB195_160
.LBB195_227:
	v_sub_u32_e32 v3, v36, v18
	v_readfirstlane_b32 s44, v54
	v_readfirstlane_b32 s45, v17
	s_nop 4
	global_store_byte v3, v59, s[44:45]
	s_or_b64 exec, exec, s[38:39]
	s_and_saveexec_b64 s[38:39], s[14:15]
	s_cbranch_execz .LBB195_161
.LBB195_228:
	v_sub_u32_e32 v3, v34, v18
	v_readfirstlane_b32 s44, v54
	v_readfirstlane_b32 s45, v17
	s_nop 4
	global_store_byte v3, v10, s[44:45]
	s_or_b64 exec, exec, s[38:39]
	s_and_saveexec_b64 s[38:39], s[12:13]
	s_cbranch_execz .LBB195_162
.LBB195_229:
	v_sub_u32_e32 v3, v32, v18
	v_readfirstlane_b32 s44, v54
	v_readfirstlane_b32 s45, v17
	s_nop 4
	global_store_byte v3, v58, s[44:45]
	s_or_b64 exec, exec, s[38:39]
	s_and_saveexec_b64 s[38:39], s[10:11]
	s_cbranch_execz .LBB195_163
.LBB195_230:
	v_sub_u32_e32 v3, v30, v18
	v_readfirstlane_b32 s44, v54
	v_readfirstlane_b32 s45, v17
	s_nop 4
	global_store_byte v3, v57, s[44:45]
	s_or_b64 exec, exec, s[38:39]
	s_and_saveexec_b64 s[38:39], s[8:9]
	s_cbranch_execz .LBB195_164
.LBB195_231:
	v_sub_u32_e32 v3, v28, v18
	v_readfirstlane_b32 s44, v54
	v_readfirstlane_b32 s45, v17
	s_nop 4
	global_store_byte v3, v56, s[44:45]
	s_or_b64 exec, exec, s[38:39]
	s_and_saveexec_b64 s[38:39], s[6:7]
	s_cbranch_execz .LBB195_165
.LBB195_232:
	v_sub_u32_e32 v3, v26, v18
	v_readfirstlane_b32 s44, v54
	v_readfirstlane_b32 s45, v17
	s_nop 4
	global_store_byte v3, v55, s[44:45]
	s_or_b64 exec, exec, s[38:39]
	s_and_saveexec_b64 s[38:39], s[4:5]
	s_cbranch_execnz .LBB195_166
	s_branch .LBB195_167
.LBB195_233:
	v_sub_u32_e32 v2, v50, v18
	ds_write_b8 v2, v8
	s_or_b64 exec, exec, s[38:39]
	s_and_saveexec_b64 s[30:31], s[28:29]
	s_cbranch_execz .LBB195_171
.LBB195_234:
	v_sub_u32_e32 v2, v48, v18
	ds_write_b8 v2, v67
	s_or_b64 exec, exec, s[30:31]
	s_and_saveexec_b64 s[28:29], s[26:27]
	s_cbranch_execz .LBB195_172
.LBB195_235:
	v_sub_u32_e32 v2, v46, v18
	ds_write_b8 v2, v65
	s_or_b64 exec, exec, s[28:29]
	s_and_saveexec_b64 s[26:27], s[24:25]
	s_cbranch_execz .LBB195_173
.LBB195_236:
	v_sub_u32_e32 v2, v44, v18
	ds_write_b8 v2, v64
	s_or_b64 exec, exec, s[26:27]
	s_and_saveexec_b64 s[24:25], s[22:23]
	s_cbranch_execz .LBB195_174
.LBB195_237:
	v_sub_u32_e32 v2, v42, v18
	ds_write_b8 v2, v9
	s_or_b64 exec, exec, s[24:25]
	s_and_saveexec_b64 s[22:23], s[20:21]
	s_cbranch_execz .LBB195_175
.LBB195_238:
	v_sub_u32_e32 v2, v40, v18
	ds_write_b8 v2, v61
	s_or_b64 exec, exec, s[22:23]
	s_and_saveexec_b64 s[20:21], s[18:19]
	s_cbranch_execz .LBB195_176
.LBB195_239:
	v_sub_u32_e32 v2, v38, v18
	ds_write_b8 v2, v60
	s_or_b64 exec, exec, s[20:21]
	s_and_saveexec_b64 s[18:19], s[16:17]
	s_cbranch_execz .LBB195_177
.LBB195_240:
	v_sub_u32_e32 v2, v36, v18
	ds_write_b8 v2, v59
	s_or_b64 exec, exec, s[18:19]
	s_and_saveexec_b64 s[16:17], s[14:15]
	s_cbranch_execz .LBB195_178
.LBB195_241:
	v_sub_u32_e32 v2, v34, v18
	ds_write_b8 v2, v10
	s_or_b64 exec, exec, s[16:17]
	s_and_saveexec_b64 s[14:15], s[12:13]
	s_cbranch_execz .LBB195_179
.LBB195_242:
	v_sub_u32_e32 v2, v32, v18
	ds_write_b8 v2, v58
	s_or_b64 exec, exec, s[14:15]
	s_and_saveexec_b64 s[12:13], s[10:11]
	s_cbranch_execz .LBB195_180
.LBB195_243:
	v_sub_u32_e32 v2, v30, v18
	ds_write_b8 v2, v57
	s_or_b64 exec, exec, s[12:13]
	s_and_saveexec_b64 s[10:11], s[8:9]
	s_cbranch_execz .LBB195_181
.LBB195_244:
	v_sub_u32_e32 v2, v28, v18
	ds_write_b8 v2, v56
	s_or_b64 exec, exec, s[10:11]
	s_and_saveexec_b64 s[8:9], s[6:7]
	s_cbranch_execz .LBB195_182
.LBB195_245:
	v_sub_u32_e32 v2, v26, v18
	ds_write_b8 v2, v55
	s_or_b64 exec, exec, s[8:9]
	s_and_saveexec_b64 s[6:7], s[4:5]
	s_cbranch_execnz .LBB195_183
	s_branch .LBB195_184
.LBB195_246:
	v_sub_u32_e32 v8, v50, v2
	v_mov_b32_e32 v9, 0
	v_lshlrev_b64 v[10:11], 3, v[8:9]
	v_add_co_u32_e32 v10, vcc, v6, v10
	v_addc_co_u32_e32 v11, vcc, v7, v11, vcc
	v_mov_b32_e32 v8, v51
	global_store_dwordx2 v[10:11], v[8:9], off
	s_or_b64 exec, exec, s[36:37]
	s_and_saveexec_b64 s[36:37], s[26:27]
	s_cbranch_execz .LBB195_188
.LBB195_247:
	v_sub_u32_e32 v8, v48, v2
	v_mov_b32_e32 v9, 0
	v_lshlrev_b64 v[10:11], 3, v[8:9]
	v_add_co_u32_e32 v10, vcc, v6, v10
	v_addc_co_u32_e32 v11, vcc, v7, v11, vcc
	v_mov_b32_e32 v8, v49
	global_store_dwordx2 v[10:11], v[8:9], off
	s_or_b64 exec, exec, s[36:37]
	s_and_saveexec_b64 s[36:37], s[24:25]
	s_cbranch_execz .LBB195_189
.LBB195_248:
	v_sub_u32_e32 v8, v46, v2
	v_mov_b32_e32 v9, 0
	v_lshlrev_b64 v[10:11], 3, v[8:9]
	v_add_co_u32_e32 v10, vcc, v6, v10
	v_addc_co_u32_e32 v11, vcc, v7, v11, vcc
	v_mov_b32_e32 v8, v47
	global_store_dwordx2 v[10:11], v[8:9], off
	s_or_b64 exec, exec, s[36:37]
	s_and_saveexec_b64 s[36:37], s[22:23]
	s_cbranch_execz .LBB195_190
.LBB195_249:
	v_sub_u32_e32 v8, v44, v2
	v_mov_b32_e32 v9, 0
	v_lshlrev_b64 v[10:11], 3, v[8:9]
	v_add_co_u32_e32 v10, vcc, v6, v10
	v_addc_co_u32_e32 v11, vcc, v7, v11, vcc
	v_mov_b32_e32 v8, v45
	global_store_dwordx2 v[10:11], v[8:9], off
	s_or_b64 exec, exec, s[36:37]
	s_and_saveexec_b64 s[36:37], s[20:21]
	s_cbranch_execz .LBB195_191
.LBB195_250:
	v_sub_u32_e32 v8, v42, v2
	v_mov_b32_e32 v9, 0
	v_lshlrev_b64 v[10:11], 3, v[8:9]
	v_add_co_u32_e32 v10, vcc, v6, v10
	v_addc_co_u32_e32 v11, vcc, v7, v11, vcc
	v_mov_b32_e32 v8, v43
	global_store_dwordx2 v[10:11], v[8:9], off
	s_or_b64 exec, exec, s[36:37]
	s_and_saveexec_b64 s[36:37], s[18:19]
	s_cbranch_execz .LBB195_192
.LBB195_251:
	v_sub_u32_e32 v8, v40, v2
	v_mov_b32_e32 v9, 0
	v_lshlrev_b64 v[10:11], 3, v[8:9]
	v_add_co_u32_e32 v10, vcc, v6, v10
	v_addc_co_u32_e32 v11, vcc, v7, v11, vcc
	v_mov_b32_e32 v8, v41
	global_store_dwordx2 v[10:11], v[8:9], off
	s_or_b64 exec, exec, s[36:37]
	s_and_saveexec_b64 s[36:37], s[16:17]
	s_cbranch_execz .LBB195_193
.LBB195_252:
	v_sub_u32_e32 v8, v38, v2
	v_mov_b32_e32 v9, 0
	v_lshlrev_b64 v[10:11], 3, v[8:9]
	v_add_co_u32_e32 v10, vcc, v6, v10
	v_addc_co_u32_e32 v11, vcc, v7, v11, vcc
	v_mov_b32_e32 v8, v39
	global_store_dwordx2 v[10:11], v[8:9], off
	s_or_b64 exec, exec, s[36:37]
	s_and_saveexec_b64 s[36:37], s[14:15]
	s_cbranch_execz .LBB195_194
.LBB195_253:
	v_sub_u32_e32 v8, v36, v2
	v_mov_b32_e32 v9, 0
	v_lshlrev_b64 v[10:11], 3, v[8:9]
	v_add_co_u32_e32 v10, vcc, v6, v10
	v_addc_co_u32_e32 v11, vcc, v7, v11, vcc
	v_mov_b32_e32 v8, v37
	global_store_dwordx2 v[10:11], v[8:9], off
	s_or_b64 exec, exec, s[36:37]
	s_and_saveexec_b64 s[36:37], s[12:13]
	s_cbranch_execz .LBB195_195
.LBB195_254:
	v_sub_u32_e32 v8, v34, v2
	v_mov_b32_e32 v9, 0
	v_lshlrev_b64 v[10:11], 3, v[8:9]
	v_add_co_u32_e32 v10, vcc, v6, v10
	v_addc_co_u32_e32 v11, vcc, v7, v11, vcc
	v_mov_b32_e32 v8, v35
	global_store_dwordx2 v[10:11], v[8:9], off
	s_or_b64 exec, exec, s[36:37]
	s_and_saveexec_b64 s[36:37], s[10:11]
	s_cbranch_execz .LBB195_196
.LBB195_255:
	v_sub_u32_e32 v8, v32, v2
	v_mov_b32_e32 v9, 0
	v_lshlrev_b64 v[10:11], 3, v[8:9]
	v_add_co_u32_e32 v10, vcc, v6, v10
	v_addc_co_u32_e32 v11, vcc, v7, v11, vcc
	v_mov_b32_e32 v8, v33
	global_store_dwordx2 v[10:11], v[8:9], off
	s_or_b64 exec, exec, s[36:37]
	s_and_saveexec_b64 s[36:37], s[8:9]
	s_cbranch_execz .LBB195_197
.LBB195_256:
	v_sub_u32_e32 v8, v30, v2
	v_mov_b32_e32 v9, 0
	v_lshlrev_b64 v[10:11], 3, v[8:9]
	v_add_co_u32_e32 v10, vcc, v6, v10
	v_addc_co_u32_e32 v11, vcc, v7, v11, vcc
	v_mov_b32_e32 v8, v31
	global_store_dwordx2 v[10:11], v[8:9], off
	s_or_b64 exec, exec, s[36:37]
	s_and_saveexec_b64 s[36:37], s[6:7]
	s_cbranch_execz .LBB195_198
.LBB195_257:
	v_sub_u32_e32 v8, v28, v2
	v_mov_b32_e32 v9, 0
	v_lshlrev_b64 v[10:11], 3, v[8:9]
	v_add_co_u32_e32 v10, vcc, v6, v10
	v_addc_co_u32_e32 v11, vcc, v7, v11, vcc
	v_mov_b32_e32 v8, v29
	global_store_dwordx2 v[10:11], v[8:9], off
	s_or_b64 exec, exec, s[36:37]
	s_and_saveexec_b64 s[36:37], s[4:5]
	s_cbranch_execz .LBB195_199
.LBB195_258:
	v_sub_u32_e32 v8, v26, v2
	v_mov_b32_e32 v9, 0
	v_lshlrev_b64 v[10:11], 3, v[8:9]
	v_add_co_u32_e32 v10, vcc, v6, v10
	v_addc_co_u32_e32 v11, vcc, v7, v11, vcc
	v_mov_b32_e32 v8, v27
	global_store_dwordx2 v[10:11], v[8:9], off
	s_or_b64 exec, exec, s[36:37]
	s_and_saveexec_b64 s[36:37], s[2:3]
	s_cbranch_execnz .LBB195_200
	s_branch .LBB195_201
.LBB195_259:
	v_sub_u32_e32 v3, v50, v2
	v_lshlrev_b32_e32 v3, 2, v3
	ds_write_b32 v3, v51
	s_or_b64 exec, exec, s[36:37]
	s_and_saveexec_b64 s[28:29], s[26:27]
	s_cbranch_execz .LBB195_205
.LBB195_260:
	v_sub_u32_e32 v3, v48, v2
	v_lshlrev_b32_e32 v3, 2, v3
	ds_write_b32 v3, v49
	s_or_b64 exec, exec, s[28:29]
	s_and_saveexec_b64 s[26:27], s[24:25]
	s_cbranch_execz .LBB195_206
.LBB195_261:
	v_sub_u32_e32 v3, v46, v2
	v_lshlrev_b32_e32 v3, 2, v3
	ds_write_b32 v3, v47
	s_or_b64 exec, exec, s[26:27]
	s_and_saveexec_b64 s[24:25], s[22:23]
	s_cbranch_execz .LBB195_207
.LBB195_262:
	v_sub_u32_e32 v3, v44, v2
	v_lshlrev_b32_e32 v3, 2, v3
	ds_write_b32 v3, v45
	s_or_b64 exec, exec, s[24:25]
	s_and_saveexec_b64 s[22:23], s[20:21]
	s_cbranch_execz .LBB195_208
.LBB195_263:
	v_sub_u32_e32 v3, v42, v2
	v_lshlrev_b32_e32 v3, 2, v3
	ds_write_b32 v3, v43
	s_or_b64 exec, exec, s[22:23]
	s_and_saveexec_b64 s[20:21], s[18:19]
	s_cbranch_execz .LBB195_209
.LBB195_264:
	v_sub_u32_e32 v3, v40, v2
	v_lshlrev_b32_e32 v3, 2, v3
	ds_write_b32 v3, v41
	s_or_b64 exec, exec, s[20:21]
	s_and_saveexec_b64 s[18:19], s[16:17]
	s_cbranch_execz .LBB195_210
.LBB195_265:
	v_sub_u32_e32 v3, v38, v2
	v_lshlrev_b32_e32 v3, 2, v3
	ds_write_b32 v3, v39
	s_or_b64 exec, exec, s[18:19]
	s_and_saveexec_b64 s[16:17], s[14:15]
	s_cbranch_execz .LBB195_211
.LBB195_266:
	v_sub_u32_e32 v3, v36, v2
	v_lshlrev_b32_e32 v3, 2, v3
	ds_write_b32 v3, v37
	s_or_b64 exec, exec, s[16:17]
	s_and_saveexec_b64 s[14:15], s[12:13]
	s_cbranch_execz .LBB195_212
.LBB195_267:
	v_sub_u32_e32 v3, v34, v2
	v_lshlrev_b32_e32 v3, 2, v3
	ds_write_b32 v3, v35
	s_or_b64 exec, exec, s[14:15]
	s_and_saveexec_b64 s[12:13], s[10:11]
	s_cbranch_execz .LBB195_213
.LBB195_268:
	v_sub_u32_e32 v3, v32, v2
	v_lshlrev_b32_e32 v3, 2, v3
	ds_write_b32 v3, v33
	s_or_b64 exec, exec, s[12:13]
	s_and_saveexec_b64 s[10:11], s[8:9]
	s_cbranch_execz .LBB195_214
.LBB195_269:
	v_sub_u32_e32 v3, v30, v2
	v_lshlrev_b32_e32 v3, 2, v3
	ds_write_b32 v3, v31
	s_or_b64 exec, exec, s[10:11]
	s_and_saveexec_b64 s[8:9], s[6:7]
	s_cbranch_execz .LBB195_215
.LBB195_270:
	v_sub_u32_e32 v3, v28, v2
	v_lshlrev_b32_e32 v3, 2, v3
	ds_write_b32 v3, v29
	s_or_b64 exec, exec, s[8:9]
	s_and_saveexec_b64 s[6:7], s[4:5]
	s_cbranch_execz .LBB195_216
.LBB195_271:
	v_sub_u32_e32 v3, v26, v2
	v_lshlrev_b32_e32 v3, 2, v3
	ds_write_b32 v3, v27
	s_or_b64 exec, exec, s[6:7]
	s_and_saveexec_b64 s[4:5], s[2:3]
	s_cbranch_execnz .LBB195_217
	s_branch .LBB195_218
	.section	.rodata,"a",@progbits
	.p2align	6, 0x0
	.amdhsa_kernel _ZN7rocprim17ROCPRIM_400000_NS6detail17trampoline_kernelINS0_14default_configENS1_33run_length_encode_config_selectorIhjNS0_4plusIjEEEEZZNS1_33reduce_by_key_impl_wrapped_configILNS1_25lookback_scan_determinismE0ES3_S7_PKhNS0_17constant_iteratorIjlEEPhPlSF_S6_NS0_8equal_toIhEEEE10hipError_tPvRmT2_T3_mT4_T5_T6_T7_T8_P12ihipStream_tbENKUlT_T0_E_clISt17integral_constantIbLb0EESY_IbLb1EEEEDaSU_SV_EUlSU_E_NS1_11comp_targetILNS1_3genE4ELNS1_11target_archE910ELNS1_3gpuE8ELNS1_3repE0EEENS1_30default_config_static_selectorELNS0_4arch9wavefront6targetE1EEEvT1_
		.amdhsa_group_segment_fixed_size 15360
		.amdhsa_private_segment_fixed_size 0
		.amdhsa_kernarg_size 128
		.amdhsa_user_sgpr_count 6
		.amdhsa_user_sgpr_private_segment_buffer 1
		.amdhsa_user_sgpr_dispatch_ptr 0
		.amdhsa_user_sgpr_queue_ptr 0
		.amdhsa_user_sgpr_kernarg_segment_ptr 1
		.amdhsa_user_sgpr_dispatch_id 0
		.amdhsa_user_sgpr_flat_scratch_init 0
		.amdhsa_user_sgpr_kernarg_preload_length 0
		.amdhsa_user_sgpr_kernarg_preload_offset 0
		.amdhsa_user_sgpr_private_segment_size 0
		.amdhsa_uses_dynamic_stack 0
		.amdhsa_system_sgpr_private_segment_wavefront_offset 0
		.amdhsa_system_sgpr_workgroup_id_x 1
		.amdhsa_system_sgpr_workgroup_id_y 0
		.amdhsa_system_sgpr_workgroup_id_z 0
		.amdhsa_system_sgpr_workgroup_info 0
		.amdhsa_system_vgpr_workitem_id 0
		.amdhsa_next_free_vgpr 115
		.amdhsa_next_free_sgpr 66
		.amdhsa_accum_offset 116
		.amdhsa_reserve_vcc 1
		.amdhsa_reserve_flat_scratch 0
		.amdhsa_float_round_mode_32 0
		.amdhsa_float_round_mode_16_64 0
		.amdhsa_float_denorm_mode_32 3
		.amdhsa_float_denorm_mode_16_64 3
		.amdhsa_dx10_clamp 1
		.amdhsa_ieee_mode 1
		.amdhsa_fp16_overflow 0
		.amdhsa_tg_split 0
		.amdhsa_exception_fp_ieee_invalid_op 0
		.amdhsa_exception_fp_denorm_src 0
		.amdhsa_exception_fp_ieee_div_zero 0
		.amdhsa_exception_fp_ieee_overflow 0
		.amdhsa_exception_fp_ieee_underflow 0
		.amdhsa_exception_fp_ieee_inexact 0
		.amdhsa_exception_int_div_zero 0
	.end_amdhsa_kernel
	.section	.text._ZN7rocprim17ROCPRIM_400000_NS6detail17trampoline_kernelINS0_14default_configENS1_33run_length_encode_config_selectorIhjNS0_4plusIjEEEEZZNS1_33reduce_by_key_impl_wrapped_configILNS1_25lookback_scan_determinismE0ES3_S7_PKhNS0_17constant_iteratorIjlEEPhPlSF_S6_NS0_8equal_toIhEEEE10hipError_tPvRmT2_T3_mT4_T5_T6_T7_T8_P12ihipStream_tbENKUlT_T0_E_clISt17integral_constantIbLb0EESY_IbLb1EEEEDaSU_SV_EUlSU_E_NS1_11comp_targetILNS1_3genE4ELNS1_11target_archE910ELNS1_3gpuE8ELNS1_3repE0EEENS1_30default_config_static_selectorELNS0_4arch9wavefront6targetE1EEEvT1_,"axG",@progbits,_ZN7rocprim17ROCPRIM_400000_NS6detail17trampoline_kernelINS0_14default_configENS1_33run_length_encode_config_selectorIhjNS0_4plusIjEEEEZZNS1_33reduce_by_key_impl_wrapped_configILNS1_25lookback_scan_determinismE0ES3_S7_PKhNS0_17constant_iteratorIjlEEPhPlSF_S6_NS0_8equal_toIhEEEE10hipError_tPvRmT2_T3_mT4_T5_T6_T7_T8_P12ihipStream_tbENKUlT_T0_E_clISt17integral_constantIbLb0EESY_IbLb1EEEEDaSU_SV_EUlSU_E_NS1_11comp_targetILNS1_3genE4ELNS1_11target_archE910ELNS1_3gpuE8ELNS1_3repE0EEENS1_30default_config_static_selectorELNS0_4arch9wavefront6targetE1EEEvT1_,comdat
.Lfunc_end195:
	.size	_ZN7rocprim17ROCPRIM_400000_NS6detail17trampoline_kernelINS0_14default_configENS1_33run_length_encode_config_selectorIhjNS0_4plusIjEEEEZZNS1_33reduce_by_key_impl_wrapped_configILNS1_25lookback_scan_determinismE0ES3_S7_PKhNS0_17constant_iteratorIjlEEPhPlSF_S6_NS0_8equal_toIhEEEE10hipError_tPvRmT2_T3_mT4_T5_T6_T7_T8_P12ihipStream_tbENKUlT_T0_E_clISt17integral_constantIbLb0EESY_IbLb1EEEEDaSU_SV_EUlSU_E_NS1_11comp_targetILNS1_3genE4ELNS1_11target_archE910ELNS1_3gpuE8ELNS1_3repE0EEENS1_30default_config_static_selectorELNS0_4arch9wavefront6targetE1EEEvT1_, .Lfunc_end195-_ZN7rocprim17ROCPRIM_400000_NS6detail17trampoline_kernelINS0_14default_configENS1_33run_length_encode_config_selectorIhjNS0_4plusIjEEEEZZNS1_33reduce_by_key_impl_wrapped_configILNS1_25lookback_scan_determinismE0ES3_S7_PKhNS0_17constant_iteratorIjlEEPhPlSF_S6_NS0_8equal_toIhEEEE10hipError_tPvRmT2_T3_mT4_T5_T6_T7_T8_P12ihipStream_tbENKUlT_T0_E_clISt17integral_constantIbLb0EESY_IbLb1EEEEDaSU_SV_EUlSU_E_NS1_11comp_targetILNS1_3genE4ELNS1_11target_archE910ELNS1_3gpuE8ELNS1_3repE0EEENS1_30default_config_static_selectorELNS0_4arch9wavefront6targetE1EEEvT1_
                                        ; -- End function
	.section	.AMDGPU.csdata,"",@progbits
; Kernel info:
; codeLenInByte = 14804
; NumSgprs: 70
; NumVgprs: 115
; NumAgprs: 0
; TotalNumVgprs: 115
; ScratchSize: 0
; MemoryBound: 0
; FloatMode: 240
; IeeeMode: 1
; LDSByteSize: 15360 bytes/workgroup (compile time only)
; SGPRBlocks: 8
; VGPRBlocks: 14
; NumSGPRsForWavesPerEU: 70
; NumVGPRsForWavesPerEU: 115
; AccumOffset: 116
; Occupancy: 4
; WaveLimiterHint : 1
; COMPUTE_PGM_RSRC2:SCRATCH_EN: 0
; COMPUTE_PGM_RSRC2:USER_SGPR: 6
; COMPUTE_PGM_RSRC2:TRAP_HANDLER: 0
; COMPUTE_PGM_RSRC2:TGID_X_EN: 1
; COMPUTE_PGM_RSRC2:TGID_Y_EN: 0
; COMPUTE_PGM_RSRC2:TGID_Z_EN: 0
; COMPUTE_PGM_RSRC2:TIDIG_COMP_CNT: 0
; COMPUTE_PGM_RSRC3_GFX90A:ACCUM_OFFSET: 28
; COMPUTE_PGM_RSRC3_GFX90A:TG_SPLIT: 0
	.section	.text._ZN7rocprim17ROCPRIM_400000_NS6detail17trampoline_kernelINS0_14default_configENS1_33run_length_encode_config_selectorIhjNS0_4plusIjEEEEZZNS1_33reduce_by_key_impl_wrapped_configILNS1_25lookback_scan_determinismE0ES3_S7_PKhNS0_17constant_iteratorIjlEEPhPlSF_S6_NS0_8equal_toIhEEEE10hipError_tPvRmT2_T3_mT4_T5_T6_T7_T8_P12ihipStream_tbENKUlT_T0_E_clISt17integral_constantIbLb0EESY_IbLb1EEEEDaSU_SV_EUlSU_E_NS1_11comp_targetILNS1_3genE3ELNS1_11target_archE908ELNS1_3gpuE7ELNS1_3repE0EEENS1_30default_config_static_selectorELNS0_4arch9wavefront6targetE1EEEvT1_,"axG",@progbits,_ZN7rocprim17ROCPRIM_400000_NS6detail17trampoline_kernelINS0_14default_configENS1_33run_length_encode_config_selectorIhjNS0_4plusIjEEEEZZNS1_33reduce_by_key_impl_wrapped_configILNS1_25lookback_scan_determinismE0ES3_S7_PKhNS0_17constant_iteratorIjlEEPhPlSF_S6_NS0_8equal_toIhEEEE10hipError_tPvRmT2_T3_mT4_T5_T6_T7_T8_P12ihipStream_tbENKUlT_T0_E_clISt17integral_constantIbLb0EESY_IbLb1EEEEDaSU_SV_EUlSU_E_NS1_11comp_targetILNS1_3genE3ELNS1_11target_archE908ELNS1_3gpuE7ELNS1_3repE0EEENS1_30default_config_static_selectorELNS0_4arch9wavefront6targetE1EEEvT1_,comdat
	.protected	_ZN7rocprim17ROCPRIM_400000_NS6detail17trampoline_kernelINS0_14default_configENS1_33run_length_encode_config_selectorIhjNS0_4plusIjEEEEZZNS1_33reduce_by_key_impl_wrapped_configILNS1_25lookback_scan_determinismE0ES3_S7_PKhNS0_17constant_iteratorIjlEEPhPlSF_S6_NS0_8equal_toIhEEEE10hipError_tPvRmT2_T3_mT4_T5_T6_T7_T8_P12ihipStream_tbENKUlT_T0_E_clISt17integral_constantIbLb0EESY_IbLb1EEEEDaSU_SV_EUlSU_E_NS1_11comp_targetILNS1_3genE3ELNS1_11target_archE908ELNS1_3gpuE7ELNS1_3repE0EEENS1_30default_config_static_selectorELNS0_4arch9wavefront6targetE1EEEvT1_ ; -- Begin function _ZN7rocprim17ROCPRIM_400000_NS6detail17trampoline_kernelINS0_14default_configENS1_33run_length_encode_config_selectorIhjNS0_4plusIjEEEEZZNS1_33reduce_by_key_impl_wrapped_configILNS1_25lookback_scan_determinismE0ES3_S7_PKhNS0_17constant_iteratorIjlEEPhPlSF_S6_NS0_8equal_toIhEEEE10hipError_tPvRmT2_T3_mT4_T5_T6_T7_T8_P12ihipStream_tbENKUlT_T0_E_clISt17integral_constantIbLb0EESY_IbLb1EEEEDaSU_SV_EUlSU_E_NS1_11comp_targetILNS1_3genE3ELNS1_11target_archE908ELNS1_3gpuE7ELNS1_3repE0EEENS1_30default_config_static_selectorELNS0_4arch9wavefront6targetE1EEEvT1_
	.globl	_ZN7rocprim17ROCPRIM_400000_NS6detail17trampoline_kernelINS0_14default_configENS1_33run_length_encode_config_selectorIhjNS0_4plusIjEEEEZZNS1_33reduce_by_key_impl_wrapped_configILNS1_25lookback_scan_determinismE0ES3_S7_PKhNS0_17constant_iteratorIjlEEPhPlSF_S6_NS0_8equal_toIhEEEE10hipError_tPvRmT2_T3_mT4_T5_T6_T7_T8_P12ihipStream_tbENKUlT_T0_E_clISt17integral_constantIbLb0EESY_IbLb1EEEEDaSU_SV_EUlSU_E_NS1_11comp_targetILNS1_3genE3ELNS1_11target_archE908ELNS1_3gpuE7ELNS1_3repE0EEENS1_30default_config_static_selectorELNS0_4arch9wavefront6targetE1EEEvT1_
	.p2align	8
	.type	_ZN7rocprim17ROCPRIM_400000_NS6detail17trampoline_kernelINS0_14default_configENS1_33run_length_encode_config_selectorIhjNS0_4plusIjEEEEZZNS1_33reduce_by_key_impl_wrapped_configILNS1_25lookback_scan_determinismE0ES3_S7_PKhNS0_17constant_iteratorIjlEEPhPlSF_S6_NS0_8equal_toIhEEEE10hipError_tPvRmT2_T3_mT4_T5_T6_T7_T8_P12ihipStream_tbENKUlT_T0_E_clISt17integral_constantIbLb0EESY_IbLb1EEEEDaSU_SV_EUlSU_E_NS1_11comp_targetILNS1_3genE3ELNS1_11target_archE908ELNS1_3gpuE7ELNS1_3repE0EEENS1_30default_config_static_selectorELNS0_4arch9wavefront6targetE1EEEvT1_,@function
_ZN7rocprim17ROCPRIM_400000_NS6detail17trampoline_kernelINS0_14default_configENS1_33run_length_encode_config_selectorIhjNS0_4plusIjEEEEZZNS1_33reduce_by_key_impl_wrapped_configILNS1_25lookback_scan_determinismE0ES3_S7_PKhNS0_17constant_iteratorIjlEEPhPlSF_S6_NS0_8equal_toIhEEEE10hipError_tPvRmT2_T3_mT4_T5_T6_T7_T8_P12ihipStream_tbENKUlT_T0_E_clISt17integral_constantIbLb0EESY_IbLb1EEEEDaSU_SV_EUlSU_E_NS1_11comp_targetILNS1_3genE3ELNS1_11target_archE908ELNS1_3gpuE7ELNS1_3repE0EEENS1_30default_config_static_selectorELNS0_4arch9wavefront6targetE1EEEvT1_: ; @_ZN7rocprim17ROCPRIM_400000_NS6detail17trampoline_kernelINS0_14default_configENS1_33run_length_encode_config_selectorIhjNS0_4plusIjEEEEZZNS1_33reduce_by_key_impl_wrapped_configILNS1_25lookback_scan_determinismE0ES3_S7_PKhNS0_17constant_iteratorIjlEEPhPlSF_S6_NS0_8equal_toIhEEEE10hipError_tPvRmT2_T3_mT4_T5_T6_T7_T8_P12ihipStream_tbENKUlT_T0_E_clISt17integral_constantIbLb0EESY_IbLb1EEEEDaSU_SV_EUlSU_E_NS1_11comp_targetILNS1_3genE3ELNS1_11target_archE908ELNS1_3gpuE7ELNS1_3repE0EEENS1_30default_config_static_selectorELNS0_4arch9wavefront6targetE1EEEvT1_
; %bb.0:
	.section	.rodata,"a",@progbits
	.p2align	6, 0x0
	.amdhsa_kernel _ZN7rocprim17ROCPRIM_400000_NS6detail17trampoline_kernelINS0_14default_configENS1_33run_length_encode_config_selectorIhjNS0_4plusIjEEEEZZNS1_33reduce_by_key_impl_wrapped_configILNS1_25lookback_scan_determinismE0ES3_S7_PKhNS0_17constant_iteratorIjlEEPhPlSF_S6_NS0_8equal_toIhEEEE10hipError_tPvRmT2_T3_mT4_T5_T6_T7_T8_P12ihipStream_tbENKUlT_T0_E_clISt17integral_constantIbLb0EESY_IbLb1EEEEDaSU_SV_EUlSU_E_NS1_11comp_targetILNS1_3genE3ELNS1_11target_archE908ELNS1_3gpuE7ELNS1_3repE0EEENS1_30default_config_static_selectorELNS0_4arch9wavefront6targetE1EEEvT1_
		.amdhsa_group_segment_fixed_size 0
		.amdhsa_private_segment_fixed_size 0
		.amdhsa_kernarg_size 128
		.amdhsa_user_sgpr_count 6
		.amdhsa_user_sgpr_private_segment_buffer 1
		.amdhsa_user_sgpr_dispatch_ptr 0
		.amdhsa_user_sgpr_queue_ptr 0
		.amdhsa_user_sgpr_kernarg_segment_ptr 1
		.amdhsa_user_sgpr_dispatch_id 0
		.amdhsa_user_sgpr_flat_scratch_init 0
		.amdhsa_user_sgpr_kernarg_preload_length 0
		.amdhsa_user_sgpr_kernarg_preload_offset 0
		.amdhsa_user_sgpr_private_segment_size 0
		.amdhsa_uses_dynamic_stack 0
		.amdhsa_system_sgpr_private_segment_wavefront_offset 0
		.amdhsa_system_sgpr_workgroup_id_x 1
		.amdhsa_system_sgpr_workgroup_id_y 0
		.amdhsa_system_sgpr_workgroup_id_z 0
		.amdhsa_system_sgpr_workgroup_info 0
		.amdhsa_system_vgpr_workitem_id 0
		.amdhsa_next_free_vgpr 1
		.amdhsa_next_free_sgpr 0
		.amdhsa_accum_offset 4
		.amdhsa_reserve_vcc 0
		.amdhsa_reserve_flat_scratch 0
		.amdhsa_float_round_mode_32 0
		.amdhsa_float_round_mode_16_64 0
		.amdhsa_float_denorm_mode_32 3
		.amdhsa_float_denorm_mode_16_64 3
		.amdhsa_dx10_clamp 1
		.amdhsa_ieee_mode 1
		.amdhsa_fp16_overflow 0
		.amdhsa_tg_split 0
		.amdhsa_exception_fp_ieee_invalid_op 0
		.amdhsa_exception_fp_denorm_src 0
		.amdhsa_exception_fp_ieee_div_zero 0
		.amdhsa_exception_fp_ieee_overflow 0
		.amdhsa_exception_fp_ieee_underflow 0
		.amdhsa_exception_fp_ieee_inexact 0
		.amdhsa_exception_int_div_zero 0
	.end_amdhsa_kernel
	.section	.text._ZN7rocprim17ROCPRIM_400000_NS6detail17trampoline_kernelINS0_14default_configENS1_33run_length_encode_config_selectorIhjNS0_4plusIjEEEEZZNS1_33reduce_by_key_impl_wrapped_configILNS1_25lookback_scan_determinismE0ES3_S7_PKhNS0_17constant_iteratorIjlEEPhPlSF_S6_NS0_8equal_toIhEEEE10hipError_tPvRmT2_T3_mT4_T5_T6_T7_T8_P12ihipStream_tbENKUlT_T0_E_clISt17integral_constantIbLb0EESY_IbLb1EEEEDaSU_SV_EUlSU_E_NS1_11comp_targetILNS1_3genE3ELNS1_11target_archE908ELNS1_3gpuE7ELNS1_3repE0EEENS1_30default_config_static_selectorELNS0_4arch9wavefront6targetE1EEEvT1_,"axG",@progbits,_ZN7rocprim17ROCPRIM_400000_NS6detail17trampoline_kernelINS0_14default_configENS1_33run_length_encode_config_selectorIhjNS0_4plusIjEEEEZZNS1_33reduce_by_key_impl_wrapped_configILNS1_25lookback_scan_determinismE0ES3_S7_PKhNS0_17constant_iteratorIjlEEPhPlSF_S6_NS0_8equal_toIhEEEE10hipError_tPvRmT2_T3_mT4_T5_T6_T7_T8_P12ihipStream_tbENKUlT_T0_E_clISt17integral_constantIbLb0EESY_IbLb1EEEEDaSU_SV_EUlSU_E_NS1_11comp_targetILNS1_3genE3ELNS1_11target_archE908ELNS1_3gpuE7ELNS1_3repE0EEENS1_30default_config_static_selectorELNS0_4arch9wavefront6targetE1EEEvT1_,comdat
.Lfunc_end196:
	.size	_ZN7rocprim17ROCPRIM_400000_NS6detail17trampoline_kernelINS0_14default_configENS1_33run_length_encode_config_selectorIhjNS0_4plusIjEEEEZZNS1_33reduce_by_key_impl_wrapped_configILNS1_25lookback_scan_determinismE0ES3_S7_PKhNS0_17constant_iteratorIjlEEPhPlSF_S6_NS0_8equal_toIhEEEE10hipError_tPvRmT2_T3_mT4_T5_T6_T7_T8_P12ihipStream_tbENKUlT_T0_E_clISt17integral_constantIbLb0EESY_IbLb1EEEEDaSU_SV_EUlSU_E_NS1_11comp_targetILNS1_3genE3ELNS1_11target_archE908ELNS1_3gpuE7ELNS1_3repE0EEENS1_30default_config_static_selectorELNS0_4arch9wavefront6targetE1EEEvT1_, .Lfunc_end196-_ZN7rocprim17ROCPRIM_400000_NS6detail17trampoline_kernelINS0_14default_configENS1_33run_length_encode_config_selectorIhjNS0_4plusIjEEEEZZNS1_33reduce_by_key_impl_wrapped_configILNS1_25lookback_scan_determinismE0ES3_S7_PKhNS0_17constant_iteratorIjlEEPhPlSF_S6_NS0_8equal_toIhEEEE10hipError_tPvRmT2_T3_mT4_T5_T6_T7_T8_P12ihipStream_tbENKUlT_T0_E_clISt17integral_constantIbLb0EESY_IbLb1EEEEDaSU_SV_EUlSU_E_NS1_11comp_targetILNS1_3genE3ELNS1_11target_archE908ELNS1_3gpuE7ELNS1_3repE0EEENS1_30default_config_static_selectorELNS0_4arch9wavefront6targetE1EEEvT1_
                                        ; -- End function
	.section	.AMDGPU.csdata,"",@progbits
; Kernel info:
; codeLenInByte = 0
; NumSgprs: 4
; NumVgprs: 0
; NumAgprs: 0
; TotalNumVgprs: 0
; ScratchSize: 0
; MemoryBound: 0
; FloatMode: 240
; IeeeMode: 1
; LDSByteSize: 0 bytes/workgroup (compile time only)
; SGPRBlocks: 0
; VGPRBlocks: 0
; NumSGPRsForWavesPerEU: 4
; NumVGPRsForWavesPerEU: 1
; AccumOffset: 4
; Occupancy: 8
; WaveLimiterHint : 0
; COMPUTE_PGM_RSRC2:SCRATCH_EN: 0
; COMPUTE_PGM_RSRC2:USER_SGPR: 6
; COMPUTE_PGM_RSRC2:TRAP_HANDLER: 0
; COMPUTE_PGM_RSRC2:TGID_X_EN: 1
; COMPUTE_PGM_RSRC2:TGID_Y_EN: 0
; COMPUTE_PGM_RSRC2:TGID_Z_EN: 0
; COMPUTE_PGM_RSRC2:TIDIG_COMP_CNT: 0
; COMPUTE_PGM_RSRC3_GFX90A:ACCUM_OFFSET: 0
; COMPUTE_PGM_RSRC3_GFX90A:TG_SPLIT: 0
	.section	.text._ZN7rocprim17ROCPRIM_400000_NS6detail17trampoline_kernelINS0_14default_configENS1_33run_length_encode_config_selectorIhjNS0_4plusIjEEEEZZNS1_33reduce_by_key_impl_wrapped_configILNS1_25lookback_scan_determinismE0ES3_S7_PKhNS0_17constant_iteratorIjlEEPhPlSF_S6_NS0_8equal_toIhEEEE10hipError_tPvRmT2_T3_mT4_T5_T6_T7_T8_P12ihipStream_tbENKUlT_T0_E_clISt17integral_constantIbLb0EESY_IbLb1EEEEDaSU_SV_EUlSU_E_NS1_11comp_targetILNS1_3genE2ELNS1_11target_archE906ELNS1_3gpuE6ELNS1_3repE0EEENS1_30default_config_static_selectorELNS0_4arch9wavefront6targetE1EEEvT1_,"axG",@progbits,_ZN7rocprim17ROCPRIM_400000_NS6detail17trampoline_kernelINS0_14default_configENS1_33run_length_encode_config_selectorIhjNS0_4plusIjEEEEZZNS1_33reduce_by_key_impl_wrapped_configILNS1_25lookback_scan_determinismE0ES3_S7_PKhNS0_17constant_iteratorIjlEEPhPlSF_S6_NS0_8equal_toIhEEEE10hipError_tPvRmT2_T3_mT4_T5_T6_T7_T8_P12ihipStream_tbENKUlT_T0_E_clISt17integral_constantIbLb0EESY_IbLb1EEEEDaSU_SV_EUlSU_E_NS1_11comp_targetILNS1_3genE2ELNS1_11target_archE906ELNS1_3gpuE6ELNS1_3repE0EEENS1_30default_config_static_selectorELNS0_4arch9wavefront6targetE1EEEvT1_,comdat
	.protected	_ZN7rocprim17ROCPRIM_400000_NS6detail17trampoline_kernelINS0_14default_configENS1_33run_length_encode_config_selectorIhjNS0_4plusIjEEEEZZNS1_33reduce_by_key_impl_wrapped_configILNS1_25lookback_scan_determinismE0ES3_S7_PKhNS0_17constant_iteratorIjlEEPhPlSF_S6_NS0_8equal_toIhEEEE10hipError_tPvRmT2_T3_mT4_T5_T6_T7_T8_P12ihipStream_tbENKUlT_T0_E_clISt17integral_constantIbLb0EESY_IbLb1EEEEDaSU_SV_EUlSU_E_NS1_11comp_targetILNS1_3genE2ELNS1_11target_archE906ELNS1_3gpuE6ELNS1_3repE0EEENS1_30default_config_static_selectorELNS0_4arch9wavefront6targetE1EEEvT1_ ; -- Begin function _ZN7rocprim17ROCPRIM_400000_NS6detail17trampoline_kernelINS0_14default_configENS1_33run_length_encode_config_selectorIhjNS0_4plusIjEEEEZZNS1_33reduce_by_key_impl_wrapped_configILNS1_25lookback_scan_determinismE0ES3_S7_PKhNS0_17constant_iteratorIjlEEPhPlSF_S6_NS0_8equal_toIhEEEE10hipError_tPvRmT2_T3_mT4_T5_T6_T7_T8_P12ihipStream_tbENKUlT_T0_E_clISt17integral_constantIbLb0EESY_IbLb1EEEEDaSU_SV_EUlSU_E_NS1_11comp_targetILNS1_3genE2ELNS1_11target_archE906ELNS1_3gpuE6ELNS1_3repE0EEENS1_30default_config_static_selectorELNS0_4arch9wavefront6targetE1EEEvT1_
	.globl	_ZN7rocprim17ROCPRIM_400000_NS6detail17trampoline_kernelINS0_14default_configENS1_33run_length_encode_config_selectorIhjNS0_4plusIjEEEEZZNS1_33reduce_by_key_impl_wrapped_configILNS1_25lookback_scan_determinismE0ES3_S7_PKhNS0_17constant_iteratorIjlEEPhPlSF_S6_NS0_8equal_toIhEEEE10hipError_tPvRmT2_T3_mT4_T5_T6_T7_T8_P12ihipStream_tbENKUlT_T0_E_clISt17integral_constantIbLb0EESY_IbLb1EEEEDaSU_SV_EUlSU_E_NS1_11comp_targetILNS1_3genE2ELNS1_11target_archE906ELNS1_3gpuE6ELNS1_3repE0EEENS1_30default_config_static_selectorELNS0_4arch9wavefront6targetE1EEEvT1_
	.p2align	8
	.type	_ZN7rocprim17ROCPRIM_400000_NS6detail17trampoline_kernelINS0_14default_configENS1_33run_length_encode_config_selectorIhjNS0_4plusIjEEEEZZNS1_33reduce_by_key_impl_wrapped_configILNS1_25lookback_scan_determinismE0ES3_S7_PKhNS0_17constant_iteratorIjlEEPhPlSF_S6_NS0_8equal_toIhEEEE10hipError_tPvRmT2_T3_mT4_T5_T6_T7_T8_P12ihipStream_tbENKUlT_T0_E_clISt17integral_constantIbLb0EESY_IbLb1EEEEDaSU_SV_EUlSU_E_NS1_11comp_targetILNS1_3genE2ELNS1_11target_archE906ELNS1_3gpuE6ELNS1_3repE0EEENS1_30default_config_static_selectorELNS0_4arch9wavefront6targetE1EEEvT1_,@function
_ZN7rocprim17ROCPRIM_400000_NS6detail17trampoline_kernelINS0_14default_configENS1_33run_length_encode_config_selectorIhjNS0_4plusIjEEEEZZNS1_33reduce_by_key_impl_wrapped_configILNS1_25lookback_scan_determinismE0ES3_S7_PKhNS0_17constant_iteratorIjlEEPhPlSF_S6_NS0_8equal_toIhEEEE10hipError_tPvRmT2_T3_mT4_T5_T6_T7_T8_P12ihipStream_tbENKUlT_T0_E_clISt17integral_constantIbLb0EESY_IbLb1EEEEDaSU_SV_EUlSU_E_NS1_11comp_targetILNS1_3genE2ELNS1_11target_archE906ELNS1_3gpuE6ELNS1_3repE0EEENS1_30default_config_static_selectorELNS0_4arch9wavefront6targetE1EEEvT1_: ; @_ZN7rocprim17ROCPRIM_400000_NS6detail17trampoline_kernelINS0_14default_configENS1_33run_length_encode_config_selectorIhjNS0_4plusIjEEEEZZNS1_33reduce_by_key_impl_wrapped_configILNS1_25lookback_scan_determinismE0ES3_S7_PKhNS0_17constant_iteratorIjlEEPhPlSF_S6_NS0_8equal_toIhEEEE10hipError_tPvRmT2_T3_mT4_T5_T6_T7_T8_P12ihipStream_tbENKUlT_T0_E_clISt17integral_constantIbLb0EESY_IbLb1EEEEDaSU_SV_EUlSU_E_NS1_11comp_targetILNS1_3genE2ELNS1_11target_archE906ELNS1_3gpuE6ELNS1_3repE0EEENS1_30default_config_static_selectorELNS0_4arch9wavefront6targetE1EEEvT1_
; %bb.0:
	.section	.rodata,"a",@progbits
	.p2align	6, 0x0
	.amdhsa_kernel _ZN7rocprim17ROCPRIM_400000_NS6detail17trampoline_kernelINS0_14default_configENS1_33run_length_encode_config_selectorIhjNS0_4plusIjEEEEZZNS1_33reduce_by_key_impl_wrapped_configILNS1_25lookback_scan_determinismE0ES3_S7_PKhNS0_17constant_iteratorIjlEEPhPlSF_S6_NS0_8equal_toIhEEEE10hipError_tPvRmT2_T3_mT4_T5_T6_T7_T8_P12ihipStream_tbENKUlT_T0_E_clISt17integral_constantIbLb0EESY_IbLb1EEEEDaSU_SV_EUlSU_E_NS1_11comp_targetILNS1_3genE2ELNS1_11target_archE906ELNS1_3gpuE6ELNS1_3repE0EEENS1_30default_config_static_selectorELNS0_4arch9wavefront6targetE1EEEvT1_
		.amdhsa_group_segment_fixed_size 0
		.amdhsa_private_segment_fixed_size 0
		.amdhsa_kernarg_size 128
		.amdhsa_user_sgpr_count 6
		.amdhsa_user_sgpr_private_segment_buffer 1
		.amdhsa_user_sgpr_dispatch_ptr 0
		.amdhsa_user_sgpr_queue_ptr 0
		.amdhsa_user_sgpr_kernarg_segment_ptr 1
		.amdhsa_user_sgpr_dispatch_id 0
		.amdhsa_user_sgpr_flat_scratch_init 0
		.amdhsa_user_sgpr_kernarg_preload_length 0
		.amdhsa_user_sgpr_kernarg_preload_offset 0
		.amdhsa_user_sgpr_private_segment_size 0
		.amdhsa_uses_dynamic_stack 0
		.amdhsa_system_sgpr_private_segment_wavefront_offset 0
		.amdhsa_system_sgpr_workgroup_id_x 1
		.amdhsa_system_sgpr_workgroup_id_y 0
		.amdhsa_system_sgpr_workgroup_id_z 0
		.amdhsa_system_sgpr_workgroup_info 0
		.amdhsa_system_vgpr_workitem_id 0
		.amdhsa_next_free_vgpr 1
		.amdhsa_next_free_sgpr 0
		.amdhsa_accum_offset 4
		.amdhsa_reserve_vcc 0
		.amdhsa_reserve_flat_scratch 0
		.amdhsa_float_round_mode_32 0
		.amdhsa_float_round_mode_16_64 0
		.amdhsa_float_denorm_mode_32 3
		.amdhsa_float_denorm_mode_16_64 3
		.amdhsa_dx10_clamp 1
		.amdhsa_ieee_mode 1
		.amdhsa_fp16_overflow 0
		.amdhsa_tg_split 0
		.amdhsa_exception_fp_ieee_invalid_op 0
		.amdhsa_exception_fp_denorm_src 0
		.amdhsa_exception_fp_ieee_div_zero 0
		.amdhsa_exception_fp_ieee_overflow 0
		.amdhsa_exception_fp_ieee_underflow 0
		.amdhsa_exception_fp_ieee_inexact 0
		.amdhsa_exception_int_div_zero 0
	.end_amdhsa_kernel
	.section	.text._ZN7rocprim17ROCPRIM_400000_NS6detail17trampoline_kernelINS0_14default_configENS1_33run_length_encode_config_selectorIhjNS0_4plusIjEEEEZZNS1_33reduce_by_key_impl_wrapped_configILNS1_25lookback_scan_determinismE0ES3_S7_PKhNS0_17constant_iteratorIjlEEPhPlSF_S6_NS0_8equal_toIhEEEE10hipError_tPvRmT2_T3_mT4_T5_T6_T7_T8_P12ihipStream_tbENKUlT_T0_E_clISt17integral_constantIbLb0EESY_IbLb1EEEEDaSU_SV_EUlSU_E_NS1_11comp_targetILNS1_3genE2ELNS1_11target_archE906ELNS1_3gpuE6ELNS1_3repE0EEENS1_30default_config_static_selectorELNS0_4arch9wavefront6targetE1EEEvT1_,"axG",@progbits,_ZN7rocprim17ROCPRIM_400000_NS6detail17trampoline_kernelINS0_14default_configENS1_33run_length_encode_config_selectorIhjNS0_4plusIjEEEEZZNS1_33reduce_by_key_impl_wrapped_configILNS1_25lookback_scan_determinismE0ES3_S7_PKhNS0_17constant_iteratorIjlEEPhPlSF_S6_NS0_8equal_toIhEEEE10hipError_tPvRmT2_T3_mT4_T5_T6_T7_T8_P12ihipStream_tbENKUlT_T0_E_clISt17integral_constantIbLb0EESY_IbLb1EEEEDaSU_SV_EUlSU_E_NS1_11comp_targetILNS1_3genE2ELNS1_11target_archE906ELNS1_3gpuE6ELNS1_3repE0EEENS1_30default_config_static_selectorELNS0_4arch9wavefront6targetE1EEEvT1_,comdat
.Lfunc_end197:
	.size	_ZN7rocprim17ROCPRIM_400000_NS6detail17trampoline_kernelINS0_14default_configENS1_33run_length_encode_config_selectorIhjNS0_4plusIjEEEEZZNS1_33reduce_by_key_impl_wrapped_configILNS1_25lookback_scan_determinismE0ES3_S7_PKhNS0_17constant_iteratorIjlEEPhPlSF_S6_NS0_8equal_toIhEEEE10hipError_tPvRmT2_T3_mT4_T5_T6_T7_T8_P12ihipStream_tbENKUlT_T0_E_clISt17integral_constantIbLb0EESY_IbLb1EEEEDaSU_SV_EUlSU_E_NS1_11comp_targetILNS1_3genE2ELNS1_11target_archE906ELNS1_3gpuE6ELNS1_3repE0EEENS1_30default_config_static_selectorELNS0_4arch9wavefront6targetE1EEEvT1_, .Lfunc_end197-_ZN7rocprim17ROCPRIM_400000_NS6detail17trampoline_kernelINS0_14default_configENS1_33run_length_encode_config_selectorIhjNS0_4plusIjEEEEZZNS1_33reduce_by_key_impl_wrapped_configILNS1_25lookback_scan_determinismE0ES3_S7_PKhNS0_17constant_iteratorIjlEEPhPlSF_S6_NS0_8equal_toIhEEEE10hipError_tPvRmT2_T3_mT4_T5_T6_T7_T8_P12ihipStream_tbENKUlT_T0_E_clISt17integral_constantIbLb0EESY_IbLb1EEEEDaSU_SV_EUlSU_E_NS1_11comp_targetILNS1_3genE2ELNS1_11target_archE906ELNS1_3gpuE6ELNS1_3repE0EEENS1_30default_config_static_selectorELNS0_4arch9wavefront6targetE1EEEvT1_
                                        ; -- End function
	.section	.AMDGPU.csdata,"",@progbits
; Kernel info:
; codeLenInByte = 0
; NumSgprs: 4
; NumVgprs: 0
; NumAgprs: 0
; TotalNumVgprs: 0
; ScratchSize: 0
; MemoryBound: 0
; FloatMode: 240
; IeeeMode: 1
; LDSByteSize: 0 bytes/workgroup (compile time only)
; SGPRBlocks: 0
; VGPRBlocks: 0
; NumSGPRsForWavesPerEU: 4
; NumVGPRsForWavesPerEU: 1
; AccumOffset: 4
; Occupancy: 8
; WaveLimiterHint : 0
; COMPUTE_PGM_RSRC2:SCRATCH_EN: 0
; COMPUTE_PGM_RSRC2:USER_SGPR: 6
; COMPUTE_PGM_RSRC2:TRAP_HANDLER: 0
; COMPUTE_PGM_RSRC2:TGID_X_EN: 1
; COMPUTE_PGM_RSRC2:TGID_Y_EN: 0
; COMPUTE_PGM_RSRC2:TGID_Z_EN: 0
; COMPUTE_PGM_RSRC2:TIDIG_COMP_CNT: 0
; COMPUTE_PGM_RSRC3_GFX90A:ACCUM_OFFSET: 0
; COMPUTE_PGM_RSRC3_GFX90A:TG_SPLIT: 0
	.section	.text._ZN7rocprim17ROCPRIM_400000_NS6detail17trampoline_kernelINS0_14default_configENS1_33run_length_encode_config_selectorIhjNS0_4plusIjEEEEZZNS1_33reduce_by_key_impl_wrapped_configILNS1_25lookback_scan_determinismE0ES3_S7_PKhNS0_17constant_iteratorIjlEEPhPlSF_S6_NS0_8equal_toIhEEEE10hipError_tPvRmT2_T3_mT4_T5_T6_T7_T8_P12ihipStream_tbENKUlT_T0_E_clISt17integral_constantIbLb0EESY_IbLb1EEEEDaSU_SV_EUlSU_E_NS1_11comp_targetILNS1_3genE10ELNS1_11target_archE1201ELNS1_3gpuE5ELNS1_3repE0EEENS1_30default_config_static_selectorELNS0_4arch9wavefront6targetE1EEEvT1_,"axG",@progbits,_ZN7rocprim17ROCPRIM_400000_NS6detail17trampoline_kernelINS0_14default_configENS1_33run_length_encode_config_selectorIhjNS0_4plusIjEEEEZZNS1_33reduce_by_key_impl_wrapped_configILNS1_25lookback_scan_determinismE0ES3_S7_PKhNS0_17constant_iteratorIjlEEPhPlSF_S6_NS0_8equal_toIhEEEE10hipError_tPvRmT2_T3_mT4_T5_T6_T7_T8_P12ihipStream_tbENKUlT_T0_E_clISt17integral_constantIbLb0EESY_IbLb1EEEEDaSU_SV_EUlSU_E_NS1_11comp_targetILNS1_3genE10ELNS1_11target_archE1201ELNS1_3gpuE5ELNS1_3repE0EEENS1_30default_config_static_selectorELNS0_4arch9wavefront6targetE1EEEvT1_,comdat
	.protected	_ZN7rocprim17ROCPRIM_400000_NS6detail17trampoline_kernelINS0_14default_configENS1_33run_length_encode_config_selectorIhjNS0_4plusIjEEEEZZNS1_33reduce_by_key_impl_wrapped_configILNS1_25lookback_scan_determinismE0ES3_S7_PKhNS0_17constant_iteratorIjlEEPhPlSF_S6_NS0_8equal_toIhEEEE10hipError_tPvRmT2_T3_mT4_T5_T6_T7_T8_P12ihipStream_tbENKUlT_T0_E_clISt17integral_constantIbLb0EESY_IbLb1EEEEDaSU_SV_EUlSU_E_NS1_11comp_targetILNS1_3genE10ELNS1_11target_archE1201ELNS1_3gpuE5ELNS1_3repE0EEENS1_30default_config_static_selectorELNS0_4arch9wavefront6targetE1EEEvT1_ ; -- Begin function _ZN7rocprim17ROCPRIM_400000_NS6detail17trampoline_kernelINS0_14default_configENS1_33run_length_encode_config_selectorIhjNS0_4plusIjEEEEZZNS1_33reduce_by_key_impl_wrapped_configILNS1_25lookback_scan_determinismE0ES3_S7_PKhNS0_17constant_iteratorIjlEEPhPlSF_S6_NS0_8equal_toIhEEEE10hipError_tPvRmT2_T3_mT4_T5_T6_T7_T8_P12ihipStream_tbENKUlT_T0_E_clISt17integral_constantIbLb0EESY_IbLb1EEEEDaSU_SV_EUlSU_E_NS1_11comp_targetILNS1_3genE10ELNS1_11target_archE1201ELNS1_3gpuE5ELNS1_3repE0EEENS1_30default_config_static_selectorELNS0_4arch9wavefront6targetE1EEEvT1_
	.globl	_ZN7rocprim17ROCPRIM_400000_NS6detail17trampoline_kernelINS0_14default_configENS1_33run_length_encode_config_selectorIhjNS0_4plusIjEEEEZZNS1_33reduce_by_key_impl_wrapped_configILNS1_25lookback_scan_determinismE0ES3_S7_PKhNS0_17constant_iteratorIjlEEPhPlSF_S6_NS0_8equal_toIhEEEE10hipError_tPvRmT2_T3_mT4_T5_T6_T7_T8_P12ihipStream_tbENKUlT_T0_E_clISt17integral_constantIbLb0EESY_IbLb1EEEEDaSU_SV_EUlSU_E_NS1_11comp_targetILNS1_3genE10ELNS1_11target_archE1201ELNS1_3gpuE5ELNS1_3repE0EEENS1_30default_config_static_selectorELNS0_4arch9wavefront6targetE1EEEvT1_
	.p2align	8
	.type	_ZN7rocprim17ROCPRIM_400000_NS6detail17trampoline_kernelINS0_14default_configENS1_33run_length_encode_config_selectorIhjNS0_4plusIjEEEEZZNS1_33reduce_by_key_impl_wrapped_configILNS1_25lookback_scan_determinismE0ES3_S7_PKhNS0_17constant_iteratorIjlEEPhPlSF_S6_NS0_8equal_toIhEEEE10hipError_tPvRmT2_T3_mT4_T5_T6_T7_T8_P12ihipStream_tbENKUlT_T0_E_clISt17integral_constantIbLb0EESY_IbLb1EEEEDaSU_SV_EUlSU_E_NS1_11comp_targetILNS1_3genE10ELNS1_11target_archE1201ELNS1_3gpuE5ELNS1_3repE0EEENS1_30default_config_static_selectorELNS0_4arch9wavefront6targetE1EEEvT1_,@function
_ZN7rocprim17ROCPRIM_400000_NS6detail17trampoline_kernelINS0_14default_configENS1_33run_length_encode_config_selectorIhjNS0_4plusIjEEEEZZNS1_33reduce_by_key_impl_wrapped_configILNS1_25lookback_scan_determinismE0ES3_S7_PKhNS0_17constant_iteratorIjlEEPhPlSF_S6_NS0_8equal_toIhEEEE10hipError_tPvRmT2_T3_mT4_T5_T6_T7_T8_P12ihipStream_tbENKUlT_T0_E_clISt17integral_constantIbLb0EESY_IbLb1EEEEDaSU_SV_EUlSU_E_NS1_11comp_targetILNS1_3genE10ELNS1_11target_archE1201ELNS1_3gpuE5ELNS1_3repE0EEENS1_30default_config_static_selectorELNS0_4arch9wavefront6targetE1EEEvT1_: ; @_ZN7rocprim17ROCPRIM_400000_NS6detail17trampoline_kernelINS0_14default_configENS1_33run_length_encode_config_selectorIhjNS0_4plusIjEEEEZZNS1_33reduce_by_key_impl_wrapped_configILNS1_25lookback_scan_determinismE0ES3_S7_PKhNS0_17constant_iteratorIjlEEPhPlSF_S6_NS0_8equal_toIhEEEE10hipError_tPvRmT2_T3_mT4_T5_T6_T7_T8_P12ihipStream_tbENKUlT_T0_E_clISt17integral_constantIbLb0EESY_IbLb1EEEEDaSU_SV_EUlSU_E_NS1_11comp_targetILNS1_3genE10ELNS1_11target_archE1201ELNS1_3gpuE5ELNS1_3repE0EEENS1_30default_config_static_selectorELNS0_4arch9wavefront6targetE1EEEvT1_
; %bb.0:
	.section	.rodata,"a",@progbits
	.p2align	6, 0x0
	.amdhsa_kernel _ZN7rocprim17ROCPRIM_400000_NS6detail17trampoline_kernelINS0_14default_configENS1_33run_length_encode_config_selectorIhjNS0_4plusIjEEEEZZNS1_33reduce_by_key_impl_wrapped_configILNS1_25lookback_scan_determinismE0ES3_S7_PKhNS0_17constant_iteratorIjlEEPhPlSF_S6_NS0_8equal_toIhEEEE10hipError_tPvRmT2_T3_mT4_T5_T6_T7_T8_P12ihipStream_tbENKUlT_T0_E_clISt17integral_constantIbLb0EESY_IbLb1EEEEDaSU_SV_EUlSU_E_NS1_11comp_targetILNS1_3genE10ELNS1_11target_archE1201ELNS1_3gpuE5ELNS1_3repE0EEENS1_30default_config_static_selectorELNS0_4arch9wavefront6targetE1EEEvT1_
		.amdhsa_group_segment_fixed_size 0
		.amdhsa_private_segment_fixed_size 0
		.amdhsa_kernarg_size 128
		.amdhsa_user_sgpr_count 6
		.amdhsa_user_sgpr_private_segment_buffer 1
		.amdhsa_user_sgpr_dispatch_ptr 0
		.amdhsa_user_sgpr_queue_ptr 0
		.amdhsa_user_sgpr_kernarg_segment_ptr 1
		.amdhsa_user_sgpr_dispatch_id 0
		.amdhsa_user_sgpr_flat_scratch_init 0
		.amdhsa_user_sgpr_kernarg_preload_length 0
		.amdhsa_user_sgpr_kernarg_preload_offset 0
		.amdhsa_user_sgpr_private_segment_size 0
		.amdhsa_uses_dynamic_stack 0
		.amdhsa_system_sgpr_private_segment_wavefront_offset 0
		.amdhsa_system_sgpr_workgroup_id_x 1
		.amdhsa_system_sgpr_workgroup_id_y 0
		.amdhsa_system_sgpr_workgroup_id_z 0
		.amdhsa_system_sgpr_workgroup_info 0
		.amdhsa_system_vgpr_workitem_id 0
		.amdhsa_next_free_vgpr 1
		.amdhsa_next_free_sgpr 0
		.amdhsa_accum_offset 4
		.amdhsa_reserve_vcc 0
		.amdhsa_reserve_flat_scratch 0
		.amdhsa_float_round_mode_32 0
		.amdhsa_float_round_mode_16_64 0
		.amdhsa_float_denorm_mode_32 3
		.amdhsa_float_denorm_mode_16_64 3
		.amdhsa_dx10_clamp 1
		.amdhsa_ieee_mode 1
		.amdhsa_fp16_overflow 0
		.amdhsa_tg_split 0
		.amdhsa_exception_fp_ieee_invalid_op 0
		.amdhsa_exception_fp_denorm_src 0
		.amdhsa_exception_fp_ieee_div_zero 0
		.amdhsa_exception_fp_ieee_overflow 0
		.amdhsa_exception_fp_ieee_underflow 0
		.amdhsa_exception_fp_ieee_inexact 0
		.amdhsa_exception_int_div_zero 0
	.end_amdhsa_kernel
	.section	.text._ZN7rocprim17ROCPRIM_400000_NS6detail17trampoline_kernelINS0_14default_configENS1_33run_length_encode_config_selectorIhjNS0_4plusIjEEEEZZNS1_33reduce_by_key_impl_wrapped_configILNS1_25lookback_scan_determinismE0ES3_S7_PKhNS0_17constant_iteratorIjlEEPhPlSF_S6_NS0_8equal_toIhEEEE10hipError_tPvRmT2_T3_mT4_T5_T6_T7_T8_P12ihipStream_tbENKUlT_T0_E_clISt17integral_constantIbLb0EESY_IbLb1EEEEDaSU_SV_EUlSU_E_NS1_11comp_targetILNS1_3genE10ELNS1_11target_archE1201ELNS1_3gpuE5ELNS1_3repE0EEENS1_30default_config_static_selectorELNS0_4arch9wavefront6targetE1EEEvT1_,"axG",@progbits,_ZN7rocprim17ROCPRIM_400000_NS6detail17trampoline_kernelINS0_14default_configENS1_33run_length_encode_config_selectorIhjNS0_4plusIjEEEEZZNS1_33reduce_by_key_impl_wrapped_configILNS1_25lookback_scan_determinismE0ES3_S7_PKhNS0_17constant_iteratorIjlEEPhPlSF_S6_NS0_8equal_toIhEEEE10hipError_tPvRmT2_T3_mT4_T5_T6_T7_T8_P12ihipStream_tbENKUlT_T0_E_clISt17integral_constantIbLb0EESY_IbLb1EEEEDaSU_SV_EUlSU_E_NS1_11comp_targetILNS1_3genE10ELNS1_11target_archE1201ELNS1_3gpuE5ELNS1_3repE0EEENS1_30default_config_static_selectorELNS0_4arch9wavefront6targetE1EEEvT1_,comdat
.Lfunc_end198:
	.size	_ZN7rocprim17ROCPRIM_400000_NS6detail17trampoline_kernelINS0_14default_configENS1_33run_length_encode_config_selectorIhjNS0_4plusIjEEEEZZNS1_33reduce_by_key_impl_wrapped_configILNS1_25lookback_scan_determinismE0ES3_S7_PKhNS0_17constant_iteratorIjlEEPhPlSF_S6_NS0_8equal_toIhEEEE10hipError_tPvRmT2_T3_mT4_T5_T6_T7_T8_P12ihipStream_tbENKUlT_T0_E_clISt17integral_constantIbLb0EESY_IbLb1EEEEDaSU_SV_EUlSU_E_NS1_11comp_targetILNS1_3genE10ELNS1_11target_archE1201ELNS1_3gpuE5ELNS1_3repE0EEENS1_30default_config_static_selectorELNS0_4arch9wavefront6targetE1EEEvT1_, .Lfunc_end198-_ZN7rocprim17ROCPRIM_400000_NS6detail17trampoline_kernelINS0_14default_configENS1_33run_length_encode_config_selectorIhjNS0_4plusIjEEEEZZNS1_33reduce_by_key_impl_wrapped_configILNS1_25lookback_scan_determinismE0ES3_S7_PKhNS0_17constant_iteratorIjlEEPhPlSF_S6_NS0_8equal_toIhEEEE10hipError_tPvRmT2_T3_mT4_T5_T6_T7_T8_P12ihipStream_tbENKUlT_T0_E_clISt17integral_constantIbLb0EESY_IbLb1EEEEDaSU_SV_EUlSU_E_NS1_11comp_targetILNS1_3genE10ELNS1_11target_archE1201ELNS1_3gpuE5ELNS1_3repE0EEENS1_30default_config_static_selectorELNS0_4arch9wavefront6targetE1EEEvT1_
                                        ; -- End function
	.section	.AMDGPU.csdata,"",@progbits
; Kernel info:
; codeLenInByte = 0
; NumSgprs: 4
; NumVgprs: 0
; NumAgprs: 0
; TotalNumVgprs: 0
; ScratchSize: 0
; MemoryBound: 0
; FloatMode: 240
; IeeeMode: 1
; LDSByteSize: 0 bytes/workgroup (compile time only)
; SGPRBlocks: 0
; VGPRBlocks: 0
; NumSGPRsForWavesPerEU: 4
; NumVGPRsForWavesPerEU: 1
; AccumOffset: 4
; Occupancy: 8
; WaveLimiterHint : 0
; COMPUTE_PGM_RSRC2:SCRATCH_EN: 0
; COMPUTE_PGM_RSRC2:USER_SGPR: 6
; COMPUTE_PGM_RSRC2:TRAP_HANDLER: 0
; COMPUTE_PGM_RSRC2:TGID_X_EN: 1
; COMPUTE_PGM_RSRC2:TGID_Y_EN: 0
; COMPUTE_PGM_RSRC2:TGID_Z_EN: 0
; COMPUTE_PGM_RSRC2:TIDIG_COMP_CNT: 0
; COMPUTE_PGM_RSRC3_GFX90A:ACCUM_OFFSET: 0
; COMPUTE_PGM_RSRC3_GFX90A:TG_SPLIT: 0
	.section	.text._ZN7rocprim17ROCPRIM_400000_NS6detail17trampoline_kernelINS0_14default_configENS1_33run_length_encode_config_selectorIhjNS0_4plusIjEEEEZZNS1_33reduce_by_key_impl_wrapped_configILNS1_25lookback_scan_determinismE0ES3_S7_PKhNS0_17constant_iteratorIjlEEPhPlSF_S6_NS0_8equal_toIhEEEE10hipError_tPvRmT2_T3_mT4_T5_T6_T7_T8_P12ihipStream_tbENKUlT_T0_E_clISt17integral_constantIbLb0EESY_IbLb1EEEEDaSU_SV_EUlSU_E_NS1_11comp_targetILNS1_3genE10ELNS1_11target_archE1200ELNS1_3gpuE4ELNS1_3repE0EEENS1_30default_config_static_selectorELNS0_4arch9wavefront6targetE1EEEvT1_,"axG",@progbits,_ZN7rocprim17ROCPRIM_400000_NS6detail17trampoline_kernelINS0_14default_configENS1_33run_length_encode_config_selectorIhjNS0_4plusIjEEEEZZNS1_33reduce_by_key_impl_wrapped_configILNS1_25lookback_scan_determinismE0ES3_S7_PKhNS0_17constant_iteratorIjlEEPhPlSF_S6_NS0_8equal_toIhEEEE10hipError_tPvRmT2_T3_mT4_T5_T6_T7_T8_P12ihipStream_tbENKUlT_T0_E_clISt17integral_constantIbLb0EESY_IbLb1EEEEDaSU_SV_EUlSU_E_NS1_11comp_targetILNS1_3genE10ELNS1_11target_archE1200ELNS1_3gpuE4ELNS1_3repE0EEENS1_30default_config_static_selectorELNS0_4arch9wavefront6targetE1EEEvT1_,comdat
	.protected	_ZN7rocprim17ROCPRIM_400000_NS6detail17trampoline_kernelINS0_14default_configENS1_33run_length_encode_config_selectorIhjNS0_4plusIjEEEEZZNS1_33reduce_by_key_impl_wrapped_configILNS1_25lookback_scan_determinismE0ES3_S7_PKhNS0_17constant_iteratorIjlEEPhPlSF_S6_NS0_8equal_toIhEEEE10hipError_tPvRmT2_T3_mT4_T5_T6_T7_T8_P12ihipStream_tbENKUlT_T0_E_clISt17integral_constantIbLb0EESY_IbLb1EEEEDaSU_SV_EUlSU_E_NS1_11comp_targetILNS1_3genE10ELNS1_11target_archE1200ELNS1_3gpuE4ELNS1_3repE0EEENS1_30default_config_static_selectorELNS0_4arch9wavefront6targetE1EEEvT1_ ; -- Begin function _ZN7rocprim17ROCPRIM_400000_NS6detail17trampoline_kernelINS0_14default_configENS1_33run_length_encode_config_selectorIhjNS0_4plusIjEEEEZZNS1_33reduce_by_key_impl_wrapped_configILNS1_25lookback_scan_determinismE0ES3_S7_PKhNS0_17constant_iteratorIjlEEPhPlSF_S6_NS0_8equal_toIhEEEE10hipError_tPvRmT2_T3_mT4_T5_T6_T7_T8_P12ihipStream_tbENKUlT_T0_E_clISt17integral_constantIbLb0EESY_IbLb1EEEEDaSU_SV_EUlSU_E_NS1_11comp_targetILNS1_3genE10ELNS1_11target_archE1200ELNS1_3gpuE4ELNS1_3repE0EEENS1_30default_config_static_selectorELNS0_4arch9wavefront6targetE1EEEvT1_
	.globl	_ZN7rocprim17ROCPRIM_400000_NS6detail17trampoline_kernelINS0_14default_configENS1_33run_length_encode_config_selectorIhjNS0_4plusIjEEEEZZNS1_33reduce_by_key_impl_wrapped_configILNS1_25lookback_scan_determinismE0ES3_S7_PKhNS0_17constant_iteratorIjlEEPhPlSF_S6_NS0_8equal_toIhEEEE10hipError_tPvRmT2_T3_mT4_T5_T6_T7_T8_P12ihipStream_tbENKUlT_T0_E_clISt17integral_constantIbLb0EESY_IbLb1EEEEDaSU_SV_EUlSU_E_NS1_11comp_targetILNS1_3genE10ELNS1_11target_archE1200ELNS1_3gpuE4ELNS1_3repE0EEENS1_30default_config_static_selectorELNS0_4arch9wavefront6targetE1EEEvT1_
	.p2align	8
	.type	_ZN7rocprim17ROCPRIM_400000_NS6detail17trampoline_kernelINS0_14default_configENS1_33run_length_encode_config_selectorIhjNS0_4plusIjEEEEZZNS1_33reduce_by_key_impl_wrapped_configILNS1_25lookback_scan_determinismE0ES3_S7_PKhNS0_17constant_iteratorIjlEEPhPlSF_S6_NS0_8equal_toIhEEEE10hipError_tPvRmT2_T3_mT4_T5_T6_T7_T8_P12ihipStream_tbENKUlT_T0_E_clISt17integral_constantIbLb0EESY_IbLb1EEEEDaSU_SV_EUlSU_E_NS1_11comp_targetILNS1_3genE10ELNS1_11target_archE1200ELNS1_3gpuE4ELNS1_3repE0EEENS1_30default_config_static_selectorELNS0_4arch9wavefront6targetE1EEEvT1_,@function
_ZN7rocprim17ROCPRIM_400000_NS6detail17trampoline_kernelINS0_14default_configENS1_33run_length_encode_config_selectorIhjNS0_4plusIjEEEEZZNS1_33reduce_by_key_impl_wrapped_configILNS1_25lookback_scan_determinismE0ES3_S7_PKhNS0_17constant_iteratorIjlEEPhPlSF_S6_NS0_8equal_toIhEEEE10hipError_tPvRmT2_T3_mT4_T5_T6_T7_T8_P12ihipStream_tbENKUlT_T0_E_clISt17integral_constantIbLb0EESY_IbLb1EEEEDaSU_SV_EUlSU_E_NS1_11comp_targetILNS1_3genE10ELNS1_11target_archE1200ELNS1_3gpuE4ELNS1_3repE0EEENS1_30default_config_static_selectorELNS0_4arch9wavefront6targetE1EEEvT1_: ; @_ZN7rocprim17ROCPRIM_400000_NS6detail17trampoline_kernelINS0_14default_configENS1_33run_length_encode_config_selectorIhjNS0_4plusIjEEEEZZNS1_33reduce_by_key_impl_wrapped_configILNS1_25lookback_scan_determinismE0ES3_S7_PKhNS0_17constant_iteratorIjlEEPhPlSF_S6_NS0_8equal_toIhEEEE10hipError_tPvRmT2_T3_mT4_T5_T6_T7_T8_P12ihipStream_tbENKUlT_T0_E_clISt17integral_constantIbLb0EESY_IbLb1EEEEDaSU_SV_EUlSU_E_NS1_11comp_targetILNS1_3genE10ELNS1_11target_archE1200ELNS1_3gpuE4ELNS1_3repE0EEENS1_30default_config_static_selectorELNS0_4arch9wavefront6targetE1EEEvT1_
; %bb.0:
	.section	.rodata,"a",@progbits
	.p2align	6, 0x0
	.amdhsa_kernel _ZN7rocprim17ROCPRIM_400000_NS6detail17trampoline_kernelINS0_14default_configENS1_33run_length_encode_config_selectorIhjNS0_4plusIjEEEEZZNS1_33reduce_by_key_impl_wrapped_configILNS1_25lookback_scan_determinismE0ES3_S7_PKhNS0_17constant_iteratorIjlEEPhPlSF_S6_NS0_8equal_toIhEEEE10hipError_tPvRmT2_T3_mT4_T5_T6_T7_T8_P12ihipStream_tbENKUlT_T0_E_clISt17integral_constantIbLb0EESY_IbLb1EEEEDaSU_SV_EUlSU_E_NS1_11comp_targetILNS1_3genE10ELNS1_11target_archE1200ELNS1_3gpuE4ELNS1_3repE0EEENS1_30default_config_static_selectorELNS0_4arch9wavefront6targetE1EEEvT1_
		.amdhsa_group_segment_fixed_size 0
		.amdhsa_private_segment_fixed_size 0
		.amdhsa_kernarg_size 128
		.amdhsa_user_sgpr_count 6
		.amdhsa_user_sgpr_private_segment_buffer 1
		.amdhsa_user_sgpr_dispatch_ptr 0
		.amdhsa_user_sgpr_queue_ptr 0
		.amdhsa_user_sgpr_kernarg_segment_ptr 1
		.amdhsa_user_sgpr_dispatch_id 0
		.amdhsa_user_sgpr_flat_scratch_init 0
		.amdhsa_user_sgpr_kernarg_preload_length 0
		.amdhsa_user_sgpr_kernarg_preload_offset 0
		.amdhsa_user_sgpr_private_segment_size 0
		.amdhsa_uses_dynamic_stack 0
		.amdhsa_system_sgpr_private_segment_wavefront_offset 0
		.amdhsa_system_sgpr_workgroup_id_x 1
		.amdhsa_system_sgpr_workgroup_id_y 0
		.amdhsa_system_sgpr_workgroup_id_z 0
		.amdhsa_system_sgpr_workgroup_info 0
		.amdhsa_system_vgpr_workitem_id 0
		.amdhsa_next_free_vgpr 1
		.amdhsa_next_free_sgpr 0
		.amdhsa_accum_offset 4
		.amdhsa_reserve_vcc 0
		.amdhsa_reserve_flat_scratch 0
		.amdhsa_float_round_mode_32 0
		.amdhsa_float_round_mode_16_64 0
		.amdhsa_float_denorm_mode_32 3
		.amdhsa_float_denorm_mode_16_64 3
		.amdhsa_dx10_clamp 1
		.amdhsa_ieee_mode 1
		.amdhsa_fp16_overflow 0
		.amdhsa_tg_split 0
		.amdhsa_exception_fp_ieee_invalid_op 0
		.amdhsa_exception_fp_denorm_src 0
		.amdhsa_exception_fp_ieee_div_zero 0
		.amdhsa_exception_fp_ieee_overflow 0
		.amdhsa_exception_fp_ieee_underflow 0
		.amdhsa_exception_fp_ieee_inexact 0
		.amdhsa_exception_int_div_zero 0
	.end_amdhsa_kernel
	.section	.text._ZN7rocprim17ROCPRIM_400000_NS6detail17trampoline_kernelINS0_14default_configENS1_33run_length_encode_config_selectorIhjNS0_4plusIjEEEEZZNS1_33reduce_by_key_impl_wrapped_configILNS1_25lookback_scan_determinismE0ES3_S7_PKhNS0_17constant_iteratorIjlEEPhPlSF_S6_NS0_8equal_toIhEEEE10hipError_tPvRmT2_T3_mT4_T5_T6_T7_T8_P12ihipStream_tbENKUlT_T0_E_clISt17integral_constantIbLb0EESY_IbLb1EEEEDaSU_SV_EUlSU_E_NS1_11comp_targetILNS1_3genE10ELNS1_11target_archE1200ELNS1_3gpuE4ELNS1_3repE0EEENS1_30default_config_static_selectorELNS0_4arch9wavefront6targetE1EEEvT1_,"axG",@progbits,_ZN7rocprim17ROCPRIM_400000_NS6detail17trampoline_kernelINS0_14default_configENS1_33run_length_encode_config_selectorIhjNS0_4plusIjEEEEZZNS1_33reduce_by_key_impl_wrapped_configILNS1_25lookback_scan_determinismE0ES3_S7_PKhNS0_17constant_iteratorIjlEEPhPlSF_S6_NS0_8equal_toIhEEEE10hipError_tPvRmT2_T3_mT4_T5_T6_T7_T8_P12ihipStream_tbENKUlT_T0_E_clISt17integral_constantIbLb0EESY_IbLb1EEEEDaSU_SV_EUlSU_E_NS1_11comp_targetILNS1_3genE10ELNS1_11target_archE1200ELNS1_3gpuE4ELNS1_3repE0EEENS1_30default_config_static_selectorELNS0_4arch9wavefront6targetE1EEEvT1_,comdat
.Lfunc_end199:
	.size	_ZN7rocprim17ROCPRIM_400000_NS6detail17trampoline_kernelINS0_14default_configENS1_33run_length_encode_config_selectorIhjNS0_4plusIjEEEEZZNS1_33reduce_by_key_impl_wrapped_configILNS1_25lookback_scan_determinismE0ES3_S7_PKhNS0_17constant_iteratorIjlEEPhPlSF_S6_NS0_8equal_toIhEEEE10hipError_tPvRmT2_T3_mT4_T5_T6_T7_T8_P12ihipStream_tbENKUlT_T0_E_clISt17integral_constantIbLb0EESY_IbLb1EEEEDaSU_SV_EUlSU_E_NS1_11comp_targetILNS1_3genE10ELNS1_11target_archE1200ELNS1_3gpuE4ELNS1_3repE0EEENS1_30default_config_static_selectorELNS0_4arch9wavefront6targetE1EEEvT1_, .Lfunc_end199-_ZN7rocprim17ROCPRIM_400000_NS6detail17trampoline_kernelINS0_14default_configENS1_33run_length_encode_config_selectorIhjNS0_4plusIjEEEEZZNS1_33reduce_by_key_impl_wrapped_configILNS1_25lookback_scan_determinismE0ES3_S7_PKhNS0_17constant_iteratorIjlEEPhPlSF_S6_NS0_8equal_toIhEEEE10hipError_tPvRmT2_T3_mT4_T5_T6_T7_T8_P12ihipStream_tbENKUlT_T0_E_clISt17integral_constantIbLb0EESY_IbLb1EEEEDaSU_SV_EUlSU_E_NS1_11comp_targetILNS1_3genE10ELNS1_11target_archE1200ELNS1_3gpuE4ELNS1_3repE0EEENS1_30default_config_static_selectorELNS0_4arch9wavefront6targetE1EEEvT1_
                                        ; -- End function
	.section	.AMDGPU.csdata,"",@progbits
; Kernel info:
; codeLenInByte = 0
; NumSgprs: 4
; NumVgprs: 0
; NumAgprs: 0
; TotalNumVgprs: 0
; ScratchSize: 0
; MemoryBound: 0
; FloatMode: 240
; IeeeMode: 1
; LDSByteSize: 0 bytes/workgroup (compile time only)
; SGPRBlocks: 0
; VGPRBlocks: 0
; NumSGPRsForWavesPerEU: 4
; NumVGPRsForWavesPerEU: 1
; AccumOffset: 4
; Occupancy: 8
; WaveLimiterHint : 0
; COMPUTE_PGM_RSRC2:SCRATCH_EN: 0
; COMPUTE_PGM_RSRC2:USER_SGPR: 6
; COMPUTE_PGM_RSRC2:TRAP_HANDLER: 0
; COMPUTE_PGM_RSRC2:TGID_X_EN: 1
; COMPUTE_PGM_RSRC2:TGID_Y_EN: 0
; COMPUTE_PGM_RSRC2:TGID_Z_EN: 0
; COMPUTE_PGM_RSRC2:TIDIG_COMP_CNT: 0
; COMPUTE_PGM_RSRC3_GFX90A:ACCUM_OFFSET: 0
; COMPUTE_PGM_RSRC3_GFX90A:TG_SPLIT: 0
	.section	.text._ZN7rocprim17ROCPRIM_400000_NS6detail17trampoline_kernelINS0_14default_configENS1_33run_length_encode_config_selectorIhjNS0_4plusIjEEEEZZNS1_33reduce_by_key_impl_wrapped_configILNS1_25lookback_scan_determinismE0ES3_S7_PKhNS0_17constant_iteratorIjlEEPhPlSF_S6_NS0_8equal_toIhEEEE10hipError_tPvRmT2_T3_mT4_T5_T6_T7_T8_P12ihipStream_tbENKUlT_T0_E_clISt17integral_constantIbLb0EESY_IbLb1EEEEDaSU_SV_EUlSU_E_NS1_11comp_targetILNS1_3genE9ELNS1_11target_archE1100ELNS1_3gpuE3ELNS1_3repE0EEENS1_30default_config_static_selectorELNS0_4arch9wavefront6targetE1EEEvT1_,"axG",@progbits,_ZN7rocprim17ROCPRIM_400000_NS6detail17trampoline_kernelINS0_14default_configENS1_33run_length_encode_config_selectorIhjNS0_4plusIjEEEEZZNS1_33reduce_by_key_impl_wrapped_configILNS1_25lookback_scan_determinismE0ES3_S7_PKhNS0_17constant_iteratorIjlEEPhPlSF_S6_NS0_8equal_toIhEEEE10hipError_tPvRmT2_T3_mT4_T5_T6_T7_T8_P12ihipStream_tbENKUlT_T0_E_clISt17integral_constantIbLb0EESY_IbLb1EEEEDaSU_SV_EUlSU_E_NS1_11comp_targetILNS1_3genE9ELNS1_11target_archE1100ELNS1_3gpuE3ELNS1_3repE0EEENS1_30default_config_static_selectorELNS0_4arch9wavefront6targetE1EEEvT1_,comdat
	.protected	_ZN7rocprim17ROCPRIM_400000_NS6detail17trampoline_kernelINS0_14default_configENS1_33run_length_encode_config_selectorIhjNS0_4plusIjEEEEZZNS1_33reduce_by_key_impl_wrapped_configILNS1_25lookback_scan_determinismE0ES3_S7_PKhNS0_17constant_iteratorIjlEEPhPlSF_S6_NS0_8equal_toIhEEEE10hipError_tPvRmT2_T3_mT4_T5_T6_T7_T8_P12ihipStream_tbENKUlT_T0_E_clISt17integral_constantIbLb0EESY_IbLb1EEEEDaSU_SV_EUlSU_E_NS1_11comp_targetILNS1_3genE9ELNS1_11target_archE1100ELNS1_3gpuE3ELNS1_3repE0EEENS1_30default_config_static_selectorELNS0_4arch9wavefront6targetE1EEEvT1_ ; -- Begin function _ZN7rocprim17ROCPRIM_400000_NS6detail17trampoline_kernelINS0_14default_configENS1_33run_length_encode_config_selectorIhjNS0_4plusIjEEEEZZNS1_33reduce_by_key_impl_wrapped_configILNS1_25lookback_scan_determinismE0ES3_S7_PKhNS0_17constant_iteratorIjlEEPhPlSF_S6_NS0_8equal_toIhEEEE10hipError_tPvRmT2_T3_mT4_T5_T6_T7_T8_P12ihipStream_tbENKUlT_T0_E_clISt17integral_constantIbLb0EESY_IbLb1EEEEDaSU_SV_EUlSU_E_NS1_11comp_targetILNS1_3genE9ELNS1_11target_archE1100ELNS1_3gpuE3ELNS1_3repE0EEENS1_30default_config_static_selectorELNS0_4arch9wavefront6targetE1EEEvT1_
	.globl	_ZN7rocprim17ROCPRIM_400000_NS6detail17trampoline_kernelINS0_14default_configENS1_33run_length_encode_config_selectorIhjNS0_4plusIjEEEEZZNS1_33reduce_by_key_impl_wrapped_configILNS1_25lookback_scan_determinismE0ES3_S7_PKhNS0_17constant_iteratorIjlEEPhPlSF_S6_NS0_8equal_toIhEEEE10hipError_tPvRmT2_T3_mT4_T5_T6_T7_T8_P12ihipStream_tbENKUlT_T0_E_clISt17integral_constantIbLb0EESY_IbLb1EEEEDaSU_SV_EUlSU_E_NS1_11comp_targetILNS1_3genE9ELNS1_11target_archE1100ELNS1_3gpuE3ELNS1_3repE0EEENS1_30default_config_static_selectorELNS0_4arch9wavefront6targetE1EEEvT1_
	.p2align	8
	.type	_ZN7rocprim17ROCPRIM_400000_NS6detail17trampoline_kernelINS0_14default_configENS1_33run_length_encode_config_selectorIhjNS0_4plusIjEEEEZZNS1_33reduce_by_key_impl_wrapped_configILNS1_25lookback_scan_determinismE0ES3_S7_PKhNS0_17constant_iteratorIjlEEPhPlSF_S6_NS0_8equal_toIhEEEE10hipError_tPvRmT2_T3_mT4_T5_T6_T7_T8_P12ihipStream_tbENKUlT_T0_E_clISt17integral_constantIbLb0EESY_IbLb1EEEEDaSU_SV_EUlSU_E_NS1_11comp_targetILNS1_3genE9ELNS1_11target_archE1100ELNS1_3gpuE3ELNS1_3repE0EEENS1_30default_config_static_selectorELNS0_4arch9wavefront6targetE1EEEvT1_,@function
_ZN7rocprim17ROCPRIM_400000_NS6detail17trampoline_kernelINS0_14default_configENS1_33run_length_encode_config_selectorIhjNS0_4plusIjEEEEZZNS1_33reduce_by_key_impl_wrapped_configILNS1_25lookback_scan_determinismE0ES3_S7_PKhNS0_17constant_iteratorIjlEEPhPlSF_S6_NS0_8equal_toIhEEEE10hipError_tPvRmT2_T3_mT4_T5_T6_T7_T8_P12ihipStream_tbENKUlT_T0_E_clISt17integral_constantIbLb0EESY_IbLb1EEEEDaSU_SV_EUlSU_E_NS1_11comp_targetILNS1_3genE9ELNS1_11target_archE1100ELNS1_3gpuE3ELNS1_3repE0EEENS1_30default_config_static_selectorELNS0_4arch9wavefront6targetE1EEEvT1_: ; @_ZN7rocprim17ROCPRIM_400000_NS6detail17trampoline_kernelINS0_14default_configENS1_33run_length_encode_config_selectorIhjNS0_4plusIjEEEEZZNS1_33reduce_by_key_impl_wrapped_configILNS1_25lookback_scan_determinismE0ES3_S7_PKhNS0_17constant_iteratorIjlEEPhPlSF_S6_NS0_8equal_toIhEEEE10hipError_tPvRmT2_T3_mT4_T5_T6_T7_T8_P12ihipStream_tbENKUlT_T0_E_clISt17integral_constantIbLb0EESY_IbLb1EEEEDaSU_SV_EUlSU_E_NS1_11comp_targetILNS1_3genE9ELNS1_11target_archE1100ELNS1_3gpuE3ELNS1_3repE0EEENS1_30default_config_static_selectorELNS0_4arch9wavefront6targetE1EEEvT1_
; %bb.0:
	.section	.rodata,"a",@progbits
	.p2align	6, 0x0
	.amdhsa_kernel _ZN7rocprim17ROCPRIM_400000_NS6detail17trampoline_kernelINS0_14default_configENS1_33run_length_encode_config_selectorIhjNS0_4plusIjEEEEZZNS1_33reduce_by_key_impl_wrapped_configILNS1_25lookback_scan_determinismE0ES3_S7_PKhNS0_17constant_iteratorIjlEEPhPlSF_S6_NS0_8equal_toIhEEEE10hipError_tPvRmT2_T3_mT4_T5_T6_T7_T8_P12ihipStream_tbENKUlT_T0_E_clISt17integral_constantIbLb0EESY_IbLb1EEEEDaSU_SV_EUlSU_E_NS1_11comp_targetILNS1_3genE9ELNS1_11target_archE1100ELNS1_3gpuE3ELNS1_3repE0EEENS1_30default_config_static_selectorELNS0_4arch9wavefront6targetE1EEEvT1_
		.amdhsa_group_segment_fixed_size 0
		.amdhsa_private_segment_fixed_size 0
		.amdhsa_kernarg_size 128
		.amdhsa_user_sgpr_count 6
		.amdhsa_user_sgpr_private_segment_buffer 1
		.amdhsa_user_sgpr_dispatch_ptr 0
		.amdhsa_user_sgpr_queue_ptr 0
		.amdhsa_user_sgpr_kernarg_segment_ptr 1
		.amdhsa_user_sgpr_dispatch_id 0
		.amdhsa_user_sgpr_flat_scratch_init 0
		.amdhsa_user_sgpr_kernarg_preload_length 0
		.amdhsa_user_sgpr_kernarg_preload_offset 0
		.amdhsa_user_sgpr_private_segment_size 0
		.amdhsa_uses_dynamic_stack 0
		.amdhsa_system_sgpr_private_segment_wavefront_offset 0
		.amdhsa_system_sgpr_workgroup_id_x 1
		.amdhsa_system_sgpr_workgroup_id_y 0
		.amdhsa_system_sgpr_workgroup_id_z 0
		.amdhsa_system_sgpr_workgroup_info 0
		.amdhsa_system_vgpr_workitem_id 0
		.amdhsa_next_free_vgpr 1
		.amdhsa_next_free_sgpr 0
		.amdhsa_accum_offset 4
		.amdhsa_reserve_vcc 0
		.amdhsa_reserve_flat_scratch 0
		.amdhsa_float_round_mode_32 0
		.amdhsa_float_round_mode_16_64 0
		.amdhsa_float_denorm_mode_32 3
		.amdhsa_float_denorm_mode_16_64 3
		.amdhsa_dx10_clamp 1
		.amdhsa_ieee_mode 1
		.amdhsa_fp16_overflow 0
		.amdhsa_tg_split 0
		.amdhsa_exception_fp_ieee_invalid_op 0
		.amdhsa_exception_fp_denorm_src 0
		.amdhsa_exception_fp_ieee_div_zero 0
		.amdhsa_exception_fp_ieee_overflow 0
		.amdhsa_exception_fp_ieee_underflow 0
		.amdhsa_exception_fp_ieee_inexact 0
		.amdhsa_exception_int_div_zero 0
	.end_amdhsa_kernel
	.section	.text._ZN7rocprim17ROCPRIM_400000_NS6detail17trampoline_kernelINS0_14default_configENS1_33run_length_encode_config_selectorIhjNS0_4plusIjEEEEZZNS1_33reduce_by_key_impl_wrapped_configILNS1_25lookback_scan_determinismE0ES3_S7_PKhNS0_17constant_iteratorIjlEEPhPlSF_S6_NS0_8equal_toIhEEEE10hipError_tPvRmT2_T3_mT4_T5_T6_T7_T8_P12ihipStream_tbENKUlT_T0_E_clISt17integral_constantIbLb0EESY_IbLb1EEEEDaSU_SV_EUlSU_E_NS1_11comp_targetILNS1_3genE9ELNS1_11target_archE1100ELNS1_3gpuE3ELNS1_3repE0EEENS1_30default_config_static_selectorELNS0_4arch9wavefront6targetE1EEEvT1_,"axG",@progbits,_ZN7rocprim17ROCPRIM_400000_NS6detail17trampoline_kernelINS0_14default_configENS1_33run_length_encode_config_selectorIhjNS0_4plusIjEEEEZZNS1_33reduce_by_key_impl_wrapped_configILNS1_25lookback_scan_determinismE0ES3_S7_PKhNS0_17constant_iteratorIjlEEPhPlSF_S6_NS0_8equal_toIhEEEE10hipError_tPvRmT2_T3_mT4_T5_T6_T7_T8_P12ihipStream_tbENKUlT_T0_E_clISt17integral_constantIbLb0EESY_IbLb1EEEEDaSU_SV_EUlSU_E_NS1_11comp_targetILNS1_3genE9ELNS1_11target_archE1100ELNS1_3gpuE3ELNS1_3repE0EEENS1_30default_config_static_selectorELNS0_4arch9wavefront6targetE1EEEvT1_,comdat
.Lfunc_end200:
	.size	_ZN7rocprim17ROCPRIM_400000_NS6detail17trampoline_kernelINS0_14default_configENS1_33run_length_encode_config_selectorIhjNS0_4plusIjEEEEZZNS1_33reduce_by_key_impl_wrapped_configILNS1_25lookback_scan_determinismE0ES3_S7_PKhNS0_17constant_iteratorIjlEEPhPlSF_S6_NS0_8equal_toIhEEEE10hipError_tPvRmT2_T3_mT4_T5_T6_T7_T8_P12ihipStream_tbENKUlT_T0_E_clISt17integral_constantIbLb0EESY_IbLb1EEEEDaSU_SV_EUlSU_E_NS1_11comp_targetILNS1_3genE9ELNS1_11target_archE1100ELNS1_3gpuE3ELNS1_3repE0EEENS1_30default_config_static_selectorELNS0_4arch9wavefront6targetE1EEEvT1_, .Lfunc_end200-_ZN7rocprim17ROCPRIM_400000_NS6detail17trampoline_kernelINS0_14default_configENS1_33run_length_encode_config_selectorIhjNS0_4plusIjEEEEZZNS1_33reduce_by_key_impl_wrapped_configILNS1_25lookback_scan_determinismE0ES3_S7_PKhNS0_17constant_iteratorIjlEEPhPlSF_S6_NS0_8equal_toIhEEEE10hipError_tPvRmT2_T3_mT4_T5_T6_T7_T8_P12ihipStream_tbENKUlT_T0_E_clISt17integral_constantIbLb0EESY_IbLb1EEEEDaSU_SV_EUlSU_E_NS1_11comp_targetILNS1_3genE9ELNS1_11target_archE1100ELNS1_3gpuE3ELNS1_3repE0EEENS1_30default_config_static_selectorELNS0_4arch9wavefront6targetE1EEEvT1_
                                        ; -- End function
	.section	.AMDGPU.csdata,"",@progbits
; Kernel info:
; codeLenInByte = 0
; NumSgprs: 4
; NumVgprs: 0
; NumAgprs: 0
; TotalNumVgprs: 0
; ScratchSize: 0
; MemoryBound: 0
; FloatMode: 240
; IeeeMode: 1
; LDSByteSize: 0 bytes/workgroup (compile time only)
; SGPRBlocks: 0
; VGPRBlocks: 0
; NumSGPRsForWavesPerEU: 4
; NumVGPRsForWavesPerEU: 1
; AccumOffset: 4
; Occupancy: 8
; WaveLimiterHint : 0
; COMPUTE_PGM_RSRC2:SCRATCH_EN: 0
; COMPUTE_PGM_RSRC2:USER_SGPR: 6
; COMPUTE_PGM_RSRC2:TRAP_HANDLER: 0
; COMPUTE_PGM_RSRC2:TGID_X_EN: 1
; COMPUTE_PGM_RSRC2:TGID_Y_EN: 0
; COMPUTE_PGM_RSRC2:TGID_Z_EN: 0
; COMPUTE_PGM_RSRC2:TIDIG_COMP_CNT: 0
; COMPUTE_PGM_RSRC3_GFX90A:ACCUM_OFFSET: 0
; COMPUTE_PGM_RSRC3_GFX90A:TG_SPLIT: 0
	.section	.text._ZN7rocprim17ROCPRIM_400000_NS6detail17trampoline_kernelINS0_14default_configENS1_33run_length_encode_config_selectorIhjNS0_4plusIjEEEEZZNS1_33reduce_by_key_impl_wrapped_configILNS1_25lookback_scan_determinismE0ES3_S7_PKhNS0_17constant_iteratorIjlEEPhPlSF_S6_NS0_8equal_toIhEEEE10hipError_tPvRmT2_T3_mT4_T5_T6_T7_T8_P12ihipStream_tbENKUlT_T0_E_clISt17integral_constantIbLb0EESY_IbLb1EEEEDaSU_SV_EUlSU_E_NS1_11comp_targetILNS1_3genE8ELNS1_11target_archE1030ELNS1_3gpuE2ELNS1_3repE0EEENS1_30default_config_static_selectorELNS0_4arch9wavefront6targetE1EEEvT1_,"axG",@progbits,_ZN7rocprim17ROCPRIM_400000_NS6detail17trampoline_kernelINS0_14default_configENS1_33run_length_encode_config_selectorIhjNS0_4plusIjEEEEZZNS1_33reduce_by_key_impl_wrapped_configILNS1_25lookback_scan_determinismE0ES3_S7_PKhNS0_17constant_iteratorIjlEEPhPlSF_S6_NS0_8equal_toIhEEEE10hipError_tPvRmT2_T3_mT4_T5_T6_T7_T8_P12ihipStream_tbENKUlT_T0_E_clISt17integral_constantIbLb0EESY_IbLb1EEEEDaSU_SV_EUlSU_E_NS1_11comp_targetILNS1_3genE8ELNS1_11target_archE1030ELNS1_3gpuE2ELNS1_3repE0EEENS1_30default_config_static_selectorELNS0_4arch9wavefront6targetE1EEEvT1_,comdat
	.protected	_ZN7rocprim17ROCPRIM_400000_NS6detail17trampoline_kernelINS0_14default_configENS1_33run_length_encode_config_selectorIhjNS0_4plusIjEEEEZZNS1_33reduce_by_key_impl_wrapped_configILNS1_25lookback_scan_determinismE0ES3_S7_PKhNS0_17constant_iteratorIjlEEPhPlSF_S6_NS0_8equal_toIhEEEE10hipError_tPvRmT2_T3_mT4_T5_T6_T7_T8_P12ihipStream_tbENKUlT_T0_E_clISt17integral_constantIbLb0EESY_IbLb1EEEEDaSU_SV_EUlSU_E_NS1_11comp_targetILNS1_3genE8ELNS1_11target_archE1030ELNS1_3gpuE2ELNS1_3repE0EEENS1_30default_config_static_selectorELNS0_4arch9wavefront6targetE1EEEvT1_ ; -- Begin function _ZN7rocprim17ROCPRIM_400000_NS6detail17trampoline_kernelINS0_14default_configENS1_33run_length_encode_config_selectorIhjNS0_4plusIjEEEEZZNS1_33reduce_by_key_impl_wrapped_configILNS1_25lookback_scan_determinismE0ES3_S7_PKhNS0_17constant_iteratorIjlEEPhPlSF_S6_NS0_8equal_toIhEEEE10hipError_tPvRmT2_T3_mT4_T5_T6_T7_T8_P12ihipStream_tbENKUlT_T0_E_clISt17integral_constantIbLb0EESY_IbLb1EEEEDaSU_SV_EUlSU_E_NS1_11comp_targetILNS1_3genE8ELNS1_11target_archE1030ELNS1_3gpuE2ELNS1_3repE0EEENS1_30default_config_static_selectorELNS0_4arch9wavefront6targetE1EEEvT1_
	.globl	_ZN7rocprim17ROCPRIM_400000_NS6detail17trampoline_kernelINS0_14default_configENS1_33run_length_encode_config_selectorIhjNS0_4plusIjEEEEZZNS1_33reduce_by_key_impl_wrapped_configILNS1_25lookback_scan_determinismE0ES3_S7_PKhNS0_17constant_iteratorIjlEEPhPlSF_S6_NS0_8equal_toIhEEEE10hipError_tPvRmT2_T3_mT4_T5_T6_T7_T8_P12ihipStream_tbENKUlT_T0_E_clISt17integral_constantIbLb0EESY_IbLb1EEEEDaSU_SV_EUlSU_E_NS1_11comp_targetILNS1_3genE8ELNS1_11target_archE1030ELNS1_3gpuE2ELNS1_3repE0EEENS1_30default_config_static_selectorELNS0_4arch9wavefront6targetE1EEEvT1_
	.p2align	8
	.type	_ZN7rocprim17ROCPRIM_400000_NS6detail17trampoline_kernelINS0_14default_configENS1_33run_length_encode_config_selectorIhjNS0_4plusIjEEEEZZNS1_33reduce_by_key_impl_wrapped_configILNS1_25lookback_scan_determinismE0ES3_S7_PKhNS0_17constant_iteratorIjlEEPhPlSF_S6_NS0_8equal_toIhEEEE10hipError_tPvRmT2_T3_mT4_T5_T6_T7_T8_P12ihipStream_tbENKUlT_T0_E_clISt17integral_constantIbLb0EESY_IbLb1EEEEDaSU_SV_EUlSU_E_NS1_11comp_targetILNS1_3genE8ELNS1_11target_archE1030ELNS1_3gpuE2ELNS1_3repE0EEENS1_30default_config_static_selectorELNS0_4arch9wavefront6targetE1EEEvT1_,@function
_ZN7rocprim17ROCPRIM_400000_NS6detail17trampoline_kernelINS0_14default_configENS1_33run_length_encode_config_selectorIhjNS0_4plusIjEEEEZZNS1_33reduce_by_key_impl_wrapped_configILNS1_25lookback_scan_determinismE0ES3_S7_PKhNS0_17constant_iteratorIjlEEPhPlSF_S6_NS0_8equal_toIhEEEE10hipError_tPvRmT2_T3_mT4_T5_T6_T7_T8_P12ihipStream_tbENKUlT_T0_E_clISt17integral_constantIbLb0EESY_IbLb1EEEEDaSU_SV_EUlSU_E_NS1_11comp_targetILNS1_3genE8ELNS1_11target_archE1030ELNS1_3gpuE2ELNS1_3repE0EEENS1_30default_config_static_selectorELNS0_4arch9wavefront6targetE1EEEvT1_: ; @_ZN7rocprim17ROCPRIM_400000_NS6detail17trampoline_kernelINS0_14default_configENS1_33run_length_encode_config_selectorIhjNS0_4plusIjEEEEZZNS1_33reduce_by_key_impl_wrapped_configILNS1_25lookback_scan_determinismE0ES3_S7_PKhNS0_17constant_iteratorIjlEEPhPlSF_S6_NS0_8equal_toIhEEEE10hipError_tPvRmT2_T3_mT4_T5_T6_T7_T8_P12ihipStream_tbENKUlT_T0_E_clISt17integral_constantIbLb0EESY_IbLb1EEEEDaSU_SV_EUlSU_E_NS1_11comp_targetILNS1_3genE8ELNS1_11target_archE1030ELNS1_3gpuE2ELNS1_3repE0EEENS1_30default_config_static_selectorELNS0_4arch9wavefront6targetE1EEEvT1_
; %bb.0:
	.section	.rodata,"a",@progbits
	.p2align	6, 0x0
	.amdhsa_kernel _ZN7rocprim17ROCPRIM_400000_NS6detail17trampoline_kernelINS0_14default_configENS1_33run_length_encode_config_selectorIhjNS0_4plusIjEEEEZZNS1_33reduce_by_key_impl_wrapped_configILNS1_25lookback_scan_determinismE0ES3_S7_PKhNS0_17constant_iteratorIjlEEPhPlSF_S6_NS0_8equal_toIhEEEE10hipError_tPvRmT2_T3_mT4_T5_T6_T7_T8_P12ihipStream_tbENKUlT_T0_E_clISt17integral_constantIbLb0EESY_IbLb1EEEEDaSU_SV_EUlSU_E_NS1_11comp_targetILNS1_3genE8ELNS1_11target_archE1030ELNS1_3gpuE2ELNS1_3repE0EEENS1_30default_config_static_selectorELNS0_4arch9wavefront6targetE1EEEvT1_
		.amdhsa_group_segment_fixed_size 0
		.amdhsa_private_segment_fixed_size 0
		.amdhsa_kernarg_size 128
		.amdhsa_user_sgpr_count 6
		.amdhsa_user_sgpr_private_segment_buffer 1
		.amdhsa_user_sgpr_dispatch_ptr 0
		.amdhsa_user_sgpr_queue_ptr 0
		.amdhsa_user_sgpr_kernarg_segment_ptr 1
		.amdhsa_user_sgpr_dispatch_id 0
		.amdhsa_user_sgpr_flat_scratch_init 0
		.amdhsa_user_sgpr_kernarg_preload_length 0
		.amdhsa_user_sgpr_kernarg_preload_offset 0
		.amdhsa_user_sgpr_private_segment_size 0
		.amdhsa_uses_dynamic_stack 0
		.amdhsa_system_sgpr_private_segment_wavefront_offset 0
		.amdhsa_system_sgpr_workgroup_id_x 1
		.amdhsa_system_sgpr_workgroup_id_y 0
		.amdhsa_system_sgpr_workgroup_id_z 0
		.amdhsa_system_sgpr_workgroup_info 0
		.amdhsa_system_vgpr_workitem_id 0
		.amdhsa_next_free_vgpr 1
		.amdhsa_next_free_sgpr 0
		.amdhsa_accum_offset 4
		.amdhsa_reserve_vcc 0
		.amdhsa_reserve_flat_scratch 0
		.amdhsa_float_round_mode_32 0
		.amdhsa_float_round_mode_16_64 0
		.amdhsa_float_denorm_mode_32 3
		.amdhsa_float_denorm_mode_16_64 3
		.amdhsa_dx10_clamp 1
		.amdhsa_ieee_mode 1
		.amdhsa_fp16_overflow 0
		.amdhsa_tg_split 0
		.amdhsa_exception_fp_ieee_invalid_op 0
		.amdhsa_exception_fp_denorm_src 0
		.amdhsa_exception_fp_ieee_div_zero 0
		.amdhsa_exception_fp_ieee_overflow 0
		.amdhsa_exception_fp_ieee_underflow 0
		.amdhsa_exception_fp_ieee_inexact 0
		.amdhsa_exception_int_div_zero 0
	.end_amdhsa_kernel
	.section	.text._ZN7rocprim17ROCPRIM_400000_NS6detail17trampoline_kernelINS0_14default_configENS1_33run_length_encode_config_selectorIhjNS0_4plusIjEEEEZZNS1_33reduce_by_key_impl_wrapped_configILNS1_25lookback_scan_determinismE0ES3_S7_PKhNS0_17constant_iteratorIjlEEPhPlSF_S6_NS0_8equal_toIhEEEE10hipError_tPvRmT2_T3_mT4_T5_T6_T7_T8_P12ihipStream_tbENKUlT_T0_E_clISt17integral_constantIbLb0EESY_IbLb1EEEEDaSU_SV_EUlSU_E_NS1_11comp_targetILNS1_3genE8ELNS1_11target_archE1030ELNS1_3gpuE2ELNS1_3repE0EEENS1_30default_config_static_selectorELNS0_4arch9wavefront6targetE1EEEvT1_,"axG",@progbits,_ZN7rocprim17ROCPRIM_400000_NS6detail17trampoline_kernelINS0_14default_configENS1_33run_length_encode_config_selectorIhjNS0_4plusIjEEEEZZNS1_33reduce_by_key_impl_wrapped_configILNS1_25lookback_scan_determinismE0ES3_S7_PKhNS0_17constant_iteratorIjlEEPhPlSF_S6_NS0_8equal_toIhEEEE10hipError_tPvRmT2_T3_mT4_T5_T6_T7_T8_P12ihipStream_tbENKUlT_T0_E_clISt17integral_constantIbLb0EESY_IbLb1EEEEDaSU_SV_EUlSU_E_NS1_11comp_targetILNS1_3genE8ELNS1_11target_archE1030ELNS1_3gpuE2ELNS1_3repE0EEENS1_30default_config_static_selectorELNS0_4arch9wavefront6targetE1EEEvT1_,comdat
.Lfunc_end201:
	.size	_ZN7rocprim17ROCPRIM_400000_NS6detail17trampoline_kernelINS0_14default_configENS1_33run_length_encode_config_selectorIhjNS0_4plusIjEEEEZZNS1_33reduce_by_key_impl_wrapped_configILNS1_25lookback_scan_determinismE0ES3_S7_PKhNS0_17constant_iteratorIjlEEPhPlSF_S6_NS0_8equal_toIhEEEE10hipError_tPvRmT2_T3_mT4_T5_T6_T7_T8_P12ihipStream_tbENKUlT_T0_E_clISt17integral_constantIbLb0EESY_IbLb1EEEEDaSU_SV_EUlSU_E_NS1_11comp_targetILNS1_3genE8ELNS1_11target_archE1030ELNS1_3gpuE2ELNS1_3repE0EEENS1_30default_config_static_selectorELNS0_4arch9wavefront6targetE1EEEvT1_, .Lfunc_end201-_ZN7rocprim17ROCPRIM_400000_NS6detail17trampoline_kernelINS0_14default_configENS1_33run_length_encode_config_selectorIhjNS0_4plusIjEEEEZZNS1_33reduce_by_key_impl_wrapped_configILNS1_25lookback_scan_determinismE0ES3_S7_PKhNS0_17constant_iteratorIjlEEPhPlSF_S6_NS0_8equal_toIhEEEE10hipError_tPvRmT2_T3_mT4_T5_T6_T7_T8_P12ihipStream_tbENKUlT_T0_E_clISt17integral_constantIbLb0EESY_IbLb1EEEEDaSU_SV_EUlSU_E_NS1_11comp_targetILNS1_3genE8ELNS1_11target_archE1030ELNS1_3gpuE2ELNS1_3repE0EEENS1_30default_config_static_selectorELNS0_4arch9wavefront6targetE1EEEvT1_
                                        ; -- End function
	.section	.AMDGPU.csdata,"",@progbits
; Kernel info:
; codeLenInByte = 0
; NumSgprs: 4
; NumVgprs: 0
; NumAgprs: 0
; TotalNumVgprs: 0
; ScratchSize: 0
; MemoryBound: 0
; FloatMode: 240
; IeeeMode: 1
; LDSByteSize: 0 bytes/workgroup (compile time only)
; SGPRBlocks: 0
; VGPRBlocks: 0
; NumSGPRsForWavesPerEU: 4
; NumVGPRsForWavesPerEU: 1
; AccumOffset: 4
; Occupancy: 8
; WaveLimiterHint : 0
; COMPUTE_PGM_RSRC2:SCRATCH_EN: 0
; COMPUTE_PGM_RSRC2:USER_SGPR: 6
; COMPUTE_PGM_RSRC2:TRAP_HANDLER: 0
; COMPUTE_PGM_RSRC2:TGID_X_EN: 1
; COMPUTE_PGM_RSRC2:TGID_Y_EN: 0
; COMPUTE_PGM_RSRC2:TGID_Z_EN: 0
; COMPUTE_PGM_RSRC2:TIDIG_COMP_CNT: 0
; COMPUTE_PGM_RSRC3_GFX90A:ACCUM_OFFSET: 0
; COMPUTE_PGM_RSRC3_GFX90A:TG_SPLIT: 0
	.section	.text._ZN2at6native8internal12_GLOBAL__N_126adjacent_difference_kernelIPKaEEvlT_Pi,"axG",@progbits,_ZN2at6native8internal12_GLOBAL__N_126adjacent_difference_kernelIPKaEEvlT_Pi,comdat
	.globl	_ZN2at6native8internal12_GLOBAL__N_126adjacent_difference_kernelIPKaEEvlT_Pi ; -- Begin function _ZN2at6native8internal12_GLOBAL__N_126adjacent_difference_kernelIPKaEEvlT_Pi
	.p2align	8
	.type	_ZN2at6native8internal12_GLOBAL__N_126adjacent_difference_kernelIPKaEEvlT_Pi,@function
_ZN2at6native8internal12_GLOBAL__N_126adjacent_difference_kernelIPKaEEvlT_Pi: ; @_ZN2at6native8internal12_GLOBAL__N_126adjacent_difference_kernelIPKaEEvlT_Pi
; %bb.0:
	s_load_dword s7, s[4:5], 0x24
	s_load_dwordx4 s[0:3], s[4:5], 0x0
	s_add_u32 s10, s4, 24
	s_addc_u32 s11, s5, 0
	v_mov_b32_e32 v1, 0
	s_waitcnt lgkmcnt(0)
	s_and_b32 s7, s7, 0xffff
	v_mov_b32_e32 v2, s6
	v_mad_u64_u32 v[4:5], s[8:9], s7, v2, v[0:1]
	v_cmp_gt_i64_e32 vcc, s[0:1], v[4:5]
	s_and_saveexec_b64 s[8:9], vcc
	s_cbranch_execz .LBB202_5
; %bb.1:
	s_load_dword s12, s[10:11], 0x0
	s_load_dwordx2 s[8:9], s[4:5], 0x10
	s_mul_hi_u32 s13, s7, s6
	s_mul_i32 s10, s7, s6
	s_mov_b32 s6, 0
	s_waitcnt lgkmcnt(0)
	s_mul_i32 s11, s12, s7
	v_mov_b32_e32 v2, v1
	v_mov_b32_e32 v3, v4
	s_mov_b64 s[4:5], 0
	v_mov_b32_e32 v4, s9
	v_mov_b32_e32 v5, s6
	;; [unrolled: 1-line block ×4, first 2 shown]
	s_branch .LBB202_3
.LBB202_2:                              ;   in Loop: Header=BB202_3 Depth=1
	s_or_b64 exec, exec, s[6:7]
	v_ashrrev_i64 v[10:11], 30, v[2:3]
	v_add_co_u32_e32 v10, vcc, s8, v10
	v_addc_co_u32_e32 v11, vcc, v4, v11, vcc
	v_add_co_u32_e32 v0, vcc, s11, v0
	v_addc_co_u32_e32 v1, vcc, v1, v5, vcc
	global_store_dword v[10:11], v8, off
	v_add_co_u32_e32 v8, vcc, s10, v0
	v_addc_co_u32_e32 v9, vcc, v6, v1, vcc
	v_cmp_le_i64_e32 vcc, s[0:1], v[8:9]
	s_or_b64 s[4:5], vcc, s[4:5]
	v_add_co_u32_e32 v2, vcc, 0, v2
	v_addc_co_u32_e32 v3, vcc, v3, v7, vcc
	s_andn2_b64 exec, exec, s[4:5]
	s_cbranch_execz .LBB202_5
.LBB202_3:                              ; =>This Inner Loop Header: Depth=1
	v_add_u32_e32 v8, s10, v0
	v_cmp_lt_i32_e32 vcc, 0, v8
	v_mov_b32_e32 v8, 0
	s_and_saveexec_b64 s[6:7], vcc
	s_cbranch_execz .LBB202_2
; %bb.4:                                ;   in Loop: Header=BB202_3 Depth=1
	v_add_u32_e32 v10, s10, v0
	v_and_b32_e32 v8, 0x7fffffff, v10
	v_mov_b32_e32 v9, s3
	v_add_co_u32_e32 v8, vcc, s2, v8
	v_addc_co_u32_e32 v9, vcc, 0, v9, vcc
	v_add_u32_e32 v10, -1, v10
	global_load_ubyte v11, v[8:9], off
	global_load_ubyte v12, v10, s[2:3]
	s_waitcnt vmcnt(0)
	v_cmp_ne_u16_e32 vcc, v11, v12
	v_cndmask_b32_e64 v8, 0, 1, vcc
	s_branch .LBB202_2
.LBB202_5:
	s_endpgm
	.section	.rodata,"a",@progbits
	.p2align	6, 0x0
	.amdhsa_kernel _ZN2at6native8internal12_GLOBAL__N_126adjacent_difference_kernelIPKaEEvlT_Pi
		.amdhsa_group_segment_fixed_size 0
		.amdhsa_private_segment_fixed_size 0
		.amdhsa_kernarg_size 280
		.amdhsa_user_sgpr_count 6
		.amdhsa_user_sgpr_private_segment_buffer 1
		.amdhsa_user_sgpr_dispatch_ptr 0
		.amdhsa_user_sgpr_queue_ptr 0
		.amdhsa_user_sgpr_kernarg_segment_ptr 1
		.amdhsa_user_sgpr_dispatch_id 0
		.amdhsa_user_sgpr_flat_scratch_init 0
		.amdhsa_user_sgpr_kernarg_preload_length 0
		.amdhsa_user_sgpr_kernarg_preload_offset 0
		.amdhsa_user_sgpr_private_segment_size 0
		.amdhsa_uses_dynamic_stack 0
		.amdhsa_system_sgpr_private_segment_wavefront_offset 0
		.amdhsa_system_sgpr_workgroup_id_x 1
		.amdhsa_system_sgpr_workgroup_id_y 0
		.amdhsa_system_sgpr_workgroup_id_z 0
		.amdhsa_system_sgpr_workgroup_info 0
		.amdhsa_system_vgpr_workitem_id 0
		.amdhsa_next_free_vgpr 13
		.amdhsa_next_free_sgpr 14
		.amdhsa_accum_offset 16
		.amdhsa_reserve_vcc 1
		.amdhsa_reserve_flat_scratch 0
		.amdhsa_float_round_mode_32 0
		.amdhsa_float_round_mode_16_64 0
		.amdhsa_float_denorm_mode_32 3
		.amdhsa_float_denorm_mode_16_64 3
		.amdhsa_dx10_clamp 1
		.amdhsa_ieee_mode 1
		.amdhsa_fp16_overflow 0
		.amdhsa_tg_split 0
		.amdhsa_exception_fp_ieee_invalid_op 0
		.amdhsa_exception_fp_denorm_src 0
		.amdhsa_exception_fp_ieee_div_zero 0
		.amdhsa_exception_fp_ieee_overflow 0
		.amdhsa_exception_fp_ieee_underflow 0
		.amdhsa_exception_fp_ieee_inexact 0
		.amdhsa_exception_int_div_zero 0
	.end_amdhsa_kernel
	.section	.text._ZN2at6native8internal12_GLOBAL__N_126adjacent_difference_kernelIPKaEEvlT_Pi,"axG",@progbits,_ZN2at6native8internal12_GLOBAL__N_126adjacent_difference_kernelIPKaEEvlT_Pi,comdat
.Lfunc_end202:
	.size	_ZN2at6native8internal12_GLOBAL__N_126adjacent_difference_kernelIPKaEEvlT_Pi, .Lfunc_end202-_ZN2at6native8internal12_GLOBAL__N_126adjacent_difference_kernelIPKaEEvlT_Pi
                                        ; -- End function
	.section	.AMDGPU.csdata,"",@progbits
; Kernel info:
; codeLenInByte = 288
; NumSgprs: 18
; NumVgprs: 13
; NumAgprs: 0
; TotalNumVgprs: 13
; ScratchSize: 0
; MemoryBound: 0
; FloatMode: 240
; IeeeMode: 1
; LDSByteSize: 0 bytes/workgroup (compile time only)
; SGPRBlocks: 2
; VGPRBlocks: 1
; NumSGPRsForWavesPerEU: 18
; NumVGPRsForWavesPerEU: 13
; AccumOffset: 16
; Occupancy: 8
; WaveLimiterHint : 0
; COMPUTE_PGM_RSRC2:SCRATCH_EN: 0
; COMPUTE_PGM_RSRC2:USER_SGPR: 6
; COMPUTE_PGM_RSRC2:TRAP_HANDLER: 0
; COMPUTE_PGM_RSRC2:TGID_X_EN: 1
; COMPUTE_PGM_RSRC2:TGID_Y_EN: 0
; COMPUTE_PGM_RSRC2:TGID_Z_EN: 0
; COMPUTE_PGM_RSRC2:TIDIG_COMP_CNT: 0
; COMPUTE_PGM_RSRC3_GFX90A:ACCUM_OFFSET: 3
; COMPUTE_PGM_RSRC3_GFX90A:TG_SPLIT: 0
	.section	.text._ZN7rocprim17ROCPRIM_400000_NS6detail17trampoline_kernelINS0_14default_configENS1_25partition_config_selectorILNS1_17partition_subalgoE8EaNS0_10empty_typeEbEEZZNS1_14partition_implILS5_8ELb0ES3_jPKaPS6_PKS6_NS0_5tupleIJPaS6_EEENSE_IJSB_SB_EEENS0_18inequality_wrapperIN6hipcub16HIPCUB_304000_NS8EqualityEEEPlJS6_EEE10hipError_tPvRmT3_T4_T5_T6_T7_T9_mT8_P12ihipStream_tbDpT10_ENKUlT_T0_E_clISt17integral_constantIbLb0EES17_EEDaS12_S13_EUlS12_E_NS1_11comp_targetILNS1_3genE0ELNS1_11target_archE4294967295ELNS1_3gpuE0ELNS1_3repE0EEENS1_30default_config_static_selectorELNS0_4arch9wavefront6targetE1EEEvT1_,"axG",@progbits,_ZN7rocprim17ROCPRIM_400000_NS6detail17trampoline_kernelINS0_14default_configENS1_25partition_config_selectorILNS1_17partition_subalgoE8EaNS0_10empty_typeEbEEZZNS1_14partition_implILS5_8ELb0ES3_jPKaPS6_PKS6_NS0_5tupleIJPaS6_EEENSE_IJSB_SB_EEENS0_18inequality_wrapperIN6hipcub16HIPCUB_304000_NS8EqualityEEEPlJS6_EEE10hipError_tPvRmT3_T4_T5_T6_T7_T9_mT8_P12ihipStream_tbDpT10_ENKUlT_T0_E_clISt17integral_constantIbLb0EES17_EEDaS12_S13_EUlS12_E_NS1_11comp_targetILNS1_3genE0ELNS1_11target_archE4294967295ELNS1_3gpuE0ELNS1_3repE0EEENS1_30default_config_static_selectorELNS0_4arch9wavefront6targetE1EEEvT1_,comdat
	.protected	_ZN7rocprim17ROCPRIM_400000_NS6detail17trampoline_kernelINS0_14default_configENS1_25partition_config_selectorILNS1_17partition_subalgoE8EaNS0_10empty_typeEbEEZZNS1_14partition_implILS5_8ELb0ES3_jPKaPS6_PKS6_NS0_5tupleIJPaS6_EEENSE_IJSB_SB_EEENS0_18inequality_wrapperIN6hipcub16HIPCUB_304000_NS8EqualityEEEPlJS6_EEE10hipError_tPvRmT3_T4_T5_T6_T7_T9_mT8_P12ihipStream_tbDpT10_ENKUlT_T0_E_clISt17integral_constantIbLb0EES17_EEDaS12_S13_EUlS12_E_NS1_11comp_targetILNS1_3genE0ELNS1_11target_archE4294967295ELNS1_3gpuE0ELNS1_3repE0EEENS1_30default_config_static_selectorELNS0_4arch9wavefront6targetE1EEEvT1_ ; -- Begin function _ZN7rocprim17ROCPRIM_400000_NS6detail17trampoline_kernelINS0_14default_configENS1_25partition_config_selectorILNS1_17partition_subalgoE8EaNS0_10empty_typeEbEEZZNS1_14partition_implILS5_8ELb0ES3_jPKaPS6_PKS6_NS0_5tupleIJPaS6_EEENSE_IJSB_SB_EEENS0_18inequality_wrapperIN6hipcub16HIPCUB_304000_NS8EqualityEEEPlJS6_EEE10hipError_tPvRmT3_T4_T5_T6_T7_T9_mT8_P12ihipStream_tbDpT10_ENKUlT_T0_E_clISt17integral_constantIbLb0EES17_EEDaS12_S13_EUlS12_E_NS1_11comp_targetILNS1_3genE0ELNS1_11target_archE4294967295ELNS1_3gpuE0ELNS1_3repE0EEENS1_30default_config_static_selectorELNS0_4arch9wavefront6targetE1EEEvT1_
	.globl	_ZN7rocprim17ROCPRIM_400000_NS6detail17trampoline_kernelINS0_14default_configENS1_25partition_config_selectorILNS1_17partition_subalgoE8EaNS0_10empty_typeEbEEZZNS1_14partition_implILS5_8ELb0ES3_jPKaPS6_PKS6_NS0_5tupleIJPaS6_EEENSE_IJSB_SB_EEENS0_18inequality_wrapperIN6hipcub16HIPCUB_304000_NS8EqualityEEEPlJS6_EEE10hipError_tPvRmT3_T4_T5_T6_T7_T9_mT8_P12ihipStream_tbDpT10_ENKUlT_T0_E_clISt17integral_constantIbLb0EES17_EEDaS12_S13_EUlS12_E_NS1_11comp_targetILNS1_3genE0ELNS1_11target_archE4294967295ELNS1_3gpuE0ELNS1_3repE0EEENS1_30default_config_static_selectorELNS0_4arch9wavefront6targetE1EEEvT1_
	.p2align	8
	.type	_ZN7rocprim17ROCPRIM_400000_NS6detail17trampoline_kernelINS0_14default_configENS1_25partition_config_selectorILNS1_17partition_subalgoE8EaNS0_10empty_typeEbEEZZNS1_14partition_implILS5_8ELb0ES3_jPKaPS6_PKS6_NS0_5tupleIJPaS6_EEENSE_IJSB_SB_EEENS0_18inequality_wrapperIN6hipcub16HIPCUB_304000_NS8EqualityEEEPlJS6_EEE10hipError_tPvRmT3_T4_T5_T6_T7_T9_mT8_P12ihipStream_tbDpT10_ENKUlT_T0_E_clISt17integral_constantIbLb0EES17_EEDaS12_S13_EUlS12_E_NS1_11comp_targetILNS1_3genE0ELNS1_11target_archE4294967295ELNS1_3gpuE0ELNS1_3repE0EEENS1_30default_config_static_selectorELNS0_4arch9wavefront6targetE1EEEvT1_,@function
_ZN7rocprim17ROCPRIM_400000_NS6detail17trampoline_kernelINS0_14default_configENS1_25partition_config_selectorILNS1_17partition_subalgoE8EaNS0_10empty_typeEbEEZZNS1_14partition_implILS5_8ELb0ES3_jPKaPS6_PKS6_NS0_5tupleIJPaS6_EEENSE_IJSB_SB_EEENS0_18inequality_wrapperIN6hipcub16HIPCUB_304000_NS8EqualityEEEPlJS6_EEE10hipError_tPvRmT3_T4_T5_T6_T7_T9_mT8_P12ihipStream_tbDpT10_ENKUlT_T0_E_clISt17integral_constantIbLb0EES17_EEDaS12_S13_EUlS12_E_NS1_11comp_targetILNS1_3genE0ELNS1_11target_archE4294967295ELNS1_3gpuE0ELNS1_3repE0EEENS1_30default_config_static_selectorELNS0_4arch9wavefront6targetE1EEEvT1_: ; @_ZN7rocprim17ROCPRIM_400000_NS6detail17trampoline_kernelINS0_14default_configENS1_25partition_config_selectorILNS1_17partition_subalgoE8EaNS0_10empty_typeEbEEZZNS1_14partition_implILS5_8ELb0ES3_jPKaPS6_PKS6_NS0_5tupleIJPaS6_EEENSE_IJSB_SB_EEENS0_18inequality_wrapperIN6hipcub16HIPCUB_304000_NS8EqualityEEEPlJS6_EEE10hipError_tPvRmT3_T4_T5_T6_T7_T9_mT8_P12ihipStream_tbDpT10_ENKUlT_T0_E_clISt17integral_constantIbLb0EES17_EEDaS12_S13_EUlS12_E_NS1_11comp_targetILNS1_3genE0ELNS1_11target_archE4294967295ELNS1_3gpuE0ELNS1_3repE0EEENS1_30default_config_static_selectorELNS0_4arch9wavefront6targetE1EEEvT1_
; %bb.0:
	.section	.rodata,"a",@progbits
	.p2align	6, 0x0
	.amdhsa_kernel _ZN7rocprim17ROCPRIM_400000_NS6detail17trampoline_kernelINS0_14default_configENS1_25partition_config_selectorILNS1_17partition_subalgoE8EaNS0_10empty_typeEbEEZZNS1_14partition_implILS5_8ELb0ES3_jPKaPS6_PKS6_NS0_5tupleIJPaS6_EEENSE_IJSB_SB_EEENS0_18inequality_wrapperIN6hipcub16HIPCUB_304000_NS8EqualityEEEPlJS6_EEE10hipError_tPvRmT3_T4_T5_T6_T7_T9_mT8_P12ihipStream_tbDpT10_ENKUlT_T0_E_clISt17integral_constantIbLb0EES17_EEDaS12_S13_EUlS12_E_NS1_11comp_targetILNS1_3genE0ELNS1_11target_archE4294967295ELNS1_3gpuE0ELNS1_3repE0EEENS1_30default_config_static_selectorELNS0_4arch9wavefront6targetE1EEEvT1_
		.amdhsa_group_segment_fixed_size 0
		.amdhsa_private_segment_fixed_size 0
		.amdhsa_kernarg_size 112
		.amdhsa_user_sgpr_count 6
		.amdhsa_user_sgpr_private_segment_buffer 1
		.amdhsa_user_sgpr_dispatch_ptr 0
		.amdhsa_user_sgpr_queue_ptr 0
		.amdhsa_user_sgpr_kernarg_segment_ptr 1
		.amdhsa_user_sgpr_dispatch_id 0
		.amdhsa_user_sgpr_flat_scratch_init 0
		.amdhsa_user_sgpr_kernarg_preload_length 0
		.amdhsa_user_sgpr_kernarg_preload_offset 0
		.amdhsa_user_sgpr_private_segment_size 0
		.amdhsa_uses_dynamic_stack 0
		.amdhsa_system_sgpr_private_segment_wavefront_offset 0
		.amdhsa_system_sgpr_workgroup_id_x 1
		.amdhsa_system_sgpr_workgroup_id_y 0
		.amdhsa_system_sgpr_workgroup_id_z 0
		.amdhsa_system_sgpr_workgroup_info 0
		.amdhsa_system_vgpr_workitem_id 0
		.amdhsa_next_free_vgpr 1
		.amdhsa_next_free_sgpr 0
		.amdhsa_accum_offset 4
		.amdhsa_reserve_vcc 0
		.amdhsa_reserve_flat_scratch 0
		.amdhsa_float_round_mode_32 0
		.amdhsa_float_round_mode_16_64 0
		.amdhsa_float_denorm_mode_32 3
		.amdhsa_float_denorm_mode_16_64 3
		.amdhsa_dx10_clamp 1
		.amdhsa_ieee_mode 1
		.amdhsa_fp16_overflow 0
		.amdhsa_tg_split 0
		.amdhsa_exception_fp_ieee_invalid_op 0
		.amdhsa_exception_fp_denorm_src 0
		.amdhsa_exception_fp_ieee_div_zero 0
		.amdhsa_exception_fp_ieee_overflow 0
		.amdhsa_exception_fp_ieee_underflow 0
		.amdhsa_exception_fp_ieee_inexact 0
		.amdhsa_exception_int_div_zero 0
	.end_amdhsa_kernel
	.section	.text._ZN7rocprim17ROCPRIM_400000_NS6detail17trampoline_kernelINS0_14default_configENS1_25partition_config_selectorILNS1_17partition_subalgoE8EaNS0_10empty_typeEbEEZZNS1_14partition_implILS5_8ELb0ES3_jPKaPS6_PKS6_NS0_5tupleIJPaS6_EEENSE_IJSB_SB_EEENS0_18inequality_wrapperIN6hipcub16HIPCUB_304000_NS8EqualityEEEPlJS6_EEE10hipError_tPvRmT3_T4_T5_T6_T7_T9_mT8_P12ihipStream_tbDpT10_ENKUlT_T0_E_clISt17integral_constantIbLb0EES17_EEDaS12_S13_EUlS12_E_NS1_11comp_targetILNS1_3genE0ELNS1_11target_archE4294967295ELNS1_3gpuE0ELNS1_3repE0EEENS1_30default_config_static_selectorELNS0_4arch9wavefront6targetE1EEEvT1_,"axG",@progbits,_ZN7rocprim17ROCPRIM_400000_NS6detail17trampoline_kernelINS0_14default_configENS1_25partition_config_selectorILNS1_17partition_subalgoE8EaNS0_10empty_typeEbEEZZNS1_14partition_implILS5_8ELb0ES3_jPKaPS6_PKS6_NS0_5tupleIJPaS6_EEENSE_IJSB_SB_EEENS0_18inequality_wrapperIN6hipcub16HIPCUB_304000_NS8EqualityEEEPlJS6_EEE10hipError_tPvRmT3_T4_T5_T6_T7_T9_mT8_P12ihipStream_tbDpT10_ENKUlT_T0_E_clISt17integral_constantIbLb0EES17_EEDaS12_S13_EUlS12_E_NS1_11comp_targetILNS1_3genE0ELNS1_11target_archE4294967295ELNS1_3gpuE0ELNS1_3repE0EEENS1_30default_config_static_selectorELNS0_4arch9wavefront6targetE1EEEvT1_,comdat
.Lfunc_end203:
	.size	_ZN7rocprim17ROCPRIM_400000_NS6detail17trampoline_kernelINS0_14default_configENS1_25partition_config_selectorILNS1_17partition_subalgoE8EaNS0_10empty_typeEbEEZZNS1_14partition_implILS5_8ELb0ES3_jPKaPS6_PKS6_NS0_5tupleIJPaS6_EEENSE_IJSB_SB_EEENS0_18inequality_wrapperIN6hipcub16HIPCUB_304000_NS8EqualityEEEPlJS6_EEE10hipError_tPvRmT3_T4_T5_T6_T7_T9_mT8_P12ihipStream_tbDpT10_ENKUlT_T0_E_clISt17integral_constantIbLb0EES17_EEDaS12_S13_EUlS12_E_NS1_11comp_targetILNS1_3genE0ELNS1_11target_archE4294967295ELNS1_3gpuE0ELNS1_3repE0EEENS1_30default_config_static_selectorELNS0_4arch9wavefront6targetE1EEEvT1_, .Lfunc_end203-_ZN7rocprim17ROCPRIM_400000_NS6detail17trampoline_kernelINS0_14default_configENS1_25partition_config_selectorILNS1_17partition_subalgoE8EaNS0_10empty_typeEbEEZZNS1_14partition_implILS5_8ELb0ES3_jPKaPS6_PKS6_NS0_5tupleIJPaS6_EEENSE_IJSB_SB_EEENS0_18inequality_wrapperIN6hipcub16HIPCUB_304000_NS8EqualityEEEPlJS6_EEE10hipError_tPvRmT3_T4_T5_T6_T7_T9_mT8_P12ihipStream_tbDpT10_ENKUlT_T0_E_clISt17integral_constantIbLb0EES17_EEDaS12_S13_EUlS12_E_NS1_11comp_targetILNS1_3genE0ELNS1_11target_archE4294967295ELNS1_3gpuE0ELNS1_3repE0EEENS1_30default_config_static_selectorELNS0_4arch9wavefront6targetE1EEEvT1_
                                        ; -- End function
	.section	.AMDGPU.csdata,"",@progbits
; Kernel info:
; codeLenInByte = 0
; NumSgprs: 4
; NumVgprs: 0
; NumAgprs: 0
; TotalNumVgprs: 0
; ScratchSize: 0
; MemoryBound: 0
; FloatMode: 240
; IeeeMode: 1
; LDSByteSize: 0 bytes/workgroup (compile time only)
; SGPRBlocks: 0
; VGPRBlocks: 0
; NumSGPRsForWavesPerEU: 4
; NumVGPRsForWavesPerEU: 1
; AccumOffset: 4
; Occupancy: 8
; WaveLimiterHint : 0
; COMPUTE_PGM_RSRC2:SCRATCH_EN: 0
; COMPUTE_PGM_RSRC2:USER_SGPR: 6
; COMPUTE_PGM_RSRC2:TRAP_HANDLER: 0
; COMPUTE_PGM_RSRC2:TGID_X_EN: 1
; COMPUTE_PGM_RSRC2:TGID_Y_EN: 0
; COMPUTE_PGM_RSRC2:TGID_Z_EN: 0
; COMPUTE_PGM_RSRC2:TIDIG_COMP_CNT: 0
; COMPUTE_PGM_RSRC3_GFX90A:ACCUM_OFFSET: 0
; COMPUTE_PGM_RSRC3_GFX90A:TG_SPLIT: 0
	.section	.text._ZN7rocprim17ROCPRIM_400000_NS6detail17trampoline_kernelINS0_14default_configENS1_25partition_config_selectorILNS1_17partition_subalgoE8EaNS0_10empty_typeEbEEZZNS1_14partition_implILS5_8ELb0ES3_jPKaPS6_PKS6_NS0_5tupleIJPaS6_EEENSE_IJSB_SB_EEENS0_18inequality_wrapperIN6hipcub16HIPCUB_304000_NS8EqualityEEEPlJS6_EEE10hipError_tPvRmT3_T4_T5_T6_T7_T9_mT8_P12ihipStream_tbDpT10_ENKUlT_T0_E_clISt17integral_constantIbLb0EES17_EEDaS12_S13_EUlS12_E_NS1_11comp_targetILNS1_3genE5ELNS1_11target_archE942ELNS1_3gpuE9ELNS1_3repE0EEENS1_30default_config_static_selectorELNS0_4arch9wavefront6targetE1EEEvT1_,"axG",@progbits,_ZN7rocprim17ROCPRIM_400000_NS6detail17trampoline_kernelINS0_14default_configENS1_25partition_config_selectorILNS1_17partition_subalgoE8EaNS0_10empty_typeEbEEZZNS1_14partition_implILS5_8ELb0ES3_jPKaPS6_PKS6_NS0_5tupleIJPaS6_EEENSE_IJSB_SB_EEENS0_18inequality_wrapperIN6hipcub16HIPCUB_304000_NS8EqualityEEEPlJS6_EEE10hipError_tPvRmT3_T4_T5_T6_T7_T9_mT8_P12ihipStream_tbDpT10_ENKUlT_T0_E_clISt17integral_constantIbLb0EES17_EEDaS12_S13_EUlS12_E_NS1_11comp_targetILNS1_3genE5ELNS1_11target_archE942ELNS1_3gpuE9ELNS1_3repE0EEENS1_30default_config_static_selectorELNS0_4arch9wavefront6targetE1EEEvT1_,comdat
	.protected	_ZN7rocprim17ROCPRIM_400000_NS6detail17trampoline_kernelINS0_14default_configENS1_25partition_config_selectorILNS1_17partition_subalgoE8EaNS0_10empty_typeEbEEZZNS1_14partition_implILS5_8ELb0ES3_jPKaPS6_PKS6_NS0_5tupleIJPaS6_EEENSE_IJSB_SB_EEENS0_18inequality_wrapperIN6hipcub16HIPCUB_304000_NS8EqualityEEEPlJS6_EEE10hipError_tPvRmT3_T4_T5_T6_T7_T9_mT8_P12ihipStream_tbDpT10_ENKUlT_T0_E_clISt17integral_constantIbLb0EES17_EEDaS12_S13_EUlS12_E_NS1_11comp_targetILNS1_3genE5ELNS1_11target_archE942ELNS1_3gpuE9ELNS1_3repE0EEENS1_30default_config_static_selectorELNS0_4arch9wavefront6targetE1EEEvT1_ ; -- Begin function _ZN7rocprim17ROCPRIM_400000_NS6detail17trampoline_kernelINS0_14default_configENS1_25partition_config_selectorILNS1_17partition_subalgoE8EaNS0_10empty_typeEbEEZZNS1_14partition_implILS5_8ELb0ES3_jPKaPS6_PKS6_NS0_5tupleIJPaS6_EEENSE_IJSB_SB_EEENS0_18inequality_wrapperIN6hipcub16HIPCUB_304000_NS8EqualityEEEPlJS6_EEE10hipError_tPvRmT3_T4_T5_T6_T7_T9_mT8_P12ihipStream_tbDpT10_ENKUlT_T0_E_clISt17integral_constantIbLb0EES17_EEDaS12_S13_EUlS12_E_NS1_11comp_targetILNS1_3genE5ELNS1_11target_archE942ELNS1_3gpuE9ELNS1_3repE0EEENS1_30default_config_static_selectorELNS0_4arch9wavefront6targetE1EEEvT1_
	.globl	_ZN7rocprim17ROCPRIM_400000_NS6detail17trampoline_kernelINS0_14default_configENS1_25partition_config_selectorILNS1_17partition_subalgoE8EaNS0_10empty_typeEbEEZZNS1_14partition_implILS5_8ELb0ES3_jPKaPS6_PKS6_NS0_5tupleIJPaS6_EEENSE_IJSB_SB_EEENS0_18inequality_wrapperIN6hipcub16HIPCUB_304000_NS8EqualityEEEPlJS6_EEE10hipError_tPvRmT3_T4_T5_T6_T7_T9_mT8_P12ihipStream_tbDpT10_ENKUlT_T0_E_clISt17integral_constantIbLb0EES17_EEDaS12_S13_EUlS12_E_NS1_11comp_targetILNS1_3genE5ELNS1_11target_archE942ELNS1_3gpuE9ELNS1_3repE0EEENS1_30default_config_static_selectorELNS0_4arch9wavefront6targetE1EEEvT1_
	.p2align	8
	.type	_ZN7rocprim17ROCPRIM_400000_NS6detail17trampoline_kernelINS0_14default_configENS1_25partition_config_selectorILNS1_17partition_subalgoE8EaNS0_10empty_typeEbEEZZNS1_14partition_implILS5_8ELb0ES3_jPKaPS6_PKS6_NS0_5tupleIJPaS6_EEENSE_IJSB_SB_EEENS0_18inequality_wrapperIN6hipcub16HIPCUB_304000_NS8EqualityEEEPlJS6_EEE10hipError_tPvRmT3_T4_T5_T6_T7_T9_mT8_P12ihipStream_tbDpT10_ENKUlT_T0_E_clISt17integral_constantIbLb0EES17_EEDaS12_S13_EUlS12_E_NS1_11comp_targetILNS1_3genE5ELNS1_11target_archE942ELNS1_3gpuE9ELNS1_3repE0EEENS1_30default_config_static_selectorELNS0_4arch9wavefront6targetE1EEEvT1_,@function
_ZN7rocprim17ROCPRIM_400000_NS6detail17trampoline_kernelINS0_14default_configENS1_25partition_config_selectorILNS1_17partition_subalgoE8EaNS0_10empty_typeEbEEZZNS1_14partition_implILS5_8ELb0ES3_jPKaPS6_PKS6_NS0_5tupleIJPaS6_EEENSE_IJSB_SB_EEENS0_18inequality_wrapperIN6hipcub16HIPCUB_304000_NS8EqualityEEEPlJS6_EEE10hipError_tPvRmT3_T4_T5_T6_T7_T9_mT8_P12ihipStream_tbDpT10_ENKUlT_T0_E_clISt17integral_constantIbLb0EES17_EEDaS12_S13_EUlS12_E_NS1_11comp_targetILNS1_3genE5ELNS1_11target_archE942ELNS1_3gpuE9ELNS1_3repE0EEENS1_30default_config_static_selectorELNS0_4arch9wavefront6targetE1EEEvT1_: ; @_ZN7rocprim17ROCPRIM_400000_NS6detail17trampoline_kernelINS0_14default_configENS1_25partition_config_selectorILNS1_17partition_subalgoE8EaNS0_10empty_typeEbEEZZNS1_14partition_implILS5_8ELb0ES3_jPKaPS6_PKS6_NS0_5tupleIJPaS6_EEENSE_IJSB_SB_EEENS0_18inequality_wrapperIN6hipcub16HIPCUB_304000_NS8EqualityEEEPlJS6_EEE10hipError_tPvRmT3_T4_T5_T6_T7_T9_mT8_P12ihipStream_tbDpT10_ENKUlT_T0_E_clISt17integral_constantIbLb0EES17_EEDaS12_S13_EUlS12_E_NS1_11comp_targetILNS1_3genE5ELNS1_11target_archE942ELNS1_3gpuE9ELNS1_3repE0EEENS1_30default_config_static_selectorELNS0_4arch9wavefront6targetE1EEEvT1_
; %bb.0:
	.section	.rodata,"a",@progbits
	.p2align	6, 0x0
	.amdhsa_kernel _ZN7rocprim17ROCPRIM_400000_NS6detail17trampoline_kernelINS0_14default_configENS1_25partition_config_selectorILNS1_17partition_subalgoE8EaNS0_10empty_typeEbEEZZNS1_14partition_implILS5_8ELb0ES3_jPKaPS6_PKS6_NS0_5tupleIJPaS6_EEENSE_IJSB_SB_EEENS0_18inequality_wrapperIN6hipcub16HIPCUB_304000_NS8EqualityEEEPlJS6_EEE10hipError_tPvRmT3_T4_T5_T6_T7_T9_mT8_P12ihipStream_tbDpT10_ENKUlT_T0_E_clISt17integral_constantIbLb0EES17_EEDaS12_S13_EUlS12_E_NS1_11comp_targetILNS1_3genE5ELNS1_11target_archE942ELNS1_3gpuE9ELNS1_3repE0EEENS1_30default_config_static_selectorELNS0_4arch9wavefront6targetE1EEEvT1_
		.amdhsa_group_segment_fixed_size 0
		.amdhsa_private_segment_fixed_size 0
		.amdhsa_kernarg_size 112
		.amdhsa_user_sgpr_count 6
		.amdhsa_user_sgpr_private_segment_buffer 1
		.amdhsa_user_sgpr_dispatch_ptr 0
		.amdhsa_user_sgpr_queue_ptr 0
		.amdhsa_user_sgpr_kernarg_segment_ptr 1
		.amdhsa_user_sgpr_dispatch_id 0
		.amdhsa_user_sgpr_flat_scratch_init 0
		.amdhsa_user_sgpr_kernarg_preload_length 0
		.amdhsa_user_sgpr_kernarg_preload_offset 0
		.amdhsa_user_sgpr_private_segment_size 0
		.amdhsa_uses_dynamic_stack 0
		.amdhsa_system_sgpr_private_segment_wavefront_offset 0
		.amdhsa_system_sgpr_workgroup_id_x 1
		.amdhsa_system_sgpr_workgroup_id_y 0
		.amdhsa_system_sgpr_workgroup_id_z 0
		.amdhsa_system_sgpr_workgroup_info 0
		.amdhsa_system_vgpr_workitem_id 0
		.amdhsa_next_free_vgpr 1
		.amdhsa_next_free_sgpr 0
		.amdhsa_accum_offset 4
		.amdhsa_reserve_vcc 0
		.amdhsa_reserve_flat_scratch 0
		.amdhsa_float_round_mode_32 0
		.amdhsa_float_round_mode_16_64 0
		.amdhsa_float_denorm_mode_32 3
		.amdhsa_float_denorm_mode_16_64 3
		.amdhsa_dx10_clamp 1
		.amdhsa_ieee_mode 1
		.amdhsa_fp16_overflow 0
		.amdhsa_tg_split 0
		.amdhsa_exception_fp_ieee_invalid_op 0
		.amdhsa_exception_fp_denorm_src 0
		.amdhsa_exception_fp_ieee_div_zero 0
		.amdhsa_exception_fp_ieee_overflow 0
		.amdhsa_exception_fp_ieee_underflow 0
		.amdhsa_exception_fp_ieee_inexact 0
		.amdhsa_exception_int_div_zero 0
	.end_amdhsa_kernel
	.section	.text._ZN7rocprim17ROCPRIM_400000_NS6detail17trampoline_kernelINS0_14default_configENS1_25partition_config_selectorILNS1_17partition_subalgoE8EaNS0_10empty_typeEbEEZZNS1_14partition_implILS5_8ELb0ES3_jPKaPS6_PKS6_NS0_5tupleIJPaS6_EEENSE_IJSB_SB_EEENS0_18inequality_wrapperIN6hipcub16HIPCUB_304000_NS8EqualityEEEPlJS6_EEE10hipError_tPvRmT3_T4_T5_T6_T7_T9_mT8_P12ihipStream_tbDpT10_ENKUlT_T0_E_clISt17integral_constantIbLb0EES17_EEDaS12_S13_EUlS12_E_NS1_11comp_targetILNS1_3genE5ELNS1_11target_archE942ELNS1_3gpuE9ELNS1_3repE0EEENS1_30default_config_static_selectorELNS0_4arch9wavefront6targetE1EEEvT1_,"axG",@progbits,_ZN7rocprim17ROCPRIM_400000_NS6detail17trampoline_kernelINS0_14default_configENS1_25partition_config_selectorILNS1_17partition_subalgoE8EaNS0_10empty_typeEbEEZZNS1_14partition_implILS5_8ELb0ES3_jPKaPS6_PKS6_NS0_5tupleIJPaS6_EEENSE_IJSB_SB_EEENS0_18inequality_wrapperIN6hipcub16HIPCUB_304000_NS8EqualityEEEPlJS6_EEE10hipError_tPvRmT3_T4_T5_T6_T7_T9_mT8_P12ihipStream_tbDpT10_ENKUlT_T0_E_clISt17integral_constantIbLb0EES17_EEDaS12_S13_EUlS12_E_NS1_11comp_targetILNS1_3genE5ELNS1_11target_archE942ELNS1_3gpuE9ELNS1_3repE0EEENS1_30default_config_static_selectorELNS0_4arch9wavefront6targetE1EEEvT1_,comdat
.Lfunc_end204:
	.size	_ZN7rocprim17ROCPRIM_400000_NS6detail17trampoline_kernelINS0_14default_configENS1_25partition_config_selectorILNS1_17partition_subalgoE8EaNS0_10empty_typeEbEEZZNS1_14partition_implILS5_8ELb0ES3_jPKaPS6_PKS6_NS0_5tupleIJPaS6_EEENSE_IJSB_SB_EEENS0_18inequality_wrapperIN6hipcub16HIPCUB_304000_NS8EqualityEEEPlJS6_EEE10hipError_tPvRmT3_T4_T5_T6_T7_T9_mT8_P12ihipStream_tbDpT10_ENKUlT_T0_E_clISt17integral_constantIbLb0EES17_EEDaS12_S13_EUlS12_E_NS1_11comp_targetILNS1_3genE5ELNS1_11target_archE942ELNS1_3gpuE9ELNS1_3repE0EEENS1_30default_config_static_selectorELNS0_4arch9wavefront6targetE1EEEvT1_, .Lfunc_end204-_ZN7rocprim17ROCPRIM_400000_NS6detail17trampoline_kernelINS0_14default_configENS1_25partition_config_selectorILNS1_17partition_subalgoE8EaNS0_10empty_typeEbEEZZNS1_14partition_implILS5_8ELb0ES3_jPKaPS6_PKS6_NS0_5tupleIJPaS6_EEENSE_IJSB_SB_EEENS0_18inequality_wrapperIN6hipcub16HIPCUB_304000_NS8EqualityEEEPlJS6_EEE10hipError_tPvRmT3_T4_T5_T6_T7_T9_mT8_P12ihipStream_tbDpT10_ENKUlT_T0_E_clISt17integral_constantIbLb0EES17_EEDaS12_S13_EUlS12_E_NS1_11comp_targetILNS1_3genE5ELNS1_11target_archE942ELNS1_3gpuE9ELNS1_3repE0EEENS1_30default_config_static_selectorELNS0_4arch9wavefront6targetE1EEEvT1_
                                        ; -- End function
	.section	.AMDGPU.csdata,"",@progbits
; Kernel info:
; codeLenInByte = 0
; NumSgprs: 4
; NumVgprs: 0
; NumAgprs: 0
; TotalNumVgprs: 0
; ScratchSize: 0
; MemoryBound: 0
; FloatMode: 240
; IeeeMode: 1
; LDSByteSize: 0 bytes/workgroup (compile time only)
; SGPRBlocks: 0
; VGPRBlocks: 0
; NumSGPRsForWavesPerEU: 4
; NumVGPRsForWavesPerEU: 1
; AccumOffset: 4
; Occupancy: 8
; WaveLimiterHint : 0
; COMPUTE_PGM_RSRC2:SCRATCH_EN: 0
; COMPUTE_PGM_RSRC2:USER_SGPR: 6
; COMPUTE_PGM_RSRC2:TRAP_HANDLER: 0
; COMPUTE_PGM_RSRC2:TGID_X_EN: 1
; COMPUTE_PGM_RSRC2:TGID_Y_EN: 0
; COMPUTE_PGM_RSRC2:TGID_Z_EN: 0
; COMPUTE_PGM_RSRC2:TIDIG_COMP_CNT: 0
; COMPUTE_PGM_RSRC3_GFX90A:ACCUM_OFFSET: 0
; COMPUTE_PGM_RSRC3_GFX90A:TG_SPLIT: 0
	.section	.text._ZN7rocprim17ROCPRIM_400000_NS6detail17trampoline_kernelINS0_14default_configENS1_25partition_config_selectorILNS1_17partition_subalgoE8EaNS0_10empty_typeEbEEZZNS1_14partition_implILS5_8ELb0ES3_jPKaPS6_PKS6_NS0_5tupleIJPaS6_EEENSE_IJSB_SB_EEENS0_18inequality_wrapperIN6hipcub16HIPCUB_304000_NS8EqualityEEEPlJS6_EEE10hipError_tPvRmT3_T4_T5_T6_T7_T9_mT8_P12ihipStream_tbDpT10_ENKUlT_T0_E_clISt17integral_constantIbLb0EES17_EEDaS12_S13_EUlS12_E_NS1_11comp_targetILNS1_3genE4ELNS1_11target_archE910ELNS1_3gpuE8ELNS1_3repE0EEENS1_30default_config_static_selectorELNS0_4arch9wavefront6targetE1EEEvT1_,"axG",@progbits,_ZN7rocprim17ROCPRIM_400000_NS6detail17trampoline_kernelINS0_14default_configENS1_25partition_config_selectorILNS1_17partition_subalgoE8EaNS0_10empty_typeEbEEZZNS1_14partition_implILS5_8ELb0ES3_jPKaPS6_PKS6_NS0_5tupleIJPaS6_EEENSE_IJSB_SB_EEENS0_18inequality_wrapperIN6hipcub16HIPCUB_304000_NS8EqualityEEEPlJS6_EEE10hipError_tPvRmT3_T4_T5_T6_T7_T9_mT8_P12ihipStream_tbDpT10_ENKUlT_T0_E_clISt17integral_constantIbLb0EES17_EEDaS12_S13_EUlS12_E_NS1_11comp_targetILNS1_3genE4ELNS1_11target_archE910ELNS1_3gpuE8ELNS1_3repE0EEENS1_30default_config_static_selectorELNS0_4arch9wavefront6targetE1EEEvT1_,comdat
	.protected	_ZN7rocprim17ROCPRIM_400000_NS6detail17trampoline_kernelINS0_14default_configENS1_25partition_config_selectorILNS1_17partition_subalgoE8EaNS0_10empty_typeEbEEZZNS1_14partition_implILS5_8ELb0ES3_jPKaPS6_PKS6_NS0_5tupleIJPaS6_EEENSE_IJSB_SB_EEENS0_18inequality_wrapperIN6hipcub16HIPCUB_304000_NS8EqualityEEEPlJS6_EEE10hipError_tPvRmT3_T4_T5_T6_T7_T9_mT8_P12ihipStream_tbDpT10_ENKUlT_T0_E_clISt17integral_constantIbLb0EES17_EEDaS12_S13_EUlS12_E_NS1_11comp_targetILNS1_3genE4ELNS1_11target_archE910ELNS1_3gpuE8ELNS1_3repE0EEENS1_30default_config_static_selectorELNS0_4arch9wavefront6targetE1EEEvT1_ ; -- Begin function _ZN7rocprim17ROCPRIM_400000_NS6detail17trampoline_kernelINS0_14default_configENS1_25partition_config_selectorILNS1_17partition_subalgoE8EaNS0_10empty_typeEbEEZZNS1_14partition_implILS5_8ELb0ES3_jPKaPS6_PKS6_NS0_5tupleIJPaS6_EEENSE_IJSB_SB_EEENS0_18inequality_wrapperIN6hipcub16HIPCUB_304000_NS8EqualityEEEPlJS6_EEE10hipError_tPvRmT3_T4_T5_T6_T7_T9_mT8_P12ihipStream_tbDpT10_ENKUlT_T0_E_clISt17integral_constantIbLb0EES17_EEDaS12_S13_EUlS12_E_NS1_11comp_targetILNS1_3genE4ELNS1_11target_archE910ELNS1_3gpuE8ELNS1_3repE0EEENS1_30default_config_static_selectorELNS0_4arch9wavefront6targetE1EEEvT1_
	.globl	_ZN7rocprim17ROCPRIM_400000_NS6detail17trampoline_kernelINS0_14default_configENS1_25partition_config_selectorILNS1_17partition_subalgoE8EaNS0_10empty_typeEbEEZZNS1_14partition_implILS5_8ELb0ES3_jPKaPS6_PKS6_NS0_5tupleIJPaS6_EEENSE_IJSB_SB_EEENS0_18inequality_wrapperIN6hipcub16HIPCUB_304000_NS8EqualityEEEPlJS6_EEE10hipError_tPvRmT3_T4_T5_T6_T7_T9_mT8_P12ihipStream_tbDpT10_ENKUlT_T0_E_clISt17integral_constantIbLb0EES17_EEDaS12_S13_EUlS12_E_NS1_11comp_targetILNS1_3genE4ELNS1_11target_archE910ELNS1_3gpuE8ELNS1_3repE0EEENS1_30default_config_static_selectorELNS0_4arch9wavefront6targetE1EEEvT1_
	.p2align	8
	.type	_ZN7rocprim17ROCPRIM_400000_NS6detail17trampoline_kernelINS0_14default_configENS1_25partition_config_selectorILNS1_17partition_subalgoE8EaNS0_10empty_typeEbEEZZNS1_14partition_implILS5_8ELb0ES3_jPKaPS6_PKS6_NS0_5tupleIJPaS6_EEENSE_IJSB_SB_EEENS0_18inequality_wrapperIN6hipcub16HIPCUB_304000_NS8EqualityEEEPlJS6_EEE10hipError_tPvRmT3_T4_T5_T6_T7_T9_mT8_P12ihipStream_tbDpT10_ENKUlT_T0_E_clISt17integral_constantIbLb0EES17_EEDaS12_S13_EUlS12_E_NS1_11comp_targetILNS1_3genE4ELNS1_11target_archE910ELNS1_3gpuE8ELNS1_3repE0EEENS1_30default_config_static_selectorELNS0_4arch9wavefront6targetE1EEEvT1_,@function
_ZN7rocprim17ROCPRIM_400000_NS6detail17trampoline_kernelINS0_14default_configENS1_25partition_config_selectorILNS1_17partition_subalgoE8EaNS0_10empty_typeEbEEZZNS1_14partition_implILS5_8ELb0ES3_jPKaPS6_PKS6_NS0_5tupleIJPaS6_EEENSE_IJSB_SB_EEENS0_18inequality_wrapperIN6hipcub16HIPCUB_304000_NS8EqualityEEEPlJS6_EEE10hipError_tPvRmT3_T4_T5_T6_T7_T9_mT8_P12ihipStream_tbDpT10_ENKUlT_T0_E_clISt17integral_constantIbLb0EES17_EEDaS12_S13_EUlS12_E_NS1_11comp_targetILNS1_3genE4ELNS1_11target_archE910ELNS1_3gpuE8ELNS1_3repE0EEENS1_30default_config_static_selectorELNS0_4arch9wavefront6targetE1EEEvT1_: ; @_ZN7rocprim17ROCPRIM_400000_NS6detail17trampoline_kernelINS0_14default_configENS1_25partition_config_selectorILNS1_17partition_subalgoE8EaNS0_10empty_typeEbEEZZNS1_14partition_implILS5_8ELb0ES3_jPKaPS6_PKS6_NS0_5tupleIJPaS6_EEENSE_IJSB_SB_EEENS0_18inequality_wrapperIN6hipcub16HIPCUB_304000_NS8EqualityEEEPlJS6_EEE10hipError_tPvRmT3_T4_T5_T6_T7_T9_mT8_P12ihipStream_tbDpT10_ENKUlT_T0_E_clISt17integral_constantIbLb0EES17_EEDaS12_S13_EUlS12_E_NS1_11comp_targetILNS1_3genE4ELNS1_11target_archE910ELNS1_3gpuE8ELNS1_3repE0EEENS1_30default_config_static_selectorELNS0_4arch9wavefront6targetE1EEEvT1_
; %bb.0:
	s_load_dwordx2 s[8:9], s[4:5], 0x50
	s_load_dwordx4 s[0:3], s[4:5], 0x8
	s_load_dwordx4 s[20:23], s[4:5], 0x40
	s_load_dword s10, s[4:5], 0x68
	v_mov_b32_e32 v1, v0
	s_waitcnt lgkmcnt(0)
	v_mov_b32_e32 v3, s9
	s_add_u32 s9, s0, s2
	s_addc_u32 s14, s1, s3
	s_add_i32 s11, s10, -1
	s_lshl_b32 s0, s11, 12
	s_lshl_b32 s15, s6, 12
	s_add_i32 s7, s2, s0
	s_lshl_b32 s0, s10, 12
	s_add_u32 s0, s2, s0
	s_addc_u32 s1, s3, 0
	v_mov_b32_e32 v2, s8
	s_cmp_eq_u32 s6, s11
	s_load_dwordx2 s[22:23], s[22:23], 0x0
	v_cmp_ge_u64_e32 vcc, s[0:1], v[2:3]
	s_cselect_b64 s[24:25], -1, 0
	s_and_b64 s[12:13], s[24:25], vcc
	s_xor_b64 s[26:27], s[12:13], -1
	s_add_u32 s0, s9, s15
	s_mov_b64 s[10:11], -1
	s_addc_u32 s1, s14, 0
	s_and_b64 vcc, exec, s[26:27]
	s_cbranch_vccz .LBB205_2
; %bb.1:
	global_load_ubyte v2, v0, s[0:1]
	global_load_ubyte v3, v0, s[0:1] offset:128
	global_load_ubyte v4, v0, s[0:1] offset:256
	;; [unrolled: 1-line block ×31, first 2 shown]
	s_mov_b64 s[10:11], 0
	s_waitcnt vmcnt(31)
	ds_write_b8 v0, v2
	s_waitcnt vmcnt(30)
	ds_write_b8 v0, v3 offset:132
	s_waitcnt vmcnt(29)
	ds_write_b8 v0, v4 offset:264
	;; [unrolled: 2-line block ×31, first 2 shown]
	s_waitcnt lgkmcnt(0)
	s_barrier
.LBB205_2:
	s_andn2_b64 vcc, exec, s[10:11]
	s_sub_i32 s7, s8, s7
	s_cbranch_vccnz .LBB205_68
; %bb.3:
	v_cmp_gt_u32_e32 vcc, s7, v0
                                        ; implicit-def: $vgpr2
	s_and_saveexec_b64 s[8:9], vcc
	s_cbranch_execz .LBB205_5
; %bb.4:
	global_load_ubyte v2, v0, s[0:1]
.LBB205_5:
	s_or_b64 exec, exec, s[8:9]
	v_or_b32_e32 v3, 0x80, v0
	v_cmp_gt_u32_e32 vcc, s7, v3
                                        ; implicit-def: $vgpr4
	s_and_saveexec_b64 s[8:9], vcc
	s_cbranch_execz .LBB205_7
; %bb.6:
	global_load_ubyte v4, v0, s[0:1] offset:128
.LBB205_7:
	s_or_b64 exec, exec, s[8:9]
	v_or_b32_e32 v5, 0x100, v0
	v_cmp_gt_u32_e32 vcc, s7, v5
                                        ; implicit-def: $vgpr6
	s_and_saveexec_b64 s[8:9], vcc
	s_cbranch_execz .LBB205_9
; %bb.8:
	global_load_ubyte v6, v0, s[0:1] offset:256
.LBB205_9:
	s_or_b64 exec, exec, s[8:9]
	v_or_b32_e32 v7, 0x180, v0
	v_cmp_gt_u32_e32 vcc, s7, v7
                                        ; implicit-def: $vgpr8
	s_and_saveexec_b64 s[8:9], vcc
	s_cbranch_execz .LBB205_11
; %bb.10:
	global_load_ubyte v8, v0, s[0:1] offset:384
.LBB205_11:
	s_or_b64 exec, exec, s[8:9]
	v_or_b32_e32 v9, 0x200, v0
	v_cmp_gt_u32_e32 vcc, s7, v9
                                        ; implicit-def: $vgpr10
	s_and_saveexec_b64 s[8:9], vcc
	s_cbranch_execz .LBB205_13
; %bb.12:
	global_load_ubyte v10, v0, s[0:1] offset:512
.LBB205_13:
	s_or_b64 exec, exec, s[8:9]
	v_or_b32_e32 v11, 0x280, v0
	v_cmp_gt_u32_e32 vcc, s7, v11
                                        ; implicit-def: $vgpr12
	s_and_saveexec_b64 s[8:9], vcc
	s_cbranch_execz .LBB205_15
; %bb.14:
	global_load_ubyte v12, v0, s[0:1] offset:640
.LBB205_15:
	s_or_b64 exec, exec, s[8:9]
	v_or_b32_e32 v13, 0x300, v0
	v_cmp_gt_u32_e32 vcc, s7, v13
                                        ; implicit-def: $vgpr14
	s_and_saveexec_b64 s[8:9], vcc
	s_cbranch_execz .LBB205_17
; %bb.16:
	global_load_ubyte v14, v0, s[0:1] offset:768
.LBB205_17:
	s_or_b64 exec, exec, s[8:9]
	v_or_b32_e32 v15, 0x380, v0
	v_cmp_gt_u32_e32 vcc, s7, v15
                                        ; implicit-def: $vgpr16
	s_and_saveexec_b64 s[8:9], vcc
	s_cbranch_execz .LBB205_19
; %bb.18:
	global_load_ubyte v16, v0, s[0:1] offset:896
.LBB205_19:
	s_or_b64 exec, exec, s[8:9]
	v_or_b32_e32 v17, 0x400, v0
	v_cmp_gt_u32_e32 vcc, s7, v17
                                        ; implicit-def: $vgpr18
	s_and_saveexec_b64 s[8:9], vcc
	s_cbranch_execz .LBB205_21
; %bb.20:
	global_load_ubyte v18, v0, s[0:1] offset:1024
.LBB205_21:
	s_or_b64 exec, exec, s[8:9]
	v_or_b32_e32 v19, 0x480, v0
	v_cmp_gt_u32_e32 vcc, s7, v19
                                        ; implicit-def: $vgpr20
	s_and_saveexec_b64 s[8:9], vcc
	s_cbranch_execz .LBB205_23
; %bb.22:
	global_load_ubyte v20, v0, s[0:1] offset:1152
.LBB205_23:
	s_or_b64 exec, exec, s[8:9]
	v_or_b32_e32 v21, 0x500, v0
	v_cmp_gt_u32_e32 vcc, s7, v21
                                        ; implicit-def: $vgpr22
	s_and_saveexec_b64 s[8:9], vcc
	s_cbranch_execz .LBB205_25
; %bb.24:
	global_load_ubyte v22, v0, s[0:1] offset:1280
.LBB205_25:
	s_or_b64 exec, exec, s[8:9]
	v_or_b32_e32 v23, 0x580, v0
	v_cmp_gt_u32_e32 vcc, s7, v23
                                        ; implicit-def: $vgpr24
	s_and_saveexec_b64 s[8:9], vcc
	s_cbranch_execz .LBB205_27
; %bb.26:
	global_load_ubyte v24, v0, s[0:1] offset:1408
.LBB205_27:
	s_or_b64 exec, exec, s[8:9]
	v_or_b32_e32 v25, 0x600, v0
	v_cmp_gt_u32_e32 vcc, s7, v25
                                        ; implicit-def: $vgpr26
	s_and_saveexec_b64 s[8:9], vcc
	s_cbranch_execz .LBB205_29
; %bb.28:
	global_load_ubyte v26, v0, s[0:1] offset:1536
.LBB205_29:
	s_or_b64 exec, exec, s[8:9]
	v_or_b32_e32 v27, 0x680, v0
	v_cmp_gt_u32_e32 vcc, s7, v27
                                        ; implicit-def: $vgpr28
	s_and_saveexec_b64 s[8:9], vcc
	s_cbranch_execz .LBB205_31
; %bb.30:
	global_load_ubyte v28, v0, s[0:1] offset:1664
.LBB205_31:
	s_or_b64 exec, exec, s[8:9]
	v_or_b32_e32 v29, 0x700, v0
	v_cmp_gt_u32_e32 vcc, s7, v29
                                        ; implicit-def: $vgpr30
	s_and_saveexec_b64 s[8:9], vcc
	s_cbranch_execz .LBB205_33
; %bb.32:
	global_load_ubyte v30, v0, s[0:1] offset:1792
.LBB205_33:
	s_or_b64 exec, exec, s[8:9]
	v_or_b32_e32 v31, 0x780, v0
	v_cmp_gt_u32_e32 vcc, s7, v31
                                        ; implicit-def: $vgpr32
	s_and_saveexec_b64 s[8:9], vcc
	s_cbranch_execz .LBB205_35
; %bb.34:
	global_load_ubyte v32, v0, s[0:1] offset:1920
.LBB205_35:
	s_or_b64 exec, exec, s[8:9]
	v_or_b32_e32 v33, 0x800, v0
	v_cmp_gt_u32_e32 vcc, s7, v33
                                        ; implicit-def: $vgpr34
	s_and_saveexec_b64 s[8:9], vcc
	s_cbranch_execz .LBB205_37
; %bb.36:
	global_load_ubyte v34, v0, s[0:1] offset:2048
.LBB205_37:
	s_or_b64 exec, exec, s[8:9]
	v_or_b32_e32 v35, 0x880, v0
	v_cmp_gt_u32_e32 vcc, s7, v35
                                        ; implicit-def: $vgpr36
	s_and_saveexec_b64 s[8:9], vcc
	s_cbranch_execz .LBB205_39
; %bb.38:
	global_load_ubyte v36, v0, s[0:1] offset:2176
.LBB205_39:
	s_or_b64 exec, exec, s[8:9]
	v_or_b32_e32 v37, 0x900, v0
	v_cmp_gt_u32_e32 vcc, s7, v37
                                        ; implicit-def: $vgpr38
	s_and_saveexec_b64 s[8:9], vcc
	s_cbranch_execz .LBB205_41
; %bb.40:
	global_load_ubyte v38, v0, s[0:1] offset:2304
.LBB205_41:
	s_or_b64 exec, exec, s[8:9]
	v_or_b32_e32 v39, 0x980, v0
	v_cmp_gt_u32_e32 vcc, s7, v39
                                        ; implicit-def: $vgpr40
	s_and_saveexec_b64 s[8:9], vcc
	s_cbranch_execz .LBB205_43
; %bb.42:
	global_load_ubyte v40, v0, s[0:1] offset:2432
.LBB205_43:
	s_or_b64 exec, exec, s[8:9]
	v_or_b32_e32 v41, 0xa00, v0
	v_cmp_gt_u32_e32 vcc, s7, v41
                                        ; implicit-def: $vgpr42
	s_and_saveexec_b64 s[8:9], vcc
	s_cbranch_execz .LBB205_45
; %bb.44:
	global_load_ubyte v42, v0, s[0:1] offset:2560
.LBB205_45:
	s_or_b64 exec, exec, s[8:9]
	v_or_b32_e32 v43, 0xa80, v0
	v_cmp_gt_u32_e32 vcc, s7, v43
                                        ; implicit-def: $vgpr44
	s_and_saveexec_b64 s[8:9], vcc
	s_cbranch_execz .LBB205_47
; %bb.46:
	global_load_ubyte v44, v0, s[0:1] offset:2688
.LBB205_47:
	s_or_b64 exec, exec, s[8:9]
	v_or_b32_e32 v45, 0xb00, v0
	v_cmp_gt_u32_e32 vcc, s7, v45
                                        ; implicit-def: $vgpr46
	s_and_saveexec_b64 s[8:9], vcc
	s_cbranch_execz .LBB205_49
; %bb.48:
	global_load_ubyte v46, v0, s[0:1] offset:2816
.LBB205_49:
	s_or_b64 exec, exec, s[8:9]
	v_or_b32_e32 v47, 0xb80, v0
	v_cmp_gt_u32_e32 vcc, s7, v47
                                        ; implicit-def: $vgpr48
	s_and_saveexec_b64 s[8:9], vcc
	s_cbranch_execz .LBB205_51
; %bb.50:
	global_load_ubyte v48, v0, s[0:1] offset:2944
.LBB205_51:
	s_or_b64 exec, exec, s[8:9]
	v_or_b32_e32 v49, 0xc00, v0
	v_cmp_gt_u32_e32 vcc, s7, v49
                                        ; implicit-def: $vgpr50
	s_and_saveexec_b64 s[8:9], vcc
	s_cbranch_execz .LBB205_53
; %bb.52:
	global_load_ubyte v50, v0, s[0:1] offset:3072
.LBB205_53:
	s_or_b64 exec, exec, s[8:9]
	v_or_b32_e32 v51, 0xc80, v0
	v_cmp_gt_u32_e32 vcc, s7, v51
                                        ; implicit-def: $vgpr52
	s_and_saveexec_b64 s[8:9], vcc
	s_cbranch_execz .LBB205_55
; %bb.54:
	global_load_ubyte v52, v0, s[0:1] offset:3200
.LBB205_55:
	s_or_b64 exec, exec, s[8:9]
	v_or_b32_e32 v53, 0xd00, v0
	v_cmp_gt_u32_e32 vcc, s7, v53
                                        ; implicit-def: $vgpr54
	s_and_saveexec_b64 s[8:9], vcc
	s_cbranch_execz .LBB205_57
; %bb.56:
	global_load_ubyte v54, v0, s[0:1] offset:3328
.LBB205_57:
	s_or_b64 exec, exec, s[8:9]
	v_or_b32_e32 v55, 0xd80, v0
	v_cmp_gt_u32_e32 vcc, s7, v55
                                        ; implicit-def: $vgpr56
	s_and_saveexec_b64 s[8:9], vcc
	s_cbranch_execz .LBB205_59
; %bb.58:
	global_load_ubyte v56, v0, s[0:1] offset:3456
.LBB205_59:
	s_or_b64 exec, exec, s[8:9]
	v_or_b32_e32 v57, 0xe00, v0
	v_cmp_gt_u32_e32 vcc, s7, v57
                                        ; implicit-def: $vgpr58
	s_and_saveexec_b64 s[8:9], vcc
	s_cbranch_execz .LBB205_61
; %bb.60:
	global_load_ubyte v58, v0, s[0:1] offset:3584
.LBB205_61:
	s_or_b64 exec, exec, s[8:9]
	v_or_b32_e32 v59, 0xe80, v0
	v_cmp_gt_u32_e32 vcc, s7, v59
                                        ; implicit-def: $vgpr60
	s_and_saveexec_b64 s[8:9], vcc
	s_cbranch_execz .LBB205_63
; %bb.62:
	global_load_ubyte v60, v0, s[0:1] offset:3712
.LBB205_63:
	s_or_b64 exec, exec, s[8:9]
	v_or_b32_e32 v61, 0xf00, v0
	v_cmp_gt_u32_e32 vcc, s7, v61
                                        ; implicit-def: $vgpr62
	s_and_saveexec_b64 s[8:9], vcc
	s_cbranch_execz .LBB205_65
; %bb.64:
	global_load_ubyte v62, v0, s[0:1] offset:3840
.LBB205_65:
	s_or_b64 exec, exec, s[8:9]
	v_or_b32_e32 v63, 0xf80, v0
	v_cmp_gt_u32_e32 vcc, s7, v63
                                        ; implicit-def: $vgpr64
	s_and_saveexec_b64 s[8:9], vcc
	s_cbranch_execz .LBB205_67
; %bb.66:
	global_load_ubyte v64, v0, s[0:1] offset:3968
.LBB205_67:
	s_or_b64 exec, exec, s[8:9]
	s_waitcnt vmcnt(0)
	ds_write_b8 v0, v2
	v_lshrrev_b32_e32 v2, 5, v3
	v_and_b32_e32 v2, 4, v2
	v_add_u32_e32 v2, v0, v2
	ds_write_b8 v2, v4 offset:128
	v_lshrrev_b32_e32 v2, 5, v5
	v_and_b32_e32 v2, 12, v2
	v_add_u32_e32 v2, v0, v2
	ds_write_b8 v2, v6 offset:256
	v_lshrrev_b32_e32 v2, 5, v7
	v_and_b32_e32 v2, 12, v2
	v_add_u32_e32 v2, v0, v2
	ds_write_b8 v2, v8 offset:384
	v_lshrrev_b32_e32 v2, 5, v9
	v_and_b32_e32 v2, 28, v2
	v_add_u32_e32 v2, v0, v2
	ds_write_b8 v2, v10 offset:512
	v_lshrrev_b32_e32 v2, 5, v11
	v_and_b32_e32 v2, 28, v2
	v_add_u32_e32 v2, v0, v2
	ds_write_b8 v2, v12 offset:640
	v_lshrrev_b32_e32 v2, 5, v13
	v_and_b32_e32 v2, 28, v2
	v_add_u32_e32 v2, v0, v2
	ds_write_b8 v2, v14 offset:768
	v_lshrrev_b32_e32 v2, 5, v15
	v_and_b32_e32 v2, 28, v2
	v_add_u32_e32 v2, v0, v2
	ds_write_b8 v2, v16 offset:896
	v_lshrrev_b32_e32 v2, 5, v17
	v_and_b32_e32 v2, 60, v2
	v_add_u32_e32 v2, v0, v2
	ds_write_b8 v2, v18 offset:1024
	v_lshrrev_b32_e32 v2, 5, v19
	v_and_b32_e32 v2, 60, v2
	v_add_u32_e32 v2, v0, v2
	ds_write_b8 v2, v20 offset:1152
	v_lshrrev_b32_e32 v2, 5, v21
	v_and_b32_e32 v2, 60, v2
	v_add_u32_e32 v2, v0, v2
	ds_write_b8 v2, v22 offset:1280
	v_lshrrev_b32_e32 v2, 5, v23
	v_and_b32_e32 v2, 60, v2
	v_add_u32_e32 v2, v0, v2
	ds_write_b8 v2, v24 offset:1408
	v_lshrrev_b32_e32 v2, 5, v25
	v_and_b32_e32 v2, 60, v2
	v_add_u32_e32 v2, v0, v2
	ds_write_b8 v2, v26 offset:1536
	v_lshrrev_b32_e32 v2, 5, v27
	v_and_b32_e32 v2, 60, v2
	v_add_u32_e32 v2, v0, v2
	ds_write_b8 v2, v28 offset:1664
	v_lshrrev_b32_e32 v2, 5, v29
	v_and_b32_e32 v2, 60, v2
	v_add_u32_e32 v2, v0, v2
	ds_write_b8 v2, v30 offset:1792
	v_lshrrev_b32_e32 v2, 5, v31
	v_and_b32_e32 v2, 60, v2
	v_add_u32_e32 v2, v0, v2
	ds_write_b8 v2, v32 offset:1920
	v_lshrrev_b32_e32 v2, 5, v33
	v_and_b32_e32 v2, 0x5c, v2
	v_add_u32_e32 v2, v0, v2
	ds_write_b8 v2, v34 offset:2048
	v_lshrrev_b32_e32 v2, 5, v35
	v_and_b32_e32 v2, 0x7c, v2
	v_add_u32_e32 v2, v0, v2
	ds_write_b8 v2, v36 offset:2176
	v_lshrrev_b32_e32 v2, 5, v37
	v_and_b32_e32 v2, 0x7c, v2
	v_add_u32_e32 v2, v0, v2
	ds_write_b8 v2, v38 offset:2304
	v_lshrrev_b32_e32 v2, 5, v39
	v_and_b32_e32 v2, 0x7c, v2
	v_add_u32_e32 v2, v0, v2
	ds_write_b8 v2, v40 offset:2432
	v_lshrrev_b32_e32 v2, 5, v41
	v_and_b32_e32 v2, 0x7c, v2
	v_add_u32_e32 v2, v0, v2
	ds_write_b8 v2, v42 offset:2560
	v_lshrrev_b32_e32 v2, 5, v43
	v_and_b32_e32 v2, 0x7c, v2
	v_add_u32_e32 v2, v0, v2
	ds_write_b8 v2, v44 offset:2688
	v_lshrrev_b32_e32 v2, 5, v45
	v_and_b32_e32 v2, 0x7c, v2
	v_add_u32_e32 v2, v0, v2
	ds_write_b8 v2, v46 offset:2816
	v_lshrrev_b32_e32 v2, 5, v47
	v_and_b32_e32 v2, 0x7c, v2
	v_add_u32_e32 v2, v0, v2
	ds_write_b8 v2, v48 offset:2944
	v_lshrrev_b32_e32 v2, 5, v49
	v_and_b32_e32 v2, 0x7c, v2
	v_add_u32_e32 v2, v0, v2
	ds_write_b8 v2, v50 offset:3072
	v_lshrrev_b32_e32 v2, 5, v51
	v_and_b32_e32 v2, 0x7c, v2
	v_add_u32_e32 v2, v0, v2
	ds_write_b8 v2, v52 offset:3200
	v_lshrrev_b32_e32 v2, 5, v53
	v_and_b32_e32 v2, 0x7c, v2
	v_add_u32_e32 v2, v0, v2
	ds_write_b8 v2, v54 offset:3328
	v_lshrrev_b32_e32 v2, 5, v55
	v_and_b32_e32 v2, 0x7c, v2
	v_add_u32_e32 v2, v0, v2
	ds_write_b8 v2, v56 offset:3456
	v_lshrrev_b32_e32 v2, 5, v57
	v_and_b32_e32 v2, 0x7c, v2
	v_add_u32_e32 v2, v0, v2
	ds_write_b8 v2, v58 offset:3584
	v_lshrrev_b32_e32 v2, 5, v59
	v_and_b32_e32 v2, 0x7c, v2
	v_add_u32_e32 v2, v0, v2
	ds_write_b8 v2, v60 offset:3712
	v_lshrrev_b32_e32 v2, 5, v61
	v_and_b32_e32 v2, 0x7c, v2
	v_add_u32_e32 v2, v0, v2
	ds_write_b8 v2, v62 offset:3840
	v_lshrrev_b32_e32 v2, 5, v63
	v_and_b32_e32 v2, 0x7c, v2
	v_add_u32_e32 v2, v0, v2
	ds_write_b8 v2, v64 offset:3968
	s_waitcnt lgkmcnt(0)
	s_barrier
.LBB205_68:
	v_lshlrev_b32_e32 v10, 5, v0
	v_and_b32_e32 v2, 0x7c, v0
	v_add_u32_e32 v4, v2, v10
	s_waitcnt lgkmcnt(0)
	ds_read2_b32 v[2:3], v4 offset0:6 offset1:7
	ds_read2_b32 v[8:9], v4 offset1:1
	ds_read2_b32 v[6:7], v4 offset0:2 offset1:3
	ds_read2_b32 v[4:5], v4 offset0:4 offset1:5
	s_cmp_lg_u32 s6, 0
	s_cselect_b64 s[16:17], -1, 0
	s_cmp_lg_u64 s[2:3], 0
	s_cselect_b64 s[2:3], -1, 0
	s_or_b64 s[2:3], s[16:17], s[2:3]
	s_waitcnt lgkmcnt(3)
	v_lshrrev_b32_e32 v25, 8, v2
	v_lshrrev_b32_e32 v24, 16, v2
	v_lshrrev_b32_e32 v23, 24, v2
	v_lshrrev_b32_e32 v22, 8, v3
	v_lshrrev_b32_e32 v21, 16, v3
	v_lshrrev_b32_e32 v20, 24, v3
	s_waitcnt lgkmcnt(2)
	v_lshrrev_b32_e32 v50, 8, v8
	v_lshrrev_b32_e32 v48, 16, v8
	v_lshrrev_b32_e32 v47, 24, v8
	v_lshrrev_b32_e32 v45, 8, v9
	v_lshrrev_b32_e32 v43, 16, v9
	v_lshrrev_b32_e32 v42, 24, v9
	;; [unrolled: 7-line block ×4, first 2 shown]
	s_mov_b64 s[14:15], 0
	s_and_b64 vcc, exec, s[2:3]
	s_barrier
	s_cbranch_vccz .LBB205_73
; %bb.69:
	v_mov_b32_e32 v11, 0
	global_load_ubyte v11, v11, s[0:1] offset:-1
	s_and_b64 vcc, exec, s[26:27]
	ds_write_b8 v0, v20
	s_cbranch_vccz .LBB205_75
; %bb.70:
	v_cmp_ne_u32_e32 vcc, 0, v0
	s_waitcnt vmcnt(0)
	v_mov_b32_e32 v12, v11
	s_waitcnt lgkmcnt(0)
	s_barrier
	s_and_saveexec_b64 s[0:1], vcc
	s_cbranch_execz .LBB205_72
; %bb.71:
	v_add_u32_e32 v12, -1, v0
	ds_read_u8 v12, v12
.LBB205_72:
	s_or_b64 exec, exec, s[0:1]
	v_cmp_ne_u16_sdwa s[0:1], v21, v20 src0_sel:BYTE_0 src1_sel:DWORD
	v_cndmask_b32_e64 v34, 0, 1, s[0:1]
	v_cmp_ne_u16_sdwa s[0:1], v22, v21 src0_sel:BYTE_0 src1_sel:BYTE_0
	v_cndmask_b32_e64 v36, 0, 1, s[0:1]
	v_cmp_ne_u16_sdwa s[0:1], v3, v22 src0_sel:BYTE_0 src1_sel:BYTE_0
	v_cndmask_b32_e64 v39, 0, 1, s[0:1]
	v_cmp_ne_u16_sdwa s[0:1], v23, v3 src0_sel:DWORD src1_sel:BYTE_0
	v_cndmask_b32_e64 v41, 0, 1, s[0:1]
	v_cmp_ne_u16_sdwa s[0:1], v24, v23 src0_sel:BYTE_0 src1_sel:DWORD
	v_cndmask_b32_e64 v44, 0, 1, s[0:1]
	v_cmp_ne_u16_sdwa s[0:1], v25, v24 src0_sel:BYTE_0 src1_sel:BYTE_0
	v_cndmask_b32_e64 v46, 0, 1, s[0:1]
	v_cmp_ne_u16_sdwa s[0:1], v2, v25 src0_sel:BYTE_0 src1_sel:BYTE_0
	v_cndmask_b32_e64 v49, 0, 1, s[0:1]
	v_cmp_ne_u16_sdwa s[0:1], v26, v2 src0_sel:DWORD src1_sel:BYTE_0
	v_cndmask_b32_e64 v51, 0, 1, s[0:1]
	;; [unrolled: 8-line block ×7, first 2 shown]
	v_cmp_ne_u16_sdwa s[0:1], v48, v47 src0_sel:BYTE_0 src1_sel:DWORD
	v_cndmask_b32_e64 v72, 0, 1, s[0:1]
	v_cmp_ne_u16_sdwa s[0:1], v50, v48 src0_sel:BYTE_0 src1_sel:BYTE_0
	v_cndmask_b32_e64 v73, 0, 1, s[0:1]
	v_cmp_ne_u16_sdwa s[0:1], v8, v50 src0_sel:BYTE_0 src1_sel:BYTE_0
	v_cndmask_b32_e64 v74, 0, 1, s[0:1]
	s_waitcnt lgkmcnt(0)
	v_cmp_ne_u16_sdwa s[18:19], v12, v8 src0_sel:BYTE_0 src1_sel:BYTE_0
	s_branch .LBB205_79
.LBB205_73:
                                        ; implicit-def: $sgpr18_sgpr19
                                        ; implicit-def: $vgpr74
                                        ; implicit-def: $vgpr73
                                        ; implicit-def: $vgpr72
                                        ; implicit-def: $vgpr71
                                        ; implicit-def: $vgpr70
                                        ; implicit-def: $vgpr69
                                        ; implicit-def: $vgpr68
                                        ; implicit-def: $vgpr67
                                        ; implicit-def: $vgpr66
                                        ; implicit-def: $vgpr65
                                        ; implicit-def: $vgpr64
                                        ; implicit-def: $vgpr63
                                        ; implicit-def: $vgpr62
                                        ; implicit-def: $vgpr61
                                        ; implicit-def: $vgpr60
                                        ; implicit-def: $vgpr59
                                        ; implicit-def: $vgpr58
                                        ; implicit-def: $vgpr57
                                        ; implicit-def: $vgpr56
                                        ; implicit-def: $vgpr55
                                        ; implicit-def: $vgpr54
                                        ; implicit-def: $vgpr53
                                        ; implicit-def: $vgpr52
                                        ; implicit-def: $vgpr51
                                        ; implicit-def: $vgpr49
                                        ; implicit-def: $vgpr46
                                        ; implicit-def: $vgpr44
                                        ; implicit-def: $vgpr41
                                        ; implicit-def: $vgpr39
                                        ; implicit-def: $vgpr36
                                        ; implicit-def: $vgpr34
	s_branch .LBB205_80
.LBB205_74:
                                        ; implicit-def: $sgpr28
	v_mov_b32_e32 v75, s28
	s_and_saveexec_b64 s[0:1], s[14:15]
	s_cbranch_execnz .LBB205_88
	s_branch .LBB205_89
.LBB205_75:
                                        ; implicit-def: $sgpr18_sgpr19
                                        ; implicit-def: $vgpr74
                                        ; implicit-def: $vgpr73
                                        ; implicit-def: $vgpr72
                                        ; implicit-def: $vgpr71
                                        ; implicit-def: $vgpr70
                                        ; implicit-def: $vgpr69
                                        ; implicit-def: $vgpr68
                                        ; implicit-def: $vgpr67
                                        ; implicit-def: $vgpr66
                                        ; implicit-def: $vgpr65
                                        ; implicit-def: $vgpr64
                                        ; implicit-def: $vgpr63
                                        ; implicit-def: $vgpr62
                                        ; implicit-def: $vgpr61
                                        ; implicit-def: $vgpr60
                                        ; implicit-def: $vgpr59
                                        ; implicit-def: $vgpr58
                                        ; implicit-def: $vgpr57
                                        ; implicit-def: $vgpr56
                                        ; implicit-def: $vgpr55
                                        ; implicit-def: $vgpr54
                                        ; implicit-def: $vgpr53
                                        ; implicit-def: $vgpr52
                                        ; implicit-def: $vgpr51
                                        ; implicit-def: $vgpr49
                                        ; implicit-def: $vgpr46
                                        ; implicit-def: $vgpr44
                                        ; implicit-def: $vgpr41
                                        ; implicit-def: $vgpr39
                                        ; implicit-def: $vgpr36
                                        ; implicit-def: $vgpr34
	s_cbranch_execz .LBB205_79
; %bb.76:
	v_cmp_ne_u32_e32 vcc, 0, v0
	s_waitcnt lgkmcnt(0)
	s_barrier
	s_and_saveexec_b64 s[0:1], vcc
	s_cbranch_execz .LBB205_78
; %bb.77:
	s_waitcnt vmcnt(0)
	v_add_u32_e32 v11, -1, v0
	ds_read_u8 v11, v11
.LBB205_78:
	s_or_b64 exec, exec, s[0:1]
	v_or_b32_e32 v12, 31, v10
	v_cmp_gt_u32_e32 vcc, s7, v12
	v_cmp_ne_u16_sdwa s[0:1], v21, v20 src0_sel:BYTE_0 src1_sel:BYTE_0
	s_and_b64 s[0:1], vcc, s[0:1]
	v_or_b32_e32 v12, 30, v10
	v_cndmask_b32_e64 v34, 0, 1, s[0:1]
	v_cmp_gt_u32_e32 vcc, s7, v12
	v_cmp_ne_u16_sdwa s[0:1], v22, v21 src0_sel:BYTE_0 src1_sel:BYTE_0
	s_and_b64 s[0:1], vcc, s[0:1]
	v_or_b32_e32 v12, 29, v10
	v_cndmask_b32_e64 v36, 0, 1, s[0:1]
	;; [unrolled: 5-line block ×30, first 2 shown]
	v_cmp_gt_u32_e32 vcc, s7, v12
	v_cmp_ne_u16_sdwa s[0:1], v8, v50 src0_sel:BYTE_0 src1_sel:BYTE_0
	s_and_b64 s[0:1], vcc, s[0:1]
	v_cndmask_b32_e64 v74, 0, 1, s[0:1]
	v_cmp_gt_u32_e32 vcc, s7, v10
	s_waitcnt vmcnt(0) lgkmcnt(0)
	v_cmp_ne_u16_sdwa s[0:1], v11, v8 src0_sel:BYTE_0 src1_sel:BYTE_0
	s_and_b64 s[18:19], vcc, s[0:1]
.LBB205_79:
	s_mov_b64 s[14:15], -1
	s_cbranch_execnz .LBB205_74
.LBB205_80:
	s_and_b64 vcc, exec, s[26:27]
	v_cmp_ne_u16_sdwa s[48:49], v22, v21 src0_sel:BYTE_0 src1_sel:BYTE_0
	v_cmp_ne_u16_sdwa s[50:51], v3, v22 src0_sel:BYTE_0 src1_sel:BYTE_0
	;; [unrolled: 1-line block ×16, first 2 shown]
	ds_write_b8 v0, v20
	s_cbranch_vccz .LBB205_84
; %bb.81:
	v_cndmask_b32_e64 v36, 0, 1, s[48:49]
	v_cmp_ne_u16_sdwa s[48:49], v23, v3 src0_sel:DWORD src1_sel:BYTE_0
	v_cndmask_b32_e64 v46, 0, 1, s[44:45]
	v_cmp_ne_u16_sdwa s[44:45], v26, v2 src0_sel:DWORD src1_sel:BYTE_0
	;; [unrolled: 2-line block ×7, first 2 shown]
	v_cmp_ne_u16_sdwa s[52:53], v21, v20 src0_sel:BYTE_0 src1_sel:DWORD
	v_cndmask_b32_e64 v41, 0, 1, s[48:49]
	v_cmp_ne_u16_sdwa s[48:49], v24, v23 src0_sel:BYTE_0 src1_sel:DWORD
	v_cndmask_b32_e64 v51, 0, 1, s[44:45]
	;; [unrolled: 2-line block ×8, first 2 shown]
	v_cndmask_b32_e64 v39, 0, 1, s[50:51]
	v_cndmask_b32_e64 v44, 0, 1, s[48:49]
	;; [unrolled: 1-line block ×16, first 2 shown]
	v_cmp_ne_u32_e32 vcc, 0, v0
	s_waitcnt lgkmcnt(0)
	s_barrier
	s_waitcnt lgkmcnt(0)
                                        ; implicit-def: $sgpr18_sgpr19
	s_and_saveexec_b64 s[0:1], vcc
	s_xor_b64 s[0:1], exec, s[0:1]
	s_cbranch_execz .LBB205_83
; %bb.82:
	s_waitcnt vmcnt(0)
	v_add_u32_e32 v11, -1, v0
	ds_read_u8 v11, v11
	s_or_b64 s[14:15], s[14:15], exec
	s_waitcnt lgkmcnt(0)
	v_cmp_ne_u16_sdwa s[2:3], v11, v8 src0_sel:DWORD src1_sel:BYTE_0
	s_and_b64 s[18:19], s[2:3], exec
.LBB205_83:
	s_or_b64 exec, exec, s[0:1]
	s_mov_b32 s28, 1
	s_branch .LBB205_87
.LBB205_84:
                                        ; implicit-def: $sgpr18_sgpr19
                                        ; implicit-def: $vgpr74
                                        ; implicit-def: $vgpr73
                                        ; implicit-def: $vgpr72
                                        ; implicit-def: $vgpr71
                                        ; implicit-def: $vgpr70
                                        ; implicit-def: $vgpr69
                                        ; implicit-def: $vgpr68
                                        ; implicit-def: $vgpr67
                                        ; implicit-def: $vgpr66
                                        ; implicit-def: $vgpr65
                                        ; implicit-def: $vgpr64
                                        ; implicit-def: $vgpr63
                                        ; implicit-def: $vgpr62
                                        ; implicit-def: $vgpr61
                                        ; implicit-def: $vgpr60
                                        ; implicit-def: $vgpr59
                                        ; implicit-def: $vgpr58
                                        ; implicit-def: $vgpr57
                                        ; implicit-def: $vgpr56
                                        ; implicit-def: $vgpr55
                                        ; implicit-def: $vgpr54
                                        ; implicit-def: $vgpr53
                                        ; implicit-def: $vgpr52
                                        ; implicit-def: $vgpr51
                                        ; implicit-def: $vgpr49
                                        ; implicit-def: $vgpr46
                                        ; implicit-def: $vgpr44
                                        ; implicit-def: $vgpr41
                                        ; implicit-def: $vgpr39
                                        ; implicit-def: $vgpr36
                                        ; implicit-def: $vgpr34
                                        ; implicit-def: $sgpr28
	s_cbranch_execz .LBB205_87
; %bb.85:
	s_waitcnt vmcnt(0)
	v_or_b32_e32 v11, 31, v10
	v_cmp_gt_u32_e32 vcc, s7, v11
	v_cmp_ne_u16_sdwa s[0:1], v21, v20 src0_sel:BYTE_0 src1_sel:BYTE_0
	s_and_b64 s[0:1], vcc, s[0:1]
	v_or_b32_e32 v11, 30, v10
	v_cndmask_b32_e64 v34, 0, 1, s[0:1]
	v_cmp_gt_u32_e32 vcc, s7, v11
	v_cmp_ne_u16_sdwa s[0:1], v22, v21 src0_sel:BYTE_0 src1_sel:BYTE_0
	s_and_b64 s[0:1], vcc, s[0:1]
	v_or_b32_e32 v11, 29, v10
	v_cndmask_b32_e64 v36, 0, 1, s[0:1]
	;; [unrolled: 5-line block ×25, first 2 shown]
	v_cmp_gt_u32_e32 vcc, s7, v11
	v_cmp_ne_u16_sdwa s[0:1], v45, v43 src0_sel:BYTE_0 src1_sel:BYTE_0
	v_or_b32_e32 v11, 5, v10
	s_and_b64 s[0:1], vcc, s[0:1]
	v_cmp_gt_u32_e32 vcc, s7, v11
	v_or_b32_e32 v11, 4, v10
	v_cndmask_b32_e64 v69, 0, 1, s[0:1]
	v_cmp_gt_u32_e64 s[0:1], s7, v11
	v_or_b32_e32 v11, 3, v10
	v_cmp_ne_u16_sdwa s[30:31], v47, v9 src0_sel:BYTE_0 src1_sel:BYTE_0
	v_cmp_gt_u32_e64 s[2:3], s7, v11
	v_or_b32_e32 v11, 2, v10
	v_cmp_ne_u16_sdwa s[34:35], v48, v47 src0_sel:BYTE_0 src1_sel:BYTE_0
	s_and_b64 s[0:1], s[0:1], s[30:31]
	v_cmp_gt_u32_e64 s[8:9], s7, v11
	v_or_b32_e32 v11, 1, v10
	v_cmp_ne_u16_sdwa s[36:37], v50, v48 src0_sel:BYTE_0 src1_sel:BYTE_0
	v_cndmask_b32_e64 v71, 0, 1, s[0:1]
	s_and_b64 s[0:1], s[2:3], s[34:35]
	v_cmp_ne_u16_sdwa s[18:19], v9, v45 src0_sel:BYTE_0 src1_sel:BYTE_0
	v_cmp_gt_u32_e64 s[10:11], s7, v11
	v_cmp_ne_u16_sdwa s[38:39], v8, v50 src0_sel:BYTE_0 src1_sel:BYTE_0
	v_cndmask_b32_e64 v72, 0, 1, s[0:1]
	s_and_b64 s[0:1], s[8:9], s[36:37]
	s_and_b64 s[18:19], vcc, s[18:19]
	v_cndmask_b32_e64 v73, 0, 1, s[0:1]
	s_and_b64 s[0:1], s[10:11], s[38:39]
	v_cndmask_b32_e64 v70, 0, 1, s[18:19]
	s_mov_b32 s28, 1
	v_cmp_ne_u32_e32 vcc, 0, v0
	v_cndmask_b32_e64 v74, 0, 1, s[0:1]
	s_waitcnt lgkmcnt(0)
	s_barrier
	s_waitcnt lgkmcnt(0)
                                        ; implicit-def: $sgpr18_sgpr19
	s_and_saveexec_b64 s[0:1], vcc
	s_cbranch_execz .LBB205_309
; %bb.86:
	v_add_u32_e32 v11, -1, v0
	ds_read_u8 v11, v11
	v_cmp_gt_u32_e32 vcc, s7, v10
	s_or_b64 s[14:15], s[14:15], exec
	s_waitcnt lgkmcnt(0)
	v_and_b32_e32 v11, 0xff, v11
	v_cmp_ne_u16_sdwa s[2:3], v11, v8 src0_sel:DWORD src1_sel:BYTE_0
	s_and_b64 s[2:3], vcc, s[2:3]
	s_and_b64 s[18:19], s[2:3], exec
	s_or_b64 exec, exec, s[0:1]
.LBB205_87:
	v_mov_b32_e32 v75, s28
	s_and_saveexec_b64 s[0:1], s[14:15]
.LBB205_88:
	v_cndmask_b32_e64 v75, 0, 1, s[18:19]
.LBB205_89:
	s_or_b64 exec, exec, s[0:1]
	s_load_dwordx2 s[28:29], s[4:5], 0x60
	s_andn2_b64 vcc, exec, s[12:13]
	s_cbranch_vccnz .LBB205_91
; %bb.90:
	v_cmp_gt_u32_e32 vcc, s7, v10
	s_waitcnt vmcnt(0)
	v_or_b32_e32 v11, 1, v10
	v_cndmask_b32_e32 v75, 0, v75, vcc
	v_cmp_gt_u32_e32 vcc, s7, v11
	v_or_b32_e32 v11, 2, v10
	v_cndmask_b32_e32 v74, 0, v74, vcc
	v_cmp_gt_u32_e32 vcc, s7, v11
	;; [unrolled: 3-line block ×31, first 2 shown]
	v_cndmask_b32_e32 v34, 0, v34, vcc
.LBB205_91:
	v_mbcnt_lo_u32_b32 v10, -1, 0
	v_mbcnt_hi_u32_b32 v86, -1, v10
	v_and_b32_e32 v10, 15, v86
	v_cmp_eq_u32_e64 s[12:13], 0, v10
	v_cmp_lt_u32_e64 s[10:11], 1, v10
	v_cmp_lt_u32_e64 s[8:9], 3, v10
	v_cmp_lt_u32_e64 s[18:19], 7, v10
	v_and_b32_e32 v10, 16, v86
	v_cmp_eq_u32_e64 s[2:3], 0, v10
	v_or_b32_e32 v10, 63, v0
	v_and_b32_e32 v114, 0xff, v41
	v_and_b32_e32 v115, 0xff, v39
	v_cmp_eq_u32_e64 s[0:1], v10, v0
	v_add_u32_sdwa v10, v36, v34 dst_sel:DWORD dst_unused:UNUSED_PAD src0_sel:BYTE_0 src1_sel:BYTE_0
	v_and_b32_e32 v112, 0xff, v46
	v_and_b32_e32 v113, 0xff, v44
	v_add3_u32 v10, v10, v115, v114
	v_and_b32_e32 v110, 0xff, v51
	v_and_b32_e32 v111, 0xff, v49
	v_add3_u32 v10, v10, v113, v112
	;; [unrolled: 3-line block ×12, first 2 shown]
	v_add3_u32 v10, v10, v77, v76
	v_and_b32_e32 v87, 0xff, v73
	v_and_b32_e32 v88, 0xff, v72
	v_add3_u32 v10, v10, v88, v87
	v_and_b32_e32 v89, 0xff, v75
	v_and_b32_e32 v90, 0xff, v74
	v_add3_u32 v92, v10, v90, v89
	v_cmp_lt_u32_e64 s[14:15], 31, v86
	s_and_b64 vcc, exec, s[16:17]
	v_lshrrev_b32_e32 v91, 6, v0
	s_waitcnt lgkmcnt(0)
	s_barrier
	s_cbranch_vccz .LBB205_118
; %bb.92:
	v_mov_b32_dpp v10, v92 row_shr:1 row_mask:0xf bank_mask:0xf
	v_cndmask_b32_e64 v10, v10, 0, s[12:13]
	v_add_u32_e32 v10, v10, v92
	s_waitcnt vmcnt(0)
	s_nop 0
	v_mov_b32_dpp v11, v10 row_shr:2 row_mask:0xf bank_mask:0xf
	v_cndmask_b32_e64 v11, 0, v11, s[10:11]
	v_add_u32_e32 v10, v10, v11
	s_nop 1
	v_mov_b32_dpp v11, v10 row_shr:4 row_mask:0xf bank_mask:0xf
	v_cndmask_b32_e64 v11, 0, v11, s[8:9]
	v_add_u32_e32 v10, v10, v11
	;; [unrolled: 4-line block ×3, first 2 shown]
	s_nop 1
	v_mov_b32_dpp v11, v10 row_bcast:15 row_mask:0xf bank_mask:0xf
	v_cndmask_b32_e64 v11, v11, 0, s[2:3]
	v_add_u32_e32 v10, v10, v11
	s_nop 1
	v_mov_b32_dpp v11, v10 row_bcast:31 row_mask:0xf bank_mask:0xf
	v_cndmask_b32_e64 v11, 0, v11, s[14:15]
	v_add_u32_e32 v10, v10, v11
	s_and_saveexec_b64 s[16:17], s[0:1]
	s_cbranch_execz .LBB205_94
; %bb.93:
	v_lshlrev_b32_e32 v11, 2, v91
	ds_write_b32 v11, v10
.LBB205_94:
	s_or_b64 exec, exec, s[16:17]
	v_cmp_gt_u32_e32 vcc, 2, v0
	s_waitcnt lgkmcnt(0)
	s_barrier
	s_and_saveexec_b64 s[16:17], vcc
	s_cbranch_execz .LBB205_96
; %bb.95:
	v_lshlrev_b32_e32 v11, 2, v0
	ds_read_b32 v12, v11
	v_bfe_i32 v13, v86, 0, 1
	s_waitcnt lgkmcnt(0)
	v_mov_b32_dpp v14, v12 row_shr:1 row_mask:0xf bank_mask:0xf
	v_and_b32_e32 v13, v13, v14
	v_add_u32_e32 v12, v13, v12
	ds_write_b32 v11, v12
.LBB205_96:
	s_or_b64 exec, exec, s[16:17]
	v_cmp_gt_u32_e32 vcc, 64, v0
	v_cmp_lt_u32_e64 s[16:17], 63, v0
	s_waitcnt lgkmcnt(0)
	s_barrier
	s_waitcnt lgkmcnt(0)
                                        ; implicit-def: $vgpr93
	s_and_saveexec_b64 s[30:31], s[16:17]
	s_cbranch_execz .LBB205_98
; %bb.97:
	v_lshl_add_u32 v11, v91, 2, -4
	ds_read_b32 v93, v11
	s_waitcnt lgkmcnt(0)
	v_add_u32_e32 v10, v93, v10
.LBB205_98:
	s_or_b64 exec, exec, s[30:31]
	v_add_u32_e32 v11, -1, v86
	v_and_b32_e32 v12, 64, v86
	v_cmp_lt_i32_e64 s[16:17], v11, v12
	v_cndmask_b32_e64 v11, v11, v86, s[16:17]
	v_lshlrev_b32_e32 v11, 2, v11
	ds_bpermute_b32 v94, v11, v10
	v_cmp_eq_u32_e64 s[16:17], 0, v86
	s_and_saveexec_b64 s[30:31], vcc
	s_cbranch_execz .LBB205_117
; %bb.99:
	v_mov_b32_e32 v17, 0
	ds_read_b32 v10, v17 offset:4
	s_and_saveexec_b64 s[34:35], s[16:17]
	s_cbranch_execz .LBB205_101
; %bb.100:
	s_add_i32 s36, s6, 64
	s_mov_b32 s37, 0
	s_lshl_b64 s[36:37], s[36:37], 3
	s_add_u32 s36, s28, s36
	v_mov_b32_e32 v11, 1
	s_addc_u32 s37, s29, s37
	s_waitcnt lgkmcnt(0)
	global_store_dwordx2 v17, v[10:11], s[36:37]
.LBB205_101:
	s_or_b64 exec, exec, s[34:35]
	v_xad_u32 v12, v86, -1, s6
	v_add_u32_e32 v16, 64, v12
	v_lshlrev_b64 v[14:15], 3, v[16:17]
	v_mov_b32_e32 v11, s29
	v_add_co_u32_e32 v18, vcc, s28, v14
	v_addc_co_u32_e32 v19, vcc, v11, v15, vcc
	global_load_dwordx2 v[14:15], v[18:19], off glc
	s_waitcnt vmcnt(0)
	v_cmp_eq_u16_sdwa s[36:37], v15, v17 src0_sel:BYTE_0 src1_sel:DWORD
	s_and_saveexec_b64 s[34:35], s[36:37]
	s_cbranch_execz .LBB205_105
; %bb.102:
	s_mov_b64 s[36:37], 0
	v_mov_b32_e32 v11, 0
.LBB205_103:                            ; =>This Inner Loop Header: Depth=1
	global_load_dwordx2 v[14:15], v[18:19], off glc
	s_waitcnt vmcnt(0)
	v_cmp_ne_u16_sdwa s[38:39], v15, v11 src0_sel:BYTE_0 src1_sel:DWORD
	s_or_b64 s[36:37], s[38:39], s[36:37]
	s_andn2_b64 exec, exec, s[36:37]
	s_cbranch_execnz .LBB205_103
; %bb.104:
	s_or_b64 exec, exec, s[36:37]
.LBB205_105:
	s_or_b64 exec, exec, s[34:35]
	v_and_b32_e32 v96, 63, v86
	v_mov_b32_e32 v95, 2
	v_cmp_ne_u32_e32 vcc, 63, v96
	v_cmp_eq_u16_sdwa s[34:35], v15, v95 src0_sel:BYTE_0 src1_sel:DWORD
	v_lshlrev_b64 v[16:17], v86, -1
	v_addc_co_u32_e32 v18, vcc, 0, v86, vcc
	v_and_b32_e32 v11, s35, v17
	v_lshlrev_b32_e32 v97, 2, v18
	v_or_b32_e32 v11, 0x80000000, v11
	ds_bpermute_b32 v18, v97, v14
	v_and_b32_e32 v13, s34, v16
	v_ffbl_b32_e32 v11, v11
	v_add_u32_e32 v11, 32, v11
	v_ffbl_b32_e32 v13, v13
	v_min_u32_e32 v11, v13, v11
	v_cmp_lt_u32_e32 vcc, v96, v11
	s_waitcnt lgkmcnt(0)
	v_cndmask_b32_e32 v13, 0, v18, vcc
	v_cmp_gt_u32_e32 vcc, 62, v96
	v_add_u32_e32 v13, v13, v14
	v_cndmask_b32_e64 v14, 0, 1, vcc
	v_lshlrev_b32_e32 v14, 1, v14
	v_add_lshl_u32 v98, v14, v86, 2
	ds_bpermute_b32 v14, v98, v13
	v_add_u32_e32 v99, 2, v96
	v_cmp_le_u32_e32 vcc, v99, v11
	v_add_u32_e32 v117, 4, v96
	v_add_u32_e32 v119, 8, v96
	s_waitcnt lgkmcnt(0)
	v_cndmask_b32_e32 v14, 0, v14, vcc
	v_cmp_gt_u32_e32 vcc, 60, v96
	v_add_u32_e32 v13, v13, v14
	v_cndmask_b32_e64 v14, 0, 1, vcc
	v_lshlrev_b32_e32 v14, 2, v14
	v_add_lshl_u32 v116, v14, v86, 2
	ds_bpermute_b32 v14, v116, v13
	v_cmp_le_u32_e32 vcc, v117, v11
	v_add_u32_e32 v121, 16, v96
	v_add_u32_e32 v123, 32, v96
	s_waitcnt lgkmcnt(0)
	v_cndmask_b32_e32 v14, 0, v14, vcc
	v_cmp_gt_u32_e32 vcc, 56, v96
	v_add_u32_e32 v13, v13, v14
	v_cndmask_b32_e64 v14, 0, 1, vcc
	v_lshlrev_b32_e32 v14, 3, v14
	v_add_lshl_u32 v118, v14, v86, 2
	ds_bpermute_b32 v14, v118, v13
	v_cmp_le_u32_e32 vcc, v119, v11
	s_waitcnt lgkmcnt(0)
	v_cndmask_b32_e32 v14, 0, v14, vcc
	v_cmp_gt_u32_e32 vcc, 48, v96
	v_add_u32_e32 v13, v13, v14
	v_cndmask_b32_e64 v14, 0, 1, vcc
	v_lshlrev_b32_e32 v14, 4, v14
	v_add_lshl_u32 v120, v14, v86, 2
	ds_bpermute_b32 v14, v120, v13
	v_cmp_le_u32_e32 vcc, v121, v11
	;; [unrolled: 9-line block ×3, first 2 shown]
	s_waitcnt lgkmcnt(0)
	v_cndmask_b32_e32 v11, 0, v14, vcc
	v_add_u32_e32 v14, v13, v11
	v_mov_b32_e32 v13, 0
	s_branch .LBB205_107
.LBB205_106:                            ;   in Loop: Header=BB205_107 Depth=1
	s_or_b64 exec, exec, s[34:35]
	v_cmp_eq_u16_sdwa s[34:35], v15, v95 src0_sel:BYTE_0 src1_sel:DWORD
	v_and_b32_e32 v18, s35, v17
	v_or_b32_e32 v18, 0x80000000, v18
	ds_bpermute_b32 v124, v97, v14
	v_and_b32_e32 v19, s34, v16
	v_ffbl_b32_e32 v18, v18
	v_add_u32_e32 v18, 32, v18
	v_ffbl_b32_e32 v19, v19
	v_min_u32_e32 v18, v19, v18
	v_cmp_lt_u32_e32 vcc, v96, v18
	s_waitcnt lgkmcnt(0)
	v_cndmask_b32_e32 v19, 0, v124, vcc
	v_add_u32_e32 v14, v19, v14
	ds_bpermute_b32 v19, v98, v14
	v_cmp_le_u32_e32 vcc, v99, v18
	v_subrev_u32_e32 v12, 64, v12
	s_waitcnt lgkmcnt(0)
	v_cndmask_b32_e32 v19, 0, v19, vcc
	v_add_u32_e32 v14, v14, v19
	ds_bpermute_b32 v19, v116, v14
	v_cmp_le_u32_e32 vcc, v117, v18
	s_waitcnt lgkmcnt(0)
	v_cndmask_b32_e32 v19, 0, v19, vcc
	v_add_u32_e32 v14, v14, v19
	ds_bpermute_b32 v19, v118, v14
	v_cmp_le_u32_e32 vcc, v119, v18
	;; [unrolled: 5-line block ×4, first 2 shown]
	s_waitcnt lgkmcnt(0)
	v_cndmask_b32_e32 v18, 0, v19, vcc
	v_add3_u32 v14, v18, v11, v14
.LBB205_107:                            ; =>This Loop Header: Depth=1
                                        ;     Child Loop BB205_110 Depth 2
	v_cmp_ne_u16_sdwa s[34:35], v15, v95 src0_sel:BYTE_0 src1_sel:DWORD
	v_cndmask_b32_e64 v11, 0, 1, s[34:35]
	;;#ASMSTART
	;;#ASMEND
	v_cmp_ne_u32_e32 vcc, 0, v11
	s_cmp_lg_u64 vcc, exec
	v_mov_b32_e32 v11, v14
	s_cbranch_scc1 .LBB205_112
; %bb.108:                              ;   in Loop: Header=BB205_107 Depth=1
	v_lshlrev_b64 v[14:15], 3, v[12:13]
	v_mov_b32_e32 v19, s29
	v_add_co_u32_e32 v18, vcc, s28, v14
	v_addc_co_u32_e32 v19, vcc, v19, v15, vcc
	global_load_dwordx2 v[14:15], v[18:19], off glc
	s_waitcnt vmcnt(0)
	v_cmp_eq_u16_sdwa s[36:37], v15, v13 src0_sel:BYTE_0 src1_sel:DWORD
	s_and_saveexec_b64 s[34:35], s[36:37]
	s_cbranch_execz .LBB205_106
; %bb.109:                              ;   in Loop: Header=BB205_107 Depth=1
	s_mov_b64 s[36:37], 0
.LBB205_110:                            ;   Parent Loop BB205_107 Depth=1
                                        ; =>  This Inner Loop Header: Depth=2
	global_load_dwordx2 v[14:15], v[18:19], off glc
	s_waitcnt vmcnt(0)
	v_cmp_ne_u16_sdwa s[38:39], v15, v13 src0_sel:BYTE_0 src1_sel:DWORD
	s_or_b64 s[36:37], s[38:39], s[36:37]
	s_andn2_b64 exec, exec, s[36:37]
	s_cbranch_execnz .LBB205_110
; %bb.111:                              ;   in Loop: Header=BB205_107 Depth=1
	s_or_b64 exec, exec, s[36:37]
	s_branch .LBB205_106
.LBB205_112:                            ;   in Loop: Header=BB205_107 Depth=1
                                        ; implicit-def: $vgpr14
                                        ; implicit-def: $vgpr15
	s_cbranch_execz .LBB205_107
; %bb.113:
	s_and_saveexec_b64 s[34:35], s[16:17]
	s_cbranch_execz .LBB205_115
; %bb.114:
	s_add_i32 s6, s6, 64
	s_mov_b32 s7, 0
	s_lshl_b64 s[6:7], s[6:7], 3
	s_add_u32 s6, s28, s6
	v_add_u32_e32 v12, v11, v10
	v_mov_b32_e32 v13, 2
	s_addc_u32 s7, s29, s7
	v_mov_b32_e32 v14, 0
	global_store_dwordx2 v14, v[12:13], s[6:7]
	ds_write_b64 v14, v[10:11] offset:4224
.LBB205_115:
	s_or_b64 exec, exec, s[34:35]
	v_cmp_eq_u32_e32 vcc, 0, v0
	s_and_b64 exec, exec, vcc
	s_cbranch_execz .LBB205_117
; %bb.116:
	v_mov_b32_e32 v10, 0
	ds_write_b32 v10, v11 offset:4
.LBB205_117:
	s_or_b64 exec, exec, s[30:31]
	v_mov_b32_e32 v11, 0
	s_waitcnt lgkmcnt(0)
	s_barrier
	ds_read_b32 v12, v11 offset:4
	s_waitcnt lgkmcnt(0)
	s_barrier
	ds_read_b64 v[16:17], v11 offset:4224
	v_cndmask_b32_e64 v10, v94, v93, s[16:17]
	v_cmp_ne_u32_e32 vcc, 0, v0
	v_cndmask_b32_e32 v10, 0, v10, vcc
	v_add_u32_e32 v96, v12, v10
	s_load_dwordx2 s[4:5], s[4:5], 0x28
	s_branch .LBB205_128
.LBB205_118:
                                        ; implicit-def: $vgpr17
                                        ; implicit-def: $vgpr96
	s_load_dwordx2 s[4:5], s[4:5], 0x28
	s_cbranch_execz .LBB205_128
; %bb.119:
	v_mov_b32_dpp v10, v92 row_shr:1 row_mask:0xf bank_mask:0xf
	v_cndmask_b32_e64 v10, v10, 0, s[12:13]
	v_add_u32_e32 v10, v10, v92
	s_waitcnt vmcnt(0)
	s_nop 0
	v_mov_b32_dpp v11, v10 row_shr:2 row_mask:0xf bank_mask:0xf
	v_cndmask_b32_e64 v11, 0, v11, s[10:11]
	v_add_u32_e32 v10, v10, v11
	s_nop 1
	v_mov_b32_dpp v11, v10 row_shr:4 row_mask:0xf bank_mask:0xf
	v_cndmask_b32_e64 v11, 0, v11, s[8:9]
	v_add_u32_e32 v10, v10, v11
	;; [unrolled: 4-line block ×3, first 2 shown]
	s_nop 1
	v_mov_b32_dpp v11, v10 row_bcast:15 row_mask:0xf bank_mask:0xf
	v_cndmask_b32_e64 v11, v11, 0, s[2:3]
	v_add_u32_e32 v10, v10, v11
	s_nop 1
	v_mov_b32_dpp v11, v10 row_bcast:31 row_mask:0xf bank_mask:0xf
	v_cndmask_b32_e64 v11, 0, v11, s[14:15]
	v_add_u32_e32 v10, v10, v11
	s_and_saveexec_b64 s[2:3], s[0:1]
	s_cbranch_execz .LBB205_121
; %bb.120:
	v_lshlrev_b32_e32 v11, 2, v91
	ds_write_b32 v11, v10
.LBB205_121:
	s_or_b64 exec, exec, s[2:3]
	v_cmp_gt_u32_e32 vcc, 2, v0
	s_waitcnt lgkmcnt(0)
	s_barrier
	s_and_saveexec_b64 s[0:1], vcc
	s_cbranch_execz .LBB205_123
; %bb.122:
	v_lshlrev_b32_e32 v11, 2, v0
	ds_read_b32 v12, v11
	v_bfe_i32 v13, v86, 0, 1
	s_waitcnt lgkmcnt(0)
	v_mov_b32_dpp v14, v12 row_shr:1 row_mask:0xf bank_mask:0xf
	v_and_b32_e32 v13, v13, v14
	v_add_u32_e32 v12, v13, v12
	ds_write_b32 v11, v12
.LBB205_123:
	s_or_b64 exec, exec, s[0:1]
	v_cmp_lt_u32_e32 vcc, 63, v0
	v_mov_b32_e32 v12, 0
	v_mov_b32_e32 v11, 0
	s_waitcnt lgkmcnt(0)
	s_barrier
	s_and_saveexec_b64 s[0:1], vcc
	s_cbranch_execz .LBB205_125
; %bb.124:
	v_lshl_add_u32 v11, v91, 2, -4
	ds_read_b32 v11, v11
.LBB205_125:
	s_or_b64 exec, exec, s[0:1]
	v_add_u32_e32 v13, -1, v86
	v_and_b32_e32 v14, 64, v86
	v_cmp_lt_i32_e32 vcc, v13, v14
	v_cndmask_b32_e32 v13, v13, v86, vcc
	s_waitcnt lgkmcnt(0)
	v_add_u32_e32 v10, v11, v10
	v_lshlrev_b32_e32 v13, 2, v13
	ds_bpermute_b32 v10, v13, v10
	ds_read_b32 v16, v12 offset:4
	v_cmp_eq_u32_e32 vcc, 0, v0
	s_and_saveexec_b64 s[0:1], vcc
	s_cbranch_execz .LBB205_127
; %bb.126:
	v_mov_b32_e32 v12, 0
	v_mov_b32_e32 v17, 2
	s_waitcnt lgkmcnt(0)
	global_store_dwordx2 v12, v[16:17], s[28:29] offset:512
.LBB205_127:
	s_or_b64 exec, exec, s[0:1]
	v_cmp_eq_u32_e64 s[0:1], 0, v86
	s_waitcnt lgkmcnt(1)
	v_cndmask_b32_e64 v10, v10, v11, s[0:1]
	v_mov_b32_e32 v17, 0
	v_cndmask_b32_e64 v96, v10, 0, vcc
	s_waitcnt lgkmcnt(0)
	s_barrier
.LBB205_128:
	v_add_u32_e32 v99, v96, v89
	v_add_u32_e32 v98, v99, v90
	;; [unrolled: 1-line block ×29, first 2 shown]
	s_movk_i32 s0, 0x81
	s_waitcnt vmcnt(0)
	v_add_u32_e32 v11, v12, v115
	s_waitcnt lgkmcnt(0)
	v_cmp_gt_u32_e32 vcc, s0, v16
	v_add_u32_sdwa v10, v11, v36 dst_sel:DWORD dst_unused:UNUSED_PAD src0_sel:DWORD src1_sel:BYTE_0
	s_mov_b64 s[0:1], -1
	s_cbranch_vccnz .LBB205_132
; %bb.129:
	s_and_b64 vcc, exec, s[0:1]
	s_cbranch_vccnz .LBB205_229
.LBB205_130:
	v_cmp_eq_u32_e32 vcc, 0, v0
	s_and_b64 s[0:1], vcc, s[24:25]
	s_and_saveexec_b64 s[2:3], s[0:1]
	s_cbranch_execnz .LBB205_308
.LBB205_131:
	s_endpgm
.LBB205_132:
	v_add_u32_e32 v100, v17, v16
	v_cmp_lt_u32_e32 vcc, v96, v100
	s_or_b64 s[2:3], s[26:27], vcc
	s_and_saveexec_b64 s[0:1], s[2:3]
	s_cbranch_execz .LBB205_135
; %bb.133:
	v_and_b32_e32 v101, 1, v75
	v_cmp_eq_u32_e32 vcc, 1, v101
	s_and_b64 exec, exec, vcc
	s_cbranch_execz .LBB205_135
; %bb.134:
	s_add_u32 s2, s4, s22
	s_addc_u32 s3, s5, s23
	global_store_byte v96, v8, s[2:3]
.LBB205_135:
	s_or_b64 exec, exec, s[0:1]
	v_cmp_lt_u32_e32 vcc, v99, v100
	s_or_b64 s[2:3], s[26:27], vcc
	s_and_saveexec_b64 s[0:1], s[2:3]
	s_cbranch_execz .LBB205_138
; %bb.136:
	v_and_b32_e32 v101, 1, v74
	v_cmp_eq_u32_e32 vcc, 1, v101
	s_and_b64 exec, exec, vcc
	s_cbranch_execz .LBB205_138
; %bb.137:
	s_add_u32 s2, s4, s22
	s_addc_u32 s3, s5, s23
	global_store_byte v99, v50, s[2:3]
.LBB205_138:
	s_or_b64 exec, exec, s[0:1]
	;; [unrolled: 15-line block ×32, first 2 shown]
	s_branch .LBB205_130
.LBB205_229:
	v_and_b32_e32 v75, 1, v75
	v_cmp_eq_u32_e32 vcc, 1, v75
	s_and_saveexec_b64 s[0:1], vcc
	s_cbranch_execz .LBB205_231
; %bb.230:
	v_sub_u32_e32 v75, v96, v17
	ds_write_b8 v75, v8
.LBB205_231:
	s_or_b64 exec, exec, s[0:1]
	v_and_b32_e32 v8, 1, v74
	v_cmp_eq_u32_e32 vcc, 1, v8
	s_and_saveexec_b64 s[0:1], vcc
	s_cbranch_execz .LBB205_233
; %bb.232:
	v_sub_u32_e32 v8, v99, v17
	ds_write_b8 v8, v50
.LBB205_233:
	s_or_b64 exec, exec, s[0:1]
	;; [unrolled: 9-line block ×32, first 2 shown]
	v_cmp_lt_u32_e32 vcc, v0, v16
	s_waitcnt lgkmcnt(0)
	s_barrier
	s_and_saveexec_b64 s[2:3], vcc
	s_cbranch_execz .LBB205_307
; %bb.294:
	v_mov_b32_e32 v2, s5
	v_add_co_u32_e32 v3, vcc, s4, v17
	v_addc_co_u32_e32 v2, vcc, 0, v2, vcc
	v_mov_b32_e32 v4, s23
	v_add_co_u32_e32 v18, vcc, s22, v3
	v_addc_co_u32_e32 v19, vcc, v2, v4, vcc
	v_xad_u32 v2, v0, -1, v16
	s_movk_i32 s0, 0xb80
	v_cmp_gt_u32_e32 vcc, s0, v2
	s_movk_i32 s0, 0xb7f
	v_cmp_lt_u32_e64 s[0:1], s0, v2
	s_and_saveexec_b64 s[4:5], s[0:1]
	s_cbranch_execz .LBB205_304
; %bb.295:
	v_sub_u32_e32 v3, v0, v16
	v_or_b32_e32 v3, 0x7f, v3
	v_cmp_ge_u32_e64 s[0:1], v3, v0
	s_mov_b64 s[8:9], -1
	s_and_saveexec_b64 s[6:7], s[0:1]
	s_cbranch_execz .LBB205_303
; %bb.296:
	v_lshrrev_b32_e32 v20, 7, v2
	v_or_b32_e32 v7, 0x380, v0
	v_or_b32_e32 v6, 0x300, v0
	;; [unrolled: 1-line block ×7, first 2 shown]
	v_add_u32_e32 v21, -7, v20
	v_pk_mov_b32 v[14:15], v[6:7], v[6:7] op_sel:[0,1]
	v_cmp_lt_u32_e64 s[0:1], 7, v21
	v_mov_b32_e32 v22, 0
	v_pk_mov_b32 v[12:13], v[4:5], v[4:5] op_sel:[0,1]
	v_pk_mov_b32 v[10:11], v[2:3], v[2:3] op_sel:[0,1]
	;; [unrolled: 1-line block ×3, first 2 shown]
	s_and_saveexec_b64 s[8:9], s[0:1]
	s_cbranch_execz .LBB205_300
; %bb.297:
	v_lshrrev_b32_e32 v8, 3, v21
	v_add_u32_e32 v8, 1, v8
	v_and_b32_e32 v22, 0x3ffffffe, v8
	v_pk_mov_b32 v[14:15], v[6:7], v[6:7] op_sel:[0,1]
	s_mov_b32 s12, 0
	s_mov_b64 s[10:11], 0
	v_mov_b32_e32 v23, v0
	v_pk_mov_b32 v[12:13], v[4:5], v[4:5] op_sel:[0,1]
	v_pk_mov_b32 v[10:11], v[2:3], v[2:3] op_sel:[0,1]
	;; [unrolled: 1-line block ×3, first 2 shown]
.LBB205_298:                            ; =>This Inner Loop Header: Depth=1
	v_add_co_u32_e64 v2, s[0:1], v18, v8
	v_addc_co_u32_e64 v3, s[0:1], 0, v19, s[0:1]
	v_add_co_u32_e64 v4, s[0:1], v18, v9
	v_addc_co_u32_e64 v5, s[0:1], 0, v19, s[0:1]
	;; [unrolled: 2-line block ×8, first 2 shown]
	v_add_u32_e32 v34, 0x400, v8
	v_add_co_u32_e64 v34, s[0:1], v18, v34
	v_add_u32_e32 v36, 0x400, v9
	v_addc_co_u32_e64 v35, s[0:1], 0, v19, s[0:1]
	v_add_co_u32_e64 v36, s[0:1], v18, v36
	v_add_u32_e32 v38, 0x400, v10
	v_addc_co_u32_e64 v37, s[0:1], 0, v19, s[0:1]
	;; [unrolled: 3-line block ×6, first 2 shown]
	v_add_co_u32_e64 v46, s[0:1], v18, v46
	ds_read_u8 v50, v23
	ds_read_u8 v51, v23 offset:128
	ds_read_u8 v52, v23 offset:256
	;; [unrolled: 1-line block ×7, first 2 shown]
	v_add_u32_e32 v1, 0x400, v15
	ds_read_u8 v58, v23 offset:1024
	ds_read_u8 v59, v23 offset:1152
	ds_read_u8 v60, v23 offset:1280
	ds_read_u8 v61, v23 offset:1408
	ds_read_u8 v62, v23 offset:1536
	ds_read_u8 v63, v23 offset:1664
	ds_read_u8 v64, v23 offset:1792
	ds_read_u8 v65, v23 offset:1920
	v_addc_co_u32_e64 v47, s[0:1], 0, v19, s[0:1]
	v_add_co_u32_e64 v48, s[0:1], v18, v1
	v_add_u32_e32 v22, -2, v22
	v_addc_co_u32_e64 v49, s[0:1], 0, v19, s[0:1]
	s_add_i32 s12, s12, 16
	v_cmp_eq_u32_e64 s[0:1], 0, v22
	v_add_u32_e32 v15, 0x800, v15
	v_add_u32_e32 v14, 0x800, v14
	;; [unrolled: 1-line block ×9, first 2 shown]
	v_mov_b32_e32 v1, s12
	s_or_b64 s[10:11], s[0:1], s[10:11]
	s_waitcnt lgkmcnt(14)
	global_store_byte v[2:3], v50, off
	global_store_byte v[4:5], v51, off
	s_waitcnt lgkmcnt(13)
	global_store_byte v[6:7], v52, off
	s_waitcnt lgkmcnt(12)
	;; [unrolled: 2-line block ×14, first 2 shown]
	global_store_byte v[48:49], v65, off
	s_andn2_b64 exec, exec, s[10:11]
	s_cbranch_execnz .LBB205_298
; %bb.299:
	s_or_b64 exec, exec, s[10:11]
	v_lshlrev_b32_e32 v22, 7, v1
.LBB205_300:
	s_or_b64 exec, exec, s[8:9]
	v_and_b32_e32 v1, 8, v21
	v_cmp_eq_u32_e64 s[0:1], 0, v1
	s_and_saveexec_b64 s[8:9], s[0:1]
	s_cbranch_execz .LBB205_302
; %bb.301:
	v_add_co_u32_e64 v2, s[0:1], v18, v8
	v_addc_co_u32_e64 v3, s[0:1], 0, v19, s[0:1]
	v_add_co_u32_e64 v4, s[0:1], v18, v9
	v_addc_co_u32_e64 v5, s[0:1], 0, v19, s[0:1]
	v_add_co_u32_e64 v6, s[0:1], v18, v10
	v_addc_co_u32_e64 v7, s[0:1], 0, v19, s[0:1]
	v_add_co_u32_e64 v8, s[0:1], v18, v11
	v_addc_co_u32_e64 v9, s[0:1], 0, v19, s[0:1]
	v_add_co_u32_e64 v10, s[0:1], v18, v12
	v_or_b32_e32 v1, v0, v22
	v_addc_co_u32_e64 v11, s[0:1], 0, v19, s[0:1]
	ds_read_u8 v21, v1
	ds_read_u8 v24, v1 offset:128
	ds_read_u8 v25, v1 offset:256
	;; [unrolled: 1-line block ×7, first 2 shown]
	v_add_co_u32_e64 v12, s[0:1], v18, v13
	v_addc_co_u32_e64 v13, s[0:1], 0, v19, s[0:1]
	v_add_co_u32_e64 v22, s[0:1], v18, v14
	v_addc_co_u32_e64 v23, s[0:1], 0, v19, s[0:1]
	;; [unrolled: 2-line block ×3, first 2 shown]
	s_waitcnt lgkmcnt(7)
	global_store_byte v[2:3], v21, off
	s_waitcnt lgkmcnt(6)
	global_store_byte v[4:5], v24, off
	;; [unrolled: 2-line block ×8, first 2 shown]
.LBB205_302:
	s_or_b64 exec, exec, s[8:9]
	v_add_u32_e32 v2, 1, v20
	v_and_b32_e32 v3, 0x3fffff8, v2
	v_cmp_ne_u32_e64 s[0:1], v2, v3
	v_lshl_or_b32 v1, v3, 7, v0
	s_orn2_b64 s[8:9], s[0:1], exec
.LBB205_303:
	s_or_b64 exec, exec, s[6:7]
	s_andn2_b64 s[0:1], vcc, exec
	s_and_b64 s[6:7], s[8:9], exec
	s_or_b64 vcc, s[0:1], s[6:7]
.LBB205_304:
	s_or_b64 exec, exec, s[4:5]
	s_and_b64 exec, exec, vcc
	s_cbranch_execz .LBB205_307
; %bb.305:
	s_mov_b64 s[0:1], 0
.LBB205_306:                            ; =>This Inner Loop Header: Depth=1
	ds_read_u8 v2, v1
	v_readfirstlane_b32 s4, v18
	v_readfirstlane_b32 s5, v19
	s_waitcnt lgkmcnt(0)
	s_nop 3
	global_store_byte v1, v2, s[4:5]
	v_add_u32_e32 v1, 0x80, v1
	v_cmp_ge_u32_e32 vcc, v1, v16
	s_or_b64 s[0:1], vcc, s[0:1]
	s_andn2_b64 exec, exec, s[0:1]
	s_cbranch_execnz .LBB205_306
.LBB205_307:
	s_or_b64 exec, exec, s[2:3]
	v_cmp_eq_u32_e32 vcc, 0, v0
	s_and_b64 s[0:1], vcc, s[24:25]
	s_and_saveexec_b64 s[2:3], s[0:1]
	s_cbranch_execz .LBB205_131
.LBB205_308:
	v_mov_b32_e32 v0, s23
	v_add_co_u32_e32 v1, vcc, s22, v16
	v_addc_co_u32_e32 v3, vcc, 0, v0, vcc
	v_add_co_u32_e32 v0, vcc, v1, v17
	v_mov_b32_e32 v2, 0
	v_addc_co_u32_e32 v1, vcc, 0, v3, vcc
	global_store_dwordx2 v2, v[0:1], s[20:21]
	s_endpgm
.LBB205_309:
	s_or_b64 exec, exec, s[0:1]
	v_mov_b32_e32 v75, s28
	s_and_saveexec_b64 s[0:1], s[14:15]
	s_cbranch_execnz .LBB205_88
	s_branch .LBB205_89
	.section	.rodata,"a",@progbits
	.p2align	6, 0x0
	.amdhsa_kernel _ZN7rocprim17ROCPRIM_400000_NS6detail17trampoline_kernelINS0_14default_configENS1_25partition_config_selectorILNS1_17partition_subalgoE8EaNS0_10empty_typeEbEEZZNS1_14partition_implILS5_8ELb0ES3_jPKaPS6_PKS6_NS0_5tupleIJPaS6_EEENSE_IJSB_SB_EEENS0_18inequality_wrapperIN6hipcub16HIPCUB_304000_NS8EqualityEEEPlJS6_EEE10hipError_tPvRmT3_T4_T5_T6_T7_T9_mT8_P12ihipStream_tbDpT10_ENKUlT_T0_E_clISt17integral_constantIbLb0EES17_EEDaS12_S13_EUlS12_E_NS1_11comp_targetILNS1_3genE4ELNS1_11target_archE910ELNS1_3gpuE8ELNS1_3repE0EEENS1_30default_config_static_selectorELNS0_4arch9wavefront6targetE1EEEvT1_
		.amdhsa_group_segment_fixed_size 4232
		.amdhsa_private_segment_fixed_size 0
		.amdhsa_kernarg_size 112
		.amdhsa_user_sgpr_count 6
		.amdhsa_user_sgpr_private_segment_buffer 1
		.amdhsa_user_sgpr_dispatch_ptr 0
		.amdhsa_user_sgpr_queue_ptr 0
		.amdhsa_user_sgpr_kernarg_segment_ptr 1
		.amdhsa_user_sgpr_dispatch_id 0
		.amdhsa_user_sgpr_flat_scratch_init 0
		.amdhsa_user_sgpr_kernarg_preload_length 0
		.amdhsa_user_sgpr_kernarg_preload_offset 0
		.amdhsa_user_sgpr_private_segment_size 0
		.amdhsa_uses_dynamic_stack 0
		.amdhsa_system_sgpr_private_segment_wavefront_offset 0
		.amdhsa_system_sgpr_workgroup_id_x 1
		.amdhsa_system_sgpr_workgroup_id_y 0
		.amdhsa_system_sgpr_workgroup_id_z 0
		.amdhsa_system_sgpr_workgroup_info 0
		.amdhsa_system_vgpr_workitem_id 0
		.amdhsa_next_free_vgpr 125
		.amdhsa_next_free_sgpr 54
		.amdhsa_accum_offset 128
		.amdhsa_reserve_vcc 1
		.amdhsa_reserve_flat_scratch 0
		.amdhsa_float_round_mode_32 0
		.amdhsa_float_round_mode_16_64 0
		.amdhsa_float_denorm_mode_32 3
		.amdhsa_float_denorm_mode_16_64 3
		.amdhsa_dx10_clamp 1
		.amdhsa_ieee_mode 1
		.amdhsa_fp16_overflow 0
		.amdhsa_tg_split 0
		.amdhsa_exception_fp_ieee_invalid_op 0
		.amdhsa_exception_fp_denorm_src 0
		.amdhsa_exception_fp_ieee_div_zero 0
		.amdhsa_exception_fp_ieee_overflow 0
		.amdhsa_exception_fp_ieee_underflow 0
		.amdhsa_exception_fp_ieee_inexact 0
		.amdhsa_exception_int_div_zero 0
	.end_amdhsa_kernel
	.section	.text._ZN7rocprim17ROCPRIM_400000_NS6detail17trampoline_kernelINS0_14default_configENS1_25partition_config_selectorILNS1_17partition_subalgoE8EaNS0_10empty_typeEbEEZZNS1_14partition_implILS5_8ELb0ES3_jPKaPS6_PKS6_NS0_5tupleIJPaS6_EEENSE_IJSB_SB_EEENS0_18inequality_wrapperIN6hipcub16HIPCUB_304000_NS8EqualityEEEPlJS6_EEE10hipError_tPvRmT3_T4_T5_T6_T7_T9_mT8_P12ihipStream_tbDpT10_ENKUlT_T0_E_clISt17integral_constantIbLb0EES17_EEDaS12_S13_EUlS12_E_NS1_11comp_targetILNS1_3genE4ELNS1_11target_archE910ELNS1_3gpuE8ELNS1_3repE0EEENS1_30default_config_static_selectorELNS0_4arch9wavefront6targetE1EEEvT1_,"axG",@progbits,_ZN7rocprim17ROCPRIM_400000_NS6detail17trampoline_kernelINS0_14default_configENS1_25partition_config_selectorILNS1_17partition_subalgoE8EaNS0_10empty_typeEbEEZZNS1_14partition_implILS5_8ELb0ES3_jPKaPS6_PKS6_NS0_5tupleIJPaS6_EEENSE_IJSB_SB_EEENS0_18inequality_wrapperIN6hipcub16HIPCUB_304000_NS8EqualityEEEPlJS6_EEE10hipError_tPvRmT3_T4_T5_T6_T7_T9_mT8_P12ihipStream_tbDpT10_ENKUlT_T0_E_clISt17integral_constantIbLb0EES17_EEDaS12_S13_EUlS12_E_NS1_11comp_targetILNS1_3genE4ELNS1_11target_archE910ELNS1_3gpuE8ELNS1_3repE0EEENS1_30default_config_static_selectorELNS0_4arch9wavefront6targetE1EEEvT1_,comdat
.Lfunc_end205:
	.size	_ZN7rocprim17ROCPRIM_400000_NS6detail17trampoline_kernelINS0_14default_configENS1_25partition_config_selectorILNS1_17partition_subalgoE8EaNS0_10empty_typeEbEEZZNS1_14partition_implILS5_8ELb0ES3_jPKaPS6_PKS6_NS0_5tupleIJPaS6_EEENSE_IJSB_SB_EEENS0_18inequality_wrapperIN6hipcub16HIPCUB_304000_NS8EqualityEEEPlJS6_EEE10hipError_tPvRmT3_T4_T5_T6_T7_T9_mT8_P12ihipStream_tbDpT10_ENKUlT_T0_E_clISt17integral_constantIbLb0EES17_EEDaS12_S13_EUlS12_E_NS1_11comp_targetILNS1_3genE4ELNS1_11target_archE910ELNS1_3gpuE8ELNS1_3repE0EEENS1_30default_config_static_selectorELNS0_4arch9wavefront6targetE1EEEvT1_, .Lfunc_end205-_ZN7rocprim17ROCPRIM_400000_NS6detail17trampoline_kernelINS0_14default_configENS1_25partition_config_selectorILNS1_17partition_subalgoE8EaNS0_10empty_typeEbEEZZNS1_14partition_implILS5_8ELb0ES3_jPKaPS6_PKS6_NS0_5tupleIJPaS6_EEENSE_IJSB_SB_EEENS0_18inequality_wrapperIN6hipcub16HIPCUB_304000_NS8EqualityEEEPlJS6_EEE10hipError_tPvRmT3_T4_T5_T6_T7_T9_mT8_P12ihipStream_tbDpT10_ENKUlT_T0_E_clISt17integral_constantIbLb0EES17_EEDaS12_S13_EUlS12_E_NS1_11comp_targetILNS1_3genE4ELNS1_11target_archE910ELNS1_3gpuE8ELNS1_3repE0EEENS1_30default_config_static_selectorELNS0_4arch9wavefront6targetE1EEEvT1_
                                        ; -- End function
	.section	.AMDGPU.csdata,"",@progbits
; Kernel info:
; codeLenInByte = 12920
; NumSgprs: 58
; NumVgprs: 125
; NumAgprs: 0
; TotalNumVgprs: 125
; ScratchSize: 0
; MemoryBound: 0
; FloatMode: 240
; IeeeMode: 1
; LDSByteSize: 4232 bytes/workgroup (compile time only)
; SGPRBlocks: 7
; VGPRBlocks: 15
; NumSGPRsForWavesPerEU: 58
; NumVGPRsForWavesPerEU: 125
; AccumOffset: 128
; Occupancy: 4
; WaveLimiterHint : 1
; COMPUTE_PGM_RSRC2:SCRATCH_EN: 0
; COMPUTE_PGM_RSRC2:USER_SGPR: 6
; COMPUTE_PGM_RSRC2:TRAP_HANDLER: 0
; COMPUTE_PGM_RSRC2:TGID_X_EN: 1
; COMPUTE_PGM_RSRC2:TGID_Y_EN: 0
; COMPUTE_PGM_RSRC2:TGID_Z_EN: 0
; COMPUTE_PGM_RSRC2:TIDIG_COMP_CNT: 0
; COMPUTE_PGM_RSRC3_GFX90A:ACCUM_OFFSET: 31
; COMPUTE_PGM_RSRC3_GFX90A:TG_SPLIT: 0
	.section	.text._ZN7rocprim17ROCPRIM_400000_NS6detail17trampoline_kernelINS0_14default_configENS1_25partition_config_selectorILNS1_17partition_subalgoE8EaNS0_10empty_typeEbEEZZNS1_14partition_implILS5_8ELb0ES3_jPKaPS6_PKS6_NS0_5tupleIJPaS6_EEENSE_IJSB_SB_EEENS0_18inequality_wrapperIN6hipcub16HIPCUB_304000_NS8EqualityEEEPlJS6_EEE10hipError_tPvRmT3_T4_T5_T6_T7_T9_mT8_P12ihipStream_tbDpT10_ENKUlT_T0_E_clISt17integral_constantIbLb0EES17_EEDaS12_S13_EUlS12_E_NS1_11comp_targetILNS1_3genE3ELNS1_11target_archE908ELNS1_3gpuE7ELNS1_3repE0EEENS1_30default_config_static_selectorELNS0_4arch9wavefront6targetE1EEEvT1_,"axG",@progbits,_ZN7rocprim17ROCPRIM_400000_NS6detail17trampoline_kernelINS0_14default_configENS1_25partition_config_selectorILNS1_17partition_subalgoE8EaNS0_10empty_typeEbEEZZNS1_14partition_implILS5_8ELb0ES3_jPKaPS6_PKS6_NS0_5tupleIJPaS6_EEENSE_IJSB_SB_EEENS0_18inequality_wrapperIN6hipcub16HIPCUB_304000_NS8EqualityEEEPlJS6_EEE10hipError_tPvRmT3_T4_T5_T6_T7_T9_mT8_P12ihipStream_tbDpT10_ENKUlT_T0_E_clISt17integral_constantIbLb0EES17_EEDaS12_S13_EUlS12_E_NS1_11comp_targetILNS1_3genE3ELNS1_11target_archE908ELNS1_3gpuE7ELNS1_3repE0EEENS1_30default_config_static_selectorELNS0_4arch9wavefront6targetE1EEEvT1_,comdat
	.protected	_ZN7rocprim17ROCPRIM_400000_NS6detail17trampoline_kernelINS0_14default_configENS1_25partition_config_selectorILNS1_17partition_subalgoE8EaNS0_10empty_typeEbEEZZNS1_14partition_implILS5_8ELb0ES3_jPKaPS6_PKS6_NS0_5tupleIJPaS6_EEENSE_IJSB_SB_EEENS0_18inequality_wrapperIN6hipcub16HIPCUB_304000_NS8EqualityEEEPlJS6_EEE10hipError_tPvRmT3_T4_T5_T6_T7_T9_mT8_P12ihipStream_tbDpT10_ENKUlT_T0_E_clISt17integral_constantIbLb0EES17_EEDaS12_S13_EUlS12_E_NS1_11comp_targetILNS1_3genE3ELNS1_11target_archE908ELNS1_3gpuE7ELNS1_3repE0EEENS1_30default_config_static_selectorELNS0_4arch9wavefront6targetE1EEEvT1_ ; -- Begin function _ZN7rocprim17ROCPRIM_400000_NS6detail17trampoline_kernelINS0_14default_configENS1_25partition_config_selectorILNS1_17partition_subalgoE8EaNS0_10empty_typeEbEEZZNS1_14partition_implILS5_8ELb0ES3_jPKaPS6_PKS6_NS0_5tupleIJPaS6_EEENSE_IJSB_SB_EEENS0_18inequality_wrapperIN6hipcub16HIPCUB_304000_NS8EqualityEEEPlJS6_EEE10hipError_tPvRmT3_T4_T5_T6_T7_T9_mT8_P12ihipStream_tbDpT10_ENKUlT_T0_E_clISt17integral_constantIbLb0EES17_EEDaS12_S13_EUlS12_E_NS1_11comp_targetILNS1_3genE3ELNS1_11target_archE908ELNS1_3gpuE7ELNS1_3repE0EEENS1_30default_config_static_selectorELNS0_4arch9wavefront6targetE1EEEvT1_
	.globl	_ZN7rocprim17ROCPRIM_400000_NS6detail17trampoline_kernelINS0_14default_configENS1_25partition_config_selectorILNS1_17partition_subalgoE8EaNS0_10empty_typeEbEEZZNS1_14partition_implILS5_8ELb0ES3_jPKaPS6_PKS6_NS0_5tupleIJPaS6_EEENSE_IJSB_SB_EEENS0_18inequality_wrapperIN6hipcub16HIPCUB_304000_NS8EqualityEEEPlJS6_EEE10hipError_tPvRmT3_T4_T5_T6_T7_T9_mT8_P12ihipStream_tbDpT10_ENKUlT_T0_E_clISt17integral_constantIbLb0EES17_EEDaS12_S13_EUlS12_E_NS1_11comp_targetILNS1_3genE3ELNS1_11target_archE908ELNS1_3gpuE7ELNS1_3repE0EEENS1_30default_config_static_selectorELNS0_4arch9wavefront6targetE1EEEvT1_
	.p2align	8
	.type	_ZN7rocprim17ROCPRIM_400000_NS6detail17trampoline_kernelINS0_14default_configENS1_25partition_config_selectorILNS1_17partition_subalgoE8EaNS0_10empty_typeEbEEZZNS1_14partition_implILS5_8ELb0ES3_jPKaPS6_PKS6_NS0_5tupleIJPaS6_EEENSE_IJSB_SB_EEENS0_18inequality_wrapperIN6hipcub16HIPCUB_304000_NS8EqualityEEEPlJS6_EEE10hipError_tPvRmT3_T4_T5_T6_T7_T9_mT8_P12ihipStream_tbDpT10_ENKUlT_T0_E_clISt17integral_constantIbLb0EES17_EEDaS12_S13_EUlS12_E_NS1_11comp_targetILNS1_3genE3ELNS1_11target_archE908ELNS1_3gpuE7ELNS1_3repE0EEENS1_30default_config_static_selectorELNS0_4arch9wavefront6targetE1EEEvT1_,@function
_ZN7rocprim17ROCPRIM_400000_NS6detail17trampoline_kernelINS0_14default_configENS1_25partition_config_selectorILNS1_17partition_subalgoE8EaNS0_10empty_typeEbEEZZNS1_14partition_implILS5_8ELb0ES3_jPKaPS6_PKS6_NS0_5tupleIJPaS6_EEENSE_IJSB_SB_EEENS0_18inequality_wrapperIN6hipcub16HIPCUB_304000_NS8EqualityEEEPlJS6_EEE10hipError_tPvRmT3_T4_T5_T6_T7_T9_mT8_P12ihipStream_tbDpT10_ENKUlT_T0_E_clISt17integral_constantIbLb0EES17_EEDaS12_S13_EUlS12_E_NS1_11comp_targetILNS1_3genE3ELNS1_11target_archE908ELNS1_3gpuE7ELNS1_3repE0EEENS1_30default_config_static_selectorELNS0_4arch9wavefront6targetE1EEEvT1_: ; @_ZN7rocprim17ROCPRIM_400000_NS6detail17trampoline_kernelINS0_14default_configENS1_25partition_config_selectorILNS1_17partition_subalgoE8EaNS0_10empty_typeEbEEZZNS1_14partition_implILS5_8ELb0ES3_jPKaPS6_PKS6_NS0_5tupleIJPaS6_EEENSE_IJSB_SB_EEENS0_18inequality_wrapperIN6hipcub16HIPCUB_304000_NS8EqualityEEEPlJS6_EEE10hipError_tPvRmT3_T4_T5_T6_T7_T9_mT8_P12ihipStream_tbDpT10_ENKUlT_T0_E_clISt17integral_constantIbLb0EES17_EEDaS12_S13_EUlS12_E_NS1_11comp_targetILNS1_3genE3ELNS1_11target_archE908ELNS1_3gpuE7ELNS1_3repE0EEENS1_30default_config_static_selectorELNS0_4arch9wavefront6targetE1EEEvT1_
; %bb.0:
	.section	.rodata,"a",@progbits
	.p2align	6, 0x0
	.amdhsa_kernel _ZN7rocprim17ROCPRIM_400000_NS6detail17trampoline_kernelINS0_14default_configENS1_25partition_config_selectorILNS1_17partition_subalgoE8EaNS0_10empty_typeEbEEZZNS1_14partition_implILS5_8ELb0ES3_jPKaPS6_PKS6_NS0_5tupleIJPaS6_EEENSE_IJSB_SB_EEENS0_18inequality_wrapperIN6hipcub16HIPCUB_304000_NS8EqualityEEEPlJS6_EEE10hipError_tPvRmT3_T4_T5_T6_T7_T9_mT8_P12ihipStream_tbDpT10_ENKUlT_T0_E_clISt17integral_constantIbLb0EES17_EEDaS12_S13_EUlS12_E_NS1_11comp_targetILNS1_3genE3ELNS1_11target_archE908ELNS1_3gpuE7ELNS1_3repE0EEENS1_30default_config_static_selectorELNS0_4arch9wavefront6targetE1EEEvT1_
		.amdhsa_group_segment_fixed_size 0
		.amdhsa_private_segment_fixed_size 0
		.amdhsa_kernarg_size 112
		.amdhsa_user_sgpr_count 6
		.amdhsa_user_sgpr_private_segment_buffer 1
		.amdhsa_user_sgpr_dispatch_ptr 0
		.amdhsa_user_sgpr_queue_ptr 0
		.amdhsa_user_sgpr_kernarg_segment_ptr 1
		.amdhsa_user_sgpr_dispatch_id 0
		.amdhsa_user_sgpr_flat_scratch_init 0
		.amdhsa_user_sgpr_kernarg_preload_length 0
		.amdhsa_user_sgpr_kernarg_preload_offset 0
		.amdhsa_user_sgpr_private_segment_size 0
		.amdhsa_uses_dynamic_stack 0
		.amdhsa_system_sgpr_private_segment_wavefront_offset 0
		.amdhsa_system_sgpr_workgroup_id_x 1
		.amdhsa_system_sgpr_workgroup_id_y 0
		.amdhsa_system_sgpr_workgroup_id_z 0
		.amdhsa_system_sgpr_workgroup_info 0
		.amdhsa_system_vgpr_workitem_id 0
		.amdhsa_next_free_vgpr 1
		.amdhsa_next_free_sgpr 0
		.amdhsa_accum_offset 4
		.amdhsa_reserve_vcc 0
		.amdhsa_reserve_flat_scratch 0
		.amdhsa_float_round_mode_32 0
		.amdhsa_float_round_mode_16_64 0
		.amdhsa_float_denorm_mode_32 3
		.amdhsa_float_denorm_mode_16_64 3
		.amdhsa_dx10_clamp 1
		.amdhsa_ieee_mode 1
		.amdhsa_fp16_overflow 0
		.amdhsa_tg_split 0
		.amdhsa_exception_fp_ieee_invalid_op 0
		.amdhsa_exception_fp_denorm_src 0
		.amdhsa_exception_fp_ieee_div_zero 0
		.amdhsa_exception_fp_ieee_overflow 0
		.amdhsa_exception_fp_ieee_underflow 0
		.amdhsa_exception_fp_ieee_inexact 0
		.amdhsa_exception_int_div_zero 0
	.end_amdhsa_kernel
	.section	.text._ZN7rocprim17ROCPRIM_400000_NS6detail17trampoline_kernelINS0_14default_configENS1_25partition_config_selectorILNS1_17partition_subalgoE8EaNS0_10empty_typeEbEEZZNS1_14partition_implILS5_8ELb0ES3_jPKaPS6_PKS6_NS0_5tupleIJPaS6_EEENSE_IJSB_SB_EEENS0_18inequality_wrapperIN6hipcub16HIPCUB_304000_NS8EqualityEEEPlJS6_EEE10hipError_tPvRmT3_T4_T5_T6_T7_T9_mT8_P12ihipStream_tbDpT10_ENKUlT_T0_E_clISt17integral_constantIbLb0EES17_EEDaS12_S13_EUlS12_E_NS1_11comp_targetILNS1_3genE3ELNS1_11target_archE908ELNS1_3gpuE7ELNS1_3repE0EEENS1_30default_config_static_selectorELNS0_4arch9wavefront6targetE1EEEvT1_,"axG",@progbits,_ZN7rocprim17ROCPRIM_400000_NS6detail17trampoline_kernelINS0_14default_configENS1_25partition_config_selectorILNS1_17partition_subalgoE8EaNS0_10empty_typeEbEEZZNS1_14partition_implILS5_8ELb0ES3_jPKaPS6_PKS6_NS0_5tupleIJPaS6_EEENSE_IJSB_SB_EEENS0_18inequality_wrapperIN6hipcub16HIPCUB_304000_NS8EqualityEEEPlJS6_EEE10hipError_tPvRmT3_T4_T5_T6_T7_T9_mT8_P12ihipStream_tbDpT10_ENKUlT_T0_E_clISt17integral_constantIbLb0EES17_EEDaS12_S13_EUlS12_E_NS1_11comp_targetILNS1_3genE3ELNS1_11target_archE908ELNS1_3gpuE7ELNS1_3repE0EEENS1_30default_config_static_selectorELNS0_4arch9wavefront6targetE1EEEvT1_,comdat
.Lfunc_end206:
	.size	_ZN7rocprim17ROCPRIM_400000_NS6detail17trampoline_kernelINS0_14default_configENS1_25partition_config_selectorILNS1_17partition_subalgoE8EaNS0_10empty_typeEbEEZZNS1_14partition_implILS5_8ELb0ES3_jPKaPS6_PKS6_NS0_5tupleIJPaS6_EEENSE_IJSB_SB_EEENS0_18inequality_wrapperIN6hipcub16HIPCUB_304000_NS8EqualityEEEPlJS6_EEE10hipError_tPvRmT3_T4_T5_T6_T7_T9_mT8_P12ihipStream_tbDpT10_ENKUlT_T0_E_clISt17integral_constantIbLb0EES17_EEDaS12_S13_EUlS12_E_NS1_11comp_targetILNS1_3genE3ELNS1_11target_archE908ELNS1_3gpuE7ELNS1_3repE0EEENS1_30default_config_static_selectorELNS0_4arch9wavefront6targetE1EEEvT1_, .Lfunc_end206-_ZN7rocprim17ROCPRIM_400000_NS6detail17trampoline_kernelINS0_14default_configENS1_25partition_config_selectorILNS1_17partition_subalgoE8EaNS0_10empty_typeEbEEZZNS1_14partition_implILS5_8ELb0ES3_jPKaPS6_PKS6_NS0_5tupleIJPaS6_EEENSE_IJSB_SB_EEENS0_18inequality_wrapperIN6hipcub16HIPCUB_304000_NS8EqualityEEEPlJS6_EEE10hipError_tPvRmT3_T4_T5_T6_T7_T9_mT8_P12ihipStream_tbDpT10_ENKUlT_T0_E_clISt17integral_constantIbLb0EES17_EEDaS12_S13_EUlS12_E_NS1_11comp_targetILNS1_3genE3ELNS1_11target_archE908ELNS1_3gpuE7ELNS1_3repE0EEENS1_30default_config_static_selectorELNS0_4arch9wavefront6targetE1EEEvT1_
                                        ; -- End function
	.section	.AMDGPU.csdata,"",@progbits
; Kernel info:
; codeLenInByte = 0
; NumSgprs: 4
; NumVgprs: 0
; NumAgprs: 0
; TotalNumVgprs: 0
; ScratchSize: 0
; MemoryBound: 0
; FloatMode: 240
; IeeeMode: 1
; LDSByteSize: 0 bytes/workgroup (compile time only)
; SGPRBlocks: 0
; VGPRBlocks: 0
; NumSGPRsForWavesPerEU: 4
; NumVGPRsForWavesPerEU: 1
; AccumOffset: 4
; Occupancy: 8
; WaveLimiterHint : 0
; COMPUTE_PGM_RSRC2:SCRATCH_EN: 0
; COMPUTE_PGM_RSRC2:USER_SGPR: 6
; COMPUTE_PGM_RSRC2:TRAP_HANDLER: 0
; COMPUTE_PGM_RSRC2:TGID_X_EN: 1
; COMPUTE_PGM_RSRC2:TGID_Y_EN: 0
; COMPUTE_PGM_RSRC2:TGID_Z_EN: 0
; COMPUTE_PGM_RSRC2:TIDIG_COMP_CNT: 0
; COMPUTE_PGM_RSRC3_GFX90A:ACCUM_OFFSET: 0
; COMPUTE_PGM_RSRC3_GFX90A:TG_SPLIT: 0
	.section	.text._ZN7rocprim17ROCPRIM_400000_NS6detail17trampoline_kernelINS0_14default_configENS1_25partition_config_selectorILNS1_17partition_subalgoE8EaNS0_10empty_typeEbEEZZNS1_14partition_implILS5_8ELb0ES3_jPKaPS6_PKS6_NS0_5tupleIJPaS6_EEENSE_IJSB_SB_EEENS0_18inequality_wrapperIN6hipcub16HIPCUB_304000_NS8EqualityEEEPlJS6_EEE10hipError_tPvRmT3_T4_T5_T6_T7_T9_mT8_P12ihipStream_tbDpT10_ENKUlT_T0_E_clISt17integral_constantIbLb0EES17_EEDaS12_S13_EUlS12_E_NS1_11comp_targetILNS1_3genE2ELNS1_11target_archE906ELNS1_3gpuE6ELNS1_3repE0EEENS1_30default_config_static_selectorELNS0_4arch9wavefront6targetE1EEEvT1_,"axG",@progbits,_ZN7rocprim17ROCPRIM_400000_NS6detail17trampoline_kernelINS0_14default_configENS1_25partition_config_selectorILNS1_17partition_subalgoE8EaNS0_10empty_typeEbEEZZNS1_14partition_implILS5_8ELb0ES3_jPKaPS6_PKS6_NS0_5tupleIJPaS6_EEENSE_IJSB_SB_EEENS0_18inequality_wrapperIN6hipcub16HIPCUB_304000_NS8EqualityEEEPlJS6_EEE10hipError_tPvRmT3_T4_T5_T6_T7_T9_mT8_P12ihipStream_tbDpT10_ENKUlT_T0_E_clISt17integral_constantIbLb0EES17_EEDaS12_S13_EUlS12_E_NS1_11comp_targetILNS1_3genE2ELNS1_11target_archE906ELNS1_3gpuE6ELNS1_3repE0EEENS1_30default_config_static_selectorELNS0_4arch9wavefront6targetE1EEEvT1_,comdat
	.protected	_ZN7rocprim17ROCPRIM_400000_NS6detail17trampoline_kernelINS0_14default_configENS1_25partition_config_selectorILNS1_17partition_subalgoE8EaNS0_10empty_typeEbEEZZNS1_14partition_implILS5_8ELb0ES3_jPKaPS6_PKS6_NS0_5tupleIJPaS6_EEENSE_IJSB_SB_EEENS0_18inequality_wrapperIN6hipcub16HIPCUB_304000_NS8EqualityEEEPlJS6_EEE10hipError_tPvRmT3_T4_T5_T6_T7_T9_mT8_P12ihipStream_tbDpT10_ENKUlT_T0_E_clISt17integral_constantIbLb0EES17_EEDaS12_S13_EUlS12_E_NS1_11comp_targetILNS1_3genE2ELNS1_11target_archE906ELNS1_3gpuE6ELNS1_3repE0EEENS1_30default_config_static_selectorELNS0_4arch9wavefront6targetE1EEEvT1_ ; -- Begin function _ZN7rocprim17ROCPRIM_400000_NS6detail17trampoline_kernelINS0_14default_configENS1_25partition_config_selectorILNS1_17partition_subalgoE8EaNS0_10empty_typeEbEEZZNS1_14partition_implILS5_8ELb0ES3_jPKaPS6_PKS6_NS0_5tupleIJPaS6_EEENSE_IJSB_SB_EEENS0_18inequality_wrapperIN6hipcub16HIPCUB_304000_NS8EqualityEEEPlJS6_EEE10hipError_tPvRmT3_T4_T5_T6_T7_T9_mT8_P12ihipStream_tbDpT10_ENKUlT_T0_E_clISt17integral_constantIbLb0EES17_EEDaS12_S13_EUlS12_E_NS1_11comp_targetILNS1_3genE2ELNS1_11target_archE906ELNS1_3gpuE6ELNS1_3repE0EEENS1_30default_config_static_selectorELNS0_4arch9wavefront6targetE1EEEvT1_
	.globl	_ZN7rocprim17ROCPRIM_400000_NS6detail17trampoline_kernelINS0_14default_configENS1_25partition_config_selectorILNS1_17partition_subalgoE8EaNS0_10empty_typeEbEEZZNS1_14partition_implILS5_8ELb0ES3_jPKaPS6_PKS6_NS0_5tupleIJPaS6_EEENSE_IJSB_SB_EEENS0_18inequality_wrapperIN6hipcub16HIPCUB_304000_NS8EqualityEEEPlJS6_EEE10hipError_tPvRmT3_T4_T5_T6_T7_T9_mT8_P12ihipStream_tbDpT10_ENKUlT_T0_E_clISt17integral_constantIbLb0EES17_EEDaS12_S13_EUlS12_E_NS1_11comp_targetILNS1_3genE2ELNS1_11target_archE906ELNS1_3gpuE6ELNS1_3repE0EEENS1_30default_config_static_selectorELNS0_4arch9wavefront6targetE1EEEvT1_
	.p2align	8
	.type	_ZN7rocprim17ROCPRIM_400000_NS6detail17trampoline_kernelINS0_14default_configENS1_25partition_config_selectorILNS1_17partition_subalgoE8EaNS0_10empty_typeEbEEZZNS1_14partition_implILS5_8ELb0ES3_jPKaPS6_PKS6_NS0_5tupleIJPaS6_EEENSE_IJSB_SB_EEENS0_18inequality_wrapperIN6hipcub16HIPCUB_304000_NS8EqualityEEEPlJS6_EEE10hipError_tPvRmT3_T4_T5_T6_T7_T9_mT8_P12ihipStream_tbDpT10_ENKUlT_T0_E_clISt17integral_constantIbLb0EES17_EEDaS12_S13_EUlS12_E_NS1_11comp_targetILNS1_3genE2ELNS1_11target_archE906ELNS1_3gpuE6ELNS1_3repE0EEENS1_30default_config_static_selectorELNS0_4arch9wavefront6targetE1EEEvT1_,@function
_ZN7rocprim17ROCPRIM_400000_NS6detail17trampoline_kernelINS0_14default_configENS1_25partition_config_selectorILNS1_17partition_subalgoE8EaNS0_10empty_typeEbEEZZNS1_14partition_implILS5_8ELb0ES3_jPKaPS6_PKS6_NS0_5tupleIJPaS6_EEENSE_IJSB_SB_EEENS0_18inequality_wrapperIN6hipcub16HIPCUB_304000_NS8EqualityEEEPlJS6_EEE10hipError_tPvRmT3_T4_T5_T6_T7_T9_mT8_P12ihipStream_tbDpT10_ENKUlT_T0_E_clISt17integral_constantIbLb0EES17_EEDaS12_S13_EUlS12_E_NS1_11comp_targetILNS1_3genE2ELNS1_11target_archE906ELNS1_3gpuE6ELNS1_3repE0EEENS1_30default_config_static_selectorELNS0_4arch9wavefront6targetE1EEEvT1_: ; @_ZN7rocprim17ROCPRIM_400000_NS6detail17trampoline_kernelINS0_14default_configENS1_25partition_config_selectorILNS1_17partition_subalgoE8EaNS0_10empty_typeEbEEZZNS1_14partition_implILS5_8ELb0ES3_jPKaPS6_PKS6_NS0_5tupleIJPaS6_EEENSE_IJSB_SB_EEENS0_18inequality_wrapperIN6hipcub16HIPCUB_304000_NS8EqualityEEEPlJS6_EEE10hipError_tPvRmT3_T4_T5_T6_T7_T9_mT8_P12ihipStream_tbDpT10_ENKUlT_T0_E_clISt17integral_constantIbLb0EES17_EEDaS12_S13_EUlS12_E_NS1_11comp_targetILNS1_3genE2ELNS1_11target_archE906ELNS1_3gpuE6ELNS1_3repE0EEENS1_30default_config_static_selectorELNS0_4arch9wavefront6targetE1EEEvT1_
; %bb.0:
	.section	.rodata,"a",@progbits
	.p2align	6, 0x0
	.amdhsa_kernel _ZN7rocprim17ROCPRIM_400000_NS6detail17trampoline_kernelINS0_14default_configENS1_25partition_config_selectorILNS1_17partition_subalgoE8EaNS0_10empty_typeEbEEZZNS1_14partition_implILS5_8ELb0ES3_jPKaPS6_PKS6_NS0_5tupleIJPaS6_EEENSE_IJSB_SB_EEENS0_18inequality_wrapperIN6hipcub16HIPCUB_304000_NS8EqualityEEEPlJS6_EEE10hipError_tPvRmT3_T4_T5_T6_T7_T9_mT8_P12ihipStream_tbDpT10_ENKUlT_T0_E_clISt17integral_constantIbLb0EES17_EEDaS12_S13_EUlS12_E_NS1_11comp_targetILNS1_3genE2ELNS1_11target_archE906ELNS1_3gpuE6ELNS1_3repE0EEENS1_30default_config_static_selectorELNS0_4arch9wavefront6targetE1EEEvT1_
		.amdhsa_group_segment_fixed_size 0
		.amdhsa_private_segment_fixed_size 0
		.amdhsa_kernarg_size 112
		.amdhsa_user_sgpr_count 6
		.amdhsa_user_sgpr_private_segment_buffer 1
		.amdhsa_user_sgpr_dispatch_ptr 0
		.amdhsa_user_sgpr_queue_ptr 0
		.amdhsa_user_sgpr_kernarg_segment_ptr 1
		.amdhsa_user_sgpr_dispatch_id 0
		.amdhsa_user_sgpr_flat_scratch_init 0
		.amdhsa_user_sgpr_kernarg_preload_length 0
		.amdhsa_user_sgpr_kernarg_preload_offset 0
		.amdhsa_user_sgpr_private_segment_size 0
		.amdhsa_uses_dynamic_stack 0
		.amdhsa_system_sgpr_private_segment_wavefront_offset 0
		.amdhsa_system_sgpr_workgroup_id_x 1
		.amdhsa_system_sgpr_workgroup_id_y 0
		.amdhsa_system_sgpr_workgroup_id_z 0
		.amdhsa_system_sgpr_workgroup_info 0
		.amdhsa_system_vgpr_workitem_id 0
		.amdhsa_next_free_vgpr 1
		.amdhsa_next_free_sgpr 0
		.amdhsa_accum_offset 4
		.amdhsa_reserve_vcc 0
		.amdhsa_reserve_flat_scratch 0
		.amdhsa_float_round_mode_32 0
		.amdhsa_float_round_mode_16_64 0
		.amdhsa_float_denorm_mode_32 3
		.amdhsa_float_denorm_mode_16_64 3
		.amdhsa_dx10_clamp 1
		.amdhsa_ieee_mode 1
		.amdhsa_fp16_overflow 0
		.amdhsa_tg_split 0
		.amdhsa_exception_fp_ieee_invalid_op 0
		.amdhsa_exception_fp_denorm_src 0
		.amdhsa_exception_fp_ieee_div_zero 0
		.amdhsa_exception_fp_ieee_overflow 0
		.amdhsa_exception_fp_ieee_underflow 0
		.amdhsa_exception_fp_ieee_inexact 0
		.amdhsa_exception_int_div_zero 0
	.end_amdhsa_kernel
	.section	.text._ZN7rocprim17ROCPRIM_400000_NS6detail17trampoline_kernelINS0_14default_configENS1_25partition_config_selectorILNS1_17partition_subalgoE8EaNS0_10empty_typeEbEEZZNS1_14partition_implILS5_8ELb0ES3_jPKaPS6_PKS6_NS0_5tupleIJPaS6_EEENSE_IJSB_SB_EEENS0_18inequality_wrapperIN6hipcub16HIPCUB_304000_NS8EqualityEEEPlJS6_EEE10hipError_tPvRmT3_T4_T5_T6_T7_T9_mT8_P12ihipStream_tbDpT10_ENKUlT_T0_E_clISt17integral_constantIbLb0EES17_EEDaS12_S13_EUlS12_E_NS1_11comp_targetILNS1_3genE2ELNS1_11target_archE906ELNS1_3gpuE6ELNS1_3repE0EEENS1_30default_config_static_selectorELNS0_4arch9wavefront6targetE1EEEvT1_,"axG",@progbits,_ZN7rocprim17ROCPRIM_400000_NS6detail17trampoline_kernelINS0_14default_configENS1_25partition_config_selectorILNS1_17partition_subalgoE8EaNS0_10empty_typeEbEEZZNS1_14partition_implILS5_8ELb0ES3_jPKaPS6_PKS6_NS0_5tupleIJPaS6_EEENSE_IJSB_SB_EEENS0_18inequality_wrapperIN6hipcub16HIPCUB_304000_NS8EqualityEEEPlJS6_EEE10hipError_tPvRmT3_T4_T5_T6_T7_T9_mT8_P12ihipStream_tbDpT10_ENKUlT_T0_E_clISt17integral_constantIbLb0EES17_EEDaS12_S13_EUlS12_E_NS1_11comp_targetILNS1_3genE2ELNS1_11target_archE906ELNS1_3gpuE6ELNS1_3repE0EEENS1_30default_config_static_selectorELNS0_4arch9wavefront6targetE1EEEvT1_,comdat
.Lfunc_end207:
	.size	_ZN7rocprim17ROCPRIM_400000_NS6detail17trampoline_kernelINS0_14default_configENS1_25partition_config_selectorILNS1_17partition_subalgoE8EaNS0_10empty_typeEbEEZZNS1_14partition_implILS5_8ELb0ES3_jPKaPS6_PKS6_NS0_5tupleIJPaS6_EEENSE_IJSB_SB_EEENS0_18inequality_wrapperIN6hipcub16HIPCUB_304000_NS8EqualityEEEPlJS6_EEE10hipError_tPvRmT3_T4_T5_T6_T7_T9_mT8_P12ihipStream_tbDpT10_ENKUlT_T0_E_clISt17integral_constantIbLb0EES17_EEDaS12_S13_EUlS12_E_NS1_11comp_targetILNS1_3genE2ELNS1_11target_archE906ELNS1_3gpuE6ELNS1_3repE0EEENS1_30default_config_static_selectorELNS0_4arch9wavefront6targetE1EEEvT1_, .Lfunc_end207-_ZN7rocprim17ROCPRIM_400000_NS6detail17trampoline_kernelINS0_14default_configENS1_25partition_config_selectorILNS1_17partition_subalgoE8EaNS0_10empty_typeEbEEZZNS1_14partition_implILS5_8ELb0ES3_jPKaPS6_PKS6_NS0_5tupleIJPaS6_EEENSE_IJSB_SB_EEENS0_18inequality_wrapperIN6hipcub16HIPCUB_304000_NS8EqualityEEEPlJS6_EEE10hipError_tPvRmT3_T4_T5_T6_T7_T9_mT8_P12ihipStream_tbDpT10_ENKUlT_T0_E_clISt17integral_constantIbLb0EES17_EEDaS12_S13_EUlS12_E_NS1_11comp_targetILNS1_3genE2ELNS1_11target_archE906ELNS1_3gpuE6ELNS1_3repE0EEENS1_30default_config_static_selectorELNS0_4arch9wavefront6targetE1EEEvT1_
                                        ; -- End function
	.section	.AMDGPU.csdata,"",@progbits
; Kernel info:
; codeLenInByte = 0
; NumSgprs: 4
; NumVgprs: 0
; NumAgprs: 0
; TotalNumVgprs: 0
; ScratchSize: 0
; MemoryBound: 0
; FloatMode: 240
; IeeeMode: 1
; LDSByteSize: 0 bytes/workgroup (compile time only)
; SGPRBlocks: 0
; VGPRBlocks: 0
; NumSGPRsForWavesPerEU: 4
; NumVGPRsForWavesPerEU: 1
; AccumOffset: 4
; Occupancy: 8
; WaveLimiterHint : 0
; COMPUTE_PGM_RSRC2:SCRATCH_EN: 0
; COMPUTE_PGM_RSRC2:USER_SGPR: 6
; COMPUTE_PGM_RSRC2:TRAP_HANDLER: 0
; COMPUTE_PGM_RSRC2:TGID_X_EN: 1
; COMPUTE_PGM_RSRC2:TGID_Y_EN: 0
; COMPUTE_PGM_RSRC2:TGID_Z_EN: 0
; COMPUTE_PGM_RSRC2:TIDIG_COMP_CNT: 0
; COMPUTE_PGM_RSRC3_GFX90A:ACCUM_OFFSET: 0
; COMPUTE_PGM_RSRC3_GFX90A:TG_SPLIT: 0
	.section	.text._ZN7rocprim17ROCPRIM_400000_NS6detail17trampoline_kernelINS0_14default_configENS1_25partition_config_selectorILNS1_17partition_subalgoE8EaNS0_10empty_typeEbEEZZNS1_14partition_implILS5_8ELb0ES3_jPKaPS6_PKS6_NS0_5tupleIJPaS6_EEENSE_IJSB_SB_EEENS0_18inequality_wrapperIN6hipcub16HIPCUB_304000_NS8EqualityEEEPlJS6_EEE10hipError_tPvRmT3_T4_T5_T6_T7_T9_mT8_P12ihipStream_tbDpT10_ENKUlT_T0_E_clISt17integral_constantIbLb0EES17_EEDaS12_S13_EUlS12_E_NS1_11comp_targetILNS1_3genE10ELNS1_11target_archE1200ELNS1_3gpuE4ELNS1_3repE0EEENS1_30default_config_static_selectorELNS0_4arch9wavefront6targetE1EEEvT1_,"axG",@progbits,_ZN7rocprim17ROCPRIM_400000_NS6detail17trampoline_kernelINS0_14default_configENS1_25partition_config_selectorILNS1_17partition_subalgoE8EaNS0_10empty_typeEbEEZZNS1_14partition_implILS5_8ELb0ES3_jPKaPS6_PKS6_NS0_5tupleIJPaS6_EEENSE_IJSB_SB_EEENS0_18inequality_wrapperIN6hipcub16HIPCUB_304000_NS8EqualityEEEPlJS6_EEE10hipError_tPvRmT3_T4_T5_T6_T7_T9_mT8_P12ihipStream_tbDpT10_ENKUlT_T0_E_clISt17integral_constantIbLb0EES17_EEDaS12_S13_EUlS12_E_NS1_11comp_targetILNS1_3genE10ELNS1_11target_archE1200ELNS1_3gpuE4ELNS1_3repE0EEENS1_30default_config_static_selectorELNS0_4arch9wavefront6targetE1EEEvT1_,comdat
	.protected	_ZN7rocprim17ROCPRIM_400000_NS6detail17trampoline_kernelINS0_14default_configENS1_25partition_config_selectorILNS1_17partition_subalgoE8EaNS0_10empty_typeEbEEZZNS1_14partition_implILS5_8ELb0ES3_jPKaPS6_PKS6_NS0_5tupleIJPaS6_EEENSE_IJSB_SB_EEENS0_18inequality_wrapperIN6hipcub16HIPCUB_304000_NS8EqualityEEEPlJS6_EEE10hipError_tPvRmT3_T4_T5_T6_T7_T9_mT8_P12ihipStream_tbDpT10_ENKUlT_T0_E_clISt17integral_constantIbLb0EES17_EEDaS12_S13_EUlS12_E_NS1_11comp_targetILNS1_3genE10ELNS1_11target_archE1200ELNS1_3gpuE4ELNS1_3repE0EEENS1_30default_config_static_selectorELNS0_4arch9wavefront6targetE1EEEvT1_ ; -- Begin function _ZN7rocprim17ROCPRIM_400000_NS6detail17trampoline_kernelINS0_14default_configENS1_25partition_config_selectorILNS1_17partition_subalgoE8EaNS0_10empty_typeEbEEZZNS1_14partition_implILS5_8ELb0ES3_jPKaPS6_PKS6_NS0_5tupleIJPaS6_EEENSE_IJSB_SB_EEENS0_18inequality_wrapperIN6hipcub16HIPCUB_304000_NS8EqualityEEEPlJS6_EEE10hipError_tPvRmT3_T4_T5_T6_T7_T9_mT8_P12ihipStream_tbDpT10_ENKUlT_T0_E_clISt17integral_constantIbLb0EES17_EEDaS12_S13_EUlS12_E_NS1_11comp_targetILNS1_3genE10ELNS1_11target_archE1200ELNS1_3gpuE4ELNS1_3repE0EEENS1_30default_config_static_selectorELNS0_4arch9wavefront6targetE1EEEvT1_
	.globl	_ZN7rocprim17ROCPRIM_400000_NS6detail17trampoline_kernelINS0_14default_configENS1_25partition_config_selectorILNS1_17partition_subalgoE8EaNS0_10empty_typeEbEEZZNS1_14partition_implILS5_8ELb0ES3_jPKaPS6_PKS6_NS0_5tupleIJPaS6_EEENSE_IJSB_SB_EEENS0_18inequality_wrapperIN6hipcub16HIPCUB_304000_NS8EqualityEEEPlJS6_EEE10hipError_tPvRmT3_T4_T5_T6_T7_T9_mT8_P12ihipStream_tbDpT10_ENKUlT_T0_E_clISt17integral_constantIbLb0EES17_EEDaS12_S13_EUlS12_E_NS1_11comp_targetILNS1_3genE10ELNS1_11target_archE1200ELNS1_3gpuE4ELNS1_3repE0EEENS1_30default_config_static_selectorELNS0_4arch9wavefront6targetE1EEEvT1_
	.p2align	8
	.type	_ZN7rocprim17ROCPRIM_400000_NS6detail17trampoline_kernelINS0_14default_configENS1_25partition_config_selectorILNS1_17partition_subalgoE8EaNS0_10empty_typeEbEEZZNS1_14partition_implILS5_8ELb0ES3_jPKaPS6_PKS6_NS0_5tupleIJPaS6_EEENSE_IJSB_SB_EEENS0_18inequality_wrapperIN6hipcub16HIPCUB_304000_NS8EqualityEEEPlJS6_EEE10hipError_tPvRmT3_T4_T5_T6_T7_T9_mT8_P12ihipStream_tbDpT10_ENKUlT_T0_E_clISt17integral_constantIbLb0EES17_EEDaS12_S13_EUlS12_E_NS1_11comp_targetILNS1_3genE10ELNS1_11target_archE1200ELNS1_3gpuE4ELNS1_3repE0EEENS1_30default_config_static_selectorELNS0_4arch9wavefront6targetE1EEEvT1_,@function
_ZN7rocprim17ROCPRIM_400000_NS6detail17trampoline_kernelINS0_14default_configENS1_25partition_config_selectorILNS1_17partition_subalgoE8EaNS0_10empty_typeEbEEZZNS1_14partition_implILS5_8ELb0ES3_jPKaPS6_PKS6_NS0_5tupleIJPaS6_EEENSE_IJSB_SB_EEENS0_18inequality_wrapperIN6hipcub16HIPCUB_304000_NS8EqualityEEEPlJS6_EEE10hipError_tPvRmT3_T4_T5_T6_T7_T9_mT8_P12ihipStream_tbDpT10_ENKUlT_T0_E_clISt17integral_constantIbLb0EES17_EEDaS12_S13_EUlS12_E_NS1_11comp_targetILNS1_3genE10ELNS1_11target_archE1200ELNS1_3gpuE4ELNS1_3repE0EEENS1_30default_config_static_selectorELNS0_4arch9wavefront6targetE1EEEvT1_: ; @_ZN7rocprim17ROCPRIM_400000_NS6detail17trampoline_kernelINS0_14default_configENS1_25partition_config_selectorILNS1_17partition_subalgoE8EaNS0_10empty_typeEbEEZZNS1_14partition_implILS5_8ELb0ES3_jPKaPS6_PKS6_NS0_5tupleIJPaS6_EEENSE_IJSB_SB_EEENS0_18inequality_wrapperIN6hipcub16HIPCUB_304000_NS8EqualityEEEPlJS6_EEE10hipError_tPvRmT3_T4_T5_T6_T7_T9_mT8_P12ihipStream_tbDpT10_ENKUlT_T0_E_clISt17integral_constantIbLb0EES17_EEDaS12_S13_EUlS12_E_NS1_11comp_targetILNS1_3genE10ELNS1_11target_archE1200ELNS1_3gpuE4ELNS1_3repE0EEENS1_30default_config_static_selectorELNS0_4arch9wavefront6targetE1EEEvT1_
; %bb.0:
	.section	.rodata,"a",@progbits
	.p2align	6, 0x0
	.amdhsa_kernel _ZN7rocprim17ROCPRIM_400000_NS6detail17trampoline_kernelINS0_14default_configENS1_25partition_config_selectorILNS1_17partition_subalgoE8EaNS0_10empty_typeEbEEZZNS1_14partition_implILS5_8ELb0ES3_jPKaPS6_PKS6_NS0_5tupleIJPaS6_EEENSE_IJSB_SB_EEENS0_18inequality_wrapperIN6hipcub16HIPCUB_304000_NS8EqualityEEEPlJS6_EEE10hipError_tPvRmT3_T4_T5_T6_T7_T9_mT8_P12ihipStream_tbDpT10_ENKUlT_T0_E_clISt17integral_constantIbLb0EES17_EEDaS12_S13_EUlS12_E_NS1_11comp_targetILNS1_3genE10ELNS1_11target_archE1200ELNS1_3gpuE4ELNS1_3repE0EEENS1_30default_config_static_selectorELNS0_4arch9wavefront6targetE1EEEvT1_
		.amdhsa_group_segment_fixed_size 0
		.amdhsa_private_segment_fixed_size 0
		.amdhsa_kernarg_size 112
		.amdhsa_user_sgpr_count 6
		.amdhsa_user_sgpr_private_segment_buffer 1
		.amdhsa_user_sgpr_dispatch_ptr 0
		.amdhsa_user_sgpr_queue_ptr 0
		.amdhsa_user_sgpr_kernarg_segment_ptr 1
		.amdhsa_user_sgpr_dispatch_id 0
		.amdhsa_user_sgpr_flat_scratch_init 0
		.amdhsa_user_sgpr_kernarg_preload_length 0
		.amdhsa_user_sgpr_kernarg_preload_offset 0
		.amdhsa_user_sgpr_private_segment_size 0
		.amdhsa_uses_dynamic_stack 0
		.amdhsa_system_sgpr_private_segment_wavefront_offset 0
		.amdhsa_system_sgpr_workgroup_id_x 1
		.amdhsa_system_sgpr_workgroup_id_y 0
		.amdhsa_system_sgpr_workgroup_id_z 0
		.amdhsa_system_sgpr_workgroup_info 0
		.amdhsa_system_vgpr_workitem_id 0
		.amdhsa_next_free_vgpr 1
		.amdhsa_next_free_sgpr 0
		.amdhsa_accum_offset 4
		.amdhsa_reserve_vcc 0
		.amdhsa_reserve_flat_scratch 0
		.amdhsa_float_round_mode_32 0
		.amdhsa_float_round_mode_16_64 0
		.amdhsa_float_denorm_mode_32 3
		.amdhsa_float_denorm_mode_16_64 3
		.amdhsa_dx10_clamp 1
		.amdhsa_ieee_mode 1
		.amdhsa_fp16_overflow 0
		.amdhsa_tg_split 0
		.amdhsa_exception_fp_ieee_invalid_op 0
		.amdhsa_exception_fp_denorm_src 0
		.amdhsa_exception_fp_ieee_div_zero 0
		.amdhsa_exception_fp_ieee_overflow 0
		.amdhsa_exception_fp_ieee_underflow 0
		.amdhsa_exception_fp_ieee_inexact 0
		.amdhsa_exception_int_div_zero 0
	.end_amdhsa_kernel
	.section	.text._ZN7rocprim17ROCPRIM_400000_NS6detail17trampoline_kernelINS0_14default_configENS1_25partition_config_selectorILNS1_17partition_subalgoE8EaNS0_10empty_typeEbEEZZNS1_14partition_implILS5_8ELb0ES3_jPKaPS6_PKS6_NS0_5tupleIJPaS6_EEENSE_IJSB_SB_EEENS0_18inequality_wrapperIN6hipcub16HIPCUB_304000_NS8EqualityEEEPlJS6_EEE10hipError_tPvRmT3_T4_T5_T6_T7_T9_mT8_P12ihipStream_tbDpT10_ENKUlT_T0_E_clISt17integral_constantIbLb0EES17_EEDaS12_S13_EUlS12_E_NS1_11comp_targetILNS1_3genE10ELNS1_11target_archE1200ELNS1_3gpuE4ELNS1_3repE0EEENS1_30default_config_static_selectorELNS0_4arch9wavefront6targetE1EEEvT1_,"axG",@progbits,_ZN7rocprim17ROCPRIM_400000_NS6detail17trampoline_kernelINS0_14default_configENS1_25partition_config_selectorILNS1_17partition_subalgoE8EaNS0_10empty_typeEbEEZZNS1_14partition_implILS5_8ELb0ES3_jPKaPS6_PKS6_NS0_5tupleIJPaS6_EEENSE_IJSB_SB_EEENS0_18inequality_wrapperIN6hipcub16HIPCUB_304000_NS8EqualityEEEPlJS6_EEE10hipError_tPvRmT3_T4_T5_T6_T7_T9_mT8_P12ihipStream_tbDpT10_ENKUlT_T0_E_clISt17integral_constantIbLb0EES17_EEDaS12_S13_EUlS12_E_NS1_11comp_targetILNS1_3genE10ELNS1_11target_archE1200ELNS1_3gpuE4ELNS1_3repE0EEENS1_30default_config_static_selectorELNS0_4arch9wavefront6targetE1EEEvT1_,comdat
.Lfunc_end208:
	.size	_ZN7rocprim17ROCPRIM_400000_NS6detail17trampoline_kernelINS0_14default_configENS1_25partition_config_selectorILNS1_17partition_subalgoE8EaNS0_10empty_typeEbEEZZNS1_14partition_implILS5_8ELb0ES3_jPKaPS6_PKS6_NS0_5tupleIJPaS6_EEENSE_IJSB_SB_EEENS0_18inequality_wrapperIN6hipcub16HIPCUB_304000_NS8EqualityEEEPlJS6_EEE10hipError_tPvRmT3_T4_T5_T6_T7_T9_mT8_P12ihipStream_tbDpT10_ENKUlT_T0_E_clISt17integral_constantIbLb0EES17_EEDaS12_S13_EUlS12_E_NS1_11comp_targetILNS1_3genE10ELNS1_11target_archE1200ELNS1_3gpuE4ELNS1_3repE0EEENS1_30default_config_static_selectorELNS0_4arch9wavefront6targetE1EEEvT1_, .Lfunc_end208-_ZN7rocprim17ROCPRIM_400000_NS6detail17trampoline_kernelINS0_14default_configENS1_25partition_config_selectorILNS1_17partition_subalgoE8EaNS0_10empty_typeEbEEZZNS1_14partition_implILS5_8ELb0ES3_jPKaPS6_PKS6_NS0_5tupleIJPaS6_EEENSE_IJSB_SB_EEENS0_18inequality_wrapperIN6hipcub16HIPCUB_304000_NS8EqualityEEEPlJS6_EEE10hipError_tPvRmT3_T4_T5_T6_T7_T9_mT8_P12ihipStream_tbDpT10_ENKUlT_T0_E_clISt17integral_constantIbLb0EES17_EEDaS12_S13_EUlS12_E_NS1_11comp_targetILNS1_3genE10ELNS1_11target_archE1200ELNS1_3gpuE4ELNS1_3repE0EEENS1_30default_config_static_selectorELNS0_4arch9wavefront6targetE1EEEvT1_
                                        ; -- End function
	.section	.AMDGPU.csdata,"",@progbits
; Kernel info:
; codeLenInByte = 0
; NumSgprs: 4
; NumVgprs: 0
; NumAgprs: 0
; TotalNumVgprs: 0
; ScratchSize: 0
; MemoryBound: 0
; FloatMode: 240
; IeeeMode: 1
; LDSByteSize: 0 bytes/workgroup (compile time only)
; SGPRBlocks: 0
; VGPRBlocks: 0
; NumSGPRsForWavesPerEU: 4
; NumVGPRsForWavesPerEU: 1
; AccumOffset: 4
; Occupancy: 8
; WaveLimiterHint : 0
; COMPUTE_PGM_RSRC2:SCRATCH_EN: 0
; COMPUTE_PGM_RSRC2:USER_SGPR: 6
; COMPUTE_PGM_RSRC2:TRAP_HANDLER: 0
; COMPUTE_PGM_RSRC2:TGID_X_EN: 1
; COMPUTE_PGM_RSRC2:TGID_Y_EN: 0
; COMPUTE_PGM_RSRC2:TGID_Z_EN: 0
; COMPUTE_PGM_RSRC2:TIDIG_COMP_CNT: 0
; COMPUTE_PGM_RSRC3_GFX90A:ACCUM_OFFSET: 0
; COMPUTE_PGM_RSRC3_GFX90A:TG_SPLIT: 0
	.section	.text._ZN7rocprim17ROCPRIM_400000_NS6detail17trampoline_kernelINS0_14default_configENS1_25partition_config_selectorILNS1_17partition_subalgoE8EaNS0_10empty_typeEbEEZZNS1_14partition_implILS5_8ELb0ES3_jPKaPS6_PKS6_NS0_5tupleIJPaS6_EEENSE_IJSB_SB_EEENS0_18inequality_wrapperIN6hipcub16HIPCUB_304000_NS8EqualityEEEPlJS6_EEE10hipError_tPvRmT3_T4_T5_T6_T7_T9_mT8_P12ihipStream_tbDpT10_ENKUlT_T0_E_clISt17integral_constantIbLb0EES17_EEDaS12_S13_EUlS12_E_NS1_11comp_targetILNS1_3genE9ELNS1_11target_archE1100ELNS1_3gpuE3ELNS1_3repE0EEENS1_30default_config_static_selectorELNS0_4arch9wavefront6targetE1EEEvT1_,"axG",@progbits,_ZN7rocprim17ROCPRIM_400000_NS6detail17trampoline_kernelINS0_14default_configENS1_25partition_config_selectorILNS1_17partition_subalgoE8EaNS0_10empty_typeEbEEZZNS1_14partition_implILS5_8ELb0ES3_jPKaPS6_PKS6_NS0_5tupleIJPaS6_EEENSE_IJSB_SB_EEENS0_18inequality_wrapperIN6hipcub16HIPCUB_304000_NS8EqualityEEEPlJS6_EEE10hipError_tPvRmT3_T4_T5_T6_T7_T9_mT8_P12ihipStream_tbDpT10_ENKUlT_T0_E_clISt17integral_constantIbLb0EES17_EEDaS12_S13_EUlS12_E_NS1_11comp_targetILNS1_3genE9ELNS1_11target_archE1100ELNS1_3gpuE3ELNS1_3repE0EEENS1_30default_config_static_selectorELNS0_4arch9wavefront6targetE1EEEvT1_,comdat
	.protected	_ZN7rocprim17ROCPRIM_400000_NS6detail17trampoline_kernelINS0_14default_configENS1_25partition_config_selectorILNS1_17partition_subalgoE8EaNS0_10empty_typeEbEEZZNS1_14partition_implILS5_8ELb0ES3_jPKaPS6_PKS6_NS0_5tupleIJPaS6_EEENSE_IJSB_SB_EEENS0_18inequality_wrapperIN6hipcub16HIPCUB_304000_NS8EqualityEEEPlJS6_EEE10hipError_tPvRmT3_T4_T5_T6_T7_T9_mT8_P12ihipStream_tbDpT10_ENKUlT_T0_E_clISt17integral_constantIbLb0EES17_EEDaS12_S13_EUlS12_E_NS1_11comp_targetILNS1_3genE9ELNS1_11target_archE1100ELNS1_3gpuE3ELNS1_3repE0EEENS1_30default_config_static_selectorELNS0_4arch9wavefront6targetE1EEEvT1_ ; -- Begin function _ZN7rocprim17ROCPRIM_400000_NS6detail17trampoline_kernelINS0_14default_configENS1_25partition_config_selectorILNS1_17partition_subalgoE8EaNS0_10empty_typeEbEEZZNS1_14partition_implILS5_8ELb0ES3_jPKaPS6_PKS6_NS0_5tupleIJPaS6_EEENSE_IJSB_SB_EEENS0_18inequality_wrapperIN6hipcub16HIPCUB_304000_NS8EqualityEEEPlJS6_EEE10hipError_tPvRmT3_T4_T5_T6_T7_T9_mT8_P12ihipStream_tbDpT10_ENKUlT_T0_E_clISt17integral_constantIbLb0EES17_EEDaS12_S13_EUlS12_E_NS1_11comp_targetILNS1_3genE9ELNS1_11target_archE1100ELNS1_3gpuE3ELNS1_3repE0EEENS1_30default_config_static_selectorELNS0_4arch9wavefront6targetE1EEEvT1_
	.globl	_ZN7rocprim17ROCPRIM_400000_NS6detail17trampoline_kernelINS0_14default_configENS1_25partition_config_selectorILNS1_17partition_subalgoE8EaNS0_10empty_typeEbEEZZNS1_14partition_implILS5_8ELb0ES3_jPKaPS6_PKS6_NS0_5tupleIJPaS6_EEENSE_IJSB_SB_EEENS0_18inequality_wrapperIN6hipcub16HIPCUB_304000_NS8EqualityEEEPlJS6_EEE10hipError_tPvRmT3_T4_T5_T6_T7_T9_mT8_P12ihipStream_tbDpT10_ENKUlT_T0_E_clISt17integral_constantIbLb0EES17_EEDaS12_S13_EUlS12_E_NS1_11comp_targetILNS1_3genE9ELNS1_11target_archE1100ELNS1_3gpuE3ELNS1_3repE0EEENS1_30default_config_static_selectorELNS0_4arch9wavefront6targetE1EEEvT1_
	.p2align	8
	.type	_ZN7rocprim17ROCPRIM_400000_NS6detail17trampoline_kernelINS0_14default_configENS1_25partition_config_selectorILNS1_17partition_subalgoE8EaNS0_10empty_typeEbEEZZNS1_14partition_implILS5_8ELb0ES3_jPKaPS6_PKS6_NS0_5tupleIJPaS6_EEENSE_IJSB_SB_EEENS0_18inequality_wrapperIN6hipcub16HIPCUB_304000_NS8EqualityEEEPlJS6_EEE10hipError_tPvRmT3_T4_T5_T6_T7_T9_mT8_P12ihipStream_tbDpT10_ENKUlT_T0_E_clISt17integral_constantIbLb0EES17_EEDaS12_S13_EUlS12_E_NS1_11comp_targetILNS1_3genE9ELNS1_11target_archE1100ELNS1_3gpuE3ELNS1_3repE0EEENS1_30default_config_static_selectorELNS0_4arch9wavefront6targetE1EEEvT1_,@function
_ZN7rocprim17ROCPRIM_400000_NS6detail17trampoline_kernelINS0_14default_configENS1_25partition_config_selectorILNS1_17partition_subalgoE8EaNS0_10empty_typeEbEEZZNS1_14partition_implILS5_8ELb0ES3_jPKaPS6_PKS6_NS0_5tupleIJPaS6_EEENSE_IJSB_SB_EEENS0_18inequality_wrapperIN6hipcub16HIPCUB_304000_NS8EqualityEEEPlJS6_EEE10hipError_tPvRmT3_T4_T5_T6_T7_T9_mT8_P12ihipStream_tbDpT10_ENKUlT_T0_E_clISt17integral_constantIbLb0EES17_EEDaS12_S13_EUlS12_E_NS1_11comp_targetILNS1_3genE9ELNS1_11target_archE1100ELNS1_3gpuE3ELNS1_3repE0EEENS1_30default_config_static_selectorELNS0_4arch9wavefront6targetE1EEEvT1_: ; @_ZN7rocprim17ROCPRIM_400000_NS6detail17trampoline_kernelINS0_14default_configENS1_25partition_config_selectorILNS1_17partition_subalgoE8EaNS0_10empty_typeEbEEZZNS1_14partition_implILS5_8ELb0ES3_jPKaPS6_PKS6_NS0_5tupleIJPaS6_EEENSE_IJSB_SB_EEENS0_18inequality_wrapperIN6hipcub16HIPCUB_304000_NS8EqualityEEEPlJS6_EEE10hipError_tPvRmT3_T4_T5_T6_T7_T9_mT8_P12ihipStream_tbDpT10_ENKUlT_T0_E_clISt17integral_constantIbLb0EES17_EEDaS12_S13_EUlS12_E_NS1_11comp_targetILNS1_3genE9ELNS1_11target_archE1100ELNS1_3gpuE3ELNS1_3repE0EEENS1_30default_config_static_selectorELNS0_4arch9wavefront6targetE1EEEvT1_
; %bb.0:
	.section	.rodata,"a",@progbits
	.p2align	6, 0x0
	.amdhsa_kernel _ZN7rocprim17ROCPRIM_400000_NS6detail17trampoline_kernelINS0_14default_configENS1_25partition_config_selectorILNS1_17partition_subalgoE8EaNS0_10empty_typeEbEEZZNS1_14partition_implILS5_8ELb0ES3_jPKaPS6_PKS6_NS0_5tupleIJPaS6_EEENSE_IJSB_SB_EEENS0_18inequality_wrapperIN6hipcub16HIPCUB_304000_NS8EqualityEEEPlJS6_EEE10hipError_tPvRmT3_T4_T5_T6_T7_T9_mT8_P12ihipStream_tbDpT10_ENKUlT_T0_E_clISt17integral_constantIbLb0EES17_EEDaS12_S13_EUlS12_E_NS1_11comp_targetILNS1_3genE9ELNS1_11target_archE1100ELNS1_3gpuE3ELNS1_3repE0EEENS1_30default_config_static_selectorELNS0_4arch9wavefront6targetE1EEEvT1_
		.amdhsa_group_segment_fixed_size 0
		.amdhsa_private_segment_fixed_size 0
		.amdhsa_kernarg_size 112
		.amdhsa_user_sgpr_count 6
		.amdhsa_user_sgpr_private_segment_buffer 1
		.amdhsa_user_sgpr_dispatch_ptr 0
		.amdhsa_user_sgpr_queue_ptr 0
		.amdhsa_user_sgpr_kernarg_segment_ptr 1
		.amdhsa_user_sgpr_dispatch_id 0
		.amdhsa_user_sgpr_flat_scratch_init 0
		.amdhsa_user_sgpr_kernarg_preload_length 0
		.amdhsa_user_sgpr_kernarg_preload_offset 0
		.amdhsa_user_sgpr_private_segment_size 0
		.amdhsa_uses_dynamic_stack 0
		.amdhsa_system_sgpr_private_segment_wavefront_offset 0
		.amdhsa_system_sgpr_workgroup_id_x 1
		.amdhsa_system_sgpr_workgroup_id_y 0
		.amdhsa_system_sgpr_workgroup_id_z 0
		.amdhsa_system_sgpr_workgroup_info 0
		.amdhsa_system_vgpr_workitem_id 0
		.amdhsa_next_free_vgpr 1
		.amdhsa_next_free_sgpr 0
		.amdhsa_accum_offset 4
		.amdhsa_reserve_vcc 0
		.amdhsa_reserve_flat_scratch 0
		.amdhsa_float_round_mode_32 0
		.amdhsa_float_round_mode_16_64 0
		.amdhsa_float_denorm_mode_32 3
		.amdhsa_float_denorm_mode_16_64 3
		.amdhsa_dx10_clamp 1
		.amdhsa_ieee_mode 1
		.amdhsa_fp16_overflow 0
		.amdhsa_tg_split 0
		.amdhsa_exception_fp_ieee_invalid_op 0
		.amdhsa_exception_fp_denorm_src 0
		.amdhsa_exception_fp_ieee_div_zero 0
		.amdhsa_exception_fp_ieee_overflow 0
		.amdhsa_exception_fp_ieee_underflow 0
		.amdhsa_exception_fp_ieee_inexact 0
		.amdhsa_exception_int_div_zero 0
	.end_amdhsa_kernel
	.section	.text._ZN7rocprim17ROCPRIM_400000_NS6detail17trampoline_kernelINS0_14default_configENS1_25partition_config_selectorILNS1_17partition_subalgoE8EaNS0_10empty_typeEbEEZZNS1_14partition_implILS5_8ELb0ES3_jPKaPS6_PKS6_NS0_5tupleIJPaS6_EEENSE_IJSB_SB_EEENS0_18inequality_wrapperIN6hipcub16HIPCUB_304000_NS8EqualityEEEPlJS6_EEE10hipError_tPvRmT3_T4_T5_T6_T7_T9_mT8_P12ihipStream_tbDpT10_ENKUlT_T0_E_clISt17integral_constantIbLb0EES17_EEDaS12_S13_EUlS12_E_NS1_11comp_targetILNS1_3genE9ELNS1_11target_archE1100ELNS1_3gpuE3ELNS1_3repE0EEENS1_30default_config_static_selectorELNS0_4arch9wavefront6targetE1EEEvT1_,"axG",@progbits,_ZN7rocprim17ROCPRIM_400000_NS6detail17trampoline_kernelINS0_14default_configENS1_25partition_config_selectorILNS1_17partition_subalgoE8EaNS0_10empty_typeEbEEZZNS1_14partition_implILS5_8ELb0ES3_jPKaPS6_PKS6_NS0_5tupleIJPaS6_EEENSE_IJSB_SB_EEENS0_18inequality_wrapperIN6hipcub16HIPCUB_304000_NS8EqualityEEEPlJS6_EEE10hipError_tPvRmT3_T4_T5_T6_T7_T9_mT8_P12ihipStream_tbDpT10_ENKUlT_T0_E_clISt17integral_constantIbLb0EES17_EEDaS12_S13_EUlS12_E_NS1_11comp_targetILNS1_3genE9ELNS1_11target_archE1100ELNS1_3gpuE3ELNS1_3repE0EEENS1_30default_config_static_selectorELNS0_4arch9wavefront6targetE1EEEvT1_,comdat
.Lfunc_end209:
	.size	_ZN7rocprim17ROCPRIM_400000_NS6detail17trampoline_kernelINS0_14default_configENS1_25partition_config_selectorILNS1_17partition_subalgoE8EaNS0_10empty_typeEbEEZZNS1_14partition_implILS5_8ELb0ES3_jPKaPS6_PKS6_NS0_5tupleIJPaS6_EEENSE_IJSB_SB_EEENS0_18inequality_wrapperIN6hipcub16HIPCUB_304000_NS8EqualityEEEPlJS6_EEE10hipError_tPvRmT3_T4_T5_T6_T7_T9_mT8_P12ihipStream_tbDpT10_ENKUlT_T0_E_clISt17integral_constantIbLb0EES17_EEDaS12_S13_EUlS12_E_NS1_11comp_targetILNS1_3genE9ELNS1_11target_archE1100ELNS1_3gpuE3ELNS1_3repE0EEENS1_30default_config_static_selectorELNS0_4arch9wavefront6targetE1EEEvT1_, .Lfunc_end209-_ZN7rocprim17ROCPRIM_400000_NS6detail17trampoline_kernelINS0_14default_configENS1_25partition_config_selectorILNS1_17partition_subalgoE8EaNS0_10empty_typeEbEEZZNS1_14partition_implILS5_8ELb0ES3_jPKaPS6_PKS6_NS0_5tupleIJPaS6_EEENSE_IJSB_SB_EEENS0_18inequality_wrapperIN6hipcub16HIPCUB_304000_NS8EqualityEEEPlJS6_EEE10hipError_tPvRmT3_T4_T5_T6_T7_T9_mT8_P12ihipStream_tbDpT10_ENKUlT_T0_E_clISt17integral_constantIbLb0EES17_EEDaS12_S13_EUlS12_E_NS1_11comp_targetILNS1_3genE9ELNS1_11target_archE1100ELNS1_3gpuE3ELNS1_3repE0EEENS1_30default_config_static_selectorELNS0_4arch9wavefront6targetE1EEEvT1_
                                        ; -- End function
	.section	.AMDGPU.csdata,"",@progbits
; Kernel info:
; codeLenInByte = 0
; NumSgprs: 4
; NumVgprs: 0
; NumAgprs: 0
; TotalNumVgprs: 0
; ScratchSize: 0
; MemoryBound: 0
; FloatMode: 240
; IeeeMode: 1
; LDSByteSize: 0 bytes/workgroup (compile time only)
; SGPRBlocks: 0
; VGPRBlocks: 0
; NumSGPRsForWavesPerEU: 4
; NumVGPRsForWavesPerEU: 1
; AccumOffset: 4
; Occupancy: 8
; WaveLimiterHint : 0
; COMPUTE_PGM_RSRC2:SCRATCH_EN: 0
; COMPUTE_PGM_RSRC2:USER_SGPR: 6
; COMPUTE_PGM_RSRC2:TRAP_HANDLER: 0
; COMPUTE_PGM_RSRC2:TGID_X_EN: 1
; COMPUTE_PGM_RSRC2:TGID_Y_EN: 0
; COMPUTE_PGM_RSRC2:TGID_Z_EN: 0
; COMPUTE_PGM_RSRC2:TIDIG_COMP_CNT: 0
; COMPUTE_PGM_RSRC3_GFX90A:ACCUM_OFFSET: 0
; COMPUTE_PGM_RSRC3_GFX90A:TG_SPLIT: 0
	.section	.text._ZN7rocprim17ROCPRIM_400000_NS6detail17trampoline_kernelINS0_14default_configENS1_25partition_config_selectorILNS1_17partition_subalgoE8EaNS0_10empty_typeEbEEZZNS1_14partition_implILS5_8ELb0ES3_jPKaPS6_PKS6_NS0_5tupleIJPaS6_EEENSE_IJSB_SB_EEENS0_18inequality_wrapperIN6hipcub16HIPCUB_304000_NS8EqualityEEEPlJS6_EEE10hipError_tPvRmT3_T4_T5_T6_T7_T9_mT8_P12ihipStream_tbDpT10_ENKUlT_T0_E_clISt17integral_constantIbLb0EES17_EEDaS12_S13_EUlS12_E_NS1_11comp_targetILNS1_3genE8ELNS1_11target_archE1030ELNS1_3gpuE2ELNS1_3repE0EEENS1_30default_config_static_selectorELNS0_4arch9wavefront6targetE1EEEvT1_,"axG",@progbits,_ZN7rocprim17ROCPRIM_400000_NS6detail17trampoline_kernelINS0_14default_configENS1_25partition_config_selectorILNS1_17partition_subalgoE8EaNS0_10empty_typeEbEEZZNS1_14partition_implILS5_8ELb0ES3_jPKaPS6_PKS6_NS0_5tupleIJPaS6_EEENSE_IJSB_SB_EEENS0_18inequality_wrapperIN6hipcub16HIPCUB_304000_NS8EqualityEEEPlJS6_EEE10hipError_tPvRmT3_T4_T5_T6_T7_T9_mT8_P12ihipStream_tbDpT10_ENKUlT_T0_E_clISt17integral_constantIbLb0EES17_EEDaS12_S13_EUlS12_E_NS1_11comp_targetILNS1_3genE8ELNS1_11target_archE1030ELNS1_3gpuE2ELNS1_3repE0EEENS1_30default_config_static_selectorELNS0_4arch9wavefront6targetE1EEEvT1_,comdat
	.protected	_ZN7rocprim17ROCPRIM_400000_NS6detail17trampoline_kernelINS0_14default_configENS1_25partition_config_selectorILNS1_17partition_subalgoE8EaNS0_10empty_typeEbEEZZNS1_14partition_implILS5_8ELb0ES3_jPKaPS6_PKS6_NS0_5tupleIJPaS6_EEENSE_IJSB_SB_EEENS0_18inequality_wrapperIN6hipcub16HIPCUB_304000_NS8EqualityEEEPlJS6_EEE10hipError_tPvRmT3_T4_T5_T6_T7_T9_mT8_P12ihipStream_tbDpT10_ENKUlT_T0_E_clISt17integral_constantIbLb0EES17_EEDaS12_S13_EUlS12_E_NS1_11comp_targetILNS1_3genE8ELNS1_11target_archE1030ELNS1_3gpuE2ELNS1_3repE0EEENS1_30default_config_static_selectorELNS0_4arch9wavefront6targetE1EEEvT1_ ; -- Begin function _ZN7rocprim17ROCPRIM_400000_NS6detail17trampoline_kernelINS0_14default_configENS1_25partition_config_selectorILNS1_17partition_subalgoE8EaNS0_10empty_typeEbEEZZNS1_14partition_implILS5_8ELb0ES3_jPKaPS6_PKS6_NS0_5tupleIJPaS6_EEENSE_IJSB_SB_EEENS0_18inequality_wrapperIN6hipcub16HIPCUB_304000_NS8EqualityEEEPlJS6_EEE10hipError_tPvRmT3_T4_T5_T6_T7_T9_mT8_P12ihipStream_tbDpT10_ENKUlT_T0_E_clISt17integral_constantIbLb0EES17_EEDaS12_S13_EUlS12_E_NS1_11comp_targetILNS1_3genE8ELNS1_11target_archE1030ELNS1_3gpuE2ELNS1_3repE0EEENS1_30default_config_static_selectorELNS0_4arch9wavefront6targetE1EEEvT1_
	.globl	_ZN7rocprim17ROCPRIM_400000_NS6detail17trampoline_kernelINS0_14default_configENS1_25partition_config_selectorILNS1_17partition_subalgoE8EaNS0_10empty_typeEbEEZZNS1_14partition_implILS5_8ELb0ES3_jPKaPS6_PKS6_NS0_5tupleIJPaS6_EEENSE_IJSB_SB_EEENS0_18inequality_wrapperIN6hipcub16HIPCUB_304000_NS8EqualityEEEPlJS6_EEE10hipError_tPvRmT3_T4_T5_T6_T7_T9_mT8_P12ihipStream_tbDpT10_ENKUlT_T0_E_clISt17integral_constantIbLb0EES17_EEDaS12_S13_EUlS12_E_NS1_11comp_targetILNS1_3genE8ELNS1_11target_archE1030ELNS1_3gpuE2ELNS1_3repE0EEENS1_30default_config_static_selectorELNS0_4arch9wavefront6targetE1EEEvT1_
	.p2align	8
	.type	_ZN7rocprim17ROCPRIM_400000_NS6detail17trampoline_kernelINS0_14default_configENS1_25partition_config_selectorILNS1_17partition_subalgoE8EaNS0_10empty_typeEbEEZZNS1_14partition_implILS5_8ELb0ES3_jPKaPS6_PKS6_NS0_5tupleIJPaS6_EEENSE_IJSB_SB_EEENS0_18inequality_wrapperIN6hipcub16HIPCUB_304000_NS8EqualityEEEPlJS6_EEE10hipError_tPvRmT3_T4_T5_T6_T7_T9_mT8_P12ihipStream_tbDpT10_ENKUlT_T0_E_clISt17integral_constantIbLb0EES17_EEDaS12_S13_EUlS12_E_NS1_11comp_targetILNS1_3genE8ELNS1_11target_archE1030ELNS1_3gpuE2ELNS1_3repE0EEENS1_30default_config_static_selectorELNS0_4arch9wavefront6targetE1EEEvT1_,@function
_ZN7rocprim17ROCPRIM_400000_NS6detail17trampoline_kernelINS0_14default_configENS1_25partition_config_selectorILNS1_17partition_subalgoE8EaNS0_10empty_typeEbEEZZNS1_14partition_implILS5_8ELb0ES3_jPKaPS6_PKS6_NS0_5tupleIJPaS6_EEENSE_IJSB_SB_EEENS0_18inequality_wrapperIN6hipcub16HIPCUB_304000_NS8EqualityEEEPlJS6_EEE10hipError_tPvRmT3_T4_T5_T6_T7_T9_mT8_P12ihipStream_tbDpT10_ENKUlT_T0_E_clISt17integral_constantIbLb0EES17_EEDaS12_S13_EUlS12_E_NS1_11comp_targetILNS1_3genE8ELNS1_11target_archE1030ELNS1_3gpuE2ELNS1_3repE0EEENS1_30default_config_static_selectorELNS0_4arch9wavefront6targetE1EEEvT1_: ; @_ZN7rocprim17ROCPRIM_400000_NS6detail17trampoline_kernelINS0_14default_configENS1_25partition_config_selectorILNS1_17partition_subalgoE8EaNS0_10empty_typeEbEEZZNS1_14partition_implILS5_8ELb0ES3_jPKaPS6_PKS6_NS0_5tupleIJPaS6_EEENSE_IJSB_SB_EEENS0_18inequality_wrapperIN6hipcub16HIPCUB_304000_NS8EqualityEEEPlJS6_EEE10hipError_tPvRmT3_T4_T5_T6_T7_T9_mT8_P12ihipStream_tbDpT10_ENKUlT_T0_E_clISt17integral_constantIbLb0EES17_EEDaS12_S13_EUlS12_E_NS1_11comp_targetILNS1_3genE8ELNS1_11target_archE1030ELNS1_3gpuE2ELNS1_3repE0EEENS1_30default_config_static_selectorELNS0_4arch9wavefront6targetE1EEEvT1_
; %bb.0:
	.section	.rodata,"a",@progbits
	.p2align	6, 0x0
	.amdhsa_kernel _ZN7rocprim17ROCPRIM_400000_NS6detail17trampoline_kernelINS0_14default_configENS1_25partition_config_selectorILNS1_17partition_subalgoE8EaNS0_10empty_typeEbEEZZNS1_14partition_implILS5_8ELb0ES3_jPKaPS6_PKS6_NS0_5tupleIJPaS6_EEENSE_IJSB_SB_EEENS0_18inequality_wrapperIN6hipcub16HIPCUB_304000_NS8EqualityEEEPlJS6_EEE10hipError_tPvRmT3_T4_T5_T6_T7_T9_mT8_P12ihipStream_tbDpT10_ENKUlT_T0_E_clISt17integral_constantIbLb0EES17_EEDaS12_S13_EUlS12_E_NS1_11comp_targetILNS1_3genE8ELNS1_11target_archE1030ELNS1_3gpuE2ELNS1_3repE0EEENS1_30default_config_static_selectorELNS0_4arch9wavefront6targetE1EEEvT1_
		.amdhsa_group_segment_fixed_size 0
		.amdhsa_private_segment_fixed_size 0
		.amdhsa_kernarg_size 112
		.amdhsa_user_sgpr_count 6
		.amdhsa_user_sgpr_private_segment_buffer 1
		.amdhsa_user_sgpr_dispatch_ptr 0
		.amdhsa_user_sgpr_queue_ptr 0
		.amdhsa_user_sgpr_kernarg_segment_ptr 1
		.amdhsa_user_sgpr_dispatch_id 0
		.amdhsa_user_sgpr_flat_scratch_init 0
		.amdhsa_user_sgpr_kernarg_preload_length 0
		.amdhsa_user_sgpr_kernarg_preload_offset 0
		.amdhsa_user_sgpr_private_segment_size 0
		.amdhsa_uses_dynamic_stack 0
		.amdhsa_system_sgpr_private_segment_wavefront_offset 0
		.amdhsa_system_sgpr_workgroup_id_x 1
		.amdhsa_system_sgpr_workgroup_id_y 0
		.amdhsa_system_sgpr_workgroup_id_z 0
		.amdhsa_system_sgpr_workgroup_info 0
		.amdhsa_system_vgpr_workitem_id 0
		.amdhsa_next_free_vgpr 1
		.amdhsa_next_free_sgpr 0
		.amdhsa_accum_offset 4
		.amdhsa_reserve_vcc 0
		.amdhsa_reserve_flat_scratch 0
		.amdhsa_float_round_mode_32 0
		.amdhsa_float_round_mode_16_64 0
		.amdhsa_float_denorm_mode_32 3
		.amdhsa_float_denorm_mode_16_64 3
		.amdhsa_dx10_clamp 1
		.amdhsa_ieee_mode 1
		.amdhsa_fp16_overflow 0
		.amdhsa_tg_split 0
		.amdhsa_exception_fp_ieee_invalid_op 0
		.amdhsa_exception_fp_denorm_src 0
		.amdhsa_exception_fp_ieee_div_zero 0
		.amdhsa_exception_fp_ieee_overflow 0
		.amdhsa_exception_fp_ieee_underflow 0
		.amdhsa_exception_fp_ieee_inexact 0
		.amdhsa_exception_int_div_zero 0
	.end_amdhsa_kernel
	.section	.text._ZN7rocprim17ROCPRIM_400000_NS6detail17trampoline_kernelINS0_14default_configENS1_25partition_config_selectorILNS1_17partition_subalgoE8EaNS0_10empty_typeEbEEZZNS1_14partition_implILS5_8ELb0ES3_jPKaPS6_PKS6_NS0_5tupleIJPaS6_EEENSE_IJSB_SB_EEENS0_18inequality_wrapperIN6hipcub16HIPCUB_304000_NS8EqualityEEEPlJS6_EEE10hipError_tPvRmT3_T4_T5_T6_T7_T9_mT8_P12ihipStream_tbDpT10_ENKUlT_T0_E_clISt17integral_constantIbLb0EES17_EEDaS12_S13_EUlS12_E_NS1_11comp_targetILNS1_3genE8ELNS1_11target_archE1030ELNS1_3gpuE2ELNS1_3repE0EEENS1_30default_config_static_selectorELNS0_4arch9wavefront6targetE1EEEvT1_,"axG",@progbits,_ZN7rocprim17ROCPRIM_400000_NS6detail17trampoline_kernelINS0_14default_configENS1_25partition_config_selectorILNS1_17partition_subalgoE8EaNS0_10empty_typeEbEEZZNS1_14partition_implILS5_8ELb0ES3_jPKaPS6_PKS6_NS0_5tupleIJPaS6_EEENSE_IJSB_SB_EEENS0_18inequality_wrapperIN6hipcub16HIPCUB_304000_NS8EqualityEEEPlJS6_EEE10hipError_tPvRmT3_T4_T5_T6_T7_T9_mT8_P12ihipStream_tbDpT10_ENKUlT_T0_E_clISt17integral_constantIbLb0EES17_EEDaS12_S13_EUlS12_E_NS1_11comp_targetILNS1_3genE8ELNS1_11target_archE1030ELNS1_3gpuE2ELNS1_3repE0EEENS1_30default_config_static_selectorELNS0_4arch9wavefront6targetE1EEEvT1_,comdat
.Lfunc_end210:
	.size	_ZN7rocprim17ROCPRIM_400000_NS6detail17trampoline_kernelINS0_14default_configENS1_25partition_config_selectorILNS1_17partition_subalgoE8EaNS0_10empty_typeEbEEZZNS1_14partition_implILS5_8ELb0ES3_jPKaPS6_PKS6_NS0_5tupleIJPaS6_EEENSE_IJSB_SB_EEENS0_18inequality_wrapperIN6hipcub16HIPCUB_304000_NS8EqualityEEEPlJS6_EEE10hipError_tPvRmT3_T4_T5_T6_T7_T9_mT8_P12ihipStream_tbDpT10_ENKUlT_T0_E_clISt17integral_constantIbLb0EES17_EEDaS12_S13_EUlS12_E_NS1_11comp_targetILNS1_3genE8ELNS1_11target_archE1030ELNS1_3gpuE2ELNS1_3repE0EEENS1_30default_config_static_selectorELNS0_4arch9wavefront6targetE1EEEvT1_, .Lfunc_end210-_ZN7rocprim17ROCPRIM_400000_NS6detail17trampoline_kernelINS0_14default_configENS1_25partition_config_selectorILNS1_17partition_subalgoE8EaNS0_10empty_typeEbEEZZNS1_14partition_implILS5_8ELb0ES3_jPKaPS6_PKS6_NS0_5tupleIJPaS6_EEENSE_IJSB_SB_EEENS0_18inequality_wrapperIN6hipcub16HIPCUB_304000_NS8EqualityEEEPlJS6_EEE10hipError_tPvRmT3_T4_T5_T6_T7_T9_mT8_P12ihipStream_tbDpT10_ENKUlT_T0_E_clISt17integral_constantIbLb0EES17_EEDaS12_S13_EUlS12_E_NS1_11comp_targetILNS1_3genE8ELNS1_11target_archE1030ELNS1_3gpuE2ELNS1_3repE0EEENS1_30default_config_static_selectorELNS0_4arch9wavefront6targetE1EEEvT1_
                                        ; -- End function
	.section	.AMDGPU.csdata,"",@progbits
; Kernel info:
; codeLenInByte = 0
; NumSgprs: 4
; NumVgprs: 0
; NumAgprs: 0
; TotalNumVgprs: 0
; ScratchSize: 0
; MemoryBound: 0
; FloatMode: 240
; IeeeMode: 1
; LDSByteSize: 0 bytes/workgroup (compile time only)
; SGPRBlocks: 0
; VGPRBlocks: 0
; NumSGPRsForWavesPerEU: 4
; NumVGPRsForWavesPerEU: 1
; AccumOffset: 4
; Occupancy: 8
; WaveLimiterHint : 0
; COMPUTE_PGM_RSRC2:SCRATCH_EN: 0
; COMPUTE_PGM_RSRC2:USER_SGPR: 6
; COMPUTE_PGM_RSRC2:TRAP_HANDLER: 0
; COMPUTE_PGM_RSRC2:TGID_X_EN: 1
; COMPUTE_PGM_RSRC2:TGID_Y_EN: 0
; COMPUTE_PGM_RSRC2:TGID_Z_EN: 0
; COMPUTE_PGM_RSRC2:TIDIG_COMP_CNT: 0
; COMPUTE_PGM_RSRC3_GFX90A:ACCUM_OFFSET: 0
; COMPUTE_PGM_RSRC3_GFX90A:TG_SPLIT: 0
	.section	.text._ZN7rocprim17ROCPRIM_400000_NS6detail17trampoline_kernelINS0_14default_configENS1_25partition_config_selectorILNS1_17partition_subalgoE8EaNS0_10empty_typeEbEEZZNS1_14partition_implILS5_8ELb0ES3_jPKaPS6_PKS6_NS0_5tupleIJPaS6_EEENSE_IJSB_SB_EEENS0_18inequality_wrapperIN6hipcub16HIPCUB_304000_NS8EqualityEEEPlJS6_EEE10hipError_tPvRmT3_T4_T5_T6_T7_T9_mT8_P12ihipStream_tbDpT10_ENKUlT_T0_E_clISt17integral_constantIbLb1EES17_EEDaS12_S13_EUlS12_E_NS1_11comp_targetILNS1_3genE0ELNS1_11target_archE4294967295ELNS1_3gpuE0ELNS1_3repE0EEENS1_30default_config_static_selectorELNS0_4arch9wavefront6targetE1EEEvT1_,"axG",@progbits,_ZN7rocprim17ROCPRIM_400000_NS6detail17trampoline_kernelINS0_14default_configENS1_25partition_config_selectorILNS1_17partition_subalgoE8EaNS0_10empty_typeEbEEZZNS1_14partition_implILS5_8ELb0ES3_jPKaPS6_PKS6_NS0_5tupleIJPaS6_EEENSE_IJSB_SB_EEENS0_18inequality_wrapperIN6hipcub16HIPCUB_304000_NS8EqualityEEEPlJS6_EEE10hipError_tPvRmT3_T4_T5_T6_T7_T9_mT8_P12ihipStream_tbDpT10_ENKUlT_T0_E_clISt17integral_constantIbLb1EES17_EEDaS12_S13_EUlS12_E_NS1_11comp_targetILNS1_3genE0ELNS1_11target_archE4294967295ELNS1_3gpuE0ELNS1_3repE0EEENS1_30default_config_static_selectorELNS0_4arch9wavefront6targetE1EEEvT1_,comdat
	.protected	_ZN7rocprim17ROCPRIM_400000_NS6detail17trampoline_kernelINS0_14default_configENS1_25partition_config_selectorILNS1_17partition_subalgoE8EaNS0_10empty_typeEbEEZZNS1_14partition_implILS5_8ELb0ES3_jPKaPS6_PKS6_NS0_5tupleIJPaS6_EEENSE_IJSB_SB_EEENS0_18inequality_wrapperIN6hipcub16HIPCUB_304000_NS8EqualityEEEPlJS6_EEE10hipError_tPvRmT3_T4_T5_T6_T7_T9_mT8_P12ihipStream_tbDpT10_ENKUlT_T0_E_clISt17integral_constantIbLb1EES17_EEDaS12_S13_EUlS12_E_NS1_11comp_targetILNS1_3genE0ELNS1_11target_archE4294967295ELNS1_3gpuE0ELNS1_3repE0EEENS1_30default_config_static_selectorELNS0_4arch9wavefront6targetE1EEEvT1_ ; -- Begin function _ZN7rocprim17ROCPRIM_400000_NS6detail17trampoline_kernelINS0_14default_configENS1_25partition_config_selectorILNS1_17partition_subalgoE8EaNS0_10empty_typeEbEEZZNS1_14partition_implILS5_8ELb0ES3_jPKaPS6_PKS6_NS0_5tupleIJPaS6_EEENSE_IJSB_SB_EEENS0_18inequality_wrapperIN6hipcub16HIPCUB_304000_NS8EqualityEEEPlJS6_EEE10hipError_tPvRmT3_T4_T5_T6_T7_T9_mT8_P12ihipStream_tbDpT10_ENKUlT_T0_E_clISt17integral_constantIbLb1EES17_EEDaS12_S13_EUlS12_E_NS1_11comp_targetILNS1_3genE0ELNS1_11target_archE4294967295ELNS1_3gpuE0ELNS1_3repE0EEENS1_30default_config_static_selectorELNS0_4arch9wavefront6targetE1EEEvT1_
	.globl	_ZN7rocprim17ROCPRIM_400000_NS6detail17trampoline_kernelINS0_14default_configENS1_25partition_config_selectorILNS1_17partition_subalgoE8EaNS0_10empty_typeEbEEZZNS1_14partition_implILS5_8ELb0ES3_jPKaPS6_PKS6_NS0_5tupleIJPaS6_EEENSE_IJSB_SB_EEENS0_18inequality_wrapperIN6hipcub16HIPCUB_304000_NS8EqualityEEEPlJS6_EEE10hipError_tPvRmT3_T4_T5_T6_T7_T9_mT8_P12ihipStream_tbDpT10_ENKUlT_T0_E_clISt17integral_constantIbLb1EES17_EEDaS12_S13_EUlS12_E_NS1_11comp_targetILNS1_3genE0ELNS1_11target_archE4294967295ELNS1_3gpuE0ELNS1_3repE0EEENS1_30default_config_static_selectorELNS0_4arch9wavefront6targetE1EEEvT1_
	.p2align	8
	.type	_ZN7rocprim17ROCPRIM_400000_NS6detail17trampoline_kernelINS0_14default_configENS1_25partition_config_selectorILNS1_17partition_subalgoE8EaNS0_10empty_typeEbEEZZNS1_14partition_implILS5_8ELb0ES3_jPKaPS6_PKS6_NS0_5tupleIJPaS6_EEENSE_IJSB_SB_EEENS0_18inequality_wrapperIN6hipcub16HIPCUB_304000_NS8EqualityEEEPlJS6_EEE10hipError_tPvRmT3_T4_T5_T6_T7_T9_mT8_P12ihipStream_tbDpT10_ENKUlT_T0_E_clISt17integral_constantIbLb1EES17_EEDaS12_S13_EUlS12_E_NS1_11comp_targetILNS1_3genE0ELNS1_11target_archE4294967295ELNS1_3gpuE0ELNS1_3repE0EEENS1_30default_config_static_selectorELNS0_4arch9wavefront6targetE1EEEvT1_,@function
_ZN7rocprim17ROCPRIM_400000_NS6detail17trampoline_kernelINS0_14default_configENS1_25partition_config_selectorILNS1_17partition_subalgoE8EaNS0_10empty_typeEbEEZZNS1_14partition_implILS5_8ELb0ES3_jPKaPS6_PKS6_NS0_5tupleIJPaS6_EEENSE_IJSB_SB_EEENS0_18inequality_wrapperIN6hipcub16HIPCUB_304000_NS8EqualityEEEPlJS6_EEE10hipError_tPvRmT3_T4_T5_T6_T7_T9_mT8_P12ihipStream_tbDpT10_ENKUlT_T0_E_clISt17integral_constantIbLb1EES17_EEDaS12_S13_EUlS12_E_NS1_11comp_targetILNS1_3genE0ELNS1_11target_archE4294967295ELNS1_3gpuE0ELNS1_3repE0EEENS1_30default_config_static_selectorELNS0_4arch9wavefront6targetE1EEEvT1_: ; @_ZN7rocprim17ROCPRIM_400000_NS6detail17trampoline_kernelINS0_14default_configENS1_25partition_config_selectorILNS1_17partition_subalgoE8EaNS0_10empty_typeEbEEZZNS1_14partition_implILS5_8ELb0ES3_jPKaPS6_PKS6_NS0_5tupleIJPaS6_EEENSE_IJSB_SB_EEENS0_18inequality_wrapperIN6hipcub16HIPCUB_304000_NS8EqualityEEEPlJS6_EEE10hipError_tPvRmT3_T4_T5_T6_T7_T9_mT8_P12ihipStream_tbDpT10_ENKUlT_T0_E_clISt17integral_constantIbLb1EES17_EEDaS12_S13_EUlS12_E_NS1_11comp_targetILNS1_3genE0ELNS1_11target_archE4294967295ELNS1_3gpuE0ELNS1_3repE0EEENS1_30default_config_static_selectorELNS0_4arch9wavefront6targetE1EEEvT1_
; %bb.0:
	.section	.rodata,"a",@progbits
	.p2align	6, 0x0
	.amdhsa_kernel _ZN7rocprim17ROCPRIM_400000_NS6detail17trampoline_kernelINS0_14default_configENS1_25partition_config_selectorILNS1_17partition_subalgoE8EaNS0_10empty_typeEbEEZZNS1_14partition_implILS5_8ELb0ES3_jPKaPS6_PKS6_NS0_5tupleIJPaS6_EEENSE_IJSB_SB_EEENS0_18inequality_wrapperIN6hipcub16HIPCUB_304000_NS8EqualityEEEPlJS6_EEE10hipError_tPvRmT3_T4_T5_T6_T7_T9_mT8_P12ihipStream_tbDpT10_ENKUlT_T0_E_clISt17integral_constantIbLb1EES17_EEDaS12_S13_EUlS12_E_NS1_11comp_targetILNS1_3genE0ELNS1_11target_archE4294967295ELNS1_3gpuE0ELNS1_3repE0EEENS1_30default_config_static_selectorELNS0_4arch9wavefront6targetE1EEEvT1_
		.amdhsa_group_segment_fixed_size 0
		.amdhsa_private_segment_fixed_size 0
		.amdhsa_kernarg_size 128
		.amdhsa_user_sgpr_count 6
		.amdhsa_user_sgpr_private_segment_buffer 1
		.amdhsa_user_sgpr_dispatch_ptr 0
		.amdhsa_user_sgpr_queue_ptr 0
		.amdhsa_user_sgpr_kernarg_segment_ptr 1
		.amdhsa_user_sgpr_dispatch_id 0
		.amdhsa_user_sgpr_flat_scratch_init 0
		.amdhsa_user_sgpr_kernarg_preload_length 0
		.amdhsa_user_sgpr_kernarg_preload_offset 0
		.amdhsa_user_sgpr_private_segment_size 0
		.amdhsa_uses_dynamic_stack 0
		.amdhsa_system_sgpr_private_segment_wavefront_offset 0
		.amdhsa_system_sgpr_workgroup_id_x 1
		.amdhsa_system_sgpr_workgroup_id_y 0
		.amdhsa_system_sgpr_workgroup_id_z 0
		.amdhsa_system_sgpr_workgroup_info 0
		.amdhsa_system_vgpr_workitem_id 0
		.amdhsa_next_free_vgpr 1
		.amdhsa_next_free_sgpr 0
		.amdhsa_accum_offset 4
		.amdhsa_reserve_vcc 0
		.amdhsa_reserve_flat_scratch 0
		.amdhsa_float_round_mode_32 0
		.amdhsa_float_round_mode_16_64 0
		.amdhsa_float_denorm_mode_32 3
		.amdhsa_float_denorm_mode_16_64 3
		.amdhsa_dx10_clamp 1
		.amdhsa_ieee_mode 1
		.amdhsa_fp16_overflow 0
		.amdhsa_tg_split 0
		.amdhsa_exception_fp_ieee_invalid_op 0
		.amdhsa_exception_fp_denorm_src 0
		.amdhsa_exception_fp_ieee_div_zero 0
		.amdhsa_exception_fp_ieee_overflow 0
		.amdhsa_exception_fp_ieee_underflow 0
		.amdhsa_exception_fp_ieee_inexact 0
		.amdhsa_exception_int_div_zero 0
	.end_amdhsa_kernel
	.section	.text._ZN7rocprim17ROCPRIM_400000_NS6detail17trampoline_kernelINS0_14default_configENS1_25partition_config_selectorILNS1_17partition_subalgoE8EaNS0_10empty_typeEbEEZZNS1_14partition_implILS5_8ELb0ES3_jPKaPS6_PKS6_NS0_5tupleIJPaS6_EEENSE_IJSB_SB_EEENS0_18inequality_wrapperIN6hipcub16HIPCUB_304000_NS8EqualityEEEPlJS6_EEE10hipError_tPvRmT3_T4_T5_T6_T7_T9_mT8_P12ihipStream_tbDpT10_ENKUlT_T0_E_clISt17integral_constantIbLb1EES17_EEDaS12_S13_EUlS12_E_NS1_11comp_targetILNS1_3genE0ELNS1_11target_archE4294967295ELNS1_3gpuE0ELNS1_3repE0EEENS1_30default_config_static_selectorELNS0_4arch9wavefront6targetE1EEEvT1_,"axG",@progbits,_ZN7rocprim17ROCPRIM_400000_NS6detail17trampoline_kernelINS0_14default_configENS1_25partition_config_selectorILNS1_17partition_subalgoE8EaNS0_10empty_typeEbEEZZNS1_14partition_implILS5_8ELb0ES3_jPKaPS6_PKS6_NS0_5tupleIJPaS6_EEENSE_IJSB_SB_EEENS0_18inequality_wrapperIN6hipcub16HIPCUB_304000_NS8EqualityEEEPlJS6_EEE10hipError_tPvRmT3_T4_T5_T6_T7_T9_mT8_P12ihipStream_tbDpT10_ENKUlT_T0_E_clISt17integral_constantIbLb1EES17_EEDaS12_S13_EUlS12_E_NS1_11comp_targetILNS1_3genE0ELNS1_11target_archE4294967295ELNS1_3gpuE0ELNS1_3repE0EEENS1_30default_config_static_selectorELNS0_4arch9wavefront6targetE1EEEvT1_,comdat
.Lfunc_end211:
	.size	_ZN7rocprim17ROCPRIM_400000_NS6detail17trampoline_kernelINS0_14default_configENS1_25partition_config_selectorILNS1_17partition_subalgoE8EaNS0_10empty_typeEbEEZZNS1_14partition_implILS5_8ELb0ES3_jPKaPS6_PKS6_NS0_5tupleIJPaS6_EEENSE_IJSB_SB_EEENS0_18inequality_wrapperIN6hipcub16HIPCUB_304000_NS8EqualityEEEPlJS6_EEE10hipError_tPvRmT3_T4_T5_T6_T7_T9_mT8_P12ihipStream_tbDpT10_ENKUlT_T0_E_clISt17integral_constantIbLb1EES17_EEDaS12_S13_EUlS12_E_NS1_11comp_targetILNS1_3genE0ELNS1_11target_archE4294967295ELNS1_3gpuE0ELNS1_3repE0EEENS1_30default_config_static_selectorELNS0_4arch9wavefront6targetE1EEEvT1_, .Lfunc_end211-_ZN7rocprim17ROCPRIM_400000_NS6detail17trampoline_kernelINS0_14default_configENS1_25partition_config_selectorILNS1_17partition_subalgoE8EaNS0_10empty_typeEbEEZZNS1_14partition_implILS5_8ELb0ES3_jPKaPS6_PKS6_NS0_5tupleIJPaS6_EEENSE_IJSB_SB_EEENS0_18inequality_wrapperIN6hipcub16HIPCUB_304000_NS8EqualityEEEPlJS6_EEE10hipError_tPvRmT3_T4_T5_T6_T7_T9_mT8_P12ihipStream_tbDpT10_ENKUlT_T0_E_clISt17integral_constantIbLb1EES17_EEDaS12_S13_EUlS12_E_NS1_11comp_targetILNS1_3genE0ELNS1_11target_archE4294967295ELNS1_3gpuE0ELNS1_3repE0EEENS1_30default_config_static_selectorELNS0_4arch9wavefront6targetE1EEEvT1_
                                        ; -- End function
	.section	.AMDGPU.csdata,"",@progbits
; Kernel info:
; codeLenInByte = 0
; NumSgprs: 4
; NumVgprs: 0
; NumAgprs: 0
; TotalNumVgprs: 0
; ScratchSize: 0
; MemoryBound: 0
; FloatMode: 240
; IeeeMode: 1
; LDSByteSize: 0 bytes/workgroup (compile time only)
; SGPRBlocks: 0
; VGPRBlocks: 0
; NumSGPRsForWavesPerEU: 4
; NumVGPRsForWavesPerEU: 1
; AccumOffset: 4
; Occupancy: 8
; WaveLimiterHint : 0
; COMPUTE_PGM_RSRC2:SCRATCH_EN: 0
; COMPUTE_PGM_RSRC2:USER_SGPR: 6
; COMPUTE_PGM_RSRC2:TRAP_HANDLER: 0
; COMPUTE_PGM_RSRC2:TGID_X_EN: 1
; COMPUTE_PGM_RSRC2:TGID_Y_EN: 0
; COMPUTE_PGM_RSRC2:TGID_Z_EN: 0
; COMPUTE_PGM_RSRC2:TIDIG_COMP_CNT: 0
; COMPUTE_PGM_RSRC3_GFX90A:ACCUM_OFFSET: 0
; COMPUTE_PGM_RSRC3_GFX90A:TG_SPLIT: 0
	.section	.text._ZN7rocprim17ROCPRIM_400000_NS6detail17trampoline_kernelINS0_14default_configENS1_25partition_config_selectorILNS1_17partition_subalgoE8EaNS0_10empty_typeEbEEZZNS1_14partition_implILS5_8ELb0ES3_jPKaPS6_PKS6_NS0_5tupleIJPaS6_EEENSE_IJSB_SB_EEENS0_18inequality_wrapperIN6hipcub16HIPCUB_304000_NS8EqualityEEEPlJS6_EEE10hipError_tPvRmT3_T4_T5_T6_T7_T9_mT8_P12ihipStream_tbDpT10_ENKUlT_T0_E_clISt17integral_constantIbLb1EES17_EEDaS12_S13_EUlS12_E_NS1_11comp_targetILNS1_3genE5ELNS1_11target_archE942ELNS1_3gpuE9ELNS1_3repE0EEENS1_30default_config_static_selectorELNS0_4arch9wavefront6targetE1EEEvT1_,"axG",@progbits,_ZN7rocprim17ROCPRIM_400000_NS6detail17trampoline_kernelINS0_14default_configENS1_25partition_config_selectorILNS1_17partition_subalgoE8EaNS0_10empty_typeEbEEZZNS1_14partition_implILS5_8ELb0ES3_jPKaPS6_PKS6_NS0_5tupleIJPaS6_EEENSE_IJSB_SB_EEENS0_18inequality_wrapperIN6hipcub16HIPCUB_304000_NS8EqualityEEEPlJS6_EEE10hipError_tPvRmT3_T4_T5_T6_T7_T9_mT8_P12ihipStream_tbDpT10_ENKUlT_T0_E_clISt17integral_constantIbLb1EES17_EEDaS12_S13_EUlS12_E_NS1_11comp_targetILNS1_3genE5ELNS1_11target_archE942ELNS1_3gpuE9ELNS1_3repE0EEENS1_30default_config_static_selectorELNS0_4arch9wavefront6targetE1EEEvT1_,comdat
	.protected	_ZN7rocprim17ROCPRIM_400000_NS6detail17trampoline_kernelINS0_14default_configENS1_25partition_config_selectorILNS1_17partition_subalgoE8EaNS0_10empty_typeEbEEZZNS1_14partition_implILS5_8ELb0ES3_jPKaPS6_PKS6_NS0_5tupleIJPaS6_EEENSE_IJSB_SB_EEENS0_18inequality_wrapperIN6hipcub16HIPCUB_304000_NS8EqualityEEEPlJS6_EEE10hipError_tPvRmT3_T4_T5_T6_T7_T9_mT8_P12ihipStream_tbDpT10_ENKUlT_T0_E_clISt17integral_constantIbLb1EES17_EEDaS12_S13_EUlS12_E_NS1_11comp_targetILNS1_3genE5ELNS1_11target_archE942ELNS1_3gpuE9ELNS1_3repE0EEENS1_30default_config_static_selectorELNS0_4arch9wavefront6targetE1EEEvT1_ ; -- Begin function _ZN7rocprim17ROCPRIM_400000_NS6detail17trampoline_kernelINS0_14default_configENS1_25partition_config_selectorILNS1_17partition_subalgoE8EaNS0_10empty_typeEbEEZZNS1_14partition_implILS5_8ELb0ES3_jPKaPS6_PKS6_NS0_5tupleIJPaS6_EEENSE_IJSB_SB_EEENS0_18inequality_wrapperIN6hipcub16HIPCUB_304000_NS8EqualityEEEPlJS6_EEE10hipError_tPvRmT3_T4_T5_T6_T7_T9_mT8_P12ihipStream_tbDpT10_ENKUlT_T0_E_clISt17integral_constantIbLb1EES17_EEDaS12_S13_EUlS12_E_NS1_11comp_targetILNS1_3genE5ELNS1_11target_archE942ELNS1_3gpuE9ELNS1_3repE0EEENS1_30default_config_static_selectorELNS0_4arch9wavefront6targetE1EEEvT1_
	.globl	_ZN7rocprim17ROCPRIM_400000_NS6detail17trampoline_kernelINS0_14default_configENS1_25partition_config_selectorILNS1_17partition_subalgoE8EaNS0_10empty_typeEbEEZZNS1_14partition_implILS5_8ELb0ES3_jPKaPS6_PKS6_NS0_5tupleIJPaS6_EEENSE_IJSB_SB_EEENS0_18inequality_wrapperIN6hipcub16HIPCUB_304000_NS8EqualityEEEPlJS6_EEE10hipError_tPvRmT3_T4_T5_T6_T7_T9_mT8_P12ihipStream_tbDpT10_ENKUlT_T0_E_clISt17integral_constantIbLb1EES17_EEDaS12_S13_EUlS12_E_NS1_11comp_targetILNS1_3genE5ELNS1_11target_archE942ELNS1_3gpuE9ELNS1_3repE0EEENS1_30default_config_static_selectorELNS0_4arch9wavefront6targetE1EEEvT1_
	.p2align	8
	.type	_ZN7rocprim17ROCPRIM_400000_NS6detail17trampoline_kernelINS0_14default_configENS1_25partition_config_selectorILNS1_17partition_subalgoE8EaNS0_10empty_typeEbEEZZNS1_14partition_implILS5_8ELb0ES3_jPKaPS6_PKS6_NS0_5tupleIJPaS6_EEENSE_IJSB_SB_EEENS0_18inequality_wrapperIN6hipcub16HIPCUB_304000_NS8EqualityEEEPlJS6_EEE10hipError_tPvRmT3_T4_T5_T6_T7_T9_mT8_P12ihipStream_tbDpT10_ENKUlT_T0_E_clISt17integral_constantIbLb1EES17_EEDaS12_S13_EUlS12_E_NS1_11comp_targetILNS1_3genE5ELNS1_11target_archE942ELNS1_3gpuE9ELNS1_3repE0EEENS1_30default_config_static_selectorELNS0_4arch9wavefront6targetE1EEEvT1_,@function
_ZN7rocprim17ROCPRIM_400000_NS6detail17trampoline_kernelINS0_14default_configENS1_25partition_config_selectorILNS1_17partition_subalgoE8EaNS0_10empty_typeEbEEZZNS1_14partition_implILS5_8ELb0ES3_jPKaPS6_PKS6_NS0_5tupleIJPaS6_EEENSE_IJSB_SB_EEENS0_18inequality_wrapperIN6hipcub16HIPCUB_304000_NS8EqualityEEEPlJS6_EEE10hipError_tPvRmT3_T4_T5_T6_T7_T9_mT8_P12ihipStream_tbDpT10_ENKUlT_T0_E_clISt17integral_constantIbLb1EES17_EEDaS12_S13_EUlS12_E_NS1_11comp_targetILNS1_3genE5ELNS1_11target_archE942ELNS1_3gpuE9ELNS1_3repE0EEENS1_30default_config_static_selectorELNS0_4arch9wavefront6targetE1EEEvT1_: ; @_ZN7rocprim17ROCPRIM_400000_NS6detail17trampoline_kernelINS0_14default_configENS1_25partition_config_selectorILNS1_17partition_subalgoE8EaNS0_10empty_typeEbEEZZNS1_14partition_implILS5_8ELb0ES3_jPKaPS6_PKS6_NS0_5tupleIJPaS6_EEENSE_IJSB_SB_EEENS0_18inequality_wrapperIN6hipcub16HIPCUB_304000_NS8EqualityEEEPlJS6_EEE10hipError_tPvRmT3_T4_T5_T6_T7_T9_mT8_P12ihipStream_tbDpT10_ENKUlT_T0_E_clISt17integral_constantIbLb1EES17_EEDaS12_S13_EUlS12_E_NS1_11comp_targetILNS1_3genE5ELNS1_11target_archE942ELNS1_3gpuE9ELNS1_3repE0EEENS1_30default_config_static_selectorELNS0_4arch9wavefront6targetE1EEEvT1_
; %bb.0:
	.section	.rodata,"a",@progbits
	.p2align	6, 0x0
	.amdhsa_kernel _ZN7rocprim17ROCPRIM_400000_NS6detail17trampoline_kernelINS0_14default_configENS1_25partition_config_selectorILNS1_17partition_subalgoE8EaNS0_10empty_typeEbEEZZNS1_14partition_implILS5_8ELb0ES3_jPKaPS6_PKS6_NS0_5tupleIJPaS6_EEENSE_IJSB_SB_EEENS0_18inequality_wrapperIN6hipcub16HIPCUB_304000_NS8EqualityEEEPlJS6_EEE10hipError_tPvRmT3_T4_T5_T6_T7_T9_mT8_P12ihipStream_tbDpT10_ENKUlT_T0_E_clISt17integral_constantIbLb1EES17_EEDaS12_S13_EUlS12_E_NS1_11comp_targetILNS1_3genE5ELNS1_11target_archE942ELNS1_3gpuE9ELNS1_3repE0EEENS1_30default_config_static_selectorELNS0_4arch9wavefront6targetE1EEEvT1_
		.amdhsa_group_segment_fixed_size 0
		.amdhsa_private_segment_fixed_size 0
		.amdhsa_kernarg_size 128
		.amdhsa_user_sgpr_count 6
		.amdhsa_user_sgpr_private_segment_buffer 1
		.amdhsa_user_sgpr_dispatch_ptr 0
		.amdhsa_user_sgpr_queue_ptr 0
		.amdhsa_user_sgpr_kernarg_segment_ptr 1
		.amdhsa_user_sgpr_dispatch_id 0
		.amdhsa_user_sgpr_flat_scratch_init 0
		.amdhsa_user_sgpr_kernarg_preload_length 0
		.amdhsa_user_sgpr_kernarg_preload_offset 0
		.amdhsa_user_sgpr_private_segment_size 0
		.amdhsa_uses_dynamic_stack 0
		.amdhsa_system_sgpr_private_segment_wavefront_offset 0
		.amdhsa_system_sgpr_workgroup_id_x 1
		.amdhsa_system_sgpr_workgroup_id_y 0
		.amdhsa_system_sgpr_workgroup_id_z 0
		.amdhsa_system_sgpr_workgroup_info 0
		.amdhsa_system_vgpr_workitem_id 0
		.amdhsa_next_free_vgpr 1
		.amdhsa_next_free_sgpr 0
		.amdhsa_accum_offset 4
		.amdhsa_reserve_vcc 0
		.amdhsa_reserve_flat_scratch 0
		.amdhsa_float_round_mode_32 0
		.amdhsa_float_round_mode_16_64 0
		.amdhsa_float_denorm_mode_32 3
		.amdhsa_float_denorm_mode_16_64 3
		.amdhsa_dx10_clamp 1
		.amdhsa_ieee_mode 1
		.amdhsa_fp16_overflow 0
		.amdhsa_tg_split 0
		.amdhsa_exception_fp_ieee_invalid_op 0
		.amdhsa_exception_fp_denorm_src 0
		.amdhsa_exception_fp_ieee_div_zero 0
		.amdhsa_exception_fp_ieee_overflow 0
		.amdhsa_exception_fp_ieee_underflow 0
		.amdhsa_exception_fp_ieee_inexact 0
		.amdhsa_exception_int_div_zero 0
	.end_amdhsa_kernel
	.section	.text._ZN7rocprim17ROCPRIM_400000_NS6detail17trampoline_kernelINS0_14default_configENS1_25partition_config_selectorILNS1_17partition_subalgoE8EaNS0_10empty_typeEbEEZZNS1_14partition_implILS5_8ELb0ES3_jPKaPS6_PKS6_NS0_5tupleIJPaS6_EEENSE_IJSB_SB_EEENS0_18inequality_wrapperIN6hipcub16HIPCUB_304000_NS8EqualityEEEPlJS6_EEE10hipError_tPvRmT3_T4_T5_T6_T7_T9_mT8_P12ihipStream_tbDpT10_ENKUlT_T0_E_clISt17integral_constantIbLb1EES17_EEDaS12_S13_EUlS12_E_NS1_11comp_targetILNS1_3genE5ELNS1_11target_archE942ELNS1_3gpuE9ELNS1_3repE0EEENS1_30default_config_static_selectorELNS0_4arch9wavefront6targetE1EEEvT1_,"axG",@progbits,_ZN7rocprim17ROCPRIM_400000_NS6detail17trampoline_kernelINS0_14default_configENS1_25partition_config_selectorILNS1_17partition_subalgoE8EaNS0_10empty_typeEbEEZZNS1_14partition_implILS5_8ELb0ES3_jPKaPS6_PKS6_NS0_5tupleIJPaS6_EEENSE_IJSB_SB_EEENS0_18inequality_wrapperIN6hipcub16HIPCUB_304000_NS8EqualityEEEPlJS6_EEE10hipError_tPvRmT3_T4_T5_T6_T7_T9_mT8_P12ihipStream_tbDpT10_ENKUlT_T0_E_clISt17integral_constantIbLb1EES17_EEDaS12_S13_EUlS12_E_NS1_11comp_targetILNS1_3genE5ELNS1_11target_archE942ELNS1_3gpuE9ELNS1_3repE0EEENS1_30default_config_static_selectorELNS0_4arch9wavefront6targetE1EEEvT1_,comdat
.Lfunc_end212:
	.size	_ZN7rocprim17ROCPRIM_400000_NS6detail17trampoline_kernelINS0_14default_configENS1_25partition_config_selectorILNS1_17partition_subalgoE8EaNS0_10empty_typeEbEEZZNS1_14partition_implILS5_8ELb0ES3_jPKaPS6_PKS6_NS0_5tupleIJPaS6_EEENSE_IJSB_SB_EEENS0_18inequality_wrapperIN6hipcub16HIPCUB_304000_NS8EqualityEEEPlJS6_EEE10hipError_tPvRmT3_T4_T5_T6_T7_T9_mT8_P12ihipStream_tbDpT10_ENKUlT_T0_E_clISt17integral_constantIbLb1EES17_EEDaS12_S13_EUlS12_E_NS1_11comp_targetILNS1_3genE5ELNS1_11target_archE942ELNS1_3gpuE9ELNS1_3repE0EEENS1_30default_config_static_selectorELNS0_4arch9wavefront6targetE1EEEvT1_, .Lfunc_end212-_ZN7rocprim17ROCPRIM_400000_NS6detail17trampoline_kernelINS0_14default_configENS1_25partition_config_selectorILNS1_17partition_subalgoE8EaNS0_10empty_typeEbEEZZNS1_14partition_implILS5_8ELb0ES3_jPKaPS6_PKS6_NS0_5tupleIJPaS6_EEENSE_IJSB_SB_EEENS0_18inequality_wrapperIN6hipcub16HIPCUB_304000_NS8EqualityEEEPlJS6_EEE10hipError_tPvRmT3_T4_T5_T6_T7_T9_mT8_P12ihipStream_tbDpT10_ENKUlT_T0_E_clISt17integral_constantIbLb1EES17_EEDaS12_S13_EUlS12_E_NS1_11comp_targetILNS1_3genE5ELNS1_11target_archE942ELNS1_3gpuE9ELNS1_3repE0EEENS1_30default_config_static_selectorELNS0_4arch9wavefront6targetE1EEEvT1_
                                        ; -- End function
	.section	.AMDGPU.csdata,"",@progbits
; Kernel info:
; codeLenInByte = 0
; NumSgprs: 4
; NumVgprs: 0
; NumAgprs: 0
; TotalNumVgprs: 0
; ScratchSize: 0
; MemoryBound: 0
; FloatMode: 240
; IeeeMode: 1
; LDSByteSize: 0 bytes/workgroup (compile time only)
; SGPRBlocks: 0
; VGPRBlocks: 0
; NumSGPRsForWavesPerEU: 4
; NumVGPRsForWavesPerEU: 1
; AccumOffset: 4
; Occupancy: 8
; WaveLimiterHint : 0
; COMPUTE_PGM_RSRC2:SCRATCH_EN: 0
; COMPUTE_PGM_RSRC2:USER_SGPR: 6
; COMPUTE_PGM_RSRC2:TRAP_HANDLER: 0
; COMPUTE_PGM_RSRC2:TGID_X_EN: 1
; COMPUTE_PGM_RSRC2:TGID_Y_EN: 0
; COMPUTE_PGM_RSRC2:TGID_Z_EN: 0
; COMPUTE_PGM_RSRC2:TIDIG_COMP_CNT: 0
; COMPUTE_PGM_RSRC3_GFX90A:ACCUM_OFFSET: 0
; COMPUTE_PGM_RSRC3_GFX90A:TG_SPLIT: 0
	.section	.text._ZN7rocprim17ROCPRIM_400000_NS6detail17trampoline_kernelINS0_14default_configENS1_25partition_config_selectorILNS1_17partition_subalgoE8EaNS0_10empty_typeEbEEZZNS1_14partition_implILS5_8ELb0ES3_jPKaPS6_PKS6_NS0_5tupleIJPaS6_EEENSE_IJSB_SB_EEENS0_18inequality_wrapperIN6hipcub16HIPCUB_304000_NS8EqualityEEEPlJS6_EEE10hipError_tPvRmT3_T4_T5_T6_T7_T9_mT8_P12ihipStream_tbDpT10_ENKUlT_T0_E_clISt17integral_constantIbLb1EES17_EEDaS12_S13_EUlS12_E_NS1_11comp_targetILNS1_3genE4ELNS1_11target_archE910ELNS1_3gpuE8ELNS1_3repE0EEENS1_30default_config_static_selectorELNS0_4arch9wavefront6targetE1EEEvT1_,"axG",@progbits,_ZN7rocprim17ROCPRIM_400000_NS6detail17trampoline_kernelINS0_14default_configENS1_25partition_config_selectorILNS1_17partition_subalgoE8EaNS0_10empty_typeEbEEZZNS1_14partition_implILS5_8ELb0ES3_jPKaPS6_PKS6_NS0_5tupleIJPaS6_EEENSE_IJSB_SB_EEENS0_18inequality_wrapperIN6hipcub16HIPCUB_304000_NS8EqualityEEEPlJS6_EEE10hipError_tPvRmT3_T4_T5_T6_T7_T9_mT8_P12ihipStream_tbDpT10_ENKUlT_T0_E_clISt17integral_constantIbLb1EES17_EEDaS12_S13_EUlS12_E_NS1_11comp_targetILNS1_3genE4ELNS1_11target_archE910ELNS1_3gpuE8ELNS1_3repE0EEENS1_30default_config_static_selectorELNS0_4arch9wavefront6targetE1EEEvT1_,comdat
	.protected	_ZN7rocprim17ROCPRIM_400000_NS6detail17trampoline_kernelINS0_14default_configENS1_25partition_config_selectorILNS1_17partition_subalgoE8EaNS0_10empty_typeEbEEZZNS1_14partition_implILS5_8ELb0ES3_jPKaPS6_PKS6_NS0_5tupleIJPaS6_EEENSE_IJSB_SB_EEENS0_18inequality_wrapperIN6hipcub16HIPCUB_304000_NS8EqualityEEEPlJS6_EEE10hipError_tPvRmT3_T4_T5_T6_T7_T9_mT8_P12ihipStream_tbDpT10_ENKUlT_T0_E_clISt17integral_constantIbLb1EES17_EEDaS12_S13_EUlS12_E_NS1_11comp_targetILNS1_3genE4ELNS1_11target_archE910ELNS1_3gpuE8ELNS1_3repE0EEENS1_30default_config_static_selectorELNS0_4arch9wavefront6targetE1EEEvT1_ ; -- Begin function _ZN7rocprim17ROCPRIM_400000_NS6detail17trampoline_kernelINS0_14default_configENS1_25partition_config_selectorILNS1_17partition_subalgoE8EaNS0_10empty_typeEbEEZZNS1_14partition_implILS5_8ELb0ES3_jPKaPS6_PKS6_NS0_5tupleIJPaS6_EEENSE_IJSB_SB_EEENS0_18inequality_wrapperIN6hipcub16HIPCUB_304000_NS8EqualityEEEPlJS6_EEE10hipError_tPvRmT3_T4_T5_T6_T7_T9_mT8_P12ihipStream_tbDpT10_ENKUlT_T0_E_clISt17integral_constantIbLb1EES17_EEDaS12_S13_EUlS12_E_NS1_11comp_targetILNS1_3genE4ELNS1_11target_archE910ELNS1_3gpuE8ELNS1_3repE0EEENS1_30default_config_static_selectorELNS0_4arch9wavefront6targetE1EEEvT1_
	.globl	_ZN7rocprim17ROCPRIM_400000_NS6detail17trampoline_kernelINS0_14default_configENS1_25partition_config_selectorILNS1_17partition_subalgoE8EaNS0_10empty_typeEbEEZZNS1_14partition_implILS5_8ELb0ES3_jPKaPS6_PKS6_NS0_5tupleIJPaS6_EEENSE_IJSB_SB_EEENS0_18inequality_wrapperIN6hipcub16HIPCUB_304000_NS8EqualityEEEPlJS6_EEE10hipError_tPvRmT3_T4_T5_T6_T7_T9_mT8_P12ihipStream_tbDpT10_ENKUlT_T0_E_clISt17integral_constantIbLb1EES17_EEDaS12_S13_EUlS12_E_NS1_11comp_targetILNS1_3genE4ELNS1_11target_archE910ELNS1_3gpuE8ELNS1_3repE0EEENS1_30default_config_static_selectorELNS0_4arch9wavefront6targetE1EEEvT1_
	.p2align	8
	.type	_ZN7rocprim17ROCPRIM_400000_NS6detail17trampoline_kernelINS0_14default_configENS1_25partition_config_selectorILNS1_17partition_subalgoE8EaNS0_10empty_typeEbEEZZNS1_14partition_implILS5_8ELb0ES3_jPKaPS6_PKS6_NS0_5tupleIJPaS6_EEENSE_IJSB_SB_EEENS0_18inequality_wrapperIN6hipcub16HIPCUB_304000_NS8EqualityEEEPlJS6_EEE10hipError_tPvRmT3_T4_T5_T6_T7_T9_mT8_P12ihipStream_tbDpT10_ENKUlT_T0_E_clISt17integral_constantIbLb1EES17_EEDaS12_S13_EUlS12_E_NS1_11comp_targetILNS1_3genE4ELNS1_11target_archE910ELNS1_3gpuE8ELNS1_3repE0EEENS1_30default_config_static_selectorELNS0_4arch9wavefront6targetE1EEEvT1_,@function
_ZN7rocprim17ROCPRIM_400000_NS6detail17trampoline_kernelINS0_14default_configENS1_25partition_config_selectorILNS1_17partition_subalgoE8EaNS0_10empty_typeEbEEZZNS1_14partition_implILS5_8ELb0ES3_jPKaPS6_PKS6_NS0_5tupleIJPaS6_EEENSE_IJSB_SB_EEENS0_18inequality_wrapperIN6hipcub16HIPCUB_304000_NS8EqualityEEEPlJS6_EEE10hipError_tPvRmT3_T4_T5_T6_T7_T9_mT8_P12ihipStream_tbDpT10_ENKUlT_T0_E_clISt17integral_constantIbLb1EES17_EEDaS12_S13_EUlS12_E_NS1_11comp_targetILNS1_3genE4ELNS1_11target_archE910ELNS1_3gpuE8ELNS1_3repE0EEENS1_30default_config_static_selectorELNS0_4arch9wavefront6targetE1EEEvT1_: ; @_ZN7rocprim17ROCPRIM_400000_NS6detail17trampoline_kernelINS0_14default_configENS1_25partition_config_selectorILNS1_17partition_subalgoE8EaNS0_10empty_typeEbEEZZNS1_14partition_implILS5_8ELb0ES3_jPKaPS6_PKS6_NS0_5tupleIJPaS6_EEENSE_IJSB_SB_EEENS0_18inequality_wrapperIN6hipcub16HIPCUB_304000_NS8EqualityEEEPlJS6_EEE10hipError_tPvRmT3_T4_T5_T6_T7_T9_mT8_P12ihipStream_tbDpT10_ENKUlT_T0_E_clISt17integral_constantIbLb1EES17_EEDaS12_S13_EUlS12_E_NS1_11comp_targetILNS1_3genE4ELNS1_11target_archE910ELNS1_3gpuE8ELNS1_3repE0EEENS1_30default_config_static_selectorELNS0_4arch9wavefront6targetE1EEEvT1_
; %bb.0:
	s_load_dwordx2 s[24:25], s[4:5], 0x28
	s_load_dwordx4 s[20:23], s[4:5], 0x40
	s_load_dwordx2 s[6:7], s[4:5], 0x50
	s_load_dwordx2 s[26:27], s[4:5], 0x60
	v_cmp_ne_u32_e64 s[2:3], 0, v0
	v_cmp_eq_u32_e64 s[0:1], 0, v0
	s_and_saveexec_b64 s[8:9], s[0:1]
	s_cbranch_execz .LBB213_4
; %bb.1:
	s_mov_b64 s[12:13], exec
	v_mbcnt_lo_u32_b32 v1, s12, 0
	v_mbcnt_hi_u32_b32 v1, s13, v1
	v_cmp_eq_u32_e32 vcc, 0, v1
                                        ; implicit-def: $vgpr2
	s_and_saveexec_b64 s[10:11], vcc
	s_cbranch_execz .LBB213_3
; %bb.2:
	s_load_dwordx2 s[14:15], s[4:5], 0x70
	s_bcnt1_i32_b64 s12, s[12:13]
	v_mov_b32_e32 v2, 0
	v_mov_b32_e32 v3, s12
	s_waitcnt lgkmcnt(0)
	global_atomic_add v2, v2, v3, s[14:15] glc
.LBB213_3:
	s_or_b64 exec, exec, s[10:11]
	s_waitcnt vmcnt(0)
	v_readfirstlane_b32 s10, v2
	v_add_u32_e32 v1, s10, v1
	v_mov_b32_e32 v2, 0
	ds_write_b32 v2, v1
.LBB213_4:
	s_or_b64 exec, exec, s[8:9]
	v_mov_b32_e32 v1, 0
	s_load_dwordx4 s[8:11], s[4:5], 0x8
	s_load_dword s14, s[4:5], 0x68
	s_waitcnt lgkmcnt(0)
	s_barrier
	ds_read_b32 v6, v1
	s_waitcnt lgkmcnt(0)
	s_barrier
	global_load_dwordx2 v[2:3], v1, s[22:23]
	s_add_u32 s8, s8, s10
	s_addc_u32 s4, s9, s11
	s_add_i32 s9, s14, -1
	v_mov_b32_e32 v5, s7
	s_lshl_b32 s7, s9, 12
	s_lshl_b32 s5, s14, 12
	s_add_i32 s7, s10, s7
	v_mov_b32_e32 v1, s4
	s_add_u32 s4, s10, s5
	v_mov_b32_e32 v4, s6
	s_addc_u32 s5, s11, 0
	v_readfirstlane_b32 s55, v6
	v_lshlrev_b32_e32 v6, 12, v6
	v_cmp_ge_u64_e32 vcc, s[4:5], v[4:5]
	s_cmp_eq_u32 s55, s9
	v_add_co_u32_e64 v10, s[4:5], s8, v6
	v_addc_co_u32_e64 v11, s[4:5], 0, v1, s[4:5]
	s_cselect_b64 s[18:19], -1, 0
	s_and_b64 s[4:5], vcc, s[18:19]
	s_xor_b64 s[22:23], s[4:5], -1
	s_mov_b64 s[12:13], -1
	s_and_b64 vcc, exec, s[22:23]
	s_waitcnt vmcnt(0)
	v_readfirstlane_b32 s33, v2
	v_readfirstlane_b32 s54, v3
	s_cbranch_vccz .LBB213_6
; %bb.5:
	v_readfirstlane_b32 s8, v10
	v_readfirstlane_b32 s9, v11
	s_nop 4
	global_load_ubyte v1, v0, s[8:9]
	global_load_ubyte v2, v0, s[8:9] offset:128
	global_load_ubyte v3, v0, s[8:9] offset:256
	;; [unrolled: 1-line block ×31, first 2 shown]
	s_mov_b64 s[12:13], 0
	s_waitcnt vmcnt(31)
	ds_write_b8 v0, v1
	s_waitcnt vmcnt(30)
	ds_write_b8 v0, v2 offset:132
	s_waitcnt vmcnt(29)
	ds_write_b8 v0, v3 offset:264
	;; [unrolled: 2-line block ×31, first 2 shown]
	s_waitcnt lgkmcnt(0)
	s_barrier
.LBB213_6:
	s_andn2_b64 vcc, exec, s[12:13]
	s_sub_i32 s56, s6, s7
	s_cbranch_vccnz .LBB213_72
; %bb.7:
	v_cmp_gt_u32_e32 vcc, s56, v0
                                        ; implicit-def: $vgpr1
	s_and_saveexec_b64 s[6:7], vcc
	s_cbranch_execz .LBB213_9
; %bb.8:
	v_readfirstlane_b32 s8, v10
	v_readfirstlane_b32 s9, v11
	s_nop 4
	global_load_ubyte v1, v0, s[8:9]
.LBB213_9:
	s_or_b64 exec, exec, s[6:7]
	v_or_b32_e32 v2, 0x80, v0
	v_cmp_gt_u32_e32 vcc, s56, v2
                                        ; implicit-def: $vgpr3
	s_and_saveexec_b64 s[6:7], vcc
	s_cbranch_execz .LBB213_11
; %bb.10:
	v_readfirstlane_b32 s8, v10
	v_readfirstlane_b32 s9, v11
	s_nop 4
	global_load_ubyte v3, v0, s[8:9] offset:128
.LBB213_11:
	s_or_b64 exec, exec, s[6:7]
	v_or_b32_e32 v4, 0x100, v0
	v_cmp_gt_u32_e32 vcc, s56, v4
                                        ; implicit-def: $vgpr5
	s_and_saveexec_b64 s[6:7], vcc
	s_cbranch_execz .LBB213_13
; %bb.12:
	v_readfirstlane_b32 s8, v10
	v_readfirstlane_b32 s9, v11
	s_nop 4
	global_load_ubyte v5, v0, s[8:9] offset:256
.LBB213_13:
	s_or_b64 exec, exec, s[6:7]
	v_or_b32_e32 v6, 0x180, v0
	v_cmp_gt_u32_e32 vcc, s56, v6
                                        ; implicit-def: $vgpr7
	s_and_saveexec_b64 s[6:7], vcc
	s_cbranch_execz .LBB213_15
; %bb.14:
	v_readfirstlane_b32 s8, v10
	v_readfirstlane_b32 s9, v11
	s_nop 4
	global_load_ubyte v7, v0, s[8:9] offset:384
.LBB213_15:
	s_or_b64 exec, exec, s[6:7]
	v_or_b32_e32 v8, 0x200, v0
	v_cmp_gt_u32_e32 vcc, s56, v8
                                        ; implicit-def: $vgpr9
	s_and_saveexec_b64 s[6:7], vcc
	s_cbranch_execz .LBB213_17
; %bb.16:
	v_readfirstlane_b32 s8, v10
	v_readfirstlane_b32 s9, v11
	s_nop 4
	global_load_ubyte v9, v0, s[8:9] offset:512
.LBB213_17:
	s_or_b64 exec, exec, s[6:7]
	v_or_b32_e32 v12, 0x280, v0
	v_cmp_gt_u32_e32 vcc, s56, v12
                                        ; implicit-def: $vgpr13
	s_and_saveexec_b64 s[6:7], vcc
	s_cbranch_execz .LBB213_19
; %bb.18:
	v_readfirstlane_b32 s8, v10
	v_readfirstlane_b32 s9, v11
	s_nop 4
	global_load_ubyte v13, v0, s[8:9] offset:640
.LBB213_19:
	s_or_b64 exec, exec, s[6:7]
	v_or_b32_e32 v14, 0x300, v0
	v_cmp_gt_u32_e32 vcc, s56, v14
                                        ; implicit-def: $vgpr15
	s_and_saveexec_b64 s[6:7], vcc
	s_cbranch_execz .LBB213_21
; %bb.20:
	v_readfirstlane_b32 s8, v10
	v_readfirstlane_b32 s9, v11
	s_nop 4
	global_load_ubyte v15, v0, s[8:9] offset:768
.LBB213_21:
	s_or_b64 exec, exec, s[6:7]
	v_or_b32_e32 v16, 0x380, v0
	v_cmp_gt_u32_e32 vcc, s56, v16
                                        ; implicit-def: $vgpr17
	s_and_saveexec_b64 s[6:7], vcc
	s_cbranch_execz .LBB213_23
; %bb.22:
	v_readfirstlane_b32 s8, v10
	v_readfirstlane_b32 s9, v11
	s_nop 4
	global_load_ubyte v17, v0, s[8:9] offset:896
.LBB213_23:
	s_or_b64 exec, exec, s[6:7]
	v_or_b32_e32 v18, 0x400, v0
	v_cmp_gt_u32_e32 vcc, s56, v18
                                        ; implicit-def: $vgpr19
	s_and_saveexec_b64 s[6:7], vcc
	s_cbranch_execz .LBB213_25
; %bb.24:
	v_readfirstlane_b32 s8, v10
	v_readfirstlane_b32 s9, v11
	s_nop 4
	global_load_ubyte v19, v0, s[8:9] offset:1024
.LBB213_25:
	s_or_b64 exec, exec, s[6:7]
	v_or_b32_e32 v20, 0x480, v0
	v_cmp_gt_u32_e32 vcc, s56, v20
                                        ; implicit-def: $vgpr21
	s_and_saveexec_b64 s[6:7], vcc
	s_cbranch_execz .LBB213_27
; %bb.26:
	v_readfirstlane_b32 s8, v10
	v_readfirstlane_b32 s9, v11
	s_nop 4
	global_load_ubyte v21, v0, s[8:9] offset:1152
.LBB213_27:
	s_or_b64 exec, exec, s[6:7]
	v_or_b32_e32 v22, 0x500, v0
	v_cmp_gt_u32_e32 vcc, s56, v22
                                        ; implicit-def: $vgpr23
	s_and_saveexec_b64 s[6:7], vcc
	s_cbranch_execz .LBB213_29
; %bb.28:
	v_readfirstlane_b32 s8, v10
	v_readfirstlane_b32 s9, v11
	s_nop 4
	global_load_ubyte v23, v0, s[8:9] offset:1280
.LBB213_29:
	s_or_b64 exec, exec, s[6:7]
	v_or_b32_e32 v24, 0x580, v0
	v_cmp_gt_u32_e32 vcc, s56, v24
                                        ; implicit-def: $vgpr25
	s_and_saveexec_b64 s[6:7], vcc
	s_cbranch_execz .LBB213_31
; %bb.30:
	v_readfirstlane_b32 s8, v10
	v_readfirstlane_b32 s9, v11
	s_nop 4
	global_load_ubyte v25, v0, s[8:9] offset:1408
.LBB213_31:
	s_or_b64 exec, exec, s[6:7]
	v_or_b32_e32 v26, 0x600, v0
	v_cmp_gt_u32_e32 vcc, s56, v26
                                        ; implicit-def: $vgpr27
	s_and_saveexec_b64 s[6:7], vcc
	s_cbranch_execz .LBB213_33
; %bb.32:
	v_readfirstlane_b32 s8, v10
	v_readfirstlane_b32 s9, v11
	s_nop 4
	global_load_ubyte v27, v0, s[8:9] offset:1536
.LBB213_33:
	s_or_b64 exec, exec, s[6:7]
	v_or_b32_e32 v28, 0x680, v0
	v_cmp_gt_u32_e32 vcc, s56, v28
                                        ; implicit-def: $vgpr29
	s_and_saveexec_b64 s[6:7], vcc
	s_cbranch_execz .LBB213_35
; %bb.34:
	v_readfirstlane_b32 s8, v10
	v_readfirstlane_b32 s9, v11
	s_nop 4
	global_load_ubyte v29, v0, s[8:9] offset:1664
.LBB213_35:
	s_or_b64 exec, exec, s[6:7]
	v_or_b32_e32 v30, 0x700, v0
	v_cmp_gt_u32_e32 vcc, s56, v30
                                        ; implicit-def: $vgpr31
	s_and_saveexec_b64 s[6:7], vcc
	s_cbranch_execz .LBB213_37
; %bb.36:
	v_readfirstlane_b32 s8, v10
	v_readfirstlane_b32 s9, v11
	s_nop 4
	global_load_ubyte v31, v0, s[8:9] offset:1792
.LBB213_37:
	s_or_b64 exec, exec, s[6:7]
	v_or_b32_e32 v32, 0x780, v0
	v_cmp_gt_u32_e32 vcc, s56, v32
                                        ; implicit-def: $vgpr33
	s_and_saveexec_b64 s[6:7], vcc
	s_cbranch_execz .LBB213_39
; %bb.38:
	v_readfirstlane_b32 s8, v10
	v_readfirstlane_b32 s9, v11
	s_nop 4
	global_load_ubyte v33, v0, s[8:9] offset:1920
.LBB213_39:
	s_or_b64 exec, exec, s[6:7]
	v_or_b32_e32 v34, 0x800, v0
	v_cmp_gt_u32_e32 vcc, s56, v34
                                        ; implicit-def: $vgpr35
	s_and_saveexec_b64 s[6:7], vcc
	s_cbranch_execz .LBB213_41
; %bb.40:
	v_readfirstlane_b32 s8, v10
	v_readfirstlane_b32 s9, v11
	s_nop 4
	global_load_ubyte v35, v0, s[8:9] offset:2048
.LBB213_41:
	s_or_b64 exec, exec, s[6:7]
	v_or_b32_e32 v36, 0x880, v0
	v_cmp_gt_u32_e32 vcc, s56, v36
                                        ; implicit-def: $vgpr37
	s_and_saveexec_b64 s[6:7], vcc
	s_cbranch_execz .LBB213_43
; %bb.42:
	v_readfirstlane_b32 s8, v10
	v_readfirstlane_b32 s9, v11
	s_nop 4
	global_load_ubyte v37, v0, s[8:9] offset:2176
.LBB213_43:
	s_or_b64 exec, exec, s[6:7]
	v_or_b32_e32 v38, 0x900, v0
	v_cmp_gt_u32_e32 vcc, s56, v38
                                        ; implicit-def: $vgpr39
	s_and_saveexec_b64 s[6:7], vcc
	s_cbranch_execz .LBB213_45
; %bb.44:
	v_readfirstlane_b32 s8, v10
	v_readfirstlane_b32 s9, v11
	s_nop 4
	global_load_ubyte v39, v0, s[8:9] offset:2304
.LBB213_45:
	s_or_b64 exec, exec, s[6:7]
	v_or_b32_e32 v40, 0x980, v0
	v_cmp_gt_u32_e32 vcc, s56, v40
                                        ; implicit-def: $vgpr41
	s_and_saveexec_b64 s[6:7], vcc
	s_cbranch_execz .LBB213_47
; %bb.46:
	v_readfirstlane_b32 s8, v10
	v_readfirstlane_b32 s9, v11
	s_nop 4
	global_load_ubyte v41, v0, s[8:9] offset:2432
.LBB213_47:
	s_or_b64 exec, exec, s[6:7]
	v_or_b32_e32 v42, 0xa00, v0
	v_cmp_gt_u32_e32 vcc, s56, v42
                                        ; implicit-def: $vgpr43
	s_and_saveexec_b64 s[6:7], vcc
	s_cbranch_execz .LBB213_49
; %bb.48:
	v_readfirstlane_b32 s8, v10
	v_readfirstlane_b32 s9, v11
	s_nop 4
	global_load_ubyte v43, v0, s[8:9] offset:2560
.LBB213_49:
	s_or_b64 exec, exec, s[6:7]
	v_or_b32_e32 v44, 0xa80, v0
	v_cmp_gt_u32_e32 vcc, s56, v44
                                        ; implicit-def: $vgpr45
	s_and_saveexec_b64 s[6:7], vcc
	s_cbranch_execz .LBB213_51
; %bb.50:
	v_readfirstlane_b32 s8, v10
	v_readfirstlane_b32 s9, v11
	s_nop 4
	global_load_ubyte v45, v0, s[8:9] offset:2688
.LBB213_51:
	s_or_b64 exec, exec, s[6:7]
	v_or_b32_e32 v46, 0xb00, v0
	v_cmp_gt_u32_e32 vcc, s56, v46
                                        ; implicit-def: $vgpr47
	s_and_saveexec_b64 s[6:7], vcc
	s_cbranch_execz .LBB213_53
; %bb.52:
	v_readfirstlane_b32 s8, v10
	v_readfirstlane_b32 s9, v11
	s_nop 4
	global_load_ubyte v47, v0, s[8:9] offset:2816
.LBB213_53:
	s_or_b64 exec, exec, s[6:7]
	v_or_b32_e32 v48, 0xb80, v0
	v_cmp_gt_u32_e32 vcc, s56, v48
                                        ; implicit-def: $vgpr49
	s_and_saveexec_b64 s[6:7], vcc
	s_cbranch_execz .LBB213_55
; %bb.54:
	v_readfirstlane_b32 s8, v10
	v_readfirstlane_b32 s9, v11
	s_nop 4
	global_load_ubyte v49, v0, s[8:9] offset:2944
.LBB213_55:
	s_or_b64 exec, exec, s[6:7]
	v_or_b32_e32 v50, 0xc00, v0
	v_cmp_gt_u32_e32 vcc, s56, v50
                                        ; implicit-def: $vgpr51
	s_and_saveexec_b64 s[6:7], vcc
	s_cbranch_execz .LBB213_57
; %bb.56:
	v_readfirstlane_b32 s8, v10
	v_readfirstlane_b32 s9, v11
	s_nop 4
	global_load_ubyte v51, v0, s[8:9] offset:3072
.LBB213_57:
	s_or_b64 exec, exec, s[6:7]
	v_or_b32_e32 v52, 0xc80, v0
	v_cmp_gt_u32_e32 vcc, s56, v52
                                        ; implicit-def: $vgpr53
	s_and_saveexec_b64 s[6:7], vcc
	s_cbranch_execz .LBB213_59
; %bb.58:
	v_readfirstlane_b32 s8, v10
	v_readfirstlane_b32 s9, v11
	s_nop 4
	global_load_ubyte v53, v0, s[8:9] offset:3200
.LBB213_59:
	s_or_b64 exec, exec, s[6:7]
	v_or_b32_e32 v54, 0xd00, v0
	v_cmp_gt_u32_e32 vcc, s56, v54
                                        ; implicit-def: $vgpr55
	s_and_saveexec_b64 s[6:7], vcc
	s_cbranch_execz .LBB213_61
; %bb.60:
	v_readfirstlane_b32 s8, v10
	v_readfirstlane_b32 s9, v11
	s_nop 4
	global_load_ubyte v55, v0, s[8:9] offset:3328
.LBB213_61:
	s_or_b64 exec, exec, s[6:7]
	v_or_b32_e32 v56, 0xd80, v0
	v_cmp_gt_u32_e32 vcc, s56, v56
                                        ; implicit-def: $vgpr57
	s_and_saveexec_b64 s[6:7], vcc
	s_cbranch_execz .LBB213_63
; %bb.62:
	v_readfirstlane_b32 s8, v10
	v_readfirstlane_b32 s9, v11
	s_nop 4
	global_load_ubyte v57, v0, s[8:9] offset:3456
.LBB213_63:
	s_or_b64 exec, exec, s[6:7]
	v_or_b32_e32 v58, 0xe00, v0
	v_cmp_gt_u32_e32 vcc, s56, v58
                                        ; implicit-def: $vgpr59
	s_and_saveexec_b64 s[6:7], vcc
	s_cbranch_execz .LBB213_65
; %bb.64:
	v_readfirstlane_b32 s8, v10
	v_readfirstlane_b32 s9, v11
	s_nop 4
	global_load_ubyte v59, v0, s[8:9] offset:3584
.LBB213_65:
	s_or_b64 exec, exec, s[6:7]
	v_or_b32_e32 v60, 0xe80, v0
	v_cmp_gt_u32_e32 vcc, s56, v60
                                        ; implicit-def: $vgpr61
	s_and_saveexec_b64 s[6:7], vcc
	s_cbranch_execz .LBB213_67
; %bb.66:
	v_readfirstlane_b32 s8, v10
	v_readfirstlane_b32 s9, v11
	s_nop 4
	global_load_ubyte v61, v0, s[8:9] offset:3712
.LBB213_67:
	s_or_b64 exec, exec, s[6:7]
	v_or_b32_e32 v62, 0xf00, v0
	v_cmp_gt_u32_e32 vcc, s56, v62
                                        ; implicit-def: $vgpr63
	s_and_saveexec_b64 s[6:7], vcc
	s_cbranch_execz .LBB213_69
; %bb.68:
	v_readfirstlane_b32 s8, v10
	v_readfirstlane_b32 s9, v11
	s_nop 4
	global_load_ubyte v63, v0, s[8:9] offset:3840
.LBB213_69:
	s_or_b64 exec, exec, s[6:7]
	v_or_b32_e32 v64, 0xf80, v0
	v_cmp_gt_u32_e32 vcc, s56, v64
                                        ; implicit-def: $vgpr65
	s_and_saveexec_b64 s[6:7], vcc
	s_cbranch_execz .LBB213_71
; %bb.70:
	v_readfirstlane_b32 s8, v10
	v_readfirstlane_b32 s9, v11
	s_nop 4
	global_load_ubyte v65, v0, s[8:9] offset:3968
.LBB213_71:
	s_or_b64 exec, exec, s[6:7]
	s_waitcnt vmcnt(0)
	ds_write_b8 v0, v1
	v_lshrrev_b32_e32 v1, 5, v2
	v_and_b32_e32 v1, 4, v1
	v_add_u32_e32 v1, v0, v1
	ds_write_b8 v1, v3 offset:128
	v_lshrrev_b32_e32 v1, 5, v4
	v_and_b32_e32 v1, 12, v1
	v_add_u32_e32 v1, v0, v1
	ds_write_b8 v1, v5 offset:256
	;; [unrolled: 4-line block ×31, first 2 shown]
	s_waitcnt lgkmcnt(0)
	s_barrier
.LBB213_72:
	v_lshlrev_b32_e32 v12, 5, v0
	v_and_b32_e32 v1, 0x7c, v0
	v_add_u32_e32 v1, v1, v12
	ds_read2_b32 v[2:3], v1 offset0:6 offset1:7
	ds_read2_b32 v[8:9], v1 offset1:1
	ds_read2_b32 v[6:7], v1 offset0:2 offset1:3
	ds_read2_b32 v[4:5], v1 offset0:4 offset1:5
	s_cmp_lg_u32 s55, 0
	s_cselect_b64 s[16:17], -1, 0
	s_cmp_lg_u64 s[10:11], 0
	s_cselect_b64 s[8:9], -1, 0
	s_or_b64 s[8:9], s[8:9], s[16:17]
	s_waitcnt lgkmcnt(3)
	v_lshrrev_b32_e32 v24, 8, v2
	v_lshrrev_b32_e32 v23, 16, v2
	v_lshrrev_b32_e32 v22, 24, v2
	v_lshrrev_b32_e32 v21, 8, v3
	v_lshrrev_b32_e32 v20, 16, v3
	v_lshrrev_b32_e32 v1, 24, v3
	s_waitcnt lgkmcnt(2)
	v_lshrrev_b32_e32 v49, 8, v8
	v_lshrrev_b32_e32 v47, 16, v8
	v_lshrrev_b32_e32 v46, 24, v8
	v_lshrrev_b32_e32 v44, 8, v9
	v_lshrrev_b32_e32 v42, 16, v9
	v_lshrrev_b32_e32 v41, 24, v9
	;; [unrolled: 7-line block ×4, first 2 shown]
	s_mov_b64 s[6:7], 0
	s_and_b64 vcc, exec, s[8:9]
	s_barrier
	s_cbranch_vccz .LBB213_77
; %bb.73:
	global_load_ubyte v10, v[10:11], off offset:-1
	s_and_b64 vcc, exec, s[22:23]
	ds_write_b8 v0, v1
	s_cbranch_vccz .LBB213_79
; %bb.74:
	s_waitcnt vmcnt(0)
	v_mov_b32_e32 v11, v10
	s_waitcnt lgkmcnt(0)
	s_barrier
	s_and_saveexec_b64 s[6:7], s[2:3]
	s_cbranch_execz .LBB213_76
; %bb.75:
	v_add_u32_e32 v11, -1, v0
	ds_read_u8 v11, v11
.LBB213_76:
	s_or_b64 exec, exec, s[6:7]
	v_cmp_ne_u16_sdwa s[6:7], v20, v1 src0_sel:BYTE_0 src1_sel:DWORD
	v_cndmask_b32_e64 v33, 0, 1, s[6:7]
	v_cmp_ne_u16_sdwa s[6:7], v21, v20 src0_sel:BYTE_0 src1_sel:BYTE_0
	v_cndmask_b32_e64 v35, 0, 1, s[6:7]
	v_cmp_ne_u16_sdwa s[6:7], v3, v21 src0_sel:BYTE_0 src1_sel:BYTE_0
	v_cndmask_b32_e64 v38, 0, 1, s[6:7]
	v_cmp_ne_u16_sdwa s[6:7], v22, v3 src0_sel:DWORD src1_sel:BYTE_0
	v_cndmask_b32_e64 v40, 0, 1, s[6:7]
	v_cmp_ne_u16_sdwa s[6:7], v23, v22 src0_sel:BYTE_0 src1_sel:DWORD
	v_cndmask_b32_e64 v43, 0, 1, s[6:7]
	v_cmp_ne_u16_sdwa s[6:7], v24, v23 src0_sel:BYTE_0 src1_sel:BYTE_0
	v_cndmask_b32_e64 v45, 0, 1, s[6:7]
	v_cmp_ne_u16_sdwa s[6:7], v2, v24 src0_sel:BYTE_0 src1_sel:BYTE_0
	v_cndmask_b32_e64 v48, 0, 1, s[6:7]
	v_cmp_ne_u16_sdwa s[6:7], v25, v2 src0_sel:DWORD src1_sel:BYTE_0
	v_cndmask_b32_e64 v50, 0, 1, s[6:7]
	;; [unrolled: 8-line block ×7, first 2 shown]
	v_cmp_ne_u16_sdwa s[6:7], v47, v46 src0_sel:BYTE_0 src1_sel:DWORD
	v_cndmask_b32_e64 v71, 0, 1, s[6:7]
	v_cmp_ne_u16_sdwa s[6:7], v49, v47 src0_sel:BYTE_0 src1_sel:BYTE_0
	v_cndmask_b32_e64 v72, 0, 1, s[6:7]
	v_cmp_ne_u16_sdwa s[6:7], v8, v49 src0_sel:BYTE_0 src1_sel:BYTE_0
	v_cndmask_b32_e64 v73, 0, 1, s[6:7]
	s_waitcnt lgkmcnt(0)
	v_cmp_ne_u16_sdwa s[8:9], v11, v8 src0_sel:BYTE_0 src1_sel:BYTE_0
	s_branch .LBB213_83
.LBB213_77:
                                        ; implicit-def: $sgpr8_sgpr9
                                        ; implicit-def: $vgpr73
                                        ; implicit-def: $vgpr72
                                        ; implicit-def: $vgpr71
                                        ; implicit-def: $vgpr70
                                        ; implicit-def: $vgpr69
                                        ; implicit-def: $vgpr68
                                        ; implicit-def: $vgpr67
                                        ; implicit-def: $vgpr66
                                        ; implicit-def: $vgpr65
                                        ; implicit-def: $vgpr64
                                        ; implicit-def: $vgpr63
                                        ; implicit-def: $vgpr62
                                        ; implicit-def: $vgpr61
                                        ; implicit-def: $vgpr60
                                        ; implicit-def: $vgpr59
                                        ; implicit-def: $vgpr58
                                        ; implicit-def: $vgpr57
                                        ; implicit-def: $vgpr56
                                        ; implicit-def: $vgpr55
                                        ; implicit-def: $vgpr54
                                        ; implicit-def: $vgpr53
                                        ; implicit-def: $vgpr52
                                        ; implicit-def: $vgpr51
                                        ; implicit-def: $vgpr50
                                        ; implicit-def: $vgpr48
                                        ; implicit-def: $vgpr45
                                        ; implicit-def: $vgpr43
                                        ; implicit-def: $vgpr40
                                        ; implicit-def: $vgpr38
                                        ; implicit-def: $vgpr35
                                        ; implicit-def: $vgpr33
	s_branch .LBB213_84
.LBB213_78:
                                        ; implicit-def: $sgpr12
	v_mov_b32_e32 v74, s12
	s_and_saveexec_b64 s[2:3], s[6:7]
	s_cbranch_execnz .LBB213_92
	s_branch .LBB213_93
.LBB213_79:
                                        ; implicit-def: $sgpr8_sgpr9
                                        ; implicit-def: $vgpr73
                                        ; implicit-def: $vgpr72
                                        ; implicit-def: $vgpr71
                                        ; implicit-def: $vgpr70
                                        ; implicit-def: $vgpr69
                                        ; implicit-def: $vgpr68
                                        ; implicit-def: $vgpr67
                                        ; implicit-def: $vgpr66
                                        ; implicit-def: $vgpr65
                                        ; implicit-def: $vgpr64
                                        ; implicit-def: $vgpr63
                                        ; implicit-def: $vgpr62
                                        ; implicit-def: $vgpr61
                                        ; implicit-def: $vgpr60
                                        ; implicit-def: $vgpr59
                                        ; implicit-def: $vgpr58
                                        ; implicit-def: $vgpr57
                                        ; implicit-def: $vgpr56
                                        ; implicit-def: $vgpr55
                                        ; implicit-def: $vgpr54
                                        ; implicit-def: $vgpr53
                                        ; implicit-def: $vgpr52
                                        ; implicit-def: $vgpr51
                                        ; implicit-def: $vgpr50
                                        ; implicit-def: $vgpr48
                                        ; implicit-def: $vgpr45
                                        ; implicit-def: $vgpr43
                                        ; implicit-def: $vgpr40
                                        ; implicit-def: $vgpr38
                                        ; implicit-def: $vgpr35
                                        ; implicit-def: $vgpr33
	s_cbranch_execz .LBB213_83
; %bb.80:
	s_waitcnt lgkmcnt(0)
	s_barrier
	s_and_saveexec_b64 s[6:7], s[2:3]
	s_cbranch_execz .LBB213_82
; %bb.81:
	s_waitcnt vmcnt(0)
	v_add_u32_e32 v10, -1, v0
	ds_read_u8 v10, v10
.LBB213_82:
	s_or_b64 exec, exec, s[6:7]
	v_or_b32_e32 v11, 31, v12
	v_cmp_gt_u32_e32 vcc, s56, v11
	v_cmp_ne_u16_sdwa s[6:7], v20, v1 src0_sel:BYTE_0 src1_sel:BYTE_0
	s_and_b64 s[6:7], vcc, s[6:7]
	v_or_b32_e32 v11, 30, v12
	v_cndmask_b32_e64 v33, 0, 1, s[6:7]
	v_cmp_gt_u32_e32 vcc, s56, v11
	v_cmp_ne_u16_sdwa s[6:7], v21, v20 src0_sel:BYTE_0 src1_sel:BYTE_0
	s_and_b64 s[6:7], vcc, s[6:7]
	v_or_b32_e32 v11, 29, v12
	v_cndmask_b32_e64 v35, 0, 1, s[6:7]
	;; [unrolled: 5-line block ×30, first 2 shown]
	v_cmp_gt_u32_e32 vcc, s56, v11
	v_cmp_ne_u16_sdwa s[6:7], v8, v49 src0_sel:BYTE_0 src1_sel:BYTE_0
	s_and_b64 s[6:7], vcc, s[6:7]
	v_cndmask_b32_e64 v73, 0, 1, s[6:7]
	v_cmp_gt_u32_e32 vcc, s56, v12
	s_waitcnt vmcnt(0) lgkmcnt(0)
	v_cmp_ne_u16_sdwa s[6:7], v10, v8 src0_sel:BYTE_0 src1_sel:BYTE_0
	s_and_b64 s[8:9], vcc, s[6:7]
.LBB213_83:
	s_mov_b64 s[6:7], -1
	s_cbranch_execnz .LBB213_78
.LBB213_84:
	s_and_b64 vcc, exec, s[22:23]
	v_cmp_ne_u16_sdwa s[50:51], v21, v20 src0_sel:BYTE_0 src1_sel:BYTE_0
	v_cmp_ne_u16_sdwa s[52:53], v3, v21 src0_sel:BYTE_0 src1_sel:BYTE_0
	;; [unrolled: 1-line block ×16, first 2 shown]
	ds_write_b8 v0, v1
	s_cbranch_vccz .LBB213_88
; %bb.85:
	v_cndmask_b32_e64 v35, 0, 1, s[50:51]
	v_cmp_ne_u16_sdwa s[50:51], v22, v3 src0_sel:DWORD src1_sel:BYTE_0
	v_cndmask_b32_e64 v45, 0, 1, s[46:47]
	v_cmp_ne_u16_sdwa s[46:47], v25, v2 src0_sel:DWORD src1_sel:BYTE_0
	;; [unrolled: 2-line block ×7, first 2 shown]
	v_cmp_ne_u16_sdwa s[58:59], v20, v1 src0_sel:BYTE_0 src1_sel:DWORD
	v_cndmask_b32_e64 v40, 0, 1, s[50:51]
	v_cmp_ne_u16_sdwa s[50:51], v23, v22 src0_sel:BYTE_0 src1_sel:DWORD
	v_cndmask_b32_e64 v50, 0, 1, s[46:47]
	;; [unrolled: 2-line block ×8, first 2 shown]
	v_cndmask_b32_e64 v38, 0, 1, s[52:53]
	v_cndmask_b32_e64 v43, 0, 1, s[50:51]
	;; [unrolled: 1-line block ×16, first 2 shown]
	s_waitcnt lgkmcnt(0)
	s_barrier
	s_waitcnt lgkmcnt(0)
                                        ; implicit-def: $sgpr8_sgpr9
	s_and_saveexec_b64 s[10:11], s[2:3]
	s_xor_b64 s[10:11], exec, s[10:11]
	s_cbranch_execz .LBB213_87
; %bb.86:
	s_waitcnt vmcnt(0)
	v_add_u32_e32 v10, -1, v0
	ds_read_u8 v10, v10
	s_or_b64 s[6:7], s[6:7], exec
	s_waitcnt lgkmcnt(0)
	v_cmp_ne_u16_sdwa s[8:9], v10, v8 src0_sel:DWORD src1_sel:BYTE_0
	s_and_b64 s[8:9], s[8:9], exec
.LBB213_87:
	s_or_b64 exec, exec, s[10:11]
	s_mov_b32 s12, 1
	s_branch .LBB213_91
.LBB213_88:
                                        ; implicit-def: $sgpr8_sgpr9
                                        ; implicit-def: $vgpr73
                                        ; implicit-def: $vgpr72
                                        ; implicit-def: $vgpr71
                                        ; implicit-def: $vgpr70
                                        ; implicit-def: $vgpr69
                                        ; implicit-def: $vgpr68
                                        ; implicit-def: $vgpr67
                                        ; implicit-def: $vgpr66
                                        ; implicit-def: $vgpr65
                                        ; implicit-def: $vgpr64
                                        ; implicit-def: $vgpr63
                                        ; implicit-def: $vgpr62
                                        ; implicit-def: $vgpr61
                                        ; implicit-def: $vgpr60
                                        ; implicit-def: $vgpr59
                                        ; implicit-def: $vgpr58
                                        ; implicit-def: $vgpr57
                                        ; implicit-def: $vgpr56
                                        ; implicit-def: $vgpr55
                                        ; implicit-def: $vgpr54
                                        ; implicit-def: $vgpr53
                                        ; implicit-def: $vgpr52
                                        ; implicit-def: $vgpr51
                                        ; implicit-def: $vgpr50
                                        ; implicit-def: $vgpr48
                                        ; implicit-def: $vgpr45
                                        ; implicit-def: $vgpr43
                                        ; implicit-def: $vgpr40
                                        ; implicit-def: $vgpr38
                                        ; implicit-def: $vgpr35
                                        ; implicit-def: $vgpr33
                                        ; implicit-def: $sgpr12
	s_cbranch_execz .LBB213_91
; %bb.89:
	s_waitcnt vmcnt(0)
	v_or_b32_e32 v10, 31, v12
	v_cmp_gt_u32_e32 vcc, s56, v10
	v_cmp_ne_u16_sdwa s[8:9], v20, v1 src0_sel:BYTE_0 src1_sel:BYTE_0
	s_and_b64 s[8:9], vcc, s[8:9]
	v_or_b32_e32 v10, 30, v12
	v_cndmask_b32_e64 v33, 0, 1, s[8:9]
	v_cmp_gt_u32_e32 vcc, s56, v10
	v_cmp_ne_u16_sdwa s[8:9], v21, v20 src0_sel:BYTE_0 src1_sel:BYTE_0
	s_and_b64 s[8:9], vcc, s[8:9]
	v_or_b32_e32 v10, 29, v12
	v_cndmask_b32_e64 v35, 0, 1, s[8:9]
	;; [unrolled: 5-line block ×30, first 2 shown]
	v_cmp_gt_u32_e32 vcc, s56, v10
	v_cmp_ne_u16_sdwa s[8:9], v8, v49 src0_sel:BYTE_0 src1_sel:BYTE_0
	s_and_b64 s[8:9], vcc, s[8:9]
	s_mov_b32 s12, 1
	v_cndmask_b32_e64 v73, 0, 1, s[8:9]
	s_waitcnt lgkmcnt(0)
	s_barrier
	s_waitcnt lgkmcnt(0)
                                        ; implicit-def: $sgpr8_sgpr9
	s_and_saveexec_b64 s[10:11], s[2:3]
	s_cbranch_execz .LBB213_317
; %bb.90:
	v_add_u32_e32 v10, -1, v0
	ds_read_u8 v10, v10
	v_cmp_gt_u32_e32 vcc, s56, v12
	s_or_b64 s[6:7], s[6:7], exec
	s_waitcnt lgkmcnt(0)
	v_and_b32_e32 v10, 0xff, v10
	v_cmp_ne_u16_sdwa s[2:3], v10, v8 src0_sel:DWORD src1_sel:BYTE_0
	s_and_b64 s[2:3], vcc, s[2:3]
	s_and_b64 s[8:9], s[2:3], exec
	s_or_b64 exec, exec, s[10:11]
.LBB213_91:
	v_mov_b32_e32 v74, s12
	s_and_saveexec_b64 s[2:3], s[6:7]
.LBB213_92:
	v_cndmask_b32_e64 v74, 0, 1, s[8:9]
.LBB213_93:
	s_or_b64 exec, exec, s[2:3]
	s_andn2_b64 vcc, exec, s[4:5]
	s_cbranch_vccnz .LBB213_95
; %bb.94:
	v_cmp_gt_u32_e32 vcc, s56, v12
	s_waitcnt vmcnt(0)
	v_or_b32_e32 v10, 1, v12
	v_cndmask_b32_e32 v74, 0, v74, vcc
	v_cmp_gt_u32_e32 vcc, s56, v10
	v_or_b32_e32 v10, 2, v12
	v_cndmask_b32_e32 v73, 0, v73, vcc
	v_cmp_gt_u32_e32 vcc, s56, v10
	;; [unrolled: 3-line block ×31, first 2 shown]
	v_cndmask_b32_e32 v33, 0, v33, vcc
.LBB213_95:
	s_waitcnt vmcnt(0)
	v_mbcnt_lo_u32_b32 v10, -1, 0
	v_mbcnt_hi_u32_b32 v85, -1, v10
	v_and_b32_e32 v10, 15, v85
	v_cmp_eq_u32_e64 s[12:13], 0, v10
	v_cmp_lt_u32_e64 s[10:11], 1, v10
	v_cmp_lt_u32_e64 s[8:9], 3, v10
	;; [unrolled: 1-line block ×3, first 2 shown]
	v_and_b32_e32 v10, 16, v85
	v_cmp_eq_u32_e64 s[4:5], 0, v10
	v_or_b32_e32 v10, 63, v0
	v_and_b32_e32 v113, 0xff, v40
	v_and_b32_e32 v114, 0xff, v38
	v_cmp_eq_u32_e64 s[2:3], v10, v0
	v_add_u32_sdwa v10, v35, v33 dst_sel:DWORD dst_unused:UNUSED_PAD src0_sel:BYTE_0 src1_sel:BYTE_0
	v_and_b32_e32 v111, 0xff, v45
	v_and_b32_e32 v112, 0xff, v43
	v_add3_u32 v10, v10, v114, v113
	v_and_b32_e32 v109, 0xff, v50
	v_and_b32_e32 v110, 0xff, v48
	v_add3_u32 v10, v10, v112, v111
	;; [unrolled: 3-line block ×12, first 2 shown]
	v_add3_u32 v10, v10, v76, v75
	v_and_b32_e32 v86, 0xff, v72
	v_and_b32_e32 v87, 0xff, v71
	v_add3_u32 v10, v10, v87, v86
	v_and_b32_e32 v88, 0xff, v74
	v_and_b32_e32 v89, 0xff, v73
	v_add3_u32 v91, v10, v89, v88
	v_cmp_lt_u32_e64 s[14:15], 31, v85
	s_and_b64 vcc, exec, s[16:17]
	v_lshrrev_b32_e32 v90, 6, v0
	s_waitcnt lgkmcnt(0)
	s_barrier
	s_cbranch_vccz .LBB213_126
; %bb.96:
	v_mov_b32_dpp v10, v91 row_shr:1 row_mask:0xf bank_mask:0xf
	v_cndmask_b32_e64 v10, v10, 0, s[12:13]
	v_add_u32_e32 v10, v10, v91
	s_nop 1
	v_mov_b32_dpp v11, v10 row_shr:2 row_mask:0xf bank_mask:0xf
	v_cndmask_b32_e64 v11, 0, v11, s[10:11]
	v_add_u32_e32 v10, v10, v11
	s_nop 1
	;; [unrolled: 4-line block ×4, first 2 shown]
	v_mov_b32_dpp v11, v10 row_bcast:15 row_mask:0xf bank_mask:0xf
	v_cndmask_b32_e64 v11, v11, 0, s[4:5]
	v_add_u32_e32 v10, v10, v11
	s_nop 1
	v_mov_b32_dpp v11, v10 row_bcast:31 row_mask:0xf bank_mask:0xf
	v_cndmask_b32_e64 v11, 0, v11, s[14:15]
	v_add_u32_e32 v10, v10, v11
	s_and_saveexec_b64 s[16:17], s[2:3]
	s_cbranch_execz .LBB213_98
; %bb.97:
	v_lshlrev_b32_e32 v11, 2, v90
	ds_write_b32 v11, v10
.LBB213_98:
	s_or_b64 exec, exec, s[16:17]
	v_cmp_gt_u32_e32 vcc, 2, v0
	s_waitcnt lgkmcnt(0)
	s_barrier
	s_and_saveexec_b64 s[16:17], vcc
	s_cbranch_execz .LBB213_100
; %bb.99:
	v_lshlrev_b32_e32 v11, 2, v0
	ds_read_b32 v12, v11
	v_bfe_i32 v13, v85, 0, 1
	s_waitcnt lgkmcnt(0)
	v_mov_b32_dpp v14, v12 row_shr:1 row_mask:0xf bank_mask:0xf
	v_and_b32_e32 v13, v13, v14
	v_add_u32_e32 v12, v13, v12
	ds_write_b32 v11, v12
.LBB213_100:
	s_or_b64 exec, exec, s[16:17]
	v_cmp_gt_u32_e32 vcc, 64, v0
	v_cmp_lt_u32_e64 s[16:17], 63, v0
	s_waitcnt lgkmcnt(0)
	s_barrier
	s_waitcnt lgkmcnt(0)
                                        ; implicit-def: $vgpr92
	s_and_saveexec_b64 s[28:29], s[16:17]
	s_cbranch_execz .LBB213_102
; %bb.101:
	v_lshl_add_u32 v11, v90, 2, -4
	ds_read_b32 v92, v11
	s_waitcnt lgkmcnt(0)
	v_add_u32_e32 v10, v92, v10
.LBB213_102:
	s_or_b64 exec, exec, s[28:29]
	v_add_u32_e32 v11, -1, v85
	v_and_b32_e32 v12, 64, v85
	v_cmp_lt_i32_e64 s[16:17], v11, v12
	v_cndmask_b32_e64 v11, v11, v85, s[16:17]
	v_lshlrev_b32_e32 v11, 2, v11
	ds_bpermute_b32 v93, v11, v10
	v_cmp_eq_u32_e64 s[16:17], 0, v85
	s_and_saveexec_b64 s[28:29], vcc
	s_cbranch_execz .LBB213_125
; %bb.103:
	v_mov_b32_e32 v19, 0
	ds_read_b32 v10, v19 offset:4
	s_and_saveexec_b64 s[30:31], s[16:17]
	s_cbranch_execz .LBB213_105
; %bb.104:
	s_add_i32 s34, s55, 64
	s_mov_b32 s35, 0
	s_lshl_b64 s[34:35], s[34:35], 3
	s_add_u32 s34, s26, s34
	v_mov_b32_e32 v11, 1
	s_addc_u32 s35, s27, s35
	s_waitcnt lgkmcnt(0)
	global_store_dwordx2 v19, v[10:11], s[34:35]
.LBB213_105:
	s_or_b64 exec, exec, s[30:31]
	v_xad_u32 v12, v85, -1, s55
	v_add_u32_e32 v18, 64, v12
	v_lshlrev_b64 v[14:15], 3, v[18:19]
	v_mov_b32_e32 v11, s27
	v_add_co_u32_e32 v14, vcc, s26, v14
	v_addc_co_u32_e32 v15, vcc, v11, v15, vcc
	global_load_dwordx2 v[16:17], v[14:15], off glc
	s_waitcnt vmcnt(0)
	v_cmp_eq_u16_sdwa s[34:35], v17, v19 src0_sel:BYTE_0 src1_sel:DWORD
	s_and_saveexec_b64 s[30:31], s[34:35]
	s_cbranch_execz .LBB213_111
; %bb.106:
	s_mov_b32 s36, 1
	s_mov_b64 s[34:35], 0
	v_mov_b32_e32 v11, 0
.LBB213_107:                            ; =>This Loop Header: Depth=1
                                        ;     Child Loop BB213_108 Depth 2
	s_max_u32 s37, s36, 1
.LBB213_108:                            ;   Parent Loop BB213_107 Depth=1
                                        ; =>  This Inner Loop Header: Depth=2
	s_add_i32 s37, s37, -1
	s_cmp_eq_u32 s37, 0
	s_sleep 1
	s_cbranch_scc0 .LBB213_108
; %bb.109:                              ;   in Loop: Header=BB213_107 Depth=1
	global_load_dwordx2 v[16:17], v[14:15], off glc
	s_cmp_lt_u32 s36, 32
	s_cselect_b64 s[38:39], -1, 0
	s_cmp_lg_u64 s[38:39], 0
	s_addc_u32 s36, s36, 0
	s_waitcnt vmcnt(0)
	v_cmp_ne_u16_sdwa s[38:39], v17, v11 src0_sel:BYTE_0 src1_sel:DWORD
	s_or_b64 s[34:35], s[38:39], s[34:35]
	s_andn2_b64 exec, exec, s[34:35]
	s_cbranch_execnz .LBB213_107
; %bb.110:
	s_or_b64 exec, exec, s[34:35]
.LBB213_111:
	s_or_b64 exec, exec, s[30:31]
	v_and_b32_e32 v95, 63, v85
	v_mov_b32_e32 v94, 2
	v_cmp_ne_u32_e32 vcc, 63, v95
	v_cmp_eq_u16_sdwa s[30:31], v17, v94 src0_sel:BYTE_0 src1_sel:DWORD
	v_lshlrev_b64 v[14:15], v85, -1
	v_addc_co_u32_e32 v18, vcc, 0, v85, vcc
	v_and_b32_e32 v11, s31, v15
	v_lshlrev_b32_e32 v96, 2, v18
	v_or_b32_e32 v11, 0x80000000, v11
	ds_bpermute_b32 v18, v96, v16
	v_and_b32_e32 v13, s30, v14
	v_ffbl_b32_e32 v11, v11
	v_add_u32_e32 v11, 32, v11
	v_ffbl_b32_e32 v13, v13
	v_min_u32_e32 v11, v13, v11
	v_cmp_lt_u32_e32 vcc, v95, v11
	s_waitcnt lgkmcnt(0)
	v_cndmask_b32_e32 v13, 0, v18, vcc
	v_cmp_gt_u32_e32 vcc, 62, v95
	v_add_u32_e32 v13, v13, v16
	v_cndmask_b32_e64 v16, 0, 1, vcc
	v_lshlrev_b32_e32 v16, 1, v16
	v_add_lshl_u32 v97, v16, v85, 2
	ds_bpermute_b32 v16, v97, v13
	v_add_u32_e32 v98, 2, v95
	v_cmp_le_u32_e32 vcc, v98, v11
	v_add_u32_e32 v116, 4, v95
	v_add_u32_e32 v118, 8, v95
	s_waitcnt lgkmcnt(0)
	v_cndmask_b32_e32 v16, 0, v16, vcc
	v_cmp_gt_u32_e32 vcc, 60, v95
	v_add_u32_e32 v13, v13, v16
	v_cndmask_b32_e64 v16, 0, 1, vcc
	v_lshlrev_b32_e32 v16, 2, v16
	v_add_lshl_u32 v115, v16, v85, 2
	ds_bpermute_b32 v16, v115, v13
	v_cmp_le_u32_e32 vcc, v116, v11
	v_add_u32_e32 v120, 16, v95
	v_add_u32_e32 v122, 32, v95
	s_waitcnt lgkmcnt(0)
	v_cndmask_b32_e32 v16, 0, v16, vcc
	v_cmp_gt_u32_e32 vcc, 56, v95
	v_add_u32_e32 v13, v13, v16
	v_cndmask_b32_e64 v16, 0, 1, vcc
	v_lshlrev_b32_e32 v16, 3, v16
	v_add_lshl_u32 v117, v16, v85, 2
	ds_bpermute_b32 v16, v117, v13
	v_cmp_le_u32_e32 vcc, v118, v11
	s_waitcnt lgkmcnt(0)
	v_cndmask_b32_e32 v16, 0, v16, vcc
	v_cmp_gt_u32_e32 vcc, 48, v95
	v_add_u32_e32 v13, v13, v16
	v_cndmask_b32_e64 v16, 0, 1, vcc
	v_lshlrev_b32_e32 v16, 4, v16
	v_add_lshl_u32 v119, v16, v85, 2
	ds_bpermute_b32 v16, v119, v13
	v_cmp_le_u32_e32 vcc, v120, v11
	;; [unrolled: 9-line block ×3, first 2 shown]
	s_waitcnt lgkmcnt(0)
	v_cndmask_b32_e32 v11, 0, v16, vcc
	v_add_u32_e32 v16, v13, v11
	v_mov_b32_e32 v13, 0
	s_branch .LBB213_113
.LBB213_112:                            ;   in Loop: Header=BB213_113 Depth=1
	s_or_b64 exec, exec, s[30:31]
	v_cmp_eq_u16_sdwa s[30:31], v17, v94 src0_sel:BYTE_0 src1_sel:DWORD
	v_and_b32_e32 v18, s31, v15
	v_or_b32_e32 v18, 0x80000000, v18
	ds_bpermute_b32 v123, v96, v16
	v_and_b32_e32 v19, s30, v14
	v_ffbl_b32_e32 v18, v18
	v_add_u32_e32 v18, 32, v18
	v_ffbl_b32_e32 v19, v19
	v_min_u32_e32 v18, v19, v18
	v_cmp_lt_u32_e32 vcc, v95, v18
	s_waitcnt lgkmcnt(0)
	v_cndmask_b32_e32 v19, 0, v123, vcc
	v_add_u32_e32 v16, v19, v16
	ds_bpermute_b32 v19, v97, v16
	v_cmp_le_u32_e32 vcc, v98, v18
	v_subrev_u32_e32 v12, 64, v12
	s_waitcnt lgkmcnt(0)
	v_cndmask_b32_e32 v19, 0, v19, vcc
	v_add_u32_e32 v16, v16, v19
	ds_bpermute_b32 v19, v115, v16
	v_cmp_le_u32_e32 vcc, v116, v18
	s_waitcnt lgkmcnt(0)
	v_cndmask_b32_e32 v19, 0, v19, vcc
	v_add_u32_e32 v16, v16, v19
	ds_bpermute_b32 v19, v117, v16
	v_cmp_le_u32_e32 vcc, v118, v18
	;; [unrolled: 5-line block ×4, first 2 shown]
	s_waitcnt lgkmcnt(0)
	v_cndmask_b32_e32 v18, 0, v19, vcc
	v_add3_u32 v16, v18, v11, v16
.LBB213_113:                            ; =>This Loop Header: Depth=1
                                        ;     Child Loop BB213_116 Depth 2
                                        ;       Child Loop BB213_117 Depth 3
	v_cmp_ne_u16_sdwa s[30:31], v17, v94 src0_sel:BYTE_0 src1_sel:DWORD
	v_cndmask_b32_e64 v11, 0, 1, s[30:31]
	;;#ASMSTART
	;;#ASMEND
	v_cmp_ne_u32_e32 vcc, 0, v11
	s_cmp_lg_u64 vcc, exec
	v_mov_b32_e32 v11, v16
	s_cbranch_scc1 .LBB213_120
; %bb.114:                              ;   in Loop: Header=BB213_113 Depth=1
	v_lshlrev_b64 v[16:17], 3, v[12:13]
	v_mov_b32_e32 v19, s27
	v_add_co_u32_e32 v18, vcc, s26, v16
	v_addc_co_u32_e32 v19, vcc, v19, v17, vcc
	global_load_dwordx2 v[16:17], v[18:19], off glc
	s_waitcnt vmcnt(0)
	v_cmp_eq_u16_sdwa s[34:35], v17, v13 src0_sel:BYTE_0 src1_sel:DWORD
	s_and_saveexec_b64 s[30:31], s[34:35]
	s_cbranch_execz .LBB213_112
; %bb.115:                              ;   in Loop: Header=BB213_113 Depth=1
	s_mov_b32 s36, 1
	s_mov_b64 s[34:35], 0
.LBB213_116:                            ;   Parent Loop BB213_113 Depth=1
                                        ; =>  This Loop Header: Depth=2
                                        ;       Child Loop BB213_117 Depth 3
	s_max_u32 s37, s36, 1
.LBB213_117:                            ;   Parent Loop BB213_113 Depth=1
                                        ;     Parent Loop BB213_116 Depth=2
                                        ; =>    This Inner Loop Header: Depth=3
	s_add_i32 s37, s37, -1
	s_cmp_eq_u32 s37, 0
	s_sleep 1
	s_cbranch_scc0 .LBB213_117
; %bb.118:                              ;   in Loop: Header=BB213_116 Depth=2
	global_load_dwordx2 v[16:17], v[18:19], off glc
	s_cmp_lt_u32 s36, 32
	s_cselect_b64 s[38:39], -1, 0
	s_cmp_lg_u64 s[38:39], 0
	s_addc_u32 s36, s36, 0
	s_waitcnt vmcnt(0)
	v_cmp_ne_u16_sdwa s[38:39], v17, v13 src0_sel:BYTE_0 src1_sel:DWORD
	s_or_b64 s[34:35], s[38:39], s[34:35]
	s_andn2_b64 exec, exec, s[34:35]
	s_cbranch_execnz .LBB213_116
; %bb.119:                              ;   in Loop: Header=BB213_113 Depth=1
	s_or_b64 exec, exec, s[34:35]
	s_branch .LBB213_112
.LBB213_120:                            ;   in Loop: Header=BB213_113 Depth=1
                                        ; implicit-def: $vgpr16
                                        ; implicit-def: $vgpr17
	s_cbranch_execz .LBB213_113
; %bb.121:
	s_and_saveexec_b64 s[30:31], s[16:17]
	s_cbranch_execz .LBB213_123
; %bb.122:
	s_add_i32 s34, s55, 64
	s_mov_b32 s35, 0
	s_lshl_b64 s[34:35], s[34:35], 3
	s_add_u32 s34, s26, s34
	v_add_u32_e32 v12, v11, v10
	v_mov_b32_e32 v13, 2
	s_addc_u32 s35, s27, s35
	v_mov_b32_e32 v14, 0
	global_store_dwordx2 v14, v[12:13], s[34:35]
	ds_write_b64 v14, v[10:11] offset:4224
.LBB213_123:
	s_or_b64 exec, exec, s[30:31]
	s_and_b64 exec, exec, s[0:1]
	s_cbranch_execz .LBB213_125
; %bb.124:
	v_mov_b32_e32 v10, 0
	ds_write_b32 v10, v11 offset:4
.LBB213_125:
	s_or_b64 exec, exec, s[28:29]
	v_mov_b32_e32 v10, 0
	s_waitcnt lgkmcnt(0)
	s_barrier
	ds_read_b32 v11, v10 offset:4
	s_waitcnt lgkmcnt(0)
	s_barrier
	ds_read_b64 v[16:17], v10 offset:4224
	v_cndmask_b32_e64 v10, v93, v92, s[16:17]
	v_cndmask_b32_e64 v10, v10, 0, s[0:1]
	v_add_u32_e32 v95, v11, v10
	s_branch .LBB213_136
.LBB213_126:
                                        ; implicit-def: $vgpr17
                                        ; implicit-def: $vgpr95
	s_cbranch_execz .LBB213_136
; %bb.127:
	v_mov_b32_dpp v10, v91 row_shr:1 row_mask:0xf bank_mask:0xf
	v_cndmask_b32_e64 v10, v10, 0, s[12:13]
	v_add_u32_e32 v10, v10, v91
	s_nop 1
	v_mov_b32_dpp v11, v10 row_shr:2 row_mask:0xf bank_mask:0xf
	v_cndmask_b32_e64 v11, 0, v11, s[10:11]
	v_add_u32_e32 v10, v10, v11
	s_nop 1
	;; [unrolled: 4-line block ×4, first 2 shown]
	v_mov_b32_dpp v11, v10 row_bcast:15 row_mask:0xf bank_mask:0xf
	v_cndmask_b32_e64 v11, v11, 0, s[4:5]
	v_add_u32_e32 v10, v10, v11
	s_nop 1
	v_mov_b32_dpp v11, v10 row_bcast:31 row_mask:0xf bank_mask:0xf
	v_cndmask_b32_e64 v11, 0, v11, s[14:15]
	v_add_u32_e32 v10, v10, v11
	s_and_saveexec_b64 s[4:5], s[2:3]
	s_cbranch_execz .LBB213_129
; %bb.128:
	v_lshlrev_b32_e32 v11, 2, v90
	ds_write_b32 v11, v10
.LBB213_129:
	s_or_b64 exec, exec, s[4:5]
	v_cmp_gt_u32_e32 vcc, 2, v0
	s_waitcnt lgkmcnt(0)
	s_barrier
	s_and_saveexec_b64 s[2:3], vcc
	s_cbranch_execz .LBB213_131
; %bb.130:
	v_lshlrev_b32_e32 v11, 2, v0
	ds_read_b32 v12, v11
	v_bfe_i32 v13, v85, 0, 1
	s_waitcnt lgkmcnt(0)
	v_mov_b32_dpp v14, v12 row_shr:1 row_mask:0xf bank_mask:0xf
	v_and_b32_e32 v13, v13, v14
	v_add_u32_e32 v12, v13, v12
	ds_write_b32 v11, v12
.LBB213_131:
	s_or_b64 exec, exec, s[2:3]
	v_cmp_lt_u32_e32 vcc, 63, v0
	v_mov_b32_e32 v12, 0
	v_mov_b32_e32 v11, 0
	s_waitcnt lgkmcnt(0)
	s_barrier
	s_and_saveexec_b64 s[2:3], vcc
	s_cbranch_execz .LBB213_133
; %bb.132:
	v_lshl_add_u32 v11, v90, 2, -4
	ds_read_b32 v11, v11
.LBB213_133:
	s_or_b64 exec, exec, s[2:3]
	v_add_u32_e32 v13, -1, v85
	v_and_b32_e32 v14, 64, v85
	v_cmp_lt_i32_e32 vcc, v13, v14
	v_cndmask_b32_e32 v13, v13, v85, vcc
	s_waitcnt lgkmcnt(0)
	v_add_u32_e32 v10, v11, v10
	v_lshlrev_b32_e32 v13, 2, v13
	ds_bpermute_b32 v10, v13, v10
	ds_read_b32 v16, v12 offset:4
	s_and_saveexec_b64 s[2:3], s[0:1]
	s_cbranch_execz .LBB213_135
; %bb.134:
	v_mov_b32_e32 v12, 0
	v_mov_b32_e32 v17, 2
	s_waitcnt lgkmcnt(0)
	global_store_dwordx2 v12, v[16:17], s[26:27] offset:512
.LBB213_135:
	s_or_b64 exec, exec, s[2:3]
	v_cmp_eq_u32_e32 vcc, 0, v85
	s_waitcnt lgkmcnt(1)
	v_cndmask_b32_e32 v10, v10, v11, vcc
	v_mov_b32_e32 v17, 0
	v_cndmask_b32_e64 v95, v10, 0, s[0:1]
	s_waitcnt lgkmcnt(0)
	s_barrier
.LBB213_136:
	v_add_u32_e32 v98, v95, v88
	v_add_u32_e32 v97, v98, v89
	;; [unrolled: 1-line block ×29, first 2 shown]
	s_movk_i32 s2, 0x81
	v_add_u32_e32 v11, v12, v114
	s_waitcnt lgkmcnt(0)
	v_cmp_gt_u32_e32 vcc, s2, v16
	v_add_u32_sdwa v10, v11, v35 dst_sel:DWORD dst_unused:UNUSED_PAD src0_sel:DWORD src1_sel:BYTE_0
	s_mov_b64 s[2:3], -1
	s_cbranch_vccnz .LBB213_140
; %bb.137:
	s_and_b64 vcc, exec, s[2:3]
	s_cbranch_vccnz .LBB213_237
.LBB213_138:
	s_and_b64 s[0:1], s[0:1], s[18:19]
	s_and_saveexec_b64 s[2:3], s[0:1]
	s_cbranch_execnz .LBB213_316
.LBB213_139:
	s_endpgm
.LBB213_140:
	v_add_u32_e32 v99, v17, v16
	v_cmp_lt_u32_e32 vcc, v95, v99
	s_or_b64 s[4:5], s[22:23], vcc
	s_and_saveexec_b64 s[2:3], s[4:5]
	s_cbranch_execz .LBB213_143
; %bb.141:
	v_and_b32_e32 v100, 1, v74
	v_cmp_eq_u32_e32 vcc, 1, v100
	s_and_b64 exec, exec, vcc
	s_cbranch_execz .LBB213_143
; %bb.142:
	s_add_u32 s4, s24, s33
	s_addc_u32 s5, s25, s54
	global_store_byte v95, v8, s[4:5]
.LBB213_143:
	s_or_b64 exec, exec, s[2:3]
	v_cmp_lt_u32_e32 vcc, v98, v99
	s_or_b64 s[4:5], s[22:23], vcc
	s_and_saveexec_b64 s[2:3], s[4:5]
	s_cbranch_execz .LBB213_146
; %bb.144:
	v_and_b32_e32 v100, 1, v73
	v_cmp_eq_u32_e32 vcc, 1, v100
	s_and_b64 exec, exec, vcc
	s_cbranch_execz .LBB213_146
; %bb.145:
	s_add_u32 s4, s24, s33
	s_addc_u32 s5, s25, s54
	global_store_byte v98, v49, s[4:5]
.LBB213_146:
	s_or_b64 exec, exec, s[2:3]
	;; [unrolled: 15-line block ×32, first 2 shown]
	s_branch .LBB213_138
.LBB213_237:
	v_and_b32_e32 v74, 1, v74
	v_cmp_eq_u32_e32 vcc, 1, v74
	s_and_saveexec_b64 s[2:3], vcc
	s_cbranch_execz .LBB213_239
; %bb.238:
	v_sub_u32_e32 v74, v95, v17
	ds_write_b8 v74, v8
.LBB213_239:
	s_or_b64 exec, exec, s[2:3]
	v_and_b32_e32 v8, 1, v73
	v_cmp_eq_u32_e32 vcc, 1, v8
	s_and_saveexec_b64 s[2:3], vcc
	s_cbranch_execz .LBB213_241
; %bb.240:
	v_sub_u32_e32 v8, v98, v17
	ds_write_b8 v8, v49
.LBB213_241:
	s_or_b64 exec, exec, s[2:3]
	;; [unrolled: 9-line block ×32, first 2 shown]
	v_cmp_lt_u32_e32 vcc, v0, v16
	s_waitcnt lgkmcnt(0)
	s_barrier
	s_and_saveexec_b64 s[4:5], vcc
	s_cbranch_execz .LBB213_315
; %bb.302:
	v_mov_b32_e32 v1, s25
	v_add_co_u32_e32 v2, vcc, s24, v17
	v_addc_co_u32_e32 v1, vcc, 0, v1, vcc
	v_mov_b32_e32 v3, s54
	v_add_co_u32_e32 v18, vcc, s33, v2
	v_addc_co_u32_e32 v19, vcc, v1, v3, vcc
	v_xad_u32 v1, v0, -1, v16
	s_movk_i32 s2, 0xb80
	v_cmp_gt_u32_e32 vcc, s2, v1
	s_movk_i32 s2, 0xb7f
	v_cmp_lt_u32_e64 s[2:3], s2, v1
	s_and_saveexec_b64 s[6:7], s[2:3]
	s_cbranch_execz .LBB213_312
; %bb.303:
	v_sub_u32_e32 v2, v0, v16
	v_or_b32_e32 v2, 0x7f, v2
	v_cmp_ge_u32_e64 s[2:3], v2, v0
	s_mov_b64 s[10:11], -1
	s_and_saveexec_b64 s[8:9], s[2:3]
	s_cbranch_execz .LBB213_311
; %bb.304:
	v_lshrrev_b32_e32 v20, 7, v1
	v_or_b32_e32 v7, 0x380, v0
	v_or_b32_e32 v6, 0x300, v0
	;; [unrolled: 1-line block ×7, first 2 shown]
	v_add_u32_e32 v21, -7, v20
	v_pk_mov_b32 v[14:15], v[6:7], v[6:7] op_sel:[0,1]
	v_cmp_lt_u32_e64 s[2:3], 7, v21
	v_mov_b32_e32 v22, 0
	v_pk_mov_b32 v[12:13], v[4:5], v[4:5] op_sel:[0,1]
	v_pk_mov_b32 v[10:11], v[2:3], v[2:3] op_sel:[0,1]
	;; [unrolled: 1-line block ×3, first 2 shown]
	s_and_saveexec_b64 s[10:11], s[2:3]
	s_cbranch_execz .LBB213_308
; %bb.305:
	v_lshrrev_b32_e32 v8, 3, v21
	v_add_u32_e32 v8, 1, v8
	v_and_b32_e32 v22, 0x3ffffffe, v8
	v_pk_mov_b32 v[14:15], v[6:7], v[6:7] op_sel:[0,1]
	s_mov_b32 s14, 0
	s_mov_b64 s[12:13], 0
	v_mov_b32_e32 v23, v0
	v_pk_mov_b32 v[12:13], v[4:5], v[4:5] op_sel:[0,1]
	v_pk_mov_b32 v[10:11], v[2:3], v[2:3] op_sel:[0,1]
	;; [unrolled: 1-line block ×3, first 2 shown]
.LBB213_306:                            ; =>This Inner Loop Header: Depth=1
	v_add_co_u32_e64 v2, s[2:3], v18, v8
	v_addc_co_u32_e64 v3, s[2:3], 0, v19, s[2:3]
	v_add_co_u32_e64 v4, s[2:3], v18, v9
	v_addc_co_u32_e64 v5, s[2:3], 0, v19, s[2:3]
	v_add_co_u32_e64 v6, s[2:3], v18, v10
	v_addc_co_u32_e64 v7, s[2:3], 0, v19, s[2:3]
	v_add_co_u32_e64 v24, s[2:3], v18, v11
	v_addc_co_u32_e64 v25, s[2:3], 0, v19, s[2:3]
	v_add_co_u32_e64 v26, s[2:3], v18, v12
	v_addc_co_u32_e64 v27, s[2:3], 0, v19, s[2:3]
	v_add_co_u32_e64 v28, s[2:3], v18, v13
	v_addc_co_u32_e64 v29, s[2:3], 0, v19, s[2:3]
	v_add_co_u32_e64 v30, s[2:3], v18, v14
	v_addc_co_u32_e64 v31, s[2:3], 0, v19, s[2:3]
	v_add_co_u32_e64 v32, s[2:3], v18, v15
	v_addc_co_u32_e64 v33, s[2:3], 0, v19, s[2:3]
	v_add_u32_e32 v34, 0x400, v8
	v_add_co_u32_e64 v34, s[2:3], v18, v34
	v_add_u32_e32 v36, 0x400, v9
	v_addc_co_u32_e64 v35, s[2:3], 0, v19, s[2:3]
	v_add_co_u32_e64 v36, s[2:3], v18, v36
	v_add_u32_e32 v38, 0x400, v10
	v_addc_co_u32_e64 v37, s[2:3], 0, v19, s[2:3]
	;; [unrolled: 3-line block ×6, first 2 shown]
	v_add_co_u32_e64 v46, s[2:3], v18, v46
	ds_read_u8 v50, v23
	ds_read_u8 v51, v23 offset:128
	ds_read_u8 v52, v23 offset:256
	;; [unrolled: 1-line block ×7, first 2 shown]
	v_add_u32_e32 v1, 0x400, v15
	ds_read_u8 v58, v23 offset:1024
	ds_read_u8 v59, v23 offset:1152
	;; [unrolled: 1-line block ×8, first 2 shown]
	v_addc_co_u32_e64 v47, s[2:3], 0, v19, s[2:3]
	v_add_co_u32_e64 v48, s[2:3], v18, v1
	v_add_u32_e32 v22, -2, v22
	v_addc_co_u32_e64 v49, s[2:3], 0, v19, s[2:3]
	s_add_i32 s14, s14, 16
	v_cmp_eq_u32_e64 s[2:3], 0, v22
	v_add_u32_e32 v15, 0x800, v15
	v_add_u32_e32 v14, 0x800, v14
	;; [unrolled: 1-line block ×9, first 2 shown]
	v_mov_b32_e32 v1, s14
	s_or_b64 s[12:13], s[2:3], s[12:13]
	s_waitcnt lgkmcnt(14)
	global_store_byte v[2:3], v50, off
	global_store_byte v[4:5], v51, off
	s_waitcnt lgkmcnt(13)
	global_store_byte v[6:7], v52, off
	s_waitcnt lgkmcnt(12)
	;; [unrolled: 2-line block ×14, first 2 shown]
	global_store_byte v[48:49], v65, off
	s_andn2_b64 exec, exec, s[12:13]
	s_cbranch_execnz .LBB213_306
; %bb.307:
	s_or_b64 exec, exec, s[12:13]
	v_lshlrev_b32_e32 v22, 7, v1
.LBB213_308:
	s_or_b64 exec, exec, s[10:11]
	v_and_b32_e32 v1, 8, v21
	v_cmp_eq_u32_e64 s[2:3], 0, v1
	s_and_saveexec_b64 s[10:11], s[2:3]
	s_cbranch_execz .LBB213_310
; %bb.309:
	v_add_co_u32_e64 v2, s[2:3], v18, v8
	v_addc_co_u32_e64 v3, s[2:3], 0, v19, s[2:3]
	v_add_co_u32_e64 v4, s[2:3], v18, v9
	v_addc_co_u32_e64 v5, s[2:3], 0, v19, s[2:3]
	;; [unrolled: 2-line block ×4, first 2 shown]
	v_add_co_u32_e64 v10, s[2:3], v18, v12
	v_or_b32_e32 v1, v0, v22
	v_addc_co_u32_e64 v11, s[2:3], 0, v19, s[2:3]
	ds_read_u8 v21, v1
	ds_read_u8 v24, v1 offset:128
	ds_read_u8 v25, v1 offset:256
	;; [unrolled: 1-line block ×7, first 2 shown]
	v_add_co_u32_e64 v12, s[2:3], v18, v13
	v_addc_co_u32_e64 v13, s[2:3], 0, v19, s[2:3]
	v_add_co_u32_e64 v22, s[2:3], v18, v14
	v_addc_co_u32_e64 v23, s[2:3], 0, v19, s[2:3]
	;; [unrolled: 2-line block ×3, first 2 shown]
	s_waitcnt lgkmcnt(7)
	global_store_byte v[2:3], v21, off
	s_waitcnt lgkmcnt(6)
	global_store_byte v[4:5], v24, off
	;; [unrolled: 2-line block ×8, first 2 shown]
.LBB213_310:
	s_or_b64 exec, exec, s[10:11]
	v_add_u32_e32 v1, 1, v20
	v_and_b32_e32 v2, 0x3fffff8, v1
	v_cmp_ne_u32_e64 s[2:3], v1, v2
	v_lshl_or_b32 v0, v2, 7, v0
	s_orn2_b64 s[10:11], s[2:3], exec
.LBB213_311:
	s_or_b64 exec, exec, s[8:9]
	s_andn2_b64 s[2:3], vcc, exec
	s_and_b64 s[8:9], s[10:11], exec
	s_or_b64 vcc, s[2:3], s[8:9]
.LBB213_312:
	s_or_b64 exec, exec, s[6:7]
	s_and_b64 exec, exec, vcc
	s_cbranch_execz .LBB213_315
; %bb.313:
	s_mov_b64 s[2:3], 0
.LBB213_314:                            ; =>This Inner Loop Header: Depth=1
	ds_read_u8 v1, v0
	v_readfirstlane_b32 s6, v18
	v_readfirstlane_b32 s7, v19
	s_waitcnt lgkmcnt(0)
	s_nop 3
	global_store_byte v0, v1, s[6:7]
	v_add_u32_e32 v0, 0x80, v0
	v_cmp_ge_u32_e32 vcc, v0, v16
	s_or_b64 s[2:3], vcc, s[2:3]
	s_andn2_b64 exec, exec, s[2:3]
	s_cbranch_execnz .LBB213_314
.LBB213_315:
	s_or_b64 exec, exec, s[4:5]
	s_and_b64 s[0:1], s[0:1], s[18:19]
	s_and_saveexec_b64 s[2:3], s[0:1]
	s_cbranch_execz .LBB213_139
.LBB213_316:
	v_mov_b32_e32 v0, s54
	v_add_co_u32_e32 v1, vcc, s33, v16
	v_addc_co_u32_e32 v3, vcc, 0, v0, vcc
	v_add_co_u32_e32 v0, vcc, v1, v17
	v_mov_b32_e32 v2, 0
	v_addc_co_u32_e32 v1, vcc, 0, v3, vcc
	global_store_dwordx2 v2, v[0:1], s[20:21]
	s_endpgm
.LBB213_317:
	s_or_b64 exec, exec, s[10:11]
	v_mov_b32_e32 v74, s12
	s_and_saveexec_b64 s[2:3], s[6:7]
	s_cbranch_execnz .LBB213_92
	s_branch .LBB213_93
	.section	.rodata,"a",@progbits
	.p2align	6, 0x0
	.amdhsa_kernel _ZN7rocprim17ROCPRIM_400000_NS6detail17trampoline_kernelINS0_14default_configENS1_25partition_config_selectorILNS1_17partition_subalgoE8EaNS0_10empty_typeEbEEZZNS1_14partition_implILS5_8ELb0ES3_jPKaPS6_PKS6_NS0_5tupleIJPaS6_EEENSE_IJSB_SB_EEENS0_18inequality_wrapperIN6hipcub16HIPCUB_304000_NS8EqualityEEEPlJS6_EEE10hipError_tPvRmT3_T4_T5_T6_T7_T9_mT8_P12ihipStream_tbDpT10_ENKUlT_T0_E_clISt17integral_constantIbLb1EES17_EEDaS12_S13_EUlS12_E_NS1_11comp_targetILNS1_3genE4ELNS1_11target_archE910ELNS1_3gpuE8ELNS1_3repE0EEENS1_30default_config_static_selectorELNS0_4arch9wavefront6targetE1EEEvT1_
		.amdhsa_group_segment_fixed_size 4232
		.amdhsa_private_segment_fixed_size 0
		.amdhsa_kernarg_size 128
		.amdhsa_user_sgpr_count 6
		.amdhsa_user_sgpr_private_segment_buffer 1
		.amdhsa_user_sgpr_dispatch_ptr 0
		.amdhsa_user_sgpr_queue_ptr 0
		.amdhsa_user_sgpr_kernarg_segment_ptr 1
		.amdhsa_user_sgpr_dispatch_id 0
		.amdhsa_user_sgpr_flat_scratch_init 0
		.amdhsa_user_sgpr_kernarg_preload_length 0
		.amdhsa_user_sgpr_kernarg_preload_offset 0
		.amdhsa_user_sgpr_private_segment_size 0
		.amdhsa_uses_dynamic_stack 0
		.amdhsa_system_sgpr_private_segment_wavefront_offset 0
		.amdhsa_system_sgpr_workgroup_id_x 1
		.amdhsa_system_sgpr_workgroup_id_y 0
		.amdhsa_system_sgpr_workgroup_id_z 0
		.amdhsa_system_sgpr_workgroup_info 0
		.amdhsa_system_vgpr_workitem_id 0
		.amdhsa_next_free_vgpr 124
		.amdhsa_next_free_sgpr 60
		.amdhsa_accum_offset 124
		.amdhsa_reserve_vcc 1
		.amdhsa_reserve_flat_scratch 0
		.amdhsa_float_round_mode_32 0
		.amdhsa_float_round_mode_16_64 0
		.amdhsa_float_denorm_mode_32 3
		.amdhsa_float_denorm_mode_16_64 3
		.amdhsa_dx10_clamp 1
		.amdhsa_ieee_mode 1
		.amdhsa_fp16_overflow 0
		.amdhsa_tg_split 0
		.amdhsa_exception_fp_ieee_invalid_op 0
		.amdhsa_exception_fp_denorm_src 0
		.amdhsa_exception_fp_ieee_div_zero 0
		.amdhsa_exception_fp_ieee_overflow 0
		.amdhsa_exception_fp_ieee_underflow 0
		.amdhsa_exception_fp_ieee_inexact 0
		.amdhsa_exception_int_div_zero 0
	.end_amdhsa_kernel
	.section	.text._ZN7rocprim17ROCPRIM_400000_NS6detail17trampoline_kernelINS0_14default_configENS1_25partition_config_selectorILNS1_17partition_subalgoE8EaNS0_10empty_typeEbEEZZNS1_14partition_implILS5_8ELb0ES3_jPKaPS6_PKS6_NS0_5tupleIJPaS6_EEENSE_IJSB_SB_EEENS0_18inequality_wrapperIN6hipcub16HIPCUB_304000_NS8EqualityEEEPlJS6_EEE10hipError_tPvRmT3_T4_T5_T6_T7_T9_mT8_P12ihipStream_tbDpT10_ENKUlT_T0_E_clISt17integral_constantIbLb1EES17_EEDaS12_S13_EUlS12_E_NS1_11comp_targetILNS1_3genE4ELNS1_11target_archE910ELNS1_3gpuE8ELNS1_3repE0EEENS1_30default_config_static_selectorELNS0_4arch9wavefront6targetE1EEEvT1_,"axG",@progbits,_ZN7rocprim17ROCPRIM_400000_NS6detail17trampoline_kernelINS0_14default_configENS1_25partition_config_selectorILNS1_17partition_subalgoE8EaNS0_10empty_typeEbEEZZNS1_14partition_implILS5_8ELb0ES3_jPKaPS6_PKS6_NS0_5tupleIJPaS6_EEENSE_IJSB_SB_EEENS0_18inequality_wrapperIN6hipcub16HIPCUB_304000_NS8EqualityEEEPlJS6_EEE10hipError_tPvRmT3_T4_T5_T6_T7_T9_mT8_P12ihipStream_tbDpT10_ENKUlT_T0_E_clISt17integral_constantIbLb1EES17_EEDaS12_S13_EUlS12_E_NS1_11comp_targetILNS1_3genE4ELNS1_11target_archE910ELNS1_3gpuE8ELNS1_3repE0EEENS1_30default_config_static_selectorELNS0_4arch9wavefront6targetE1EEEvT1_,comdat
.Lfunc_end213:
	.size	_ZN7rocprim17ROCPRIM_400000_NS6detail17trampoline_kernelINS0_14default_configENS1_25partition_config_selectorILNS1_17partition_subalgoE8EaNS0_10empty_typeEbEEZZNS1_14partition_implILS5_8ELb0ES3_jPKaPS6_PKS6_NS0_5tupleIJPaS6_EEENSE_IJSB_SB_EEENS0_18inequality_wrapperIN6hipcub16HIPCUB_304000_NS8EqualityEEEPlJS6_EEE10hipError_tPvRmT3_T4_T5_T6_T7_T9_mT8_P12ihipStream_tbDpT10_ENKUlT_T0_E_clISt17integral_constantIbLb1EES17_EEDaS12_S13_EUlS12_E_NS1_11comp_targetILNS1_3genE4ELNS1_11target_archE910ELNS1_3gpuE8ELNS1_3repE0EEENS1_30default_config_static_selectorELNS0_4arch9wavefront6targetE1EEEvT1_, .Lfunc_end213-_ZN7rocprim17ROCPRIM_400000_NS6detail17trampoline_kernelINS0_14default_configENS1_25partition_config_selectorILNS1_17partition_subalgoE8EaNS0_10empty_typeEbEEZZNS1_14partition_implILS5_8ELb0ES3_jPKaPS6_PKS6_NS0_5tupleIJPaS6_EEENSE_IJSB_SB_EEENS0_18inequality_wrapperIN6hipcub16HIPCUB_304000_NS8EqualityEEEPlJS6_EEE10hipError_tPvRmT3_T4_T5_T6_T7_T9_mT8_P12ihipStream_tbDpT10_ENKUlT_T0_E_clISt17integral_constantIbLb1EES17_EEDaS12_S13_EUlS12_E_NS1_11comp_targetILNS1_3genE4ELNS1_11target_archE910ELNS1_3gpuE8ELNS1_3repE0EEENS1_30default_config_static_selectorELNS0_4arch9wavefront6targetE1EEEvT1_
                                        ; -- End function
	.section	.AMDGPU.csdata,"",@progbits
; Kernel info:
; codeLenInByte = 13484
; NumSgprs: 64
; NumVgprs: 124
; NumAgprs: 0
; TotalNumVgprs: 124
; ScratchSize: 0
; MemoryBound: 0
; FloatMode: 240
; IeeeMode: 1
; LDSByteSize: 4232 bytes/workgroup (compile time only)
; SGPRBlocks: 7
; VGPRBlocks: 15
; NumSGPRsForWavesPerEU: 64
; NumVGPRsForWavesPerEU: 124
; AccumOffset: 124
; Occupancy: 4
; WaveLimiterHint : 1
; COMPUTE_PGM_RSRC2:SCRATCH_EN: 0
; COMPUTE_PGM_RSRC2:USER_SGPR: 6
; COMPUTE_PGM_RSRC2:TRAP_HANDLER: 0
; COMPUTE_PGM_RSRC2:TGID_X_EN: 1
; COMPUTE_PGM_RSRC2:TGID_Y_EN: 0
; COMPUTE_PGM_RSRC2:TGID_Z_EN: 0
; COMPUTE_PGM_RSRC2:TIDIG_COMP_CNT: 0
; COMPUTE_PGM_RSRC3_GFX90A:ACCUM_OFFSET: 30
; COMPUTE_PGM_RSRC3_GFX90A:TG_SPLIT: 0
	.section	.text._ZN7rocprim17ROCPRIM_400000_NS6detail17trampoline_kernelINS0_14default_configENS1_25partition_config_selectorILNS1_17partition_subalgoE8EaNS0_10empty_typeEbEEZZNS1_14partition_implILS5_8ELb0ES3_jPKaPS6_PKS6_NS0_5tupleIJPaS6_EEENSE_IJSB_SB_EEENS0_18inequality_wrapperIN6hipcub16HIPCUB_304000_NS8EqualityEEEPlJS6_EEE10hipError_tPvRmT3_T4_T5_T6_T7_T9_mT8_P12ihipStream_tbDpT10_ENKUlT_T0_E_clISt17integral_constantIbLb1EES17_EEDaS12_S13_EUlS12_E_NS1_11comp_targetILNS1_3genE3ELNS1_11target_archE908ELNS1_3gpuE7ELNS1_3repE0EEENS1_30default_config_static_selectorELNS0_4arch9wavefront6targetE1EEEvT1_,"axG",@progbits,_ZN7rocprim17ROCPRIM_400000_NS6detail17trampoline_kernelINS0_14default_configENS1_25partition_config_selectorILNS1_17partition_subalgoE8EaNS0_10empty_typeEbEEZZNS1_14partition_implILS5_8ELb0ES3_jPKaPS6_PKS6_NS0_5tupleIJPaS6_EEENSE_IJSB_SB_EEENS0_18inequality_wrapperIN6hipcub16HIPCUB_304000_NS8EqualityEEEPlJS6_EEE10hipError_tPvRmT3_T4_T5_T6_T7_T9_mT8_P12ihipStream_tbDpT10_ENKUlT_T0_E_clISt17integral_constantIbLb1EES17_EEDaS12_S13_EUlS12_E_NS1_11comp_targetILNS1_3genE3ELNS1_11target_archE908ELNS1_3gpuE7ELNS1_3repE0EEENS1_30default_config_static_selectorELNS0_4arch9wavefront6targetE1EEEvT1_,comdat
	.protected	_ZN7rocprim17ROCPRIM_400000_NS6detail17trampoline_kernelINS0_14default_configENS1_25partition_config_selectorILNS1_17partition_subalgoE8EaNS0_10empty_typeEbEEZZNS1_14partition_implILS5_8ELb0ES3_jPKaPS6_PKS6_NS0_5tupleIJPaS6_EEENSE_IJSB_SB_EEENS0_18inequality_wrapperIN6hipcub16HIPCUB_304000_NS8EqualityEEEPlJS6_EEE10hipError_tPvRmT3_T4_T5_T6_T7_T9_mT8_P12ihipStream_tbDpT10_ENKUlT_T0_E_clISt17integral_constantIbLb1EES17_EEDaS12_S13_EUlS12_E_NS1_11comp_targetILNS1_3genE3ELNS1_11target_archE908ELNS1_3gpuE7ELNS1_3repE0EEENS1_30default_config_static_selectorELNS0_4arch9wavefront6targetE1EEEvT1_ ; -- Begin function _ZN7rocprim17ROCPRIM_400000_NS6detail17trampoline_kernelINS0_14default_configENS1_25partition_config_selectorILNS1_17partition_subalgoE8EaNS0_10empty_typeEbEEZZNS1_14partition_implILS5_8ELb0ES3_jPKaPS6_PKS6_NS0_5tupleIJPaS6_EEENSE_IJSB_SB_EEENS0_18inequality_wrapperIN6hipcub16HIPCUB_304000_NS8EqualityEEEPlJS6_EEE10hipError_tPvRmT3_T4_T5_T6_T7_T9_mT8_P12ihipStream_tbDpT10_ENKUlT_T0_E_clISt17integral_constantIbLb1EES17_EEDaS12_S13_EUlS12_E_NS1_11comp_targetILNS1_3genE3ELNS1_11target_archE908ELNS1_3gpuE7ELNS1_3repE0EEENS1_30default_config_static_selectorELNS0_4arch9wavefront6targetE1EEEvT1_
	.globl	_ZN7rocprim17ROCPRIM_400000_NS6detail17trampoline_kernelINS0_14default_configENS1_25partition_config_selectorILNS1_17partition_subalgoE8EaNS0_10empty_typeEbEEZZNS1_14partition_implILS5_8ELb0ES3_jPKaPS6_PKS6_NS0_5tupleIJPaS6_EEENSE_IJSB_SB_EEENS0_18inequality_wrapperIN6hipcub16HIPCUB_304000_NS8EqualityEEEPlJS6_EEE10hipError_tPvRmT3_T4_T5_T6_T7_T9_mT8_P12ihipStream_tbDpT10_ENKUlT_T0_E_clISt17integral_constantIbLb1EES17_EEDaS12_S13_EUlS12_E_NS1_11comp_targetILNS1_3genE3ELNS1_11target_archE908ELNS1_3gpuE7ELNS1_3repE0EEENS1_30default_config_static_selectorELNS0_4arch9wavefront6targetE1EEEvT1_
	.p2align	8
	.type	_ZN7rocprim17ROCPRIM_400000_NS6detail17trampoline_kernelINS0_14default_configENS1_25partition_config_selectorILNS1_17partition_subalgoE8EaNS0_10empty_typeEbEEZZNS1_14partition_implILS5_8ELb0ES3_jPKaPS6_PKS6_NS0_5tupleIJPaS6_EEENSE_IJSB_SB_EEENS0_18inequality_wrapperIN6hipcub16HIPCUB_304000_NS8EqualityEEEPlJS6_EEE10hipError_tPvRmT3_T4_T5_T6_T7_T9_mT8_P12ihipStream_tbDpT10_ENKUlT_T0_E_clISt17integral_constantIbLb1EES17_EEDaS12_S13_EUlS12_E_NS1_11comp_targetILNS1_3genE3ELNS1_11target_archE908ELNS1_3gpuE7ELNS1_3repE0EEENS1_30default_config_static_selectorELNS0_4arch9wavefront6targetE1EEEvT1_,@function
_ZN7rocprim17ROCPRIM_400000_NS6detail17trampoline_kernelINS0_14default_configENS1_25partition_config_selectorILNS1_17partition_subalgoE8EaNS0_10empty_typeEbEEZZNS1_14partition_implILS5_8ELb0ES3_jPKaPS6_PKS6_NS0_5tupleIJPaS6_EEENSE_IJSB_SB_EEENS0_18inequality_wrapperIN6hipcub16HIPCUB_304000_NS8EqualityEEEPlJS6_EEE10hipError_tPvRmT3_T4_T5_T6_T7_T9_mT8_P12ihipStream_tbDpT10_ENKUlT_T0_E_clISt17integral_constantIbLb1EES17_EEDaS12_S13_EUlS12_E_NS1_11comp_targetILNS1_3genE3ELNS1_11target_archE908ELNS1_3gpuE7ELNS1_3repE0EEENS1_30default_config_static_selectorELNS0_4arch9wavefront6targetE1EEEvT1_: ; @_ZN7rocprim17ROCPRIM_400000_NS6detail17trampoline_kernelINS0_14default_configENS1_25partition_config_selectorILNS1_17partition_subalgoE8EaNS0_10empty_typeEbEEZZNS1_14partition_implILS5_8ELb0ES3_jPKaPS6_PKS6_NS0_5tupleIJPaS6_EEENSE_IJSB_SB_EEENS0_18inequality_wrapperIN6hipcub16HIPCUB_304000_NS8EqualityEEEPlJS6_EEE10hipError_tPvRmT3_T4_T5_T6_T7_T9_mT8_P12ihipStream_tbDpT10_ENKUlT_T0_E_clISt17integral_constantIbLb1EES17_EEDaS12_S13_EUlS12_E_NS1_11comp_targetILNS1_3genE3ELNS1_11target_archE908ELNS1_3gpuE7ELNS1_3repE0EEENS1_30default_config_static_selectorELNS0_4arch9wavefront6targetE1EEEvT1_
; %bb.0:
	.section	.rodata,"a",@progbits
	.p2align	6, 0x0
	.amdhsa_kernel _ZN7rocprim17ROCPRIM_400000_NS6detail17trampoline_kernelINS0_14default_configENS1_25partition_config_selectorILNS1_17partition_subalgoE8EaNS0_10empty_typeEbEEZZNS1_14partition_implILS5_8ELb0ES3_jPKaPS6_PKS6_NS0_5tupleIJPaS6_EEENSE_IJSB_SB_EEENS0_18inequality_wrapperIN6hipcub16HIPCUB_304000_NS8EqualityEEEPlJS6_EEE10hipError_tPvRmT3_T4_T5_T6_T7_T9_mT8_P12ihipStream_tbDpT10_ENKUlT_T0_E_clISt17integral_constantIbLb1EES17_EEDaS12_S13_EUlS12_E_NS1_11comp_targetILNS1_3genE3ELNS1_11target_archE908ELNS1_3gpuE7ELNS1_3repE0EEENS1_30default_config_static_selectorELNS0_4arch9wavefront6targetE1EEEvT1_
		.amdhsa_group_segment_fixed_size 0
		.amdhsa_private_segment_fixed_size 0
		.amdhsa_kernarg_size 128
		.amdhsa_user_sgpr_count 6
		.amdhsa_user_sgpr_private_segment_buffer 1
		.amdhsa_user_sgpr_dispatch_ptr 0
		.amdhsa_user_sgpr_queue_ptr 0
		.amdhsa_user_sgpr_kernarg_segment_ptr 1
		.amdhsa_user_sgpr_dispatch_id 0
		.amdhsa_user_sgpr_flat_scratch_init 0
		.amdhsa_user_sgpr_kernarg_preload_length 0
		.amdhsa_user_sgpr_kernarg_preload_offset 0
		.amdhsa_user_sgpr_private_segment_size 0
		.amdhsa_uses_dynamic_stack 0
		.amdhsa_system_sgpr_private_segment_wavefront_offset 0
		.amdhsa_system_sgpr_workgroup_id_x 1
		.amdhsa_system_sgpr_workgroup_id_y 0
		.amdhsa_system_sgpr_workgroup_id_z 0
		.amdhsa_system_sgpr_workgroup_info 0
		.amdhsa_system_vgpr_workitem_id 0
		.amdhsa_next_free_vgpr 1
		.amdhsa_next_free_sgpr 0
		.amdhsa_accum_offset 4
		.amdhsa_reserve_vcc 0
		.amdhsa_reserve_flat_scratch 0
		.amdhsa_float_round_mode_32 0
		.amdhsa_float_round_mode_16_64 0
		.amdhsa_float_denorm_mode_32 3
		.amdhsa_float_denorm_mode_16_64 3
		.amdhsa_dx10_clamp 1
		.amdhsa_ieee_mode 1
		.amdhsa_fp16_overflow 0
		.amdhsa_tg_split 0
		.amdhsa_exception_fp_ieee_invalid_op 0
		.amdhsa_exception_fp_denorm_src 0
		.amdhsa_exception_fp_ieee_div_zero 0
		.amdhsa_exception_fp_ieee_overflow 0
		.amdhsa_exception_fp_ieee_underflow 0
		.amdhsa_exception_fp_ieee_inexact 0
		.amdhsa_exception_int_div_zero 0
	.end_amdhsa_kernel
	.section	.text._ZN7rocprim17ROCPRIM_400000_NS6detail17trampoline_kernelINS0_14default_configENS1_25partition_config_selectorILNS1_17partition_subalgoE8EaNS0_10empty_typeEbEEZZNS1_14partition_implILS5_8ELb0ES3_jPKaPS6_PKS6_NS0_5tupleIJPaS6_EEENSE_IJSB_SB_EEENS0_18inequality_wrapperIN6hipcub16HIPCUB_304000_NS8EqualityEEEPlJS6_EEE10hipError_tPvRmT3_T4_T5_T6_T7_T9_mT8_P12ihipStream_tbDpT10_ENKUlT_T0_E_clISt17integral_constantIbLb1EES17_EEDaS12_S13_EUlS12_E_NS1_11comp_targetILNS1_3genE3ELNS1_11target_archE908ELNS1_3gpuE7ELNS1_3repE0EEENS1_30default_config_static_selectorELNS0_4arch9wavefront6targetE1EEEvT1_,"axG",@progbits,_ZN7rocprim17ROCPRIM_400000_NS6detail17trampoline_kernelINS0_14default_configENS1_25partition_config_selectorILNS1_17partition_subalgoE8EaNS0_10empty_typeEbEEZZNS1_14partition_implILS5_8ELb0ES3_jPKaPS6_PKS6_NS0_5tupleIJPaS6_EEENSE_IJSB_SB_EEENS0_18inequality_wrapperIN6hipcub16HIPCUB_304000_NS8EqualityEEEPlJS6_EEE10hipError_tPvRmT3_T4_T5_T6_T7_T9_mT8_P12ihipStream_tbDpT10_ENKUlT_T0_E_clISt17integral_constantIbLb1EES17_EEDaS12_S13_EUlS12_E_NS1_11comp_targetILNS1_3genE3ELNS1_11target_archE908ELNS1_3gpuE7ELNS1_3repE0EEENS1_30default_config_static_selectorELNS0_4arch9wavefront6targetE1EEEvT1_,comdat
.Lfunc_end214:
	.size	_ZN7rocprim17ROCPRIM_400000_NS6detail17trampoline_kernelINS0_14default_configENS1_25partition_config_selectorILNS1_17partition_subalgoE8EaNS0_10empty_typeEbEEZZNS1_14partition_implILS5_8ELb0ES3_jPKaPS6_PKS6_NS0_5tupleIJPaS6_EEENSE_IJSB_SB_EEENS0_18inequality_wrapperIN6hipcub16HIPCUB_304000_NS8EqualityEEEPlJS6_EEE10hipError_tPvRmT3_T4_T5_T6_T7_T9_mT8_P12ihipStream_tbDpT10_ENKUlT_T0_E_clISt17integral_constantIbLb1EES17_EEDaS12_S13_EUlS12_E_NS1_11comp_targetILNS1_3genE3ELNS1_11target_archE908ELNS1_3gpuE7ELNS1_3repE0EEENS1_30default_config_static_selectorELNS0_4arch9wavefront6targetE1EEEvT1_, .Lfunc_end214-_ZN7rocprim17ROCPRIM_400000_NS6detail17trampoline_kernelINS0_14default_configENS1_25partition_config_selectorILNS1_17partition_subalgoE8EaNS0_10empty_typeEbEEZZNS1_14partition_implILS5_8ELb0ES3_jPKaPS6_PKS6_NS0_5tupleIJPaS6_EEENSE_IJSB_SB_EEENS0_18inequality_wrapperIN6hipcub16HIPCUB_304000_NS8EqualityEEEPlJS6_EEE10hipError_tPvRmT3_T4_T5_T6_T7_T9_mT8_P12ihipStream_tbDpT10_ENKUlT_T0_E_clISt17integral_constantIbLb1EES17_EEDaS12_S13_EUlS12_E_NS1_11comp_targetILNS1_3genE3ELNS1_11target_archE908ELNS1_3gpuE7ELNS1_3repE0EEENS1_30default_config_static_selectorELNS0_4arch9wavefront6targetE1EEEvT1_
                                        ; -- End function
	.section	.AMDGPU.csdata,"",@progbits
; Kernel info:
; codeLenInByte = 0
; NumSgprs: 4
; NumVgprs: 0
; NumAgprs: 0
; TotalNumVgprs: 0
; ScratchSize: 0
; MemoryBound: 0
; FloatMode: 240
; IeeeMode: 1
; LDSByteSize: 0 bytes/workgroup (compile time only)
; SGPRBlocks: 0
; VGPRBlocks: 0
; NumSGPRsForWavesPerEU: 4
; NumVGPRsForWavesPerEU: 1
; AccumOffset: 4
; Occupancy: 8
; WaveLimiterHint : 0
; COMPUTE_PGM_RSRC2:SCRATCH_EN: 0
; COMPUTE_PGM_RSRC2:USER_SGPR: 6
; COMPUTE_PGM_RSRC2:TRAP_HANDLER: 0
; COMPUTE_PGM_RSRC2:TGID_X_EN: 1
; COMPUTE_PGM_RSRC2:TGID_Y_EN: 0
; COMPUTE_PGM_RSRC2:TGID_Z_EN: 0
; COMPUTE_PGM_RSRC2:TIDIG_COMP_CNT: 0
; COMPUTE_PGM_RSRC3_GFX90A:ACCUM_OFFSET: 0
; COMPUTE_PGM_RSRC3_GFX90A:TG_SPLIT: 0
	.section	.text._ZN7rocprim17ROCPRIM_400000_NS6detail17trampoline_kernelINS0_14default_configENS1_25partition_config_selectorILNS1_17partition_subalgoE8EaNS0_10empty_typeEbEEZZNS1_14partition_implILS5_8ELb0ES3_jPKaPS6_PKS6_NS0_5tupleIJPaS6_EEENSE_IJSB_SB_EEENS0_18inequality_wrapperIN6hipcub16HIPCUB_304000_NS8EqualityEEEPlJS6_EEE10hipError_tPvRmT3_T4_T5_T6_T7_T9_mT8_P12ihipStream_tbDpT10_ENKUlT_T0_E_clISt17integral_constantIbLb1EES17_EEDaS12_S13_EUlS12_E_NS1_11comp_targetILNS1_3genE2ELNS1_11target_archE906ELNS1_3gpuE6ELNS1_3repE0EEENS1_30default_config_static_selectorELNS0_4arch9wavefront6targetE1EEEvT1_,"axG",@progbits,_ZN7rocprim17ROCPRIM_400000_NS6detail17trampoline_kernelINS0_14default_configENS1_25partition_config_selectorILNS1_17partition_subalgoE8EaNS0_10empty_typeEbEEZZNS1_14partition_implILS5_8ELb0ES3_jPKaPS6_PKS6_NS0_5tupleIJPaS6_EEENSE_IJSB_SB_EEENS0_18inequality_wrapperIN6hipcub16HIPCUB_304000_NS8EqualityEEEPlJS6_EEE10hipError_tPvRmT3_T4_T5_T6_T7_T9_mT8_P12ihipStream_tbDpT10_ENKUlT_T0_E_clISt17integral_constantIbLb1EES17_EEDaS12_S13_EUlS12_E_NS1_11comp_targetILNS1_3genE2ELNS1_11target_archE906ELNS1_3gpuE6ELNS1_3repE0EEENS1_30default_config_static_selectorELNS0_4arch9wavefront6targetE1EEEvT1_,comdat
	.protected	_ZN7rocprim17ROCPRIM_400000_NS6detail17trampoline_kernelINS0_14default_configENS1_25partition_config_selectorILNS1_17partition_subalgoE8EaNS0_10empty_typeEbEEZZNS1_14partition_implILS5_8ELb0ES3_jPKaPS6_PKS6_NS0_5tupleIJPaS6_EEENSE_IJSB_SB_EEENS0_18inequality_wrapperIN6hipcub16HIPCUB_304000_NS8EqualityEEEPlJS6_EEE10hipError_tPvRmT3_T4_T5_T6_T7_T9_mT8_P12ihipStream_tbDpT10_ENKUlT_T0_E_clISt17integral_constantIbLb1EES17_EEDaS12_S13_EUlS12_E_NS1_11comp_targetILNS1_3genE2ELNS1_11target_archE906ELNS1_3gpuE6ELNS1_3repE0EEENS1_30default_config_static_selectorELNS0_4arch9wavefront6targetE1EEEvT1_ ; -- Begin function _ZN7rocprim17ROCPRIM_400000_NS6detail17trampoline_kernelINS0_14default_configENS1_25partition_config_selectorILNS1_17partition_subalgoE8EaNS0_10empty_typeEbEEZZNS1_14partition_implILS5_8ELb0ES3_jPKaPS6_PKS6_NS0_5tupleIJPaS6_EEENSE_IJSB_SB_EEENS0_18inequality_wrapperIN6hipcub16HIPCUB_304000_NS8EqualityEEEPlJS6_EEE10hipError_tPvRmT3_T4_T5_T6_T7_T9_mT8_P12ihipStream_tbDpT10_ENKUlT_T0_E_clISt17integral_constantIbLb1EES17_EEDaS12_S13_EUlS12_E_NS1_11comp_targetILNS1_3genE2ELNS1_11target_archE906ELNS1_3gpuE6ELNS1_3repE0EEENS1_30default_config_static_selectorELNS0_4arch9wavefront6targetE1EEEvT1_
	.globl	_ZN7rocprim17ROCPRIM_400000_NS6detail17trampoline_kernelINS0_14default_configENS1_25partition_config_selectorILNS1_17partition_subalgoE8EaNS0_10empty_typeEbEEZZNS1_14partition_implILS5_8ELb0ES3_jPKaPS6_PKS6_NS0_5tupleIJPaS6_EEENSE_IJSB_SB_EEENS0_18inequality_wrapperIN6hipcub16HIPCUB_304000_NS8EqualityEEEPlJS6_EEE10hipError_tPvRmT3_T4_T5_T6_T7_T9_mT8_P12ihipStream_tbDpT10_ENKUlT_T0_E_clISt17integral_constantIbLb1EES17_EEDaS12_S13_EUlS12_E_NS1_11comp_targetILNS1_3genE2ELNS1_11target_archE906ELNS1_3gpuE6ELNS1_3repE0EEENS1_30default_config_static_selectorELNS0_4arch9wavefront6targetE1EEEvT1_
	.p2align	8
	.type	_ZN7rocprim17ROCPRIM_400000_NS6detail17trampoline_kernelINS0_14default_configENS1_25partition_config_selectorILNS1_17partition_subalgoE8EaNS0_10empty_typeEbEEZZNS1_14partition_implILS5_8ELb0ES3_jPKaPS6_PKS6_NS0_5tupleIJPaS6_EEENSE_IJSB_SB_EEENS0_18inequality_wrapperIN6hipcub16HIPCUB_304000_NS8EqualityEEEPlJS6_EEE10hipError_tPvRmT3_T4_T5_T6_T7_T9_mT8_P12ihipStream_tbDpT10_ENKUlT_T0_E_clISt17integral_constantIbLb1EES17_EEDaS12_S13_EUlS12_E_NS1_11comp_targetILNS1_3genE2ELNS1_11target_archE906ELNS1_3gpuE6ELNS1_3repE0EEENS1_30default_config_static_selectorELNS0_4arch9wavefront6targetE1EEEvT1_,@function
_ZN7rocprim17ROCPRIM_400000_NS6detail17trampoline_kernelINS0_14default_configENS1_25partition_config_selectorILNS1_17partition_subalgoE8EaNS0_10empty_typeEbEEZZNS1_14partition_implILS5_8ELb0ES3_jPKaPS6_PKS6_NS0_5tupleIJPaS6_EEENSE_IJSB_SB_EEENS0_18inequality_wrapperIN6hipcub16HIPCUB_304000_NS8EqualityEEEPlJS6_EEE10hipError_tPvRmT3_T4_T5_T6_T7_T9_mT8_P12ihipStream_tbDpT10_ENKUlT_T0_E_clISt17integral_constantIbLb1EES17_EEDaS12_S13_EUlS12_E_NS1_11comp_targetILNS1_3genE2ELNS1_11target_archE906ELNS1_3gpuE6ELNS1_3repE0EEENS1_30default_config_static_selectorELNS0_4arch9wavefront6targetE1EEEvT1_: ; @_ZN7rocprim17ROCPRIM_400000_NS6detail17trampoline_kernelINS0_14default_configENS1_25partition_config_selectorILNS1_17partition_subalgoE8EaNS0_10empty_typeEbEEZZNS1_14partition_implILS5_8ELb0ES3_jPKaPS6_PKS6_NS0_5tupleIJPaS6_EEENSE_IJSB_SB_EEENS0_18inequality_wrapperIN6hipcub16HIPCUB_304000_NS8EqualityEEEPlJS6_EEE10hipError_tPvRmT3_T4_T5_T6_T7_T9_mT8_P12ihipStream_tbDpT10_ENKUlT_T0_E_clISt17integral_constantIbLb1EES17_EEDaS12_S13_EUlS12_E_NS1_11comp_targetILNS1_3genE2ELNS1_11target_archE906ELNS1_3gpuE6ELNS1_3repE0EEENS1_30default_config_static_selectorELNS0_4arch9wavefront6targetE1EEEvT1_
; %bb.0:
	.section	.rodata,"a",@progbits
	.p2align	6, 0x0
	.amdhsa_kernel _ZN7rocprim17ROCPRIM_400000_NS6detail17trampoline_kernelINS0_14default_configENS1_25partition_config_selectorILNS1_17partition_subalgoE8EaNS0_10empty_typeEbEEZZNS1_14partition_implILS5_8ELb0ES3_jPKaPS6_PKS6_NS0_5tupleIJPaS6_EEENSE_IJSB_SB_EEENS0_18inequality_wrapperIN6hipcub16HIPCUB_304000_NS8EqualityEEEPlJS6_EEE10hipError_tPvRmT3_T4_T5_T6_T7_T9_mT8_P12ihipStream_tbDpT10_ENKUlT_T0_E_clISt17integral_constantIbLb1EES17_EEDaS12_S13_EUlS12_E_NS1_11comp_targetILNS1_3genE2ELNS1_11target_archE906ELNS1_3gpuE6ELNS1_3repE0EEENS1_30default_config_static_selectorELNS0_4arch9wavefront6targetE1EEEvT1_
		.amdhsa_group_segment_fixed_size 0
		.amdhsa_private_segment_fixed_size 0
		.amdhsa_kernarg_size 128
		.amdhsa_user_sgpr_count 6
		.amdhsa_user_sgpr_private_segment_buffer 1
		.amdhsa_user_sgpr_dispatch_ptr 0
		.amdhsa_user_sgpr_queue_ptr 0
		.amdhsa_user_sgpr_kernarg_segment_ptr 1
		.amdhsa_user_sgpr_dispatch_id 0
		.amdhsa_user_sgpr_flat_scratch_init 0
		.amdhsa_user_sgpr_kernarg_preload_length 0
		.amdhsa_user_sgpr_kernarg_preload_offset 0
		.amdhsa_user_sgpr_private_segment_size 0
		.amdhsa_uses_dynamic_stack 0
		.amdhsa_system_sgpr_private_segment_wavefront_offset 0
		.amdhsa_system_sgpr_workgroup_id_x 1
		.amdhsa_system_sgpr_workgroup_id_y 0
		.amdhsa_system_sgpr_workgroup_id_z 0
		.amdhsa_system_sgpr_workgroup_info 0
		.amdhsa_system_vgpr_workitem_id 0
		.amdhsa_next_free_vgpr 1
		.amdhsa_next_free_sgpr 0
		.amdhsa_accum_offset 4
		.amdhsa_reserve_vcc 0
		.amdhsa_reserve_flat_scratch 0
		.amdhsa_float_round_mode_32 0
		.amdhsa_float_round_mode_16_64 0
		.amdhsa_float_denorm_mode_32 3
		.amdhsa_float_denorm_mode_16_64 3
		.amdhsa_dx10_clamp 1
		.amdhsa_ieee_mode 1
		.amdhsa_fp16_overflow 0
		.amdhsa_tg_split 0
		.amdhsa_exception_fp_ieee_invalid_op 0
		.amdhsa_exception_fp_denorm_src 0
		.amdhsa_exception_fp_ieee_div_zero 0
		.amdhsa_exception_fp_ieee_overflow 0
		.amdhsa_exception_fp_ieee_underflow 0
		.amdhsa_exception_fp_ieee_inexact 0
		.amdhsa_exception_int_div_zero 0
	.end_amdhsa_kernel
	.section	.text._ZN7rocprim17ROCPRIM_400000_NS6detail17trampoline_kernelINS0_14default_configENS1_25partition_config_selectorILNS1_17partition_subalgoE8EaNS0_10empty_typeEbEEZZNS1_14partition_implILS5_8ELb0ES3_jPKaPS6_PKS6_NS0_5tupleIJPaS6_EEENSE_IJSB_SB_EEENS0_18inequality_wrapperIN6hipcub16HIPCUB_304000_NS8EqualityEEEPlJS6_EEE10hipError_tPvRmT3_T4_T5_T6_T7_T9_mT8_P12ihipStream_tbDpT10_ENKUlT_T0_E_clISt17integral_constantIbLb1EES17_EEDaS12_S13_EUlS12_E_NS1_11comp_targetILNS1_3genE2ELNS1_11target_archE906ELNS1_3gpuE6ELNS1_3repE0EEENS1_30default_config_static_selectorELNS0_4arch9wavefront6targetE1EEEvT1_,"axG",@progbits,_ZN7rocprim17ROCPRIM_400000_NS6detail17trampoline_kernelINS0_14default_configENS1_25partition_config_selectorILNS1_17partition_subalgoE8EaNS0_10empty_typeEbEEZZNS1_14partition_implILS5_8ELb0ES3_jPKaPS6_PKS6_NS0_5tupleIJPaS6_EEENSE_IJSB_SB_EEENS0_18inequality_wrapperIN6hipcub16HIPCUB_304000_NS8EqualityEEEPlJS6_EEE10hipError_tPvRmT3_T4_T5_T6_T7_T9_mT8_P12ihipStream_tbDpT10_ENKUlT_T0_E_clISt17integral_constantIbLb1EES17_EEDaS12_S13_EUlS12_E_NS1_11comp_targetILNS1_3genE2ELNS1_11target_archE906ELNS1_3gpuE6ELNS1_3repE0EEENS1_30default_config_static_selectorELNS0_4arch9wavefront6targetE1EEEvT1_,comdat
.Lfunc_end215:
	.size	_ZN7rocprim17ROCPRIM_400000_NS6detail17trampoline_kernelINS0_14default_configENS1_25partition_config_selectorILNS1_17partition_subalgoE8EaNS0_10empty_typeEbEEZZNS1_14partition_implILS5_8ELb0ES3_jPKaPS6_PKS6_NS0_5tupleIJPaS6_EEENSE_IJSB_SB_EEENS0_18inequality_wrapperIN6hipcub16HIPCUB_304000_NS8EqualityEEEPlJS6_EEE10hipError_tPvRmT3_T4_T5_T6_T7_T9_mT8_P12ihipStream_tbDpT10_ENKUlT_T0_E_clISt17integral_constantIbLb1EES17_EEDaS12_S13_EUlS12_E_NS1_11comp_targetILNS1_3genE2ELNS1_11target_archE906ELNS1_3gpuE6ELNS1_3repE0EEENS1_30default_config_static_selectorELNS0_4arch9wavefront6targetE1EEEvT1_, .Lfunc_end215-_ZN7rocprim17ROCPRIM_400000_NS6detail17trampoline_kernelINS0_14default_configENS1_25partition_config_selectorILNS1_17partition_subalgoE8EaNS0_10empty_typeEbEEZZNS1_14partition_implILS5_8ELb0ES3_jPKaPS6_PKS6_NS0_5tupleIJPaS6_EEENSE_IJSB_SB_EEENS0_18inequality_wrapperIN6hipcub16HIPCUB_304000_NS8EqualityEEEPlJS6_EEE10hipError_tPvRmT3_T4_T5_T6_T7_T9_mT8_P12ihipStream_tbDpT10_ENKUlT_T0_E_clISt17integral_constantIbLb1EES17_EEDaS12_S13_EUlS12_E_NS1_11comp_targetILNS1_3genE2ELNS1_11target_archE906ELNS1_3gpuE6ELNS1_3repE0EEENS1_30default_config_static_selectorELNS0_4arch9wavefront6targetE1EEEvT1_
                                        ; -- End function
	.section	.AMDGPU.csdata,"",@progbits
; Kernel info:
; codeLenInByte = 0
; NumSgprs: 4
; NumVgprs: 0
; NumAgprs: 0
; TotalNumVgprs: 0
; ScratchSize: 0
; MemoryBound: 0
; FloatMode: 240
; IeeeMode: 1
; LDSByteSize: 0 bytes/workgroup (compile time only)
; SGPRBlocks: 0
; VGPRBlocks: 0
; NumSGPRsForWavesPerEU: 4
; NumVGPRsForWavesPerEU: 1
; AccumOffset: 4
; Occupancy: 8
; WaveLimiterHint : 0
; COMPUTE_PGM_RSRC2:SCRATCH_EN: 0
; COMPUTE_PGM_RSRC2:USER_SGPR: 6
; COMPUTE_PGM_RSRC2:TRAP_HANDLER: 0
; COMPUTE_PGM_RSRC2:TGID_X_EN: 1
; COMPUTE_PGM_RSRC2:TGID_Y_EN: 0
; COMPUTE_PGM_RSRC2:TGID_Z_EN: 0
; COMPUTE_PGM_RSRC2:TIDIG_COMP_CNT: 0
; COMPUTE_PGM_RSRC3_GFX90A:ACCUM_OFFSET: 0
; COMPUTE_PGM_RSRC3_GFX90A:TG_SPLIT: 0
	.section	.text._ZN7rocprim17ROCPRIM_400000_NS6detail17trampoline_kernelINS0_14default_configENS1_25partition_config_selectorILNS1_17partition_subalgoE8EaNS0_10empty_typeEbEEZZNS1_14partition_implILS5_8ELb0ES3_jPKaPS6_PKS6_NS0_5tupleIJPaS6_EEENSE_IJSB_SB_EEENS0_18inequality_wrapperIN6hipcub16HIPCUB_304000_NS8EqualityEEEPlJS6_EEE10hipError_tPvRmT3_T4_T5_T6_T7_T9_mT8_P12ihipStream_tbDpT10_ENKUlT_T0_E_clISt17integral_constantIbLb1EES17_EEDaS12_S13_EUlS12_E_NS1_11comp_targetILNS1_3genE10ELNS1_11target_archE1200ELNS1_3gpuE4ELNS1_3repE0EEENS1_30default_config_static_selectorELNS0_4arch9wavefront6targetE1EEEvT1_,"axG",@progbits,_ZN7rocprim17ROCPRIM_400000_NS6detail17trampoline_kernelINS0_14default_configENS1_25partition_config_selectorILNS1_17partition_subalgoE8EaNS0_10empty_typeEbEEZZNS1_14partition_implILS5_8ELb0ES3_jPKaPS6_PKS6_NS0_5tupleIJPaS6_EEENSE_IJSB_SB_EEENS0_18inequality_wrapperIN6hipcub16HIPCUB_304000_NS8EqualityEEEPlJS6_EEE10hipError_tPvRmT3_T4_T5_T6_T7_T9_mT8_P12ihipStream_tbDpT10_ENKUlT_T0_E_clISt17integral_constantIbLb1EES17_EEDaS12_S13_EUlS12_E_NS1_11comp_targetILNS1_3genE10ELNS1_11target_archE1200ELNS1_3gpuE4ELNS1_3repE0EEENS1_30default_config_static_selectorELNS0_4arch9wavefront6targetE1EEEvT1_,comdat
	.protected	_ZN7rocprim17ROCPRIM_400000_NS6detail17trampoline_kernelINS0_14default_configENS1_25partition_config_selectorILNS1_17partition_subalgoE8EaNS0_10empty_typeEbEEZZNS1_14partition_implILS5_8ELb0ES3_jPKaPS6_PKS6_NS0_5tupleIJPaS6_EEENSE_IJSB_SB_EEENS0_18inequality_wrapperIN6hipcub16HIPCUB_304000_NS8EqualityEEEPlJS6_EEE10hipError_tPvRmT3_T4_T5_T6_T7_T9_mT8_P12ihipStream_tbDpT10_ENKUlT_T0_E_clISt17integral_constantIbLb1EES17_EEDaS12_S13_EUlS12_E_NS1_11comp_targetILNS1_3genE10ELNS1_11target_archE1200ELNS1_3gpuE4ELNS1_3repE0EEENS1_30default_config_static_selectorELNS0_4arch9wavefront6targetE1EEEvT1_ ; -- Begin function _ZN7rocprim17ROCPRIM_400000_NS6detail17trampoline_kernelINS0_14default_configENS1_25partition_config_selectorILNS1_17partition_subalgoE8EaNS0_10empty_typeEbEEZZNS1_14partition_implILS5_8ELb0ES3_jPKaPS6_PKS6_NS0_5tupleIJPaS6_EEENSE_IJSB_SB_EEENS0_18inequality_wrapperIN6hipcub16HIPCUB_304000_NS8EqualityEEEPlJS6_EEE10hipError_tPvRmT3_T4_T5_T6_T7_T9_mT8_P12ihipStream_tbDpT10_ENKUlT_T0_E_clISt17integral_constantIbLb1EES17_EEDaS12_S13_EUlS12_E_NS1_11comp_targetILNS1_3genE10ELNS1_11target_archE1200ELNS1_3gpuE4ELNS1_3repE0EEENS1_30default_config_static_selectorELNS0_4arch9wavefront6targetE1EEEvT1_
	.globl	_ZN7rocprim17ROCPRIM_400000_NS6detail17trampoline_kernelINS0_14default_configENS1_25partition_config_selectorILNS1_17partition_subalgoE8EaNS0_10empty_typeEbEEZZNS1_14partition_implILS5_8ELb0ES3_jPKaPS6_PKS6_NS0_5tupleIJPaS6_EEENSE_IJSB_SB_EEENS0_18inequality_wrapperIN6hipcub16HIPCUB_304000_NS8EqualityEEEPlJS6_EEE10hipError_tPvRmT3_T4_T5_T6_T7_T9_mT8_P12ihipStream_tbDpT10_ENKUlT_T0_E_clISt17integral_constantIbLb1EES17_EEDaS12_S13_EUlS12_E_NS1_11comp_targetILNS1_3genE10ELNS1_11target_archE1200ELNS1_3gpuE4ELNS1_3repE0EEENS1_30default_config_static_selectorELNS0_4arch9wavefront6targetE1EEEvT1_
	.p2align	8
	.type	_ZN7rocprim17ROCPRIM_400000_NS6detail17trampoline_kernelINS0_14default_configENS1_25partition_config_selectorILNS1_17partition_subalgoE8EaNS0_10empty_typeEbEEZZNS1_14partition_implILS5_8ELb0ES3_jPKaPS6_PKS6_NS0_5tupleIJPaS6_EEENSE_IJSB_SB_EEENS0_18inequality_wrapperIN6hipcub16HIPCUB_304000_NS8EqualityEEEPlJS6_EEE10hipError_tPvRmT3_T4_T5_T6_T7_T9_mT8_P12ihipStream_tbDpT10_ENKUlT_T0_E_clISt17integral_constantIbLb1EES17_EEDaS12_S13_EUlS12_E_NS1_11comp_targetILNS1_3genE10ELNS1_11target_archE1200ELNS1_3gpuE4ELNS1_3repE0EEENS1_30default_config_static_selectorELNS0_4arch9wavefront6targetE1EEEvT1_,@function
_ZN7rocprim17ROCPRIM_400000_NS6detail17trampoline_kernelINS0_14default_configENS1_25partition_config_selectorILNS1_17partition_subalgoE8EaNS0_10empty_typeEbEEZZNS1_14partition_implILS5_8ELb0ES3_jPKaPS6_PKS6_NS0_5tupleIJPaS6_EEENSE_IJSB_SB_EEENS0_18inequality_wrapperIN6hipcub16HIPCUB_304000_NS8EqualityEEEPlJS6_EEE10hipError_tPvRmT3_T4_T5_T6_T7_T9_mT8_P12ihipStream_tbDpT10_ENKUlT_T0_E_clISt17integral_constantIbLb1EES17_EEDaS12_S13_EUlS12_E_NS1_11comp_targetILNS1_3genE10ELNS1_11target_archE1200ELNS1_3gpuE4ELNS1_3repE0EEENS1_30default_config_static_selectorELNS0_4arch9wavefront6targetE1EEEvT1_: ; @_ZN7rocprim17ROCPRIM_400000_NS6detail17trampoline_kernelINS0_14default_configENS1_25partition_config_selectorILNS1_17partition_subalgoE8EaNS0_10empty_typeEbEEZZNS1_14partition_implILS5_8ELb0ES3_jPKaPS6_PKS6_NS0_5tupleIJPaS6_EEENSE_IJSB_SB_EEENS0_18inequality_wrapperIN6hipcub16HIPCUB_304000_NS8EqualityEEEPlJS6_EEE10hipError_tPvRmT3_T4_T5_T6_T7_T9_mT8_P12ihipStream_tbDpT10_ENKUlT_T0_E_clISt17integral_constantIbLb1EES17_EEDaS12_S13_EUlS12_E_NS1_11comp_targetILNS1_3genE10ELNS1_11target_archE1200ELNS1_3gpuE4ELNS1_3repE0EEENS1_30default_config_static_selectorELNS0_4arch9wavefront6targetE1EEEvT1_
; %bb.0:
	.section	.rodata,"a",@progbits
	.p2align	6, 0x0
	.amdhsa_kernel _ZN7rocprim17ROCPRIM_400000_NS6detail17trampoline_kernelINS0_14default_configENS1_25partition_config_selectorILNS1_17partition_subalgoE8EaNS0_10empty_typeEbEEZZNS1_14partition_implILS5_8ELb0ES3_jPKaPS6_PKS6_NS0_5tupleIJPaS6_EEENSE_IJSB_SB_EEENS0_18inequality_wrapperIN6hipcub16HIPCUB_304000_NS8EqualityEEEPlJS6_EEE10hipError_tPvRmT3_T4_T5_T6_T7_T9_mT8_P12ihipStream_tbDpT10_ENKUlT_T0_E_clISt17integral_constantIbLb1EES17_EEDaS12_S13_EUlS12_E_NS1_11comp_targetILNS1_3genE10ELNS1_11target_archE1200ELNS1_3gpuE4ELNS1_3repE0EEENS1_30default_config_static_selectorELNS0_4arch9wavefront6targetE1EEEvT1_
		.amdhsa_group_segment_fixed_size 0
		.amdhsa_private_segment_fixed_size 0
		.amdhsa_kernarg_size 128
		.amdhsa_user_sgpr_count 6
		.amdhsa_user_sgpr_private_segment_buffer 1
		.amdhsa_user_sgpr_dispatch_ptr 0
		.amdhsa_user_sgpr_queue_ptr 0
		.amdhsa_user_sgpr_kernarg_segment_ptr 1
		.amdhsa_user_sgpr_dispatch_id 0
		.amdhsa_user_sgpr_flat_scratch_init 0
		.amdhsa_user_sgpr_kernarg_preload_length 0
		.amdhsa_user_sgpr_kernarg_preload_offset 0
		.amdhsa_user_sgpr_private_segment_size 0
		.amdhsa_uses_dynamic_stack 0
		.amdhsa_system_sgpr_private_segment_wavefront_offset 0
		.amdhsa_system_sgpr_workgroup_id_x 1
		.amdhsa_system_sgpr_workgroup_id_y 0
		.amdhsa_system_sgpr_workgroup_id_z 0
		.amdhsa_system_sgpr_workgroup_info 0
		.amdhsa_system_vgpr_workitem_id 0
		.amdhsa_next_free_vgpr 1
		.amdhsa_next_free_sgpr 0
		.amdhsa_accum_offset 4
		.amdhsa_reserve_vcc 0
		.amdhsa_reserve_flat_scratch 0
		.amdhsa_float_round_mode_32 0
		.amdhsa_float_round_mode_16_64 0
		.amdhsa_float_denorm_mode_32 3
		.amdhsa_float_denorm_mode_16_64 3
		.amdhsa_dx10_clamp 1
		.amdhsa_ieee_mode 1
		.amdhsa_fp16_overflow 0
		.amdhsa_tg_split 0
		.amdhsa_exception_fp_ieee_invalid_op 0
		.amdhsa_exception_fp_denorm_src 0
		.amdhsa_exception_fp_ieee_div_zero 0
		.amdhsa_exception_fp_ieee_overflow 0
		.amdhsa_exception_fp_ieee_underflow 0
		.amdhsa_exception_fp_ieee_inexact 0
		.amdhsa_exception_int_div_zero 0
	.end_amdhsa_kernel
	.section	.text._ZN7rocprim17ROCPRIM_400000_NS6detail17trampoline_kernelINS0_14default_configENS1_25partition_config_selectorILNS1_17partition_subalgoE8EaNS0_10empty_typeEbEEZZNS1_14partition_implILS5_8ELb0ES3_jPKaPS6_PKS6_NS0_5tupleIJPaS6_EEENSE_IJSB_SB_EEENS0_18inequality_wrapperIN6hipcub16HIPCUB_304000_NS8EqualityEEEPlJS6_EEE10hipError_tPvRmT3_T4_T5_T6_T7_T9_mT8_P12ihipStream_tbDpT10_ENKUlT_T0_E_clISt17integral_constantIbLb1EES17_EEDaS12_S13_EUlS12_E_NS1_11comp_targetILNS1_3genE10ELNS1_11target_archE1200ELNS1_3gpuE4ELNS1_3repE0EEENS1_30default_config_static_selectorELNS0_4arch9wavefront6targetE1EEEvT1_,"axG",@progbits,_ZN7rocprim17ROCPRIM_400000_NS6detail17trampoline_kernelINS0_14default_configENS1_25partition_config_selectorILNS1_17partition_subalgoE8EaNS0_10empty_typeEbEEZZNS1_14partition_implILS5_8ELb0ES3_jPKaPS6_PKS6_NS0_5tupleIJPaS6_EEENSE_IJSB_SB_EEENS0_18inequality_wrapperIN6hipcub16HIPCUB_304000_NS8EqualityEEEPlJS6_EEE10hipError_tPvRmT3_T4_T5_T6_T7_T9_mT8_P12ihipStream_tbDpT10_ENKUlT_T0_E_clISt17integral_constantIbLb1EES17_EEDaS12_S13_EUlS12_E_NS1_11comp_targetILNS1_3genE10ELNS1_11target_archE1200ELNS1_3gpuE4ELNS1_3repE0EEENS1_30default_config_static_selectorELNS0_4arch9wavefront6targetE1EEEvT1_,comdat
.Lfunc_end216:
	.size	_ZN7rocprim17ROCPRIM_400000_NS6detail17trampoline_kernelINS0_14default_configENS1_25partition_config_selectorILNS1_17partition_subalgoE8EaNS0_10empty_typeEbEEZZNS1_14partition_implILS5_8ELb0ES3_jPKaPS6_PKS6_NS0_5tupleIJPaS6_EEENSE_IJSB_SB_EEENS0_18inequality_wrapperIN6hipcub16HIPCUB_304000_NS8EqualityEEEPlJS6_EEE10hipError_tPvRmT3_T4_T5_T6_T7_T9_mT8_P12ihipStream_tbDpT10_ENKUlT_T0_E_clISt17integral_constantIbLb1EES17_EEDaS12_S13_EUlS12_E_NS1_11comp_targetILNS1_3genE10ELNS1_11target_archE1200ELNS1_3gpuE4ELNS1_3repE0EEENS1_30default_config_static_selectorELNS0_4arch9wavefront6targetE1EEEvT1_, .Lfunc_end216-_ZN7rocprim17ROCPRIM_400000_NS6detail17trampoline_kernelINS0_14default_configENS1_25partition_config_selectorILNS1_17partition_subalgoE8EaNS0_10empty_typeEbEEZZNS1_14partition_implILS5_8ELb0ES3_jPKaPS6_PKS6_NS0_5tupleIJPaS6_EEENSE_IJSB_SB_EEENS0_18inequality_wrapperIN6hipcub16HIPCUB_304000_NS8EqualityEEEPlJS6_EEE10hipError_tPvRmT3_T4_T5_T6_T7_T9_mT8_P12ihipStream_tbDpT10_ENKUlT_T0_E_clISt17integral_constantIbLb1EES17_EEDaS12_S13_EUlS12_E_NS1_11comp_targetILNS1_3genE10ELNS1_11target_archE1200ELNS1_3gpuE4ELNS1_3repE0EEENS1_30default_config_static_selectorELNS0_4arch9wavefront6targetE1EEEvT1_
                                        ; -- End function
	.section	.AMDGPU.csdata,"",@progbits
; Kernel info:
; codeLenInByte = 0
; NumSgprs: 4
; NumVgprs: 0
; NumAgprs: 0
; TotalNumVgprs: 0
; ScratchSize: 0
; MemoryBound: 0
; FloatMode: 240
; IeeeMode: 1
; LDSByteSize: 0 bytes/workgroup (compile time only)
; SGPRBlocks: 0
; VGPRBlocks: 0
; NumSGPRsForWavesPerEU: 4
; NumVGPRsForWavesPerEU: 1
; AccumOffset: 4
; Occupancy: 8
; WaveLimiterHint : 0
; COMPUTE_PGM_RSRC2:SCRATCH_EN: 0
; COMPUTE_PGM_RSRC2:USER_SGPR: 6
; COMPUTE_PGM_RSRC2:TRAP_HANDLER: 0
; COMPUTE_PGM_RSRC2:TGID_X_EN: 1
; COMPUTE_PGM_RSRC2:TGID_Y_EN: 0
; COMPUTE_PGM_RSRC2:TGID_Z_EN: 0
; COMPUTE_PGM_RSRC2:TIDIG_COMP_CNT: 0
; COMPUTE_PGM_RSRC3_GFX90A:ACCUM_OFFSET: 0
; COMPUTE_PGM_RSRC3_GFX90A:TG_SPLIT: 0
	.section	.text._ZN7rocprim17ROCPRIM_400000_NS6detail17trampoline_kernelINS0_14default_configENS1_25partition_config_selectorILNS1_17partition_subalgoE8EaNS0_10empty_typeEbEEZZNS1_14partition_implILS5_8ELb0ES3_jPKaPS6_PKS6_NS0_5tupleIJPaS6_EEENSE_IJSB_SB_EEENS0_18inequality_wrapperIN6hipcub16HIPCUB_304000_NS8EqualityEEEPlJS6_EEE10hipError_tPvRmT3_T4_T5_T6_T7_T9_mT8_P12ihipStream_tbDpT10_ENKUlT_T0_E_clISt17integral_constantIbLb1EES17_EEDaS12_S13_EUlS12_E_NS1_11comp_targetILNS1_3genE9ELNS1_11target_archE1100ELNS1_3gpuE3ELNS1_3repE0EEENS1_30default_config_static_selectorELNS0_4arch9wavefront6targetE1EEEvT1_,"axG",@progbits,_ZN7rocprim17ROCPRIM_400000_NS6detail17trampoline_kernelINS0_14default_configENS1_25partition_config_selectorILNS1_17partition_subalgoE8EaNS0_10empty_typeEbEEZZNS1_14partition_implILS5_8ELb0ES3_jPKaPS6_PKS6_NS0_5tupleIJPaS6_EEENSE_IJSB_SB_EEENS0_18inequality_wrapperIN6hipcub16HIPCUB_304000_NS8EqualityEEEPlJS6_EEE10hipError_tPvRmT3_T4_T5_T6_T7_T9_mT8_P12ihipStream_tbDpT10_ENKUlT_T0_E_clISt17integral_constantIbLb1EES17_EEDaS12_S13_EUlS12_E_NS1_11comp_targetILNS1_3genE9ELNS1_11target_archE1100ELNS1_3gpuE3ELNS1_3repE0EEENS1_30default_config_static_selectorELNS0_4arch9wavefront6targetE1EEEvT1_,comdat
	.protected	_ZN7rocprim17ROCPRIM_400000_NS6detail17trampoline_kernelINS0_14default_configENS1_25partition_config_selectorILNS1_17partition_subalgoE8EaNS0_10empty_typeEbEEZZNS1_14partition_implILS5_8ELb0ES3_jPKaPS6_PKS6_NS0_5tupleIJPaS6_EEENSE_IJSB_SB_EEENS0_18inequality_wrapperIN6hipcub16HIPCUB_304000_NS8EqualityEEEPlJS6_EEE10hipError_tPvRmT3_T4_T5_T6_T7_T9_mT8_P12ihipStream_tbDpT10_ENKUlT_T0_E_clISt17integral_constantIbLb1EES17_EEDaS12_S13_EUlS12_E_NS1_11comp_targetILNS1_3genE9ELNS1_11target_archE1100ELNS1_3gpuE3ELNS1_3repE0EEENS1_30default_config_static_selectorELNS0_4arch9wavefront6targetE1EEEvT1_ ; -- Begin function _ZN7rocprim17ROCPRIM_400000_NS6detail17trampoline_kernelINS0_14default_configENS1_25partition_config_selectorILNS1_17partition_subalgoE8EaNS0_10empty_typeEbEEZZNS1_14partition_implILS5_8ELb0ES3_jPKaPS6_PKS6_NS0_5tupleIJPaS6_EEENSE_IJSB_SB_EEENS0_18inequality_wrapperIN6hipcub16HIPCUB_304000_NS8EqualityEEEPlJS6_EEE10hipError_tPvRmT3_T4_T5_T6_T7_T9_mT8_P12ihipStream_tbDpT10_ENKUlT_T0_E_clISt17integral_constantIbLb1EES17_EEDaS12_S13_EUlS12_E_NS1_11comp_targetILNS1_3genE9ELNS1_11target_archE1100ELNS1_3gpuE3ELNS1_3repE0EEENS1_30default_config_static_selectorELNS0_4arch9wavefront6targetE1EEEvT1_
	.globl	_ZN7rocprim17ROCPRIM_400000_NS6detail17trampoline_kernelINS0_14default_configENS1_25partition_config_selectorILNS1_17partition_subalgoE8EaNS0_10empty_typeEbEEZZNS1_14partition_implILS5_8ELb0ES3_jPKaPS6_PKS6_NS0_5tupleIJPaS6_EEENSE_IJSB_SB_EEENS0_18inequality_wrapperIN6hipcub16HIPCUB_304000_NS8EqualityEEEPlJS6_EEE10hipError_tPvRmT3_T4_T5_T6_T7_T9_mT8_P12ihipStream_tbDpT10_ENKUlT_T0_E_clISt17integral_constantIbLb1EES17_EEDaS12_S13_EUlS12_E_NS1_11comp_targetILNS1_3genE9ELNS1_11target_archE1100ELNS1_3gpuE3ELNS1_3repE0EEENS1_30default_config_static_selectorELNS0_4arch9wavefront6targetE1EEEvT1_
	.p2align	8
	.type	_ZN7rocprim17ROCPRIM_400000_NS6detail17trampoline_kernelINS0_14default_configENS1_25partition_config_selectorILNS1_17partition_subalgoE8EaNS0_10empty_typeEbEEZZNS1_14partition_implILS5_8ELb0ES3_jPKaPS6_PKS6_NS0_5tupleIJPaS6_EEENSE_IJSB_SB_EEENS0_18inequality_wrapperIN6hipcub16HIPCUB_304000_NS8EqualityEEEPlJS6_EEE10hipError_tPvRmT3_T4_T5_T6_T7_T9_mT8_P12ihipStream_tbDpT10_ENKUlT_T0_E_clISt17integral_constantIbLb1EES17_EEDaS12_S13_EUlS12_E_NS1_11comp_targetILNS1_3genE9ELNS1_11target_archE1100ELNS1_3gpuE3ELNS1_3repE0EEENS1_30default_config_static_selectorELNS0_4arch9wavefront6targetE1EEEvT1_,@function
_ZN7rocprim17ROCPRIM_400000_NS6detail17trampoline_kernelINS0_14default_configENS1_25partition_config_selectorILNS1_17partition_subalgoE8EaNS0_10empty_typeEbEEZZNS1_14partition_implILS5_8ELb0ES3_jPKaPS6_PKS6_NS0_5tupleIJPaS6_EEENSE_IJSB_SB_EEENS0_18inequality_wrapperIN6hipcub16HIPCUB_304000_NS8EqualityEEEPlJS6_EEE10hipError_tPvRmT3_T4_T5_T6_T7_T9_mT8_P12ihipStream_tbDpT10_ENKUlT_T0_E_clISt17integral_constantIbLb1EES17_EEDaS12_S13_EUlS12_E_NS1_11comp_targetILNS1_3genE9ELNS1_11target_archE1100ELNS1_3gpuE3ELNS1_3repE0EEENS1_30default_config_static_selectorELNS0_4arch9wavefront6targetE1EEEvT1_: ; @_ZN7rocprim17ROCPRIM_400000_NS6detail17trampoline_kernelINS0_14default_configENS1_25partition_config_selectorILNS1_17partition_subalgoE8EaNS0_10empty_typeEbEEZZNS1_14partition_implILS5_8ELb0ES3_jPKaPS6_PKS6_NS0_5tupleIJPaS6_EEENSE_IJSB_SB_EEENS0_18inequality_wrapperIN6hipcub16HIPCUB_304000_NS8EqualityEEEPlJS6_EEE10hipError_tPvRmT3_T4_T5_T6_T7_T9_mT8_P12ihipStream_tbDpT10_ENKUlT_T0_E_clISt17integral_constantIbLb1EES17_EEDaS12_S13_EUlS12_E_NS1_11comp_targetILNS1_3genE9ELNS1_11target_archE1100ELNS1_3gpuE3ELNS1_3repE0EEENS1_30default_config_static_selectorELNS0_4arch9wavefront6targetE1EEEvT1_
; %bb.0:
	.section	.rodata,"a",@progbits
	.p2align	6, 0x0
	.amdhsa_kernel _ZN7rocprim17ROCPRIM_400000_NS6detail17trampoline_kernelINS0_14default_configENS1_25partition_config_selectorILNS1_17partition_subalgoE8EaNS0_10empty_typeEbEEZZNS1_14partition_implILS5_8ELb0ES3_jPKaPS6_PKS6_NS0_5tupleIJPaS6_EEENSE_IJSB_SB_EEENS0_18inequality_wrapperIN6hipcub16HIPCUB_304000_NS8EqualityEEEPlJS6_EEE10hipError_tPvRmT3_T4_T5_T6_T7_T9_mT8_P12ihipStream_tbDpT10_ENKUlT_T0_E_clISt17integral_constantIbLb1EES17_EEDaS12_S13_EUlS12_E_NS1_11comp_targetILNS1_3genE9ELNS1_11target_archE1100ELNS1_3gpuE3ELNS1_3repE0EEENS1_30default_config_static_selectorELNS0_4arch9wavefront6targetE1EEEvT1_
		.amdhsa_group_segment_fixed_size 0
		.amdhsa_private_segment_fixed_size 0
		.amdhsa_kernarg_size 128
		.amdhsa_user_sgpr_count 6
		.amdhsa_user_sgpr_private_segment_buffer 1
		.amdhsa_user_sgpr_dispatch_ptr 0
		.amdhsa_user_sgpr_queue_ptr 0
		.amdhsa_user_sgpr_kernarg_segment_ptr 1
		.amdhsa_user_sgpr_dispatch_id 0
		.amdhsa_user_sgpr_flat_scratch_init 0
		.amdhsa_user_sgpr_kernarg_preload_length 0
		.amdhsa_user_sgpr_kernarg_preload_offset 0
		.amdhsa_user_sgpr_private_segment_size 0
		.amdhsa_uses_dynamic_stack 0
		.amdhsa_system_sgpr_private_segment_wavefront_offset 0
		.amdhsa_system_sgpr_workgroup_id_x 1
		.amdhsa_system_sgpr_workgroup_id_y 0
		.amdhsa_system_sgpr_workgroup_id_z 0
		.amdhsa_system_sgpr_workgroup_info 0
		.amdhsa_system_vgpr_workitem_id 0
		.amdhsa_next_free_vgpr 1
		.amdhsa_next_free_sgpr 0
		.amdhsa_accum_offset 4
		.amdhsa_reserve_vcc 0
		.amdhsa_reserve_flat_scratch 0
		.amdhsa_float_round_mode_32 0
		.amdhsa_float_round_mode_16_64 0
		.amdhsa_float_denorm_mode_32 3
		.amdhsa_float_denorm_mode_16_64 3
		.amdhsa_dx10_clamp 1
		.amdhsa_ieee_mode 1
		.amdhsa_fp16_overflow 0
		.amdhsa_tg_split 0
		.amdhsa_exception_fp_ieee_invalid_op 0
		.amdhsa_exception_fp_denorm_src 0
		.amdhsa_exception_fp_ieee_div_zero 0
		.amdhsa_exception_fp_ieee_overflow 0
		.amdhsa_exception_fp_ieee_underflow 0
		.amdhsa_exception_fp_ieee_inexact 0
		.amdhsa_exception_int_div_zero 0
	.end_amdhsa_kernel
	.section	.text._ZN7rocprim17ROCPRIM_400000_NS6detail17trampoline_kernelINS0_14default_configENS1_25partition_config_selectorILNS1_17partition_subalgoE8EaNS0_10empty_typeEbEEZZNS1_14partition_implILS5_8ELb0ES3_jPKaPS6_PKS6_NS0_5tupleIJPaS6_EEENSE_IJSB_SB_EEENS0_18inequality_wrapperIN6hipcub16HIPCUB_304000_NS8EqualityEEEPlJS6_EEE10hipError_tPvRmT3_T4_T5_T6_T7_T9_mT8_P12ihipStream_tbDpT10_ENKUlT_T0_E_clISt17integral_constantIbLb1EES17_EEDaS12_S13_EUlS12_E_NS1_11comp_targetILNS1_3genE9ELNS1_11target_archE1100ELNS1_3gpuE3ELNS1_3repE0EEENS1_30default_config_static_selectorELNS0_4arch9wavefront6targetE1EEEvT1_,"axG",@progbits,_ZN7rocprim17ROCPRIM_400000_NS6detail17trampoline_kernelINS0_14default_configENS1_25partition_config_selectorILNS1_17partition_subalgoE8EaNS0_10empty_typeEbEEZZNS1_14partition_implILS5_8ELb0ES3_jPKaPS6_PKS6_NS0_5tupleIJPaS6_EEENSE_IJSB_SB_EEENS0_18inequality_wrapperIN6hipcub16HIPCUB_304000_NS8EqualityEEEPlJS6_EEE10hipError_tPvRmT3_T4_T5_T6_T7_T9_mT8_P12ihipStream_tbDpT10_ENKUlT_T0_E_clISt17integral_constantIbLb1EES17_EEDaS12_S13_EUlS12_E_NS1_11comp_targetILNS1_3genE9ELNS1_11target_archE1100ELNS1_3gpuE3ELNS1_3repE0EEENS1_30default_config_static_selectorELNS0_4arch9wavefront6targetE1EEEvT1_,comdat
.Lfunc_end217:
	.size	_ZN7rocprim17ROCPRIM_400000_NS6detail17trampoline_kernelINS0_14default_configENS1_25partition_config_selectorILNS1_17partition_subalgoE8EaNS0_10empty_typeEbEEZZNS1_14partition_implILS5_8ELb0ES3_jPKaPS6_PKS6_NS0_5tupleIJPaS6_EEENSE_IJSB_SB_EEENS0_18inequality_wrapperIN6hipcub16HIPCUB_304000_NS8EqualityEEEPlJS6_EEE10hipError_tPvRmT3_T4_T5_T6_T7_T9_mT8_P12ihipStream_tbDpT10_ENKUlT_T0_E_clISt17integral_constantIbLb1EES17_EEDaS12_S13_EUlS12_E_NS1_11comp_targetILNS1_3genE9ELNS1_11target_archE1100ELNS1_3gpuE3ELNS1_3repE0EEENS1_30default_config_static_selectorELNS0_4arch9wavefront6targetE1EEEvT1_, .Lfunc_end217-_ZN7rocprim17ROCPRIM_400000_NS6detail17trampoline_kernelINS0_14default_configENS1_25partition_config_selectorILNS1_17partition_subalgoE8EaNS0_10empty_typeEbEEZZNS1_14partition_implILS5_8ELb0ES3_jPKaPS6_PKS6_NS0_5tupleIJPaS6_EEENSE_IJSB_SB_EEENS0_18inequality_wrapperIN6hipcub16HIPCUB_304000_NS8EqualityEEEPlJS6_EEE10hipError_tPvRmT3_T4_T5_T6_T7_T9_mT8_P12ihipStream_tbDpT10_ENKUlT_T0_E_clISt17integral_constantIbLb1EES17_EEDaS12_S13_EUlS12_E_NS1_11comp_targetILNS1_3genE9ELNS1_11target_archE1100ELNS1_3gpuE3ELNS1_3repE0EEENS1_30default_config_static_selectorELNS0_4arch9wavefront6targetE1EEEvT1_
                                        ; -- End function
	.section	.AMDGPU.csdata,"",@progbits
; Kernel info:
; codeLenInByte = 0
; NumSgprs: 4
; NumVgprs: 0
; NumAgprs: 0
; TotalNumVgprs: 0
; ScratchSize: 0
; MemoryBound: 0
; FloatMode: 240
; IeeeMode: 1
; LDSByteSize: 0 bytes/workgroup (compile time only)
; SGPRBlocks: 0
; VGPRBlocks: 0
; NumSGPRsForWavesPerEU: 4
; NumVGPRsForWavesPerEU: 1
; AccumOffset: 4
; Occupancy: 8
; WaveLimiterHint : 0
; COMPUTE_PGM_RSRC2:SCRATCH_EN: 0
; COMPUTE_PGM_RSRC2:USER_SGPR: 6
; COMPUTE_PGM_RSRC2:TRAP_HANDLER: 0
; COMPUTE_PGM_RSRC2:TGID_X_EN: 1
; COMPUTE_PGM_RSRC2:TGID_Y_EN: 0
; COMPUTE_PGM_RSRC2:TGID_Z_EN: 0
; COMPUTE_PGM_RSRC2:TIDIG_COMP_CNT: 0
; COMPUTE_PGM_RSRC3_GFX90A:ACCUM_OFFSET: 0
; COMPUTE_PGM_RSRC3_GFX90A:TG_SPLIT: 0
	.section	.text._ZN7rocprim17ROCPRIM_400000_NS6detail17trampoline_kernelINS0_14default_configENS1_25partition_config_selectorILNS1_17partition_subalgoE8EaNS0_10empty_typeEbEEZZNS1_14partition_implILS5_8ELb0ES3_jPKaPS6_PKS6_NS0_5tupleIJPaS6_EEENSE_IJSB_SB_EEENS0_18inequality_wrapperIN6hipcub16HIPCUB_304000_NS8EqualityEEEPlJS6_EEE10hipError_tPvRmT3_T4_T5_T6_T7_T9_mT8_P12ihipStream_tbDpT10_ENKUlT_T0_E_clISt17integral_constantIbLb1EES17_EEDaS12_S13_EUlS12_E_NS1_11comp_targetILNS1_3genE8ELNS1_11target_archE1030ELNS1_3gpuE2ELNS1_3repE0EEENS1_30default_config_static_selectorELNS0_4arch9wavefront6targetE1EEEvT1_,"axG",@progbits,_ZN7rocprim17ROCPRIM_400000_NS6detail17trampoline_kernelINS0_14default_configENS1_25partition_config_selectorILNS1_17partition_subalgoE8EaNS0_10empty_typeEbEEZZNS1_14partition_implILS5_8ELb0ES3_jPKaPS6_PKS6_NS0_5tupleIJPaS6_EEENSE_IJSB_SB_EEENS0_18inequality_wrapperIN6hipcub16HIPCUB_304000_NS8EqualityEEEPlJS6_EEE10hipError_tPvRmT3_T4_T5_T6_T7_T9_mT8_P12ihipStream_tbDpT10_ENKUlT_T0_E_clISt17integral_constantIbLb1EES17_EEDaS12_S13_EUlS12_E_NS1_11comp_targetILNS1_3genE8ELNS1_11target_archE1030ELNS1_3gpuE2ELNS1_3repE0EEENS1_30default_config_static_selectorELNS0_4arch9wavefront6targetE1EEEvT1_,comdat
	.protected	_ZN7rocprim17ROCPRIM_400000_NS6detail17trampoline_kernelINS0_14default_configENS1_25partition_config_selectorILNS1_17partition_subalgoE8EaNS0_10empty_typeEbEEZZNS1_14partition_implILS5_8ELb0ES3_jPKaPS6_PKS6_NS0_5tupleIJPaS6_EEENSE_IJSB_SB_EEENS0_18inequality_wrapperIN6hipcub16HIPCUB_304000_NS8EqualityEEEPlJS6_EEE10hipError_tPvRmT3_T4_T5_T6_T7_T9_mT8_P12ihipStream_tbDpT10_ENKUlT_T0_E_clISt17integral_constantIbLb1EES17_EEDaS12_S13_EUlS12_E_NS1_11comp_targetILNS1_3genE8ELNS1_11target_archE1030ELNS1_3gpuE2ELNS1_3repE0EEENS1_30default_config_static_selectorELNS0_4arch9wavefront6targetE1EEEvT1_ ; -- Begin function _ZN7rocprim17ROCPRIM_400000_NS6detail17trampoline_kernelINS0_14default_configENS1_25partition_config_selectorILNS1_17partition_subalgoE8EaNS0_10empty_typeEbEEZZNS1_14partition_implILS5_8ELb0ES3_jPKaPS6_PKS6_NS0_5tupleIJPaS6_EEENSE_IJSB_SB_EEENS0_18inequality_wrapperIN6hipcub16HIPCUB_304000_NS8EqualityEEEPlJS6_EEE10hipError_tPvRmT3_T4_T5_T6_T7_T9_mT8_P12ihipStream_tbDpT10_ENKUlT_T0_E_clISt17integral_constantIbLb1EES17_EEDaS12_S13_EUlS12_E_NS1_11comp_targetILNS1_3genE8ELNS1_11target_archE1030ELNS1_3gpuE2ELNS1_3repE0EEENS1_30default_config_static_selectorELNS0_4arch9wavefront6targetE1EEEvT1_
	.globl	_ZN7rocprim17ROCPRIM_400000_NS6detail17trampoline_kernelINS0_14default_configENS1_25partition_config_selectorILNS1_17partition_subalgoE8EaNS0_10empty_typeEbEEZZNS1_14partition_implILS5_8ELb0ES3_jPKaPS6_PKS6_NS0_5tupleIJPaS6_EEENSE_IJSB_SB_EEENS0_18inequality_wrapperIN6hipcub16HIPCUB_304000_NS8EqualityEEEPlJS6_EEE10hipError_tPvRmT3_T4_T5_T6_T7_T9_mT8_P12ihipStream_tbDpT10_ENKUlT_T0_E_clISt17integral_constantIbLb1EES17_EEDaS12_S13_EUlS12_E_NS1_11comp_targetILNS1_3genE8ELNS1_11target_archE1030ELNS1_3gpuE2ELNS1_3repE0EEENS1_30default_config_static_selectorELNS0_4arch9wavefront6targetE1EEEvT1_
	.p2align	8
	.type	_ZN7rocprim17ROCPRIM_400000_NS6detail17trampoline_kernelINS0_14default_configENS1_25partition_config_selectorILNS1_17partition_subalgoE8EaNS0_10empty_typeEbEEZZNS1_14partition_implILS5_8ELb0ES3_jPKaPS6_PKS6_NS0_5tupleIJPaS6_EEENSE_IJSB_SB_EEENS0_18inequality_wrapperIN6hipcub16HIPCUB_304000_NS8EqualityEEEPlJS6_EEE10hipError_tPvRmT3_T4_T5_T6_T7_T9_mT8_P12ihipStream_tbDpT10_ENKUlT_T0_E_clISt17integral_constantIbLb1EES17_EEDaS12_S13_EUlS12_E_NS1_11comp_targetILNS1_3genE8ELNS1_11target_archE1030ELNS1_3gpuE2ELNS1_3repE0EEENS1_30default_config_static_selectorELNS0_4arch9wavefront6targetE1EEEvT1_,@function
_ZN7rocprim17ROCPRIM_400000_NS6detail17trampoline_kernelINS0_14default_configENS1_25partition_config_selectorILNS1_17partition_subalgoE8EaNS0_10empty_typeEbEEZZNS1_14partition_implILS5_8ELb0ES3_jPKaPS6_PKS6_NS0_5tupleIJPaS6_EEENSE_IJSB_SB_EEENS0_18inequality_wrapperIN6hipcub16HIPCUB_304000_NS8EqualityEEEPlJS6_EEE10hipError_tPvRmT3_T4_T5_T6_T7_T9_mT8_P12ihipStream_tbDpT10_ENKUlT_T0_E_clISt17integral_constantIbLb1EES17_EEDaS12_S13_EUlS12_E_NS1_11comp_targetILNS1_3genE8ELNS1_11target_archE1030ELNS1_3gpuE2ELNS1_3repE0EEENS1_30default_config_static_selectorELNS0_4arch9wavefront6targetE1EEEvT1_: ; @_ZN7rocprim17ROCPRIM_400000_NS6detail17trampoline_kernelINS0_14default_configENS1_25partition_config_selectorILNS1_17partition_subalgoE8EaNS0_10empty_typeEbEEZZNS1_14partition_implILS5_8ELb0ES3_jPKaPS6_PKS6_NS0_5tupleIJPaS6_EEENSE_IJSB_SB_EEENS0_18inequality_wrapperIN6hipcub16HIPCUB_304000_NS8EqualityEEEPlJS6_EEE10hipError_tPvRmT3_T4_T5_T6_T7_T9_mT8_P12ihipStream_tbDpT10_ENKUlT_T0_E_clISt17integral_constantIbLb1EES17_EEDaS12_S13_EUlS12_E_NS1_11comp_targetILNS1_3genE8ELNS1_11target_archE1030ELNS1_3gpuE2ELNS1_3repE0EEENS1_30default_config_static_selectorELNS0_4arch9wavefront6targetE1EEEvT1_
; %bb.0:
	.section	.rodata,"a",@progbits
	.p2align	6, 0x0
	.amdhsa_kernel _ZN7rocprim17ROCPRIM_400000_NS6detail17trampoline_kernelINS0_14default_configENS1_25partition_config_selectorILNS1_17partition_subalgoE8EaNS0_10empty_typeEbEEZZNS1_14partition_implILS5_8ELb0ES3_jPKaPS6_PKS6_NS0_5tupleIJPaS6_EEENSE_IJSB_SB_EEENS0_18inequality_wrapperIN6hipcub16HIPCUB_304000_NS8EqualityEEEPlJS6_EEE10hipError_tPvRmT3_T4_T5_T6_T7_T9_mT8_P12ihipStream_tbDpT10_ENKUlT_T0_E_clISt17integral_constantIbLb1EES17_EEDaS12_S13_EUlS12_E_NS1_11comp_targetILNS1_3genE8ELNS1_11target_archE1030ELNS1_3gpuE2ELNS1_3repE0EEENS1_30default_config_static_selectorELNS0_4arch9wavefront6targetE1EEEvT1_
		.amdhsa_group_segment_fixed_size 0
		.amdhsa_private_segment_fixed_size 0
		.amdhsa_kernarg_size 128
		.amdhsa_user_sgpr_count 6
		.amdhsa_user_sgpr_private_segment_buffer 1
		.amdhsa_user_sgpr_dispatch_ptr 0
		.amdhsa_user_sgpr_queue_ptr 0
		.amdhsa_user_sgpr_kernarg_segment_ptr 1
		.amdhsa_user_sgpr_dispatch_id 0
		.amdhsa_user_sgpr_flat_scratch_init 0
		.amdhsa_user_sgpr_kernarg_preload_length 0
		.amdhsa_user_sgpr_kernarg_preload_offset 0
		.amdhsa_user_sgpr_private_segment_size 0
		.amdhsa_uses_dynamic_stack 0
		.amdhsa_system_sgpr_private_segment_wavefront_offset 0
		.amdhsa_system_sgpr_workgroup_id_x 1
		.amdhsa_system_sgpr_workgroup_id_y 0
		.amdhsa_system_sgpr_workgroup_id_z 0
		.amdhsa_system_sgpr_workgroup_info 0
		.amdhsa_system_vgpr_workitem_id 0
		.amdhsa_next_free_vgpr 1
		.amdhsa_next_free_sgpr 0
		.amdhsa_accum_offset 4
		.amdhsa_reserve_vcc 0
		.amdhsa_reserve_flat_scratch 0
		.amdhsa_float_round_mode_32 0
		.amdhsa_float_round_mode_16_64 0
		.amdhsa_float_denorm_mode_32 3
		.amdhsa_float_denorm_mode_16_64 3
		.amdhsa_dx10_clamp 1
		.amdhsa_ieee_mode 1
		.amdhsa_fp16_overflow 0
		.amdhsa_tg_split 0
		.amdhsa_exception_fp_ieee_invalid_op 0
		.amdhsa_exception_fp_denorm_src 0
		.amdhsa_exception_fp_ieee_div_zero 0
		.amdhsa_exception_fp_ieee_overflow 0
		.amdhsa_exception_fp_ieee_underflow 0
		.amdhsa_exception_fp_ieee_inexact 0
		.amdhsa_exception_int_div_zero 0
	.end_amdhsa_kernel
	.section	.text._ZN7rocprim17ROCPRIM_400000_NS6detail17trampoline_kernelINS0_14default_configENS1_25partition_config_selectorILNS1_17partition_subalgoE8EaNS0_10empty_typeEbEEZZNS1_14partition_implILS5_8ELb0ES3_jPKaPS6_PKS6_NS0_5tupleIJPaS6_EEENSE_IJSB_SB_EEENS0_18inequality_wrapperIN6hipcub16HIPCUB_304000_NS8EqualityEEEPlJS6_EEE10hipError_tPvRmT3_T4_T5_T6_T7_T9_mT8_P12ihipStream_tbDpT10_ENKUlT_T0_E_clISt17integral_constantIbLb1EES17_EEDaS12_S13_EUlS12_E_NS1_11comp_targetILNS1_3genE8ELNS1_11target_archE1030ELNS1_3gpuE2ELNS1_3repE0EEENS1_30default_config_static_selectorELNS0_4arch9wavefront6targetE1EEEvT1_,"axG",@progbits,_ZN7rocprim17ROCPRIM_400000_NS6detail17trampoline_kernelINS0_14default_configENS1_25partition_config_selectorILNS1_17partition_subalgoE8EaNS0_10empty_typeEbEEZZNS1_14partition_implILS5_8ELb0ES3_jPKaPS6_PKS6_NS0_5tupleIJPaS6_EEENSE_IJSB_SB_EEENS0_18inequality_wrapperIN6hipcub16HIPCUB_304000_NS8EqualityEEEPlJS6_EEE10hipError_tPvRmT3_T4_T5_T6_T7_T9_mT8_P12ihipStream_tbDpT10_ENKUlT_T0_E_clISt17integral_constantIbLb1EES17_EEDaS12_S13_EUlS12_E_NS1_11comp_targetILNS1_3genE8ELNS1_11target_archE1030ELNS1_3gpuE2ELNS1_3repE0EEENS1_30default_config_static_selectorELNS0_4arch9wavefront6targetE1EEEvT1_,comdat
.Lfunc_end218:
	.size	_ZN7rocprim17ROCPRIM_400000_NS6detail17trampoline_kernelINS0_14default_configENS1_25partition_config_selectorILNS1_17partition_subalgoE8EaNS0_10empty_typeEbEEZZNS1_14partition_implILS5_8ELb0ES3_jPKaPS6_PKS6_NS0_5tupleIJPaS6_EEENSE_IJSB_SB_EEENS0_18inequality_wrapperIN6hipcub16HIPCUB_304000_NS8EqualityEEEPlJS6_EEE10hipError_tPvRmT3_T4_T5_T6_T7_T9_mT8_P12ihipStream_tbDpT10_ENKUlT_T0_E_clISt17integral_constantIbLb1EES17_EEDaS12_S13_EUlS12_E_NS1_11comp_targetILNS1_3genE8ELNS1_11target_archE1030ELNS1_3gpuE2ELNS1_3repE0EEENS1_30default_config_static_selectorELNS0_4arch9wavefront6targetE1EEEvT1_, .Lfunc_end218-_ZN7rocprim17ROCPRIM_400000_NS6detail17trampoline_kernelINS0_14default_configENS1_25partition_config_selectorILNS1_17partition_subalgoE8EaNS0_10empty_typeEbEEZZNS1_14partition_implILS5_8ELb0ES3_jPKaPS6_PKS6_NS0_5tupleIJPaS6_EEENSE_IJSB_SB_EEENS0_18inequality_wrapperIN6hipcub16HIPCUB_304000_NS8EqualityEEEPlJS6_EEE10hipError_tPvRmT3_T4_T5_T6_T7_T9_mT8_P12ihipStream_tbDpT10_ENKUlT_T0_E_clISt17integral_constantIbLb1EES17_EEDaS12_S13_EUlS12_E_NS1_11comp_targetILNS1_3genE8ELNS1_11target_archE1030ELNS1_3gpuE2ELNS1_3repE0EEENS1_30default_config_static_selectorELNS0_4arch9wavefront6targetE1EEEvT1_
                                        ; -- End function
	.section	.AMDGPU.csdata,"",@progbits
; Kernel info:
; codeLenInByte = 0
; NumSgprs: 4
; NumVgprs: 0
; NumAgprs: 0
; TotalNumVgprs: 0
; ScratchSize: 0
; MemoryBound: 0
; FloatMode: 240
; IeeeMode: 1
; LDSByteSize: 0 bytes/workgroup (compile time only)
; SGPRBlocks: 0
; VGPRBlocks: 0
; NumSGPRsForWavesPerEU: 4
; NumVGPRsForWavesPerEU: 1
; AccumOffset: 4
; Occupancy: 8
; WaveLimiterHint : 0
; COMPUTE_PGM_RSRC2:SCRATCH_EN: 0
; COMPUTE_PGM_RSRC2:USER_SGPR: 6
; COMPUTE_PGM_RSRC2:TRAP_HANDLER: 0
; COMPUTE_PGM_RSRC2:TGID_X_EN: 1
; COMPUTE_PGM_RSRC2:TGID_Y_EN: 0
; COMPUTE_PGM_RSRC2:TGID_Z_EN: 0
; COMPUTE_PGM_RSRC2:TIDIG_COMP_CNT: 0
; COMPUTE_PGM_RSRC3_GFX90A:ACCUM_OFFSET: 0
; COMPUTE_PGM_RSRC3_GFX90A:TG_SPLIT: 0
	.section	.text._ZN7rocprim17ROCPRIM_400000_NS6detail17trampoline_kernelINS0_14default_configENS1_25partition_config_selectorILNS1_17partition_subalgoE8EaNS0_10empty_typeEbEEZZNS1_14partition_implILS5_8ELb0ES3_jPKaPS6_PKS6_NS0_5tupleIJPaS6_EEENSE_IJSB_SB_EEENS0_18inequality_wrapperIN6hipcub16HIPCUB_304000_NS8EqualityEEEPlJS6_EEE10hipError_tPvRmT3_T4_T5_T6_T7_T9_mT8_P12ihipStream_tbDpT10_ENKUlT_T0_E_clISt17integral_constantIbLb1EES16_IbLb0EEEEDaS12_S13_EUlS12_E_NS1_11comp_targetILNS1_3genE0ELNS1_11target_archE4294967295ELNS1_3gpuE0ELNS1_3repE0EEENS1_30default_config_static_selectorELNS0_4arch9wavefront6targetE1EEEvT1_,"axG",@progbits,_ZN7rocprim17ROCPRIM_400000_NS6detail17trampoline_kernelINS0_14default_configENS1_25partition_config_selectorILNS1_17partition_subalgoE8EaNS0_10empty_typeEbEEZZNS1_14partition_implILS5_8ELb0ES3_jPKaPS6_PKS6_NS0_5tupleIJPaS6_EEENSE_IJSB_SB_EEENS0_18inequality_wrapperIN6hipcub16HIPCUB_304000_NS8EqualityEEEPlJS6_EEE10hipError_tPvRmT3_T4_T5_T6_T7_T9_mT8_P12ihipStream_tbDpT10_ENKUlT_T0_E_clISt17integral_constantIbLb1EES16_IbLb0EEEEDaS12_S13_EUlS12_E_NS1_11comp_targetILNS1_3genE0ELNS1_11target_archE4294967295ELNS1_3gpuE0ELNS1_3repE0EEENS1_30default_config_static_selectorELNS0_4arch9wavefront6targetE1EEEvT1_,comdat
	.protected	_ZN7rocprim17ROCPRIM_400000_NS6detail17trampoline_kernelINS0_14default_configENS1_25partition_config_selectorILNS1_17partition_subalgoE8EaNS0_10empty_typeEbEEZZNS1_14partition_implILS5_8ELb0ES3_jPKaPS6_PKS6_NS0_5tupleIJPaS6_EEENSE_IJSB_SB_EEENS0_18inequality_wrapperIN6hipcub16HIPCUB_304000_NS8EqualityEEEPlJS6_EEE10hipError_tPvRmT3_T4_T5_T6_T7_T9_mT8_P12ihipStream_tbDpT10_ENKUlT_T0_E_clISt17integral_constantIbLb1EES16_IbLb0EEEEDaS12_S13_EUlS12_E_NS1_11comp_targetILNS1_3genE0ELNS1_11target_archE4294967295ELNS1_3gpuE0ELNS1_3repE0EEENS1_30default_config_static_selectorELNS0_4arch9wavefront6targetE1EEEvT1_ ; -- Begin function _ZN7rocprim17ROCPRIM_400000_NS6detail17trampoline_kernelINS0_14default_configENS1_25partition_config_selectorILNS1_17partition_subalgoE8EaNS0_10empty_typeEbEEZZNS1_14partition_implILS5_8ELb0ES3_jPKaPS6_PKS6_NS0_5tupleIJPaS6_EEENSE_IJSB_SB_EEENS0_18inequality_wrapperIN6hipcub16HIPCUB_304000_NS8EqualityEEEPlJS6_EEE10hipError_tPvRmT3_T4_T5_T6_T7_T9_mT8_P12ihipStream_tbDpT10_ENKUlT_T0_E_clISt17integral_constantIbLb1EES16_IbLb0EEEEDaS12_S13_EUlS12_E_NS1_11comp_targetILNS1_3genE0ELNS1_11target_archE4294967295ELNS1_3gpuE0ELNS1_3repE0EEENS1_30default_config_static_selectorELNS0_4arch9wavefront6targetE1EEEvT1_
	.globl	_ZN7rocprim17ROCPRIM_400000_NS6detail17trampoline_kernelINS0_14default_configENS1_25partition_config_selectorILNS1_17partition_subalgoE8EaNS0_10empty_typeEbEEZZNS1_14partition_implILS5_8ELb0ES3_jPKaPS6_PKS6_NS0_5tupleIJPaS6_EEENSE_IJSB_SB_EEENS0_18inequality_wrapperIN6hipcub16HIPCUB_304000_NS8EqualityEEEPlJS6_EEE10hipError_tPvRmT3_T4_T5_T6_T7_T9_mT8_P12ihipStream_tbDpT10_ENKUlT_T0_E_clISt17integral_constantIbLb1EES16_IbLb0EEEEDaS12_S13_EUlS12_E_NS1_11comp_targetILNS1_3genE0ELNS1_11target_archE4294967295ELNS1_3gpuE0ELNS1_3repE0EEENS1_30default_config_static_selectorELNS0_4arch9wavefront6targetE1EEEvT1_
	.p2align	8
	.type	_ZN7rocprim17ROCPRIM_400000_NS6detail17trampoline_kernelINS0_14default_configENS1_25partition_config_selectorILNS1_17partition_subalgoE8EaNS0_10empty_typeEbEEZZNS1_14partition_implILS5_8ELb0ES3_jPKaPS6_PKS6_NS0_5tupleIJPaS6_EEENSE_IJSB_SB_EEENS0_18inequality_wrapperIN6hipcub16HIPCUB_304000_NS8EqualityEEEPlJS6_EEE10hipError_tPvRmT3_T4_T5_T6_T7_T9_mT8_P12ihipStream_tbDpT10_ENKUlT_T0_E_clISt17integral_constantIbLb1EES16_IbLb0EEEEDaS12_S13_EUlS12_E_NS1_11comp_targetILNS1_3genE0ELNS1_11target_archE4294967295ELNS1_3gpuE0ELNS1_3repE0EEENS1_30default_config_static_selectorELNS0_4arch9wavefront6targetE1EEEvT1_,@function
_ZN7rocprim17ROCPRIM_400000_NS6detail17trampoline_kernelINS0_14default_configENS1_25partition_config_selectorILNS1_17partition_subalgoE8EaNS0_10empty_typeEbEEZZNS1_14partition_implILS5_8ELb0ES3_jPKaPS6_PKS6_NS0_5tupleIJPaS6_EEENSE_IJSB_SB_EEENS0_18inequality_wrapperIN6hipcub16HIPCUB_304000_NS8EqualityEEEPlJS6_EEE10hipError_tPvRmT3_T4_T5_T6_T7_T9_mT8_P12ihipStream_tbDpT10_ENKUlT_T0_E_clISt17integral_constantIbLb1EES16_IbLb0EEEEDaS12_S13_EUlS12_E_NS1_11comp_targetILNS1_3genE0ELNS1_11target_archE4294967295ELNS1_3gpuE0ELNS1_3repE0EEENS1_30default_config_static_selectorELNS0_4arch9wavefront6targetE1EEEvT1_: ; @_ZN7rocprim17ROCPRIM_400000_NS6detail17trampoline_kernelINS0_14default_configENS1_25partition_config_selectorILNS1_17partition_subalgoE8EaNS0_10empty_typeEbEEZZNS1_14partition_implILS5_8ELb0ES3_jPKaPS6_PKS6_NS0_5tupleIJPaS6_EEENSE_IJSB_SB_EEENS0_18inequality_wrapperIN6hipcub16HIPCUB_304000_NS8EqualityEEEPlJS6_EEE10hipError_tPvRmT3_T4_T5_T6_T7_T9_mT8_P12ihipStream_tbDpT10_ENKUlT_T0_E_clISt17integral_constantIbLb1EES16_IbLb0EEEEDaS12_S13_EUlS12_E_NS1_11comp_targetILNS1_3genE0ELNS1_11target_archE4294967295ELNS1_3gpuE0ELNS1_3repE0EEENS1_30default_config_static_selectorELNS0_4arch9wavefront6targetE1EEEvT1_
; %bb.0:
	.section	.rodata,"a",@progbits
	.p2align	6, 0x0
	.amdhsa_kernel _ZN7rocprim17ROCPRIM_400000_NS6detail17trampoline_kernelINS0_14default_configENS1_25partition_config_selectorILNS1_17partition_subalgoE8EaNS0_10empty_typeEbEEZZNS1_14partition_implILS5_8ELb0ES3_jPKaPS6_PKS6_NS0_5tupleIJPaS6_EEENSE_IJSB_SB_EEENS0_18inequality_wrapperIN6hipcub16HIPCUB_304000_NS8EqualityEEEPlJS6_EEE10hipError_tPvRmT3_T4_T5_T6_T7_T9_mT8_P12ihipStream_tbDpT10_ENKUlT_T0_E_clISt17integral_constantIbLb1EES16_IbLb0EEEEDaS12_S13_EUlS12_E_NS1_11comp_targetILNS1_3genE0ELNS1_11target_archE4294967295ELNS1_3gpuE0ELNS1_3repE0EEENS1_30default_config_static_selectorELNS0_4arch9wavefront6targetE1EEEvT1_
		.amdhsa_group_segment_fixed_size 0
		.amdhsa_private_segment_fixed_size 0
		.amdhsa_kernarg_size 112
		.amdhsa_user_sgpr_count 6
		.amdhsa_user_sgpr_private_segment_buffer 1
		.amdhsa_user_sgpr_dispatch_ptr 0
		.amdhsa_user_sgpr_queue_ptr 0
		.amdhsa_user_sgpr_kernarg_segment_ptr 1
		.amdhsa_user_sgpr_dispatch_id 0
		.amdhsa_user_sgpr_flat_scratch_init 0
		.amdhsa_user_sgpr_kernarg_preload_length 0
		.amdhsa_user_sgpr_kernarg_preload_offset 0
		.amdhsa_user_sgpr_private_segment_size 0
		.amdhsa_uses_dynamic_stack 0
		.amdhsa_system_sgpr_private_segment_wavefront_offset 0
		.amdhsa_system_sgpr_workgroup_id_x 1
		.amdhsa_system_sgpr_workgroup_id_y 0
		.amdhsa_system_sgpr_workgroup_id_z 0
		.amdhsa_system_sgpr_workgroup_info 0
		.amdhsa_system_vgpr_workitem_id 0
		.amdhsa_next_free_vgpr 1
		.amdhsa_next_free_sgpr 0
		.amdhsa_accum_offset 4
		.amdhsa_reserve_vcc 0
		.amdhsa_reserve_flat_scratch 0
		.amdhsa_float_round_mode_32 0
		.amdhsa_float_round_mode_16_64 0
		.amdhsa_float_denorm_mode_32 3
		.amdhsa_float_denorm_mode_16_64 3
		.amdhsa_dx10_clamp 1
		.amdhsa_ieee_mode 1
		.amdhsa_fp16_overflow 0
		.amdhsa_tg_split 0
		.amdhsa_exception_fp_ieee_invalid_op 0
		.amdhsa_exception_fp_denorm_src 0
		.amdhsa_exception_fp_ieee_div_zero 0
		.amdhsa_exception_fp_ieee_overflow 0
		.amdhsa_exception_fp_ieee_underflow 0
		.amdhsa_exception_fp_ieee_inexact 0
		.amdhsa_exception_int_div_zero 0
	.end_amdhsa_kernel
	.section	.text._ZN7rocprim17ROCPRIM_400000_NS6detail17trampoline_kernelINS0_14default_configENS1_25partition_config_selectorILNS1_17partition_subalgoE8EaNS0_10empty_typeEbEEZZNS1_14partition_implILS5_8ELb0ES3_jPKaPS6_PKS6_NS0_5tupleIJPaS6_EEENSE_IJSB_SB_EEENS0_18inequality_wrapperIN6hipcub16HIPCUB_304000_NS8EqualityEEEPlJS6_EEE10hipError_tPvRmT3_T4_T5_T6_T7_T9_mT8_P12ihipStream_tbDpT10_ENKUlT_T0_E_clISt17integral_constantIbLb1EES16_IbLb0EEEEDaS12_S13_EUlS12_E_NS1_11comp_targetILNS1_3genE0ELNS1_11target_archE4294967295ELNS1_3gpuE0ELNS1_3repE0EEENS1_30default_config_static_selectorELNS0_4arch9wavefront6targetE1EEEvT1_,"axG",@progbits,_ZN7rocprim17ROCPRIM_400000_NS6detail17trampoline_kernelINS0_14default_configENS1_25partition_config_selectorILNS1_17partition_subalgoE8EaNS0_10empty_typeEbEEZZNS1_14partition_implILS5_8ELb0ES3_jPKaPS6_PKS6_NS0_5tupleIJPaS6_EEENSE_IJSB_SB_EEENS0_18inequality_wrapperIN6hipcub16HIPCUB_304000_NS8EqualityEEEPlJS6_EEE10hipError_tPvRmT3_T4_T5_T6_T7_T9_mT8_P12ihipStream_tbDpT10_ENKUlT_T0_E_clISt17integral_constantIbLb1EES16_IbLb0EEEEDaS12_S13_EUlS12_E_NS1_11comp_targetILNS1_3genE0ELNS1_11target_archE4294967295ELNS1_3gpuE0ELNS1_3repE0EEENS1_30default_config_static_selectorELNS0_4arch9wavefront6targetE1EEEvT1_,comdat
.Lfunc_end219:
	.size	_ZN7rocprim17ROCPRIM_400000_NS6detail17trampoline_kernelINS0_14default_configENS1_25partition_config_selectorILNS1_17partition_subalgoE8EaNS0_10empty_typeEbEEZZNS1_14partition_implILS5_8ELb0ES3_jPKaPS6_PKS6_NS0_5tupleIJPaS6_EEENSE_IJSB_SB_EEENS0_18inequality_wrapperIN6hipcub16HIPCUB_304000_NS8EqualityEEEPlJS6_EEE10hipError_tPvRmT3_T4_T5_T6_T7_T9_mT8_P12ihipStream_tbDpT10_ENKUlT_T0_E_clISt17integral_constantIbLb1EES16_IbLb0EEEEDaS12_S13_EUlS12_E_NS1_11comp_targetILNS1_3genE0ELNS1_11target_archE4294967295ELNS1_3gpuE0ELNS1_3repE0EEENS1_30default_config_static_selectorELNS0_4arch9wavefront6targetE1EEEvT1_, .Lfunc_end219-_ZN7rocprim17ROCPRIM_400000_NS6detail17trampoline_kernelINS0_14default_configENS1_25partition_config_selectorILNS1_17partition_subalgoE8EaNS0_10empty_typeEbEEZZNS1_14partition_implILS5_8ELb0ES3_jPKaPS6_PKS6_NS0_5tupleIJPaS6_EEENSE_IJSB_SB_EEENS0_18inequality_wrapperIN6hipcub16HIPCUB_304000_NS8EqualityEEEPlJS6_EEE10hipError_tPvRmT3_T4_T5_T6_T7_T9_mT8_P12ihipStream_tbDpT10_ENKUlT_T0_E_clISt17integral_constantIbLb1EES16_IbLb0EEEEDaS12_S13_EUlS12_E_NS1_11comp_targetILNS1_3genE0ELNS1_11target_archE4294967295ELNS1_3gpuE0ELNS1_3repE0EEENS1_30default_config_static_selectorELNS0_4arch9wavefront6targetE1EEEvT1_
                                        ; -- End function
	.section	.AMDGPU.csdata,"",@progbits
; Kernel info:
; codeLenInByte = 0
; NumSgprs: 4
; NumVgprs: 0
; NumAgprs: 0
; TotalNumVgprs: 0
; ScratchSize: 0
; MemoryBound: 0
; FloatMode: 240
; IeeeMode: 1
; LDSByteSize: 0 bytes/workgroup (compile time only)
; SGPRBlocks: 0
; VGPRBlocks: 0
; NumSGPRsForWavesPerEU: 4
; NumVGPRsForWavesPerEU: 1
; AccumOffset: 4
; Occupancy: 8
; WaveLimiterHint : 0
; COMPUTE_PGM_RSRC2:SCRATCH_EN: 0
; COMPUTE_PGM_RSRC2:USER_SGPR: 6
; COMPUTE_PGM_RSRC2:TRAP_HANDLER: 0
; COMPUTE_PGM_RSRC2:TGID_X_EN: 1
; COMPUTE_PGM_RSRC2:TGID_Y_EN: 0
; COMPUTE_PGM_RSRC2:TGID_Z_EN: 0
; COMPUTE_PGM_RSRC2:TIDIG_COMP_CNT: 0
; COMPUTE_PGM_RSRC3_GFX90A:ACCUM_OFFSET: 0
; COMPUTE_PGM_RSRC3_GFX90A:TG_SPLIT: 0
	.section	.text._ZN7rocprim17ROCPRIM_400000_NS6detail17trampoline_kernelINS0_14default_configENS1_25partition_config_selectorILNS1_17partition_subalgoE8EaNS0_10empty_typeEbEEZZNS1_14partition_implILS5_8ELb0ES3_jPKaPS6_PKS6_NS0_5tupleIJPaS6_EEENSE_IJSB_SB_EEENS0_18inequality_wrapperIN6hipcub16HIPCUB_304000_NS8EqualityEEEPlJS6_EEE10hipError_tPvRmT3_T4_T5_T6_T7_T9_mT8_P12ihipStream_tbDpT10_ENKUlT_T0_E_clISt17integral_constantIbLb1EES16_IbLb0EEEEDaS12_S13_EUlS12_E_NS1_11comp_targetILNS1_3genE5ELNS1_11target_archE942ELNS1_3gpuE9ELNS1_3repE0EEENS1_30default_config_static_selectorELNS0_4arch9wavefront6targetE1EEEvT1_,"axG",@progbits,_ZN7rocprim17ROCPRIM_400000_NS6detail17trampoline_kernelINS0_14default_configENS1_25partition_config_selectorILNS1_17partition_subalgoE8EaNS0_10empty_typeEbEEZZNS1_14partition_implILS5_8ELb0ES3_jPKaPS6_PKS6_NS0_5tupleIJPaS6_EEENSE_IJSB_SB_EEENS0_18inequality_wrapperIN6hipcub16HIPCUB_304000_NS8EqualityEEEPlJS6_EEE10hipError_tPvRmT3_T4_T5_T6_T7_T9_mT8_P12ihipStream_tbDpT10_ENKUlT_T0_E_clISt17integral_constantIbLb1EES16_IbLb0EEEEDaS12_S13_EUlS12_E_NS1_11comp_targetILNS1_3genE5ELNS1_11target_archE942ELNS1_3gpuE9ELNS1_3repE0EEENS1_30default_config_static_selectorELNS0_4arch9wavefront6targetE1EEEvT1_,comdat
	.protected	_ZN7rocprim17ROCPRIM_400000_NS6detail17trampoline_kernelINS0_14default_configENS1_25partition_config_selectorILNS1_17partition_subalgoE8EaNS0_10empty_typeEbEEZZNS1_14partition_implILS5_8ELb0ES3_jPKaPS6_PKS6_NS0_5tupleIJPaS6_EEENSE_IJSB_SB_EEENS0_18inequality_wrapperIN6hipcub16HIPCUB_304000_NS8EqualityEEEPlJS6_EEE10hipError_tPvRmT3_T4_T5_T6_T7_T9_mT8_P12ihipStream_tbDpT10_ENKUlT_T0_E_clISt17integral_constantIbLb1EES16_IbLb0EEEEDaS12_S13_EUlS12_E_NS1_11comp_targetILNS1_3genE5ELNS1_11target_archE942ELNS1_3gpuE9ELNS1_3repE0EEENS1_30default_config_static_selectorELNS0_4arch9wavefront6targetE1EEEvT1_ ; -- Begin function _ZN7rocprim17ROCPRIM_400000_NS6detail17trampoline_kernelINS0_14default_configENS1_25partition_config_selectorILNS1_17partition_subalgoE8EaNS0_10empty_typeEbEEZZNS1_14partition_implILS5_8ELb0ES3_jPKaPS6_PKS6_NS0_5tupleIJPaS6_EEENSE_IJSB_SB_EEENS0_18inequality_wrapperIN6hipcub16HIPCUB_304000_NS8EqualityEEEPlJS6_EEE10hipError_tPvRmT3_T4_T5_T6_T7_T9_mT8_P12ihipStream_tbDpT10_ENKUlT_T0_E_clISt17integral_constantIbLb1EES16_IbLb0EEEEDaS12_S13_EUlS12_E_NS1_11comp_targetILNS1_3genE5ELNS1_11target_archE942ELNS1_3gpuE9ELNS1_3repE0EEENS1_30default_config_static_selectorELNS0_4arch9wavefront6targetE1EEEvT1_
	.globl	_ZN7rocprim17ROCPRIM_400000_NS6detail17trampoline_kernelINS0_14default_configENS1_25partition_config_selectorILNS1_17partition_subalgoE8EaNS0_10empty_typeEbEEZZNS1_14partition_implILS5_8ELb0ES3_jPKaPS6_PKS6_NS0_5tupleIJPaS6_EEENSE_IJSB_SB_EEENS0_18inequality_wrapperIN6hipcub16HIPCUB_304000_NS8EqualityEEEPlJS6_EEE10hipError_tPvRmT3_T4_T5_T6_T7_T9_mT8_P12ihipStream_tbDpT10_ENKUlT_T0_E_clISt17integral_constantIbLb1EES16_IbLb0EEEEDaS12_S13_EUlS12_E_NS1_11comp_targetILNS1_3genE5ELNS1_11target_archE942ELNS1_3gpuE9ELNS1_3repE0EEENS1_30default_config_static_selectorELNS0_4arch9wavefront6targetE1EEEvT1_
	.p2align	8
	.type	_ZN7rocprim17ROCPRIM_400000_NS6detail17trampoline_kernelINS0_14default_configENS1_25partition_config_selectorILNS1_17partition_subalgoE8EaNS0_10empty_typeEbEEZZNS1_14partition_implILS5_8ELb0ES3_jPKaPS6_PKS6_NS0_5tupleIJPaS6_EEENSE_IJSB_SB_EEENS0_18inequality_wrapperIN6hipcub16HIPCUB_304000_NS8EqualityEEEPlJS6_EEE10hipError_tPvRmT3_T4_T5_T6_T7_T9_mT8_P12ihipStream_tbDpT10_ENKUlT_T0_E_clISt17integral_constantIbLb1EES16_IbLb0EEEEDaS12_S13_EUlS12_E_NS1_11comp_targetILNS1_3genE5ELNS1_11target_archE942ELNS1_3gpuE9ELNS1_3repE0EEENS1_30default_config_static_selectorELNS0_4arch9wavefront6targetE1EEEvT1_,@function
_ZN7rocprim17ROCPRIM_400000_NS6detail17trampoline_kernelINS0_14default_configENS1_25partition_config_selectorILNS1_17partition_subalgoE8EaNS0_10empty_typeEbEEZZNS1_14partition_implILS5_8ELb0ES3_jPKaPS6_PKS6_NS0_5tupleIJPaS6_EEENSE_IJSB_SB_EEENS0_18inequality_wrapperIN6hipcub16HIPCUB_304000_NS8EqualityEEEPlJS6_EEE10hipError_tPvRmT3_T4_T5_T6_T7_T9_mT8_P12ihipStream_tbDpT10_ENKUlT_T0_E_clISt17integral_constantIbLb1EES16_IbLb0EEEEDaS12_S13_EUlS12_E_NS1_11comp_targetILNS1_3genE5ELNS1_11target_archE942ELNS1_3gpuE9ELNS1_3repE0EEENS1_30default_config_static_selectorELNS0_4arch9wavefront6targetE1EEEvT1_: ; @_ZN7rocprim17ROCPRIM_400000_NS6detail17trampoline_kernelINS0_14default_configENS1_25partition_config_selectorILNS1_17partition_subalgoE8EaNS0_10empty_typeEbEEZZNS1_14partition_implILS5_8ELb0ES3_jPKaPS6_PKS6_NS0_5tupleIJPaS6_EEENSE_IJSB_SB_EEENS0_18inequality_wrapperIN6hipcub16HIPCUB_304000_NS8EqualityEEEPlJS6_EEE10hipError_tPvRmT3_T4_T5_T6_T7_T9_mT8_P12ihipStream_tbDpT10_ENKUlT_T0_E_clISt17integral_constantIbLb1EES16_IbLb0EEEEDaS12_S13_EUlS12_E_NS1_11comp_targetILNS1_3genE5ELNS1_11target_archE942ELNS1_3gpuE9ELNS1_3repE0EEENS1_30default_config_static_selectorELNS0_4arch9wavefront6targetE1EEEvT1_
; %bb.0:
	.section	.rodata,"a",@progbits
	.p2align	6, 0x0
	.amdhsa_kernel _ZN7rocprim17ROCPRIM_400000_NS6detail17trampoline_kernelINS0_14default_configENS1_25partition_config_selectorILNS1_17partition_subalgoE8EaNS0_10empty_typeEbEEZZNS1_14partition_implILS5_8ELb0ES3_jPKaPS6_PKS6_NS0_5tupleIJPaS6_EEENSE_IJSB_SB_EEENS0_18inequality_wrapperIN6hipcub16HIPCUB_304000_NS8EqualityEEEPlJS6_EEE10hipError_tPvRmT3_T4_T5_T6_T7_T9_mT8_P12ihipStream_tbDpT10_ENKUlT_T0_E_clISt17integral_constantIbLb1EES16_IbLb0EEEEDaS12_S13_EUlS12_E_NS1_11comp_targetILNS1_3genE5ELNS1_11target_archE942ELNS1_3gpuE9ELNS1_3repE0EEENS1_30default_config_static_selectorELNS0_4arch9wavefront6targetE1EEEvT1_
		.amdhsa_group_segment_fixed_size 0
		.amdhsa_private_segment_fixed_size 0
		.amdhsa_kernarg_size 112
		.amdhsa_user_sgpr_count 6
		.amdhsa_user_sgpr_private_segment_buffer 1
		.amdhsa_user_sgpr_dispatch_ptr 0
		.amdhsa_user_sgpr_queue_ptr 0
		.amdhsa_user_sgpr_kernarg_segment_ptr 1
		.amdhsa_user_sgpr_dispatch_id 0
		.amdhsa_user_sgpr_flat_scratch_init 0
		.amdhsa_user_sgpr_kernarg_preload_length 0
		.amdhsa_user_sgpr_kernarg_preload_offset 0
		.amdhsa_user_sgpr_private_segment_size 0
		.amdhsa_uses_dynamic_stack 0
		.amdhsa_system_sgpr_private_segment_wavefront_offset 0
		.amdhsa_system_sgpr_workgroup_id_x 1
		.amdhsa_system_sgpr_workgroup_id_y 0
		.amdhsa_system_sgpr_workgroup_id_z 0
		.amdhsa_system_sgpr_workgroup_info 0
		.amdhsa_system_vgpr_workitem_id 0
		.amdhsa_next_free_vgpr 1
		.amdhsa_next_free_sgpr 0
		.amdhsa_accum_offset 4
		.amdhsa_reserve_vcc 0
		.amdhsa_reserve_flat_scratch 0
		.amdhsa_float_round_mode_32 0
		.amdhsa_float_round_mode_16_64 0
		.amdhsa_float_denorm_mode_32 3
		.amdhsa_float_denorm_mode_16_64 3
		.amdhsa_dx10_clamp 1
		.amdhsa_ieee_mode 1
		.amdhsa_fp16_overflow 0
		.amdhsa_tg_split 0
		.amdhsa_exception_fp_ieee_invalid_op 0
		.amdhsa_exception_fp_denorm_src 0
		.amdhsa_exception_fp_ieee_div_zero 0
		.amdhsa_exception_fp_ieee_overflow 0
		.amdhsa_exception_fp_ieee_underflow 0
		.amdhsa_exception_fp_ieee_inexact 0
		.amdhsa_exception_int_div_zero 0
	.end_amdhsa_kernel
	.section	.text._ZN7rocprim17ROCPRIM_400000_NS6detail17trampoline_kernelINS0_14default_configENS1_25partition_config_selectorILNS1_17partition_subalgoE8EaNS0_10empty_typeEbEEZZNS1_14partition_implILS5_8ELb0ES3_jPKaPS6_PKS6_NS0_5tupleIJPaS6_EEENSE_IJSB_SB_EEENS0_18inequality_wrapperIN6hipcub16HIPCUB_304000_NS8EqualityEEEPlJS6_EEE10hipError_tPvRmT3_T4_T5_T6_T7_T9_mT8_P12ihipStream_tbDpT10_ENKUlT_T0_E_clISt17integral_constantIbLb1EES16_IbLb0EEEEDaS12_S13_EUlS12_E_NS1_11comp_targetILNS1_3genE5ELNS1_11target_archE942ELNS1_3gpuE9ELNS1_3repE0EEENS1_30default_config_static_selectorELNS0_4arch9wavefront6targetE1EEEvT1_,"axG",@progbits,_ZN7rocprim17ROCPRIM_400000_NS6detail17trampoline_kernelINS0_14default_configENS1_25partition_config_selectorILNS1_17partition_subalgoE8EaNS0_10empty_typeEbEEZZNS1_14partition_implILS5_8ELb0ES3_jPKaPS6_PKS6_NS0_5tupleIJPaS6_EEENSE_IJSB_SB_EEENS0_18inequality_wrapperIN6hipcub16HIPCUB_304000_NS8EqualityEEEPlJS6_EEE10hipError_tPvRmT3_T4_T5_T6_T7_T9_mT8_P12ihipStream_tbDpT10_ENKUlT_T0_E_clISt17integral_constantIbLb1EES16_IbLb0EEEEDaS12_S13_EUlS12_E_NS1_11comp_targetILNS1_3genE5ELNS1_11target_archE942ELNS1_3gpuE9ELNS1_3repE0EEENS1_30default_config_static_selectorELNS0_4arch9wavefront6targetE1EEEvT1_,comdat
.Lfunc_end220:
	.size	_ZN7rocprim17ROCPRIM_400000_NS6detail17trampoline_kernelINS0_14default_configENS1_25partition_config_selectorILNS1_17partition_subalgoE8EaNS0_10empty_typeEbEEZZNS1_14partition_implILS5_8ELb0ES3_jPKaPS6_PKS6_NS0_5tupleIJPaS6_EEENSE_IJSB_SB_EEENS0_18inequality_wrapperIN6hipcub16HIPCUB_304000_NS8EqualityEEEPlJS6_EEE10hipError_tPvRmT3_T4_T5_T6_T7_T9_mT8_P12ihipStream_tbDpT10_ENKUlT_T0_E_clISt17integral_constantIbLb1EES16_IbLb0EEEEDaS12_S13_EUlS12_E_NS1_11comp_targetILNS1_3genE5ELNS1_11target_archE942ELNS1_3gpuE9ELNS1_3repE0EEENS1_30default_config_static_selectorELNS0_4arch9wavefront6targetE1EEEvT1_, .Lfunc_end220-_ZN7rocprim17ROCPRIM_400000_NS6detail17trampoline_kernelINS0_14default_configENS1_25partition_config_selectorILNS1_17partition_subalgoE8EaNS0_10empty_typeEbEEZZNS1_14partition_implILS5_8ELb0ES3_jPKaPS6_PKS6_NS0_5tupleIJPaS6_EEENSE_IJSB_SB_EEENS0_18inequality_wrapperIN6hipcub16HIPCUB_304000_NS8EqualityEEEPlJS6_EEE10hipError_tPvRmT3_T4_T5_T6_T7_T9_mT8_P12ihipStream_tbDpT10_ENKUlT_T0_E_clISt17integral_constantIbLb1EES16_IbLb0EEEEDaS12_S13_EUlS12_E_NS1_11comp_targetILNS1_3genE5ELNS1_11target_archE942ELNS1_3gpuE9ELNS1_3repE0EEENS1_30default_config_static_selectorELNS0_4arch9wavefront6targetE1EEEvT1_
                                        ; -- End function
	.section	.AMDGPU.csdata,"",@progbits
; Kernel info:
; codeLenInByte = 0
; NumSgprs: 4
; NumVgprs: 0
; NumAgprs: 0
; TotalNumVgprs: 0
; ScratchSize: 0
; MemoryBound: 0
; FloatMode: 240
; IeeeMode: 1
; LDSByteSize: 0 bytes/workgroup (compile time only)
; SGPRBlocks: 0
; VGPRBlocks: 0
; NumSGPRsForWavesPerEU: 4
; NumVGPRsForWavesPerEU: 1
; AccumOffset: 4
; Occupancy: 8
; WaveLimiterHint : 0
; COMPUTE_PGM_RSRC2:SCRATCH_EN: 0
; COMPUTE_PGM_RSRC2:USER_SGPR: 6
; COMPUTE_PGM_RSRC2:TRAP_HANDLER: 0
; COMPUTE_PGM_RSRC2:TGID_X_EN: 1
; COMPUTE_PGM_RSRC2:TGID_Y_EN: 0
; COMPUTE_PGM_RSRC2:TGID_Z_EN: 0
; COMPUTE_PGM_RSRC2:TIDIG_COMP_CNT: 0
; COMPUTE_PGM_RSRC3_GFX90A:ACCUM_OFFSET: 0
; COMPUTE_PGM_RSRC3_GFX90A:TG_SPLIT: 0
	.section	.text._ZN7rocprim17ROCPRIM_400000_NS6detail17trampoline_kernelINS0_14default_configENS1_25partition_config_selectorILNS1_17partition_subalgoE8EaNS0_10empty_typeEbEEZZNS1_14partition_implILS5_8ELb0ES3_jPKaPS6_PKS6_NS0_5tupleIJPaS6_EEENSE_IJSB_SB_EEENS0_18inequality_wrapperIN6hipcub16HIPCUB_304000_NS8EqualityEEEPlJS6_EEE10hipError_tPvRmT3_T4_T5_T6_T7_T9_mT8_P12ihipStream_tbDpT10_ENKUlT_T0_E_clISt17integral_constantIbLb1EES16_IbLb0EEEEDaS12_S13_EUlS12_E_NS1_11comp_targetILNS1_3genE4ELNS1_11target_archE910ELNS1_3gpuE8ELNS1_3repE0EEENS1_30default_config_static_selectorELNS0_4arch9wavefront6targetE1EEEvT1_,"axG",@progbits,_ZN7rocprim17ROCPRIM_400000_NS6detail17trampoline_kernelINS0_14default_configENS1_25partition_config_selectorILNS1_17partition_subalgoE8EaNS0_10empty_typeEbEEZZNS1_14partition_implILS5_8ELb0ES3_jPKaPS6_PKS6_NS0_5tupleIJPaS6_EEENSE_IJSB_SB_EEENS0_18inequality_wrapperIN6hipcub16HIPCUB_304000_NS8EqualityEEEPlJS6_EEE10hipError_tPvRmT3_T4_T5_T6_T7_T9_mT8_P12ihipStream_tbDpT10_ENKUlT_T0_E_clISt17integral_constantIbLb1EES16_IbLb0EEEEDaS12_S13_EUlS12_E_NS1_11comp_targetILNS1_3genE4ELNS1_11target_archE910ELNS1_3gpuE8ELNS1_3repE0EEENS1_30default_config_static_selectorELNS0_4arch9wavefront6targetE1EEEvT1_,comdat
	.protected	_ZN7rocprim17ROCPRIM_400000_NS6detail17trampoline_kernelINS0_14default_configENS1_25partition_config_selectorILNS1_17partition_subalgoE8EaNS0_10empty_typeEbEEZZNS1_14partition_implILS5_8ELb0ES3_jPKaPS6_PKS6_NS0_5tupleIJPaS6_EEENSE_IJSB_SB_EEENS0_18inequality_wrapperIN6hipcub16HIPCUB_304000_NS8EqualityEEEPlJS6_EEE10hipError_tPvRmT3_T4_T5_T6_T7_T9_mT8_P12ihipStream_tbDpT10_ENKUlT_T0_E_clISt17integral_constantIbLb1EES16_IbLb0EEEEDaS12_S13_EUlS12_E_NS1_11comp_targetILNS1_3genE4ELNS1_11target_archE910ELNS1_3gpuE8ELNS1_3repE0EEENS1_30default_config_static_selectorELNS0_4arch9wavefront6targetE1EEEvT1_ ; -- Begin function _ZN7rocprim17ROCPRIM_400000_NS6detail17trampoline_kernelINS0_14default_configENS1_25partition_config_selectorILNS1_17partition_subalgoE8EaNS0_10empty_typeEbEEZZNS1_14partition_implILS5_8ELb0ES3_jPKaPS6_PKS6_NS0_5tupleIJPaS6_EEENSE_IJSB_SB_EEENS0_18inequality_wrapperIN6hipcub16HIPCUB_304000_NS8EqualityEEEPlJS6_EEE10hipError_tPvRmT3_T4_T5_T6_T7_T9_mT8_P12ihipStream_tbDpT10_ENKUlT_T0_E_clISt17integral_constantIbLb1EES16_IbLb0EEEEDaS12_S13_EUlS12_E_NS1_11comp_targetILNS1_3genE4ELNS1_11target_archE910ELNS1_3gpuE8ELNS1_3repE0EEENS1_30default_config_static_selectorELNS0_4arch9wavefront6targetE1EEEvT1_
	.globl	_ZN7rocprim17ROCPRIM_400000_NS6detail17trampoline_kernelINS0_14default_configENS1_25partition_config_selectorILNS1_17partition_subalgoE8EaNS0_10empty_typeEbEEZZNS1_14partition_implILS5_8ELb0ES3_jPKaPS6_PKS6_NS0_5tupleIJPaS6_EEENSE_IJSB_SB_EEENS0_18inequality_wrapperIN6hipcub16HIPCUB_304000_NS8EqualityEEEPlJS6_EEE10hipError_tPvRmT3_T4_T5_T6_T7_T9_mT8_P12ihipStream_tbDpT10_ENKUlT_T0_E_clISt17integral_constantIbLb1EES16_IbLb0EEEEDaS12_S13_EUlS12_E_NS1_11comp_targetILNS1_3genE4ELNS1_11target_archE910ELNS1_3gpuE8ELNS1_3repE0EEENS1_30default_config_static_selectorELNS0_4arch9wavefront6targetE1EEEvT1_
	.p2align	8
	.type	_ZN7rocprim17ROCPRIM_400000_NS6detail17trampoline_kernelINS0_14default_configENS1_25partition_config_selectorILNS1_17partition_subalgoE8EaNS0_10empty_typeEbEEZZNS1_14partition_implILS5_8ELb0ES3_jPKaPS6_PKS6_NS0_5tupleIJPaS6_EEENSE_IJSB_SB_EEENS0_18inequality_wrapperIN6hipcub16HIPCUB_304000_NS8EqualityEEEPlJS6_EEE10hipError_tPvRmT3_T4_T5_T6_T7_T9_mT8_P12ihipStream_tbDpT10_ENKUlT_T0_E_clISt17integral_constantIbLb1EES16_IbLb0EEEEDaS12_S13_EUlS12_E_NS1_11comp_targetILNS1_3genE4ELNS1_11target_archE910ELNS1_3gpuE8ELNS1_3repE0EEENS1_30default_config_static_selectorELNS0_4arch9wavefront6targetE1EEEvT1_,@function
_ZN7rocprim17ROCPRIM_400000_NS6detail17trampoline_kernelINS0_14default_configENS1_25partition_config_selectorILNS1_17partition_subalgoE8EaNS0_10empty_typeEbEEZZNS1_14partition_implILS5_8ELb0ES3_jPKaPS6_PKS6_NS0_5tupleIJPaS6_EEENSE_IJSB_SB_EEENS0_18inequality_wrapperIN6hipcub16HIPCUB_304000_NS8EqualityEEEPlJS6_EEE10hipError_tPvRmT3_T4_T5_T6_T7_T9_mT8_P12ihipStream_tbDpT10_ENKUlT_T0_E_clISt17integral_constantIbLb1EES16_IbLb0EEEEDaS12_S13_EUlS12_E_NS1_11comp_targetILNS1_3genE4ELNS1_11target_archE910ELNS1_3gpuE8ELNS1_3repE0EEENS1_30default_config_static_selectorELNS0_4arch9wavefront6targetE1EEEvT1_: ; @_ZN7rocprim17ROCPRIM_400000_NS6detail17trampoline_kernelINS0_14default_configENS1_25partition_config_selectorILNS1_17partition_subalgoE8EaNS0_10empty_typeEbEEZZNS1_14partition_implILS5_8ELb0ES3_jPKaPS6_PKS6_NS0_5tupleIJPaS6_EEENSE_IJSB_SB_EEENS0_18inequality_wrapperIN6hipcub16HIPCUB_304000_NS8EqualityEEEPlJS6_EEE10hipError_tPvRmT3_T4_T5_T6_T7_T9_mT8_P12ihipStream_tbDpT10_ENKUlT_T0_E_clISt17integral_constantIbLb1EES16_IbLb0EEEEDaS12_S13_EUlS12_E_NS1_11comp_targetILNS1_3genE4ELNS1_11target_archE910ELNS1_3gpuE8ELNS1_3repE0EEENS1_30default_config_static_selectorELNS0_4arch9wavefront6targetE1EEEvT1_
; %bb.0:
	s_load_dwordx2 s[8:9], s[4:5], 0x50
	s_load_dwordx4 s[0:3], s[4:5], 0x8
	s_load_dwordx4 s[20:23], s[4:5], 0x40
	s_load_dword s10, s[4:5], 0x68
	v_mov_b32_e32 v1, v0
	s_waitcnt lgkmcnt(0)
	v_mov_b32_e32 v3, s9
	s_add_u32 s9, s0, s2
	s_addc_u32 s14, s1, s3
	s_add_i32 s11, s10, -1
	s_lshl_b32 s0, s11, 12
	s_lshl_b32 s15, s6, 12
	s_add_i32 s7, s2, s0
	s_lshl_b32 s0, s10, 12
	s_add_u32 s0, s2, s0
	s_addc_u32 s1, s3, 0
	v_mov_b32_e32 v2, s8
	s_cmp_eq_u32 s6, s11
	s_load_dwordx2 s[22:23], s[22:23], 0x0
	v_cmp_ge_u64_e32 vcc, s[0:1], v[2:3]
	s_cselect_b64 s[24:25], -1, 0
	s_and_b64 s[12:13], s[24:25], vcc
	s_xor_b64 s[26:27], s[12:13], -1
	s_add_u32 s0, s9, s15
	s_mov_b64 s[10:11], -1
	s_addc_u32 s1, s14, 0
	s_and_b64 vcc, exec, s[26:27]
	s_cbranch_vccz .LBB221_2
; %bb.1:
	global_load_ubyte v2, v0, s[0:1]
	global_load_ubyte v3, v0, s[0:1] offset:128
	global_load_ubyte v4, v0, s[0:1] offset:256
	;; [unrolled: 1-line block ×31, first 2 shown]
	s_mov_b64 s[10:11], 0
	s_waitcnt vmcnt(31)
	ds_write_b8 v0, v2
	s_waitcnt vmcnt(30)
	ds_write_b8 v0, v3 offset:132
	s_waitcnt vmcnt(29)
	ds_write_b8 v0, v4 offset:264
	;; [unrolled: 2-line block ×31, first 2 shown]
	s_waitcnt lgkmcnt(0)
	s_barrier
.LBB221_2:
	s_andn2_b64 vcc, exec, s[10:11]
	s_sub_i32 s7, s8, s7
	s_cbranch_vccnz .LBB221_68
; %bb.3:
	v_cmp_gt_u32_e32 vcc, s7, v0
                                        ; implicit-def: $vgpr2
	s_and_saveexec_b64 s[8:9], vcc
	s_cbranch_execz .LBB221_5
; %bb.4:
	global_load_ubyte v2, v0, s[0:1]
.LBB221_5:
	s_or_b64 exec, exec, s[8:9]
	v_or_b32_e32 v3, 0x80, v0
	v_cmp_gt_u32_e32 vcc, s7, v3
                                        ; implicit-def: $vgpr4
	s_and_saveexec_b64 s[8:9], vcc
	s_cbranch_execz .LBB221_7
; %bb.6:
	global_load_ubyte v4, v0, s[0:1] offset:128
.LBB221_7:
	s_or_b64 exec, exec, s[8:9]
	v_or_b32_e32 v5, 0x100, v0
	v_cmp_gt_u32_e32 vcc, s7, v5
                                        ; implicit-def: $vgpr6
	s_and_saveexec_b64 s[8:9], vcc
	s_cbranch_execz .LBB221_9
; %bb.8:
	global_load_ubyte v6, v0, s[0:1] offset:256
.LBB221_9:
	s_or_b64 exec, exec, s[8:9]
	v_or_b32_e32 v7, 0x180, v0
	v_cmp_gt_u32_e32 vcc, s7, v7
                                        ; implicit-def: $vgpr8
	s_and_saveexec_b64 s[8:9], vcc
	s_cbranch_execz .LBB221_11
; %bb.10:
	global_load_ubyte v8, v0, s[0:1] offset:384
.LBB221_11:
	s_or_b64 exec, exec, s[8:9]
	v_or_b32_e32 v9, 0x200, v0
	v_cmp_gt_u32_e32 vcc, s7, v9
                                        ; implicit-def: $vgpr10
	s_and_saveexec_b64 s[8:9], vcc
	s_cbranch_execz .LBB221_13
; %bb.12:
	global_load_ubyte v10, v0, s[0:1] offset:512
.LBB221_13:
	s_or_b64 exec, exec, s[8:9]
	v_or_b32_e32 v11, 0x280, v0
	v_cmp_gt_u32_e32 vcc, s7, v11
                                        ; implicit-def: $vgpr12
	s_and_saveexec_b64 s[8:9], vcc
	s_cbranch_execz .LBB221_15
; %bb.14:
	global_load_ubyte v12, v0, s[0:1] offset:640
.LBB221_15:
	s_or_b64 exec, exec, s[8:9]
	v_or_b32_e32 v13, 0x300, v0
	v_cmp_gt_u32_e32 vcc, s7, v13
                                        ; implicit-def: $vgpr14
	s_and_saveexec_b64 s[8:9], vcc
	s_cbranch_execz .LBB221_17
; %bb.16:
	global_load_ubyte v14, v0, s[0:1] offset:768
.LBB221_17:
	s_or_b64 exec, exec, s[8:9]
	v_or_b32_e32 v15, 0x380, v0
	v_cmp_gt_u32_e32 vcc, s7, v15
                                        ; implicit-def: $vgpr16
	s_and_saveexec_b64 s[8:9], vcc
	s_cbranch_execz .LBB221_19
; %bb.18:
	global_load_ubyte v16, v0, s[0:1] offset:896
.LBB221_19:
	s_or_b64 exec, exec, s[8:9]
	v_or_b32_e32 v17, 0x400, v0
	v_cmp_gt_u32_e32 vcc, s7, v17
                                        ; implicit-def: $vgpr18
	s_and_saveexec_b64 s[8:9], vcc
	s_cbranch_execz .LBB221_21
; %bb.20:
	global_load_ubyte v18, v0, s[0:1] offset:1024
.LBB221_21:
	s_or_b64 exec, exec, s[8:9]
	v_or_b32_e32 v19, 0x480, v0
	v_cmp_gt_u32_e32 vcc, s7, v19
                                        ; implicit-def: $vgpr20
	s_and_saveexec_b64 s[8:9], vcc
	s_cbranch_execz .LBB221_23
; %bb.22:
	global_load_ubyte v20, v0, s[0:1] offset:1152
.LBB221_23:
	s_or_b64 exec, exec, s[8:9]
	v_or_b32_e32 v21, 0x500, v0
	v_cmp_gt_u32_e32 vcc, s7, v21
                                        ; implicit-def: $vgpr22
	s_and_saveexec_b64 s[8:9], vcc
	s_cbranch_execz .LBB221_25
; %bb.24:
	global_load_ubyte v22, v0, s[0:1] offset:1280
.LBB221_25:
	s_or_b64 exec, exec, s[8:9]
	v_or_b32_e32 v23, 0x580, v0
	v_cmp_gt_u32_e32 vcc, s7, v23
                                        ; implicit-def: $vgpr24
	s_and_saveexec_b64 s[8:9], vcc
	s_cbranch_execz .LBB221_27
; %bb.26:
	global_load_ubyte v24, v0, s[0:1] offset:1408
.LBB221_27:
	s_or_b64 exec, exec, s[8:9]
	v_or_b32_e32 v25, 0x600, v0
	v_cmp_gt_u32_e32 vcc, s7, v25
                                        ; implicit-def: $vgpr26
	s_and_saveexec_b64 s[8:9], vcc
	s_cbranch_execz .LBB221_29
; %bb.28:
	global_load_ubyte v26, v0, s[0:1] offset:1536
.LBB221_29:
	s_or_b64 exec, exec, s[8:9]
	v_or_b32_e32 v27, 0x680, v0
	v_cmp_gt_u32_e32 vcc, s7, v27
                                        ; implicit-def: $vgpr28
	s_and_saveexec_b64 s[8:9], vcc
	s_cbranch_execz .LBB221_31
; %bb.30:
	global_load_ubyte v28, v0, s[0:1] offset:1664
.LBB221_31:
	s_or_b64 exec, exec, s[8:9]
	v_or_b32_e32 v29, 0x700, v0
	v_cmp_gt_u32_e32 vcc, s7, v29
                                        ; implicit-def: $vgpr30
	s_and_saveexec_b64 s[8:9], vcc
	s_cbranch_execz .LBB221_33
; %bb.32:
	global_load_ubyte v30, v0, s[0:1] offset:1792
.LBB221_33:
	s_or_b64 exec, exec, s[8:9]
	v_or_b32_e32 v31, 0x780, v0
	v_cmp_gt_u32_e32 vcc, s7, v31
                                        ; implicit-def: $vgpr32
	s_and_saveexec_b64 s[8:9], vcc
	s_cbranch_execz .LBB221_35
; %bb.34:
	global_load_ubyte v32, v0, s[0:1] offset:1920
.LBB221_35:
	s_or_b64 exec, exec, s[8:9]
	v_or_b32_e32 v33, 0x800, v0
	v_cmp_gt_u32_e32 vcc, s7, v33
                                        ; implicit-def: $vgpr34
	s_and_saveexec_b64 s[8:9], vcc
	s_cbranch_execz .LBB221_37
; %bb.36:
	global_load_ubyte v34, v0, s[0:1] offset:2048
.LBB221_37:
	s_or_b64 exec, exec, s[8:9]
	v_or_b32_e32 v35, 0x880, v0
	v_cmp_gt_u32_e32 vcc, s7, v35
                                        ; implicit-def: $vgpr36
	s_and_saveexec_b64 s[8:9], vcc
	s_cbranch_execz .LBB221_39
; %bb.38:
	global_load_ubyte v36, v0, s[0:1] offset:2176
.LBB221_39:
	s_or_b64 exec, exec, s[8:9]
	v_or_b32_e32 v37, 0x900, v0
	v_cmp_gt_u32_e32 vcc, s7, v37
                                        ; implicit-def: $vgpr38
	s_and_saveexec_b64 s[8:9], vcc
	s_cbranch_execz .LBB221_41
; %bb.40:
	global_load_ubyte v38, v0, s[0:1] offset:2304
.LBB221_41:
	s_or_b64 exec, exec, s[8:9]
	v_or_b32_e32 v39, 0x980, v0
	v_cmp_gt_u32_e32 vcc, s7, v39
                                        ; implicit-def: $vgpr40
	s_and_saveexec_b64 s[8:9], vcc
	s_cbranch_execz .LBB221_43
; %bb.42:
	global_load_ubyte v40, v0, s[0:1] offset:2432
.LBB221_43:
	s_or_b64 exec, exec, s[8:9]
	v_or_b32_e32 v41, 0xa00, v0
	v_cmp_gt_u32_e32 vcc, s7, v41
                                        ; implicit-def: $vgpr42
	s_and_saveexec_b64 s[8:9], vcc
	s_cbranch_execz .LBB221_45
; %bb.44:
	global_load_ubyte v42, v0, s[0:1] offset:2560
.LBB221_45:
	s_or_b64 exec, exec, s[8:9]
	v_or_b32_e32 v43, 0xa80, v0
	v_cmp_gt_u32_e32 vcc, s7, v43
                                        ; implicit-def: $vgpr44
	s_and_saveexec_b64 s[8:9], vcc
	s_cbranch_execz .LBB221_47
; %bb.46:
	global_load_ubyte v44, v0, s[0:1] offset:2688
.LBB221_47:
	s_or_b64 exec, exec, s[8:9]
	v_or_b32_e32 v45, 0xb00, v0
	v_cmp_gt_u32_e32 vcc, s7, v45
                                        ; implicit-def: $vgpr46
	s_and_saveexec_b64 s[8:9], vcc
	s_cbranch_execz .LBB221_49
; %bb.48:
	global_load_ubyte v46, v0, s[0:1] offset:2816
.LBB221_49:
	s_or_b64 exec, exec, s[8:9]
	v_or_b32_e32 v47, 0xb80, v0
	v_cmp_gt_u32_e32 vcc, s7, v47
                                        ; implicit-def: $vgpr48
	s_and_saveexec_b64 s[8:9], vcc
	s_cbranch_execz .LBB221_51
; %bb.50:
	global_load_ubyte v48, v0, s[0:1] offset:2944
.LBB221_51:
	s_or_b64 exec, exec, s[8:9]
	v_or_b32_e32 v49, 0xc00, v0
	v_cmp_gt_u32_e32 vcc, s7, v49
                                        ; implicit-def: $vgpr50
	s_and_saveexec_b64 s[8:9], vcc
	s_cbranch_execz .LBB221_53
; %bb.52:
	global_load_ubyte v50, v0, s[0:1] offset:3072
.LBB221_53:
	s_or_b64 exec, exec, s[8:9]
	v_or_b32_e32 v51, 0xc80, v0
	v_cmp_gt_u32_e32 vcc, s7, v51
                                        ; implicit-def: $vgpr52
	s_and_saveexec_b64 s[8:9], vcc
	s_cbranch_execz .LBB221_55
; %bb.54:
	global_load_ubyte v52, v0, s[0:1] offset:3200
.LBB221_55:
	s_or_b64 exec, exec, s[8:9]
	v_or_b32_e32 v53, 0xd00, v0
	v_cmp_gt_u32_e32 vcc, s7, v53
                                        ; implicit-def: $vgpr54
	s_and_saveexec_b64 s[8:9], vcc
	s_cbranch_execz .LBB221_57
; %bb.56:
	global_load_ubyte v54, v0, s[0:1] offset:3328
.LBB221_57:
	s_or_b64 exec, exec, s[8:9]
	v_or_b32_e32 v55, 0xd80, v0
	v_cmp_gt_u32_e32 vcc, s7, v55
                                        ; implicit-def: $vgpr56
	s_and_saveexec_b64 s[8:9], vcc
	s_cbranch_execz .LBB221_59
; %bb.58:
	global_load_ubyte v56, v0, s[0:1] offset:3456
.LBB221_59:
	s_or_b64 exec, exec, s[8:9]
	v_or_b32_e32 v57, 0xe00, v0
	v_cmp_gt_u32_e32 vcc, s7, v57
                                        ; implicit-def: $vgpr58
	s_and_saveexec_b64 s[8:9], vcc
	s_cbranch_execz .LBB221_61
; %bb.60:
	global_load_ubyte v58, v0, s[0:1] offset:3584
.LBB221_61:
	s_or_b64 exec, exec, s[8:9]
	v_or_b32_e32 v59, 0xe80, v0
	v_cmp_gt_u32_e32 vcc, s7, v59
                                        ; implicit-def: $vgpr60
	s_and_saveexec_b64 s[8:9], vcc
	s_cbranch_execz .LBB221_63
; %bb.62:
	global_load_ubyte v60, v0, s[0:1] offset:3712
.LBB221_63:
	s_or_b64 exec, exec, s[8:9]
	v_or_b32_e32 v61, 0xf00, v0
	v_cmp_gt_u32_e32 vcc, s7, v61
                                        ; implicit-def: $vgpr62
	s_and_saveexec_b64 s[8:9], vcc
	s_cbranch_execz .LBB221_65
; %bb.64:
	global_load_ubyte v62, v0, s[0:1] offset:3840
.LBB221_65:
	s_or_b64 exec, exec, s[8:9]
	v_or_b32_e32 v63, 0xf80, v0
	v_cmp_gt_u32_e32 vcc, s7, v63
                                        ; implicit-def: $vgpr64
	s_and_saveexec_b64 s[8:9], vcc
	s_cbranch_execz .LBB221_67
; %bb.66:
	global_load_ubyte v64, v0, s[0:1] offset:3968
.LBB221_67:
	s_or_b64 exec, exec, s[8:9]
	s_waitcnt vmcnt(0)
	ds_write_b8 v0, v2
	v_lshrrev_b32_e32 v2, 5, v3
	v_and_b32_e32 v2, 4, v2
	v_add_u32_e32 v2, v0, v2
	ds_write_b8 v2, v4 offset:128
	v_lshrrev_b32_e32 v2, 5, v5
	v_and_b32_e32 v2, 12, v2
	v_add_u32_e32 v2, v0, v2
	ds_write_b8 v2, v6 offset:256
	;; [unrolled: 4-line block ×31, first 2 shown]
	s_waitcnt lgkmcnt(0)
	s_barrier
.LBB221_68:
	v_lshlrev_b32_e32 v10, 5, v0
	v_and_b32_e32 v2, 0x7c, v0
	v_add_u32_e32 v4, v2, v10
	s_waitcnt lgkmcnt(0)
	ds_read2_b32 v[2:3], v4 offset0:6 offset1:7
	ds_read2_b32 v[8:9], v4 offset1:1
	ds_read2_b32 v[6:7], v4 offset0:2 offset1:3
	ds_read2_b32 v[4:5], v4 offset0:4 offset1:5
	s_cmp_lg_u32 s6, 0
	s_cselect_b64 s[16:17], -1, 0
	s_cmp_lg_u64 s[2:3], 0
	s_cselect_b64 s[2:3], -1, 0
	s_or_b64 s[2:3], s[16:17], s[2:3]
	s_waitcnt lgkmcnt(3)
	v_lshrrev_b32_e32 v25, 8, v2
	v_lshrrev_b32_e32 v24, 16, v2
	v_lshrrev_b32_e32 v23, 24, v2
	v_lshrrev_b32_e32 v22, 8, v3
	v_lshrrev_b32_e32 v21, 16, v3
	v_lshrrev_b32_e32 v20, 24, v3
	s_waitcnt lgkmcnt(2)
	v_lshrrev_b32_e32 v50, 8, v8
	v_lshrrev_b32_e32 v48, 16, v8
	v_lshrrev_b32_e32 v47, 24, v8
	v_lshrrev_b32_e32 v45, 8, v9
	v_lshrrev_b32_e32 v43, 16, v9
	v_lshrrev_b32_e32 v42, 24, v9
	;; [unrolled: 7-line block ×4, first 2 shown]
	s_mov_b64 s[14:15], 0
	s_and_b64 vcc, exec, s[2:3]
	s_barrier
	s_cbranch_vccz .LBB221_73
; %bb.69:
	v_mov_b32_e32 v11, 0
	global_load_ubyte v11, v11, s[0:1] offset:-1
	s_and_b64 vcc, exec, s[26:27]
	ds_write_b8 v0, v20
	s_cbranch_vccz .LBB221_75
; %bb.70:
	v_cmp_ne_u32_e32 vcc, 0, v0
	s_waitcnt vmcnt(0)
	v_mov_b32_e32 v12, v11
	s_waitcnt lgkmcnt(0)
	s_barrier
	s_and_saveexec_b64 s[0:1], vcc
	s_cbranch_execz .LBB221_72
; %bb.71:
	v_add_u32_e32 v12, -1, v0
	ds_read_u8 v12, v12
.LBB221_72:
	s_or_b64 exec, exec, s[0:1]
	v_cmp_ne_u16_sdwa s[0:1], v21, v20 src0_sel:BYTE_0 src1_sel:DWORD
	v_cndmask_b32_e64 v34, 0, 1, s[0:1]
	v_cmp_ne_u16_sdwa s[0:1], v22, v21 src0_sel:BYTE_0 src1_sel:BYTE_0
	v_cndmask_b32_e64 v36, 0, 1, s[0:1]
	v_cmp_ne_u16_sdwa s[0:1], v3, v22 src0_sel:BYTE_0 src1_sel:BYTE_0
	v_cndmask_b32_e64 v39, 0, 1, s[0:1]
	v_cmp_ne_u16_sdwa s[0:1], v23, v3 src0_sel:DWORD src1_sel:BYTE_0
	v_cndmask_b32_e64 v41, 0, 1, s[0:1]
	v_cmp_ne_u16_sdwa s[0:1], v24, v23 src0_sel:BYTE_0 src1_sel:DWORD
	v_cndmask_b32_e64 v44, 0, 1, s[0:1]
	v_cmp_ne_u16_sdwa s[0:1], v25, v24 src0_sel:BYTE_0 src1_sel:BYTE_0
	v_cndmask_b32_e64 v46, 0, 1, s[0:1]
	v_cmp_ne_u16_sdwa s[0:1], v2, v25 src0_sel:BYTE_0 src1_sel:BYTE_0
	v_cndmask_b32_e64 v49, 0, 1, s[0:1]
	v_cmp_ne_u16_sdwa s[0:1], v26, v2 src0_sel:DWORD src1_sel:BYTE_0
	v_cndmask_b32_e64 v51, 0, 1, s[0:1]
	;; [unrolled: 8-line block ×7, first 2 shown]
	v_cmp_ne_u16_sdwa s[0:1], v48, v47 src0_sel:BYTE_0 src1_sel:DWORD
	v_cndmask_b32_e64 v72, 0, 1, s[0:1]
	v_cmp_ne_u16_sdwa s[0:1], v50, v48 src0_sel:BYTE_0 src1_sel:BYTE_0
	v_cndmask_b32_e64 v73, 0, 1, s[0:1]
	v_cmp_ne_u16_sdwa s[0:1], v8, v50 src0_sel:BYTE_0 src1_sel:BYTE_0
	v_cndmask_b32_e64 v74, 0, 1, s[0:1]
	s_waitcnt lgkmcnt(0)
	v_cmp_ne_u16_sdwa s[18:19], v12, v8 src0_sel:BYTE_0 src1_sel:BYTE_0
	s_branch .LBB221_79
.LBB221_73:
                                        ; implicit-def: $sgpr18_sgpr19
                                        ; implicit-def: $vgpr74
                                        ; implicit-def: $vgpr73
                                        ; implicit-def: $vgpr72
                                        ; implicit-def: $vgpr71
                                        ; implicit-def: $vgpr70
                                        ; implicit-def: $vgpr69
                                        ; implicit-def: $vgpr68
                                        ; implicit-def: $vgpr67
                                        ; implicit-def: $vgpr66
                                        ; implicit-def: $vgpr65
                                        ; implicit-def: $vgpr64
                                        ; implicit-def: $vgpr63
                                        ; implicit-def: $vgpr62
                                        ; implicit-def: $vgpr61
                                        ; implicit-def: $vgpr60
                                        ; implicit-def: $vgpr59
                                        ; implicit-def: $vgpr58
                                        ; implicit-def: $vgpr57
                                        ; implicit-def: $vgpr56
                                        ; implicit-def: $vgpr55
                                        ; implicit-def: $vgpr54
                                        ; implicit-def: $vgpr53
                                        ; implicit-def: $vgpr52
                                        ; implicit-def: $vgpr51
                                        ; implicit-def: $vgpr49
                                        ; implicit-def: $vgpr46
                                        ; implicit-def: $vgpr44
                                        ; implicit-def: $vgpr41
                                        ; implicit-def: $vgpr39
                                        ; implicit-def: $vgpr36
                                        ; implicit-def: $vgpr34
	s_branch .LBB221_80
.LBB221_74:
                                        ; implicit-def: $sgpr28
	v_mov_b32_e32 v75, s28
	s_and_saveexec_b64 s[0:1], s[14:15]
	s_cbranch_execnz .LBB221_88
	s_branch .LBB221_89
.LBB221_75:
                                        ; implicit-def: $sgpr18_sgpr19
                                        ; implicit-def: $vgpr74
                                        ; implicit-def: $vgpr73
                                        ; implicit-def: $vgpr72
                                        ; implicit-def: $vgpr71
                                        ; implicit-def: $vgpr70
                                        ; implicit-def: $vgpr69
                                        ; implicit-def: $vgpr68
                                        ; implicit-def: $vgpr67
                                        ; implicit-def: $vgpr66
                                        ; implicit-def: $vgpr65
                                        ; implicit-def: $vgpr64
                                        ; implicit-def: $vgpr63
                                        ; implicit-def: $vgpr62
                                        ; implicit-def: $vgpr61
                                        ; implicit-def: $vgpr60
                                        ; implicit-def: $vgpr59
                                        ; implicit-def: $vgpr58
                                        ; implicit-def: $vgpr57
                                        ; implicit-def: $vgpr56
                                        ; implicit-def: $vgpr55
                                        ; implicit-def: $vgpr54
                                        ; implicit-def: $vgpr53
                                        ; implicit-def: $vgpr52
                                        ; implicit-def: $vgpr51
                                        ; implicit-def: $vgpr49
                                        ; implicit-def: $vgpr46
                                        ; implicit-def: $vgpr44
                                        ; implicit-def: $vgpr41
                                        ; implicit-def: $vgpr39
                                        ; implicit-def: $vgpr36
                                        ; implicit-def: $vgpr34
	s_cbranch_execz .LBB221_79
; %bb.76:
	v_cmp_ne_u32_e32 vcc, 0, v0
	s_waitcnt lgkmcnt(0)
	s_barrier
	s_and_saveexec_b64 s[0:1], vcc
	s_cbranch_execz .LBB221_78
; %bb.77:
	s_waitcnt vmcnt(0)
	v_add_u32_e32 v11, -1, v0
	ds_read_u8 v11, v11
.LBB221_78:
	s_or_b64 exec, exec, s[0:1]
	v_or_b32_e32 v12, 31, v10
	v_cmp_gt_u32_e32 vcc, s7, v12
	v_cmp_ne_u16_sdwa s[0:1], v21, v20 src0_sel:BYTE_0 src1_sel:BYTE_0
	s_and_b64 s[0:1], vcc, s[0:1]
	v_or_b32_e32 v12, 30, v10
	v_cndmask_b32_e64 v34, 0, 1, s[0:1]
	v_cmp_gt_u32_e32 vcc, s7, v12
	v_cmp_ne_u16_sdwa s[0:1], v22, v21 src0_sel:BYTE_0 src1_sel:BYTE_0
	s_and_b64 s[0:1], vcc, s[0:1]
	v_or_b32_e32 v12, 29, v10
	v_cndmask_b32_e64 v36, 0, 1, s[0:1]
	;; [unrolled: 5-line block ×30, first 2 shown]
	v_cmp_gt_u32_e32 vcc, s7, v12
	v_cmp_ne_u16_sdwa s[0:1], v8, v50 src0_sel:BYTE_0 src1_sel:BYTE_0
	s_and_b64 s[0:1], vcc, s[0:1]
	v_cndmask_b32_e64 v74, 0, 1, s[0:1]
	v_cmp_gt_u32_e32 vcc, s7, v10
	s_waitcnt vmcnt(0) lgkmcnt(0)
	v_cmp_ne_u16_sdwa s[0:1], v11, v8 src0_sel:BYTE_0 src1_sel:BYTE_0
	s_and_b64 s[18:19], vcc, s[0:1]
.LBB221_79:
	s_mov_b64 s[14:15], -1
	s_cbranch_execnz .LBB221_74
.LBB221_80:
	s_and_b64 vcc, exec, s[26:27]
	v_cmp_ne_u16_sdwa s[48:49], v22, v21 src0_sel:BYTE_0 src1_sel:BYTE_0
	v_cmp_ne_u16_sdwa s[50:51], v3, v22 src0_sel:BYTE_0 src1_sel:BYTE_0
	;; [unrolled: 1-line block ×16, first 2 shown]
	ds_write_b8 v0, v20
	s_cbranch_vccz .LBB221_84
; %bb.81:
	v_cndmask_b32_e64 v36, 0, 1, s[48:49]
	v_cmp_ne_u16_sdwa s[48:49], v23, v3 src0_sel:DWORD src1_sel:BYTE_0
	v_cndmask_b32_e64 v46, 0, 1, s[44:45]
	v_cmp_ne_u16_sdwa s[44:45], v26, v2 src0_sel:DWORD src1_sel:BYTE_0
	;; [unrolled: 2-line block ×7, first 2 shown]
	v_cmp_ne_u16_sdwa s[52:53], v21, v20 src0_sel:BYTE_0 src1_sel:DWORD
	v_cndmask_b32_e64 v41, 0, 1, s[48:49]
	v_cmp_ne_u16_sdwa s[48:49], v24, v23 src0_sel:BYTE_0 src1_sel:DWORD
	v_cndmask_b32_e64 v51, 0, 1, s[44:45]
	;; [unrolled: 2-line block ×8, first 2 shown]
	v_cndmask_b32_e64 v39, 0, 1, s[50:51]
	v_cndmask_b32_e64 v44, 0, 1, s[48:49]
	;; [unrolled: 1-line block ×16, first 2 shown]
	v_cmp_ne_u32_e32 vcc, 0, v0
	s_waitcnt lgkmcnt(0)
	s_barrier
	s_waitcnt lgkmcnt(0)
                                        ; implicit-def: $sgpr18_sgpr19
	s_and_saveexec_b64 s[0:1], vcc
	s_xor_b64 s[0:1], exec, s[0:1]
	s_cbranch_execz .LBB221_83
; %bb.82:
	s_waitcnt vmcnt(0)
	v_add_u32_e32 v11, -1, v0
	ds_read_u8 v11, v11
	s_or_b64 s[14:15], s[14:15], exec
	s_waitcnt lgkmcnt(0)
	v_cmp_ne_u16_sdwa s[2:3], v11, v8 src0_sel:DWORD src1_sel:BYTE_0
	s_and_b64 s[18:19], s[2:3], exec
.LBB221_83:
	s_or_b64 exec, exec, s[0:1]
	s_mov_b32 s28, 1
	s_branch .LBB221_87
.LBB221_84:
                                        ; implicit-def: $sgpr18_sgpr19
                                        ; implicit-def: $vgpr74
                                        ; implicit-def: $vgpr73
                                        ; implicit-def: $vgpr72
                                        ; implicit-def: $vgpr71
                                        ; implicit-def: $vgpr70
                                        ; implicit-def: $vgpr69
                                        ; implicit-def: $vgpr68
                                        ; implicit-def: $vgpr67
                                        ; implicit-def: $vgpr66
                                        ; implicit-def: $vgpr65
                                        ; implicit-def: $vgpr64
                                        ; implicit-def: $vgpr63
                                        ; implicit-def: $vgpr62
                                        ; implicit-def: $vgpr61
                                        ; implicit-def: $vgpr60
                                        ; implicit-def: $vgpr59
                                        ; implicit-def: $vgpr58
                                        ; implicit-def: $vgpr57
                                        ; implicit-def: $vgpr56
                                        ; implicit-def: $vgpr55
                                        ; implicit-def: $vgpr54
                                        ; implicit-def: $vgpr53
                                        ; implicit-def: $vgpr52
                                        ; implicit-def: $vgpr51
                                        ; implicit-def: $vgpr49
                                        ; implicit-def: $vgpr46
                                        ; implicit-def: $vgpr44
                                        ; implicit-def: $vgpr41
                                        ; implicit-def: $vgpr39
                                        ; implicit-def: $vgpr36
                                        ; implicit-def: $vgpr34
                                        ; implicit-def: $sgpr28
	s_cbranch_execz .LBB221_87
; %bb.85:
	s_waitcnt vmcnt(0)
	v_or_b32_e32 v11, 31, v10
	v_cmp_gt_u32_e32 vcc, s7, v11
	v_cmp_ne_u16_sdwa s[0:1], v21, v20 src0_sel:BYTE_0 src1_sel:BYTE_0
	s_and_b64 s[0:1], vcc, s[0:1]
	v_or_b32_e32 v11, 30, v10
	v_cndmask_b32_e64 v34, 0, 1, s[0:1]
	v_cmp_gt_u32_e32 vcc, s7, v11
	v_cmp_ne_u16_sdwa s[0:1], v22, v21 src0_sel:BYTE_0 src1_sel:BYTE_0
	s_and_b64 s[0:1], vcc, s[0:1]
	v_or_b32_e32 v11, 29, v10
	v_cndmask_b32_e64 v36, 0, 1, s[0:1]
	;; [unrolled: 5-line block ×25, first 2 shown]
	v_cmp_gt_u32_e32 vcc, s7, v11
	v_cmp_ne_u16_sdwa s[0:1], v45, v43 src0_sel:BYTE_0 src1_sel:BYTE_0
	v_or_b32_e32 v11, 5, v10
	s_and_b64 s[0:1], vcc, s[0:1]
	v_cmp_gt_u32_e32 vcc, s7, v11
	v_or_b32_e32 v11, 4, v10
	v_cndmask_b32_e64 v69, 0, 1, s[0:1]
	v_cmp_gt_u32_e64 s[0:1], s7, v11
	v_or_b32_e32 v11, 3, v10
	v_cmp_ne_u16_sdwa s[30:31], v47, v9 src0_sel:BYTE_0 src1_sel:BYTE_0
	v_cmp_gt_u32_e64 s[2:3], s7, v11
	v_or_b32_e32 v11, 2, v10
	v_cmp_ne_u16_sdwa s[34:35], v48, v47 src0_sel:BYTE_0 src1_sel:BYTE_0
	s_and_b64 s[0:1], s[0:1], s[30:31]
	v_cmp_gt_u32_e64 s[8:9], s7, v11
	v_or_b32_e32 v11, 1, v10
	v_cmp_ne_u16_sdwa s[36:37], v50, v48 src0_sel:BYTE_0 src1_sel:BYTE_0
	v_cndmask_b32_e64 v71, 0, 1, s[0:1]
	s_and_b64 s[0:1], s[2:3], s[34:35]
	v_cmp_ne_u16_sdwa s[18:19], v9, v45 src0_sel:BYTE_0 src1_sel:BYTE_0
	v_cmp_gt_u32_e64 s[10:11], s7, v11
	v_cmp_ne_u16_sdwa s[38:39], v8, v50 src0_sel:BYTE_0 src1_sel:BYTE_0
	v_cndmask_b32_e64 v72, 0, 1, s[0:1]
	s_and_b64 s[0:1], s[8:9], s[36:37]
	s_and_b64 s[18:19], vcc, s[18:19]
	v_cndmask_b32_e64 v73, 0, 1, s[0:1]
	s_and_b64 s[0:1], s[10:11], s[38:39]
	v_cndmask_b32_e64 v70, 0, 1, s[18:19]
	s_mov_b32 s28, 1
	v_cmp_ne_u32_e32 vcc, 0, v0
	v_cndmask_b32_e64 v74, 0, 1, s[0:1]
	s_waitcnt lgkmcnt(0)
	s_barrier
	s_waitcnt lgkmcnt(0)
                                        ; implicit-def: $sgpr18_sgpr19
	s_and_saveexec_b64 s[0:1], vcc
	s_cbranch_execz .LBB221_313
; %bb.86:
	v_add_u32_e32 v11, -1, v0
	ds_read_u8 v11, v11
	v_cmp_gt_u32_e32 vcc, s7, v10
	s_or_b64 s[14:15], s[14:15], exec
	s_waitcnt lgkmcnt(0)
	v_and_b32_e32 v11, 0xff, v11
	v_cmp_ne_u16_sdwa s[2:3], v11, v8 src0_sel:DWORD src1_sel:BYTE_0
	s_and_b64 s[2:3], vcc, s[2:3]
	s_and_b64 s[18:19], s[2:3], exec
	s_or_b64 exec, exec, s[0:1]
.LBB221_87:
	v_mov_b32_e32 v75, s28
	s_and_saveexec_b64 s[0:1], s[14:15]
.LBB221_88:
	v_cndmask_b32_e64 v75, 0, 1, s[18:19]
.LBB221_89:
	s_or_b64 exec, exec, s[0:1]
	s_load_dwordx2 s[28:29], s[4:5], 0x60
	s_andn2_b64 vcc, exec, s[12:13]
	s_cbranch_vccnz .LBB221_91
; %bb.90:
	v_cmp_gt_u32_e32 vcc, s7, v10
	s_waitcnt vmcnt(0)
	v_or_b32_e32 v11, 1, v10
	v_cndmask_b32_e32 v75, 0, v75, vcc
	v_cmp_gt_u32_e32 vcc, s7, v11
	v_or_b32_e32 v11, 2, v10
	v_cndmask_b32_e32 v74, 0, v74, vcc
	v_cmp_gt_u32_e32 vcc, s7, v11
	;; [unrolled: 3-line block ×31, first 2 shown]
	v_cndmask_b32_e32 v34, 0, v34, vcc
.LBB221_91:
	v_mbcnt_lo_u32_b32 v10, -1, 0
	v_mbcnt_hi_u32_b32 v86, -1, v10
	v_and_b32_e32 v10, 15, v86
	v_cmp_eq_u32_e64 s[12:13], 0, v10
	v_cmp_lt_u32_e64 s[10:11], 1, v10
	v_cmp_lt_u32_e64 s[8:9], 3, v10
	;; [unrolled: 1-line block ×3, first 2 shown]
	v_and_b32_e32 v10, 16, v86
	v_cmp_eq_u32_e64 s[2:3], 0, v10
	v_or_b32_e32 v10, 63, v0
	v_and_b32_e32 v114, 0xff, v41
	v_and_b32_e32 v115, 0xff, v39
	v_cmp_eq_u32_e64 s[0:1], v10, v0
	v_add_u32_sdwa v10, v36, v34 dst_sel:DWORD dst_unused:UNUSED_PAD src0_sel:BYTE_0 src1_sel:BYTE_0
	v_and_b32_e32 v112, 0xff, v46
	v_and_b32_e32 v113, 0xff, v44
	v_add3_u32 v10, v10, v115, v114
	v_and_b32_e32 v110, 0xff, v51
	v_and_b32_e32 v111, 0xff, v49
	v_add3_u32 v10, v10, v113, v112
	v_and_b32_e32 v108, 0xff, v53
	v_and_b32_e32 v109, 0xff, v52
	v_add3_u32 v10, v10, v111, v110
	v_and_b32_e32 v106, 0xff, v55
	v_and_b32_e32 v107, 0xff, v54
	v_add3_u32 v10, v10, v109, v108
	v_and_b32_e32 v104, 0xff, v57
	v_and_b32_e32 v105, 0xff, v56
	v_add3_u32 v10, v10, v107, v106
	v_and_b32_e32 v102, 0xff, v59
	v_and_b32_e32 v103, 0xff, v58
	v_add3_u32 v10, v10, v105, v104
	v_and_b32_e32 v100, 0xff, v61
	v_and_b32_e32 v101, 0xff, v60
	v_add3_u32 v10, v10, v103, v102
	v_and_b32_e32 v84, 0xff, v63
	v_and_b32_e32 v85, 0xff, v62
	v_add3_u32 v10, v10, v101, v100
	v_and_b32_e32 v82, 0xff, v65
	v_and_b32_e32 v83, 0xff, v64
	v_add3_u32 v10, v10, v85, v84
	v_and_b32_e32 v80, 0xff, v67
	v_and_b32_e32 v81, 0xff, v66
	v_add3_u32 v10, v10, v83, v82
	v_and_b32_e32 v78, 0xff, v69
	v_and_b32_e32 v79, 0xff, v68
	v_add3_u32 v10, v10, v81, v80
	v_and_b32_e32 v76, 0xff, v71
	v_and_b32_e32 v77, 0xff, v70
	v_add3_u32 v10, v10, v79, v78
	v_add3_u32 v10, v10, v77, v76
	v_and_b32_e32 v87, 0xff, v73
	v_and_b32_e32 v88, 0xff, v72
	v_add3_u32 v10, v10, v88, v87
	v_and_b32_e32 v89, 0xff, v75
	v_and_b32_e32 v90, 0xff, v74
	v_add3_u32 v92, v10, v90, v89
	v_cmp_lt_u32_e64 s[14:15], 31, v86
	s_and_b64 vcc, exec, s[16:17]
	v_lshrrev_b32_e32 v91, 6, v0
	s_waitcnt lgkmcnt(0)
	s_barrier
	s_cbranch_vccz .LBB221_122
; %bb.92:
	v_mov_b32_dpp v10, v92 row_shr:1 row_mask:0xf bank_mask:0xf
	v_cndmask_b32_e64 v10, v10, 0, s[12:13]
	v_add_u32_e32 v10, v10, v92
	s_waitcnt vmcnt(0)
	s_nop 0
	v_mov_b32_dpp v11, v10 row_shr:2 row_mask:0xf bank_mask:0xf
	v_cndmask_b32_e64 v11, 0, v11, s[10:11]
	v_add_u32_e32 v10, v10, v11
	s_nop 1
	v_mov_b32_dpp v11, v10 row_shr:4 row_mask:0xf bank_mask:0xf
	v_cndmask_b32_e64 v11, 0, v11, s[8:9]
	v_add_u32_e32 v10, v10, v11
	s_nop 1
	v_mov_b32_dpp v11, v10 row_shr:8 row_mask:0xf bank_mask:0xf
	v_cndmask_b32_e64 v11, 0, v11, s[18:19]
	v_add_u32_e32 v10, v10, v11
	s_nop 1
	v_mov_b32_dpp v11, v10 row_bcast:15 row_mask:0xf bank_mask:0xf
	v_cndmask_b32_e64 v11, v11, 0, s[2:3]
	v_add_u32_e32 v10, v10, v11
	s_nop 1
	v_mov_b32_dpp v11, v10 row_bcast:31 row_mask:0xf bank_mask:0xf
	v_cndmask_b32_e64 v11, 0, v11, s[14:15]
	v_add_u32_e32 v10, v10, v11
	s_and_saveexec_b64 s[16:17], s[0:1]
	s_cbranch_execz .LBB221_94
; %bb.93:
	v_lshlrev_b32_e32 v11, 2, v91
	ds_write_b32 v11, v10
.LBB221_94:
	s_or_b64 exec, exec, s[16:17]
	v_cmp_gt_u32_e32 vcc, 2, v0
	s_waitcnt lgkmcnt(0)
	s_barrier
	s_and_saveexec_b64 s[16:17], vcc
	s_cbranch_execz .LBB221_96
; %bb.95:
	v_lshlrev_b32_e32 v11, 2, v0
	ds_read_b32 v12, v11
	v_bfe_i32 v13, v86, 0, 1
	s_waitcnt lgkmcnt(0)
	v_mov_b32_dpp v14, v12 row_shr:1 row_mask:0xf bank_mask:0xf
	v_and_b32_e32 v13, v13, v14
	v_add_u32_e32 v12, v13, v12
	ds_write_b32 v11, v12
.LBB221_96:
	s_or_b64 exec, exec, s[16:17]
	v_cmp_gt_u32_e32 vcc, 64, v0
	v_cmp_lt_u32_e64 s[16:17], 63, v0
	s_waitcnt lgkmcnt(0)
	s_barrier
	s_waitcnt lgkmcnt(0)
                                        ; implicit-def: $vgpr93
	s_and_saveexec_b64 s[30:31], s[16:17]
	s_cbranch_execz .LBB221_98
; %bb.97:
	v_lshl_add_u32 v11, v91, 2, -4
	ds_read_b32 v93, v11
	s_waitcnt lgkmcnt(0)
	v_add_u32_e32 v10, v93, v10
.LBB221_98:
	s_or_b64 exec, exec, s[30:31]
	v_add_u32_e32 v11, -1, v86
	v_and_b32_e32 v12, 64, v86
	v_cmp_lt_i32_e64 s[16:17], v11, v12
	v_cndmask_b32_e64 v11, v11, v86, s[16:17]
	v_lshlrev_b32_e32 v11, 2, v11
	ds_bpermute_b32 v94, v11, v10
	v_cmp_eq_u32_e64 s[16:17], 0, v86
	s_and_saveexec_b64 s[30:31], vcc
	s_cbranch_execz .LBB221_121
; %bb.99:
	v_mov_b32_e32 v19, 0
	ds_read_b32 v10, v19 offset:4
	s_and_saveexec_b64 s[34:35], s[16:17]
	s_cbranch_execz .LBB221_101
; %bb.100:
	s_add_i32 s36, s6, 64
	s_mov_b32 s37, 0
	s_lshl_b64 s[36:37], s[36:37], 3
	s_add_u32 s36, s28, s36
	v_mov_b32_e32 v11, 1
	s_addc_u32 s37, s29, s37
	s_waitcnt lgkmcnt(0)
	global_store_dwordx2 v19, v[10:11], s[36:37]
.LBB221_101:
	s_or_b64 exec, exec, s[34:35]
	v_xad_u32 v12, v86, -1, s6
	v_add_u32_e32 v18, 64, v12
	v_lshlrev_b64 v[14:15], 3, v[18:19]
	v_mov_b32_e32 v11, s29
	v_add_co_u32_e32 v14, vcc, s28, v14
	v_addc_co_u32_e32 v15, vcc, v11, v15, vcc
	global_load_dwordx2 v[16:17], v[14:15], off glc
	s_waitcnt vmcnt(0)
	v_cmp_eq_u16_sdwa s[36:37], v17, v19 src0_sel:BYTE_0 src1_sel:DWORD
	s_and_saveexec_b64 s[34:35], s[36:37]
	s_cbranch_execz .LBB221_107
; %bb.102:
	s_mov_b32 s7, 1
	s_mov_b64 s[36:37], 0
	v_mov_b32_e32 v11, 0
.LBB221_103:                            ; =>This Loop Header: Depth=1
                                        ;     Child Loop BB221_104 Depth 2
	s_max_u32 s33, s7, 1
.LBB221_104:                            ;   Parent Loop BB221_103 Depth=1
                                        ; =>  This Inner Loop Header: Depth=2
	s_add_i32 s33, s33, -1
	s_cmp_eq_u32 s33, 0
	s_sleep 1
	s_cbranch_scc0 .LBB221_104
; %bb.105:                              ;   in Loop: Header=BB221_103 Depth=1
	global_load_dwordx2 v[16:17], v[14:15], off glc
	s_cmp_lt_u32 s7, 32
	s_cselect_b64 s[38:39], -1, 0
	s_cmp_lg_u64 s[38:39], 0
	s_addc_u32 s7, s7, 0
	s_waitcnt vmcnt(0)
	v_cmp_ne_u16_sdwa s[38:39], v17, v11 src0_sel:BYTE_0 src1_sel:DWORD
	s_or_b64 s[36:37], s[38:39], s[36:37]
	s_andn2_b64 exec, exec, s[36:37]
	s_cbranch_execnz .LBB221_103
; %bb.106:
	s_or_b64 exec, exec, s[36:37]
.LBB221_107:
	s_or_b64 exec, exec, s[34:35]
	v_and_b32_e32 v96, 63, v86
	v_mov_b32_e32 v95, 2
	v_cmp_ne_u32_e32 vcc, 63, v96
	v_cmp_eq_u16_sdwa s[34:35], v17, v95 src0_sel:BYTE_0 src1_sel:DWORD
	v_lshlrev_b64 v[14:15], v86, -1
	v_addc_co_u32_e32 v18, vcc, 0, v86, vcc
	v_and_b32_e32 v11, s35, v15
	v_lshlrev_b32_e32 v97, 2, v18
	v_or_b32_e32 v11, 0x80000000, v11
	ds_bpermute_b32 v18, v97, v16
	v_and_b32_e32 v13, s34, v14
	v_ffbl_b32_e32 v11, v11
	v_add_u32_e32 v11, 32, v11
	v_ffbl_b32_e32 v13, v13
	v_min_u32_e32 v11, v13, v11
	v_cmp_lt_u32_e32 vcc, v96, v11
	s_waitcnt lgkmcnt(0)
	v_cndmask_b32_e32 v13, 0, v18, vcc
	v_cmp_gt_u32_e32 vcc, 62, v96
	v_add_u32_e32 v13, v13, v16
	v_cndmask_b32_e64 v16, 0, 1, vcc
	v_lshlrev_b32_e32 v16, 1, v16
	v_add_lshl_u32 v98, v16, v86, 2
	ds_bpermute_b32 v16, v98, v13
	v_add_u32_e32 v99, 2, v96
	v_cmp_le_u32_e32 vcc, v99, v11
	v_add_u32_e32 v117, 4, v96
	v_add_u32_e32 v119, 8, v96
	s_waitcnt lgkmcnt(0)
	v_cndmask_b32_e32 v16, 0, v16, vcc
	v_cmp_gt_u32_e32 vcc, 60, v96
	v_add_u32_e32 v13, v13, v16
	v_cndmask_b32_e64 v16, 0, 1, vcc
	v_lshlrev_b32_e32 v16, 2, v16
	v_add_lshl_u32 v116, v16, v86, 2
	ds_bpermute_b32 v16, v116, v13
	v_cmp_le_u32_e32 vcc, v117, v11
	v_add_u32_e32 v121, 16, v96
	v_add_u32_e32 v123, 32, v96
	s_waitcnt lgkmcnt(0)
	v_cndmask_b32_e32 v16, 0, v16, vcc
	v_cmp_gt_u32_e32 vcc, 56, v96
	v_add_u32_e32 v13, v13, v16
	v_cndmask_b32_e64 v16, 0, 1, vcc
	v_lshlrev_b32_e32 v16, 3, v16
	v_add_lshl_u32 v118, v16, v86, 2
	ds_bpermute_b32 v16, v118, v13
	v_cmp_le_u32_e32 vcc, v119, v11
	s_waitcnt lgkmcnt(0)
	v_cndmask_b32_e32 v16, 0, v16, vcc
	v_cmp_gt_u32_e32 vcc, 48, v96
	v_add_u32_e32 v13, v13, v16
	v_cndmask_b32_e64 v16, 0, 1, vcc
	v_lshlrev_b32_e32 v16, 4, v16
	v_add_lshl_u32 v120, v16, v86, 2
	ds_bpermute_b32 v16, v120, v13
	v_cmp_le_u32_e32 vcc, v121, v11
	;; [unrolled: 9-line block ×3, first 2 shown]
	s_waitcnt lgkmcnt(0)
	v_cndmask_b32_e32 v11, 0, v16, vcc
	v_add_u32_e32 v16, v13, v11
	v_mov_b32_e32 v13, 0
	s_branch .LBB221_109
.LBB221_108:                            ;   in Loop: Header=BB221_109 Depth=1
	s_or_b64 exec, exec, s[34:35]
	v_cmp_eq_u16_sdwa s[34:35], v17, v95 src0_sel:BYTE_0 src1_sel:DWORD
	v_and_b32_e32 v18, s35, v15
	v_or_b32_e32 v18, 0x80000000, v18
	ds_bpermute_b32 v124, v97, v16
	v_and_b32_e32 v19, s34, v14
	v_ffbl_b32_e32 v18, v18
	v_add_u32_e32 v18, 32, v18
	v_ffbl_b32_e32 v19, v19
	v_min_u32_e32 v18, v19, v18
	v_cmp_lt_u32_e32 vcc, v96, v18
	s_waitcnt lgkmcnt(0)
	v_cndmask_b32_e32 v19, 0, v124, vcc
	v_add_u32_e32 v16, v19, v16
	ds_bpermute_b32 v19, v98, v16
	v_cmp_le_u32_e32 vcc, v99, v18
	v_subrev_u32_e32 v12, 64, v12
	s_waitcnt lgkmcnt(0)
	v_cndmask_b32_e32 v19, 0, v19, vcc
	v_add_u32_e32 v16, v16, v19
	ds_bpermute_b32 v19, v116, v16
	v_cmp_le_u32_e32 vcc, v117, v18
	s_waitcnt lgkmcnt(0)
	v_cndmask_b32_e32 v19, 0, v19, vcc
	v_add_u32_e32 v16, v16, v19
	ds_bpermute_b32 v19, v118, v16
	v_cmp_le_u32_e32 vcc, v119, v18
	;; [unrolled: 5-line block ×4, first 2 shown]
	s_waitcnt lgkmcnt(0)
	v_cndmask_b32_e32 v18, 0, v19, vcc
	v_add3_u32 v16, v18, v11, v16
.LBB221_109:                            ; =>This Loop Header: Depth=1
                                        ;     Child Loop BB221_112 Depth 2
                                        ;       Child Loop BB221_113 Depth 3
	v_cmp_ne_u16_sdwa s[34:35], v17, v95 src0_sel:BYTE_0 src1_sel:DWORD
	v_cndmask_b32_e64 v11, 0, 1, s[34:35]
	;;#ASMSTART
	;;#ASMEND
	v_cmp_ne_u32_e32 vcc, 0, v11
	s_cmp_lg_u64 vcc, exec
	v_mov_b32_e32 v11, v16
	s_cbranch_scc1 .LBB221_116
; %bb.110:                              ;   in Loop: Header=BB221_109 Depth=1
	v_lshlrev_b64 v[16:17], 3, v[12:13]
	v_mov_b32_e32 v19, s29
	v_add_co_u32_e32 v18, vcc, s28, v16
	v_addc_co_u32_e32 v19, vcc, v19, v17, vcc
	global_load_dwordx2 v[16:17], v[18:19], off glc
	s_waitcnt vmcnt(0)
	v_cmp_eq_u16_sdwa s[36:37], v17, v13 src0_sel:BYTE_0 src1_sel:DWORD
	s_and_saveexec_b64 s[34:35], s[36:37]
	s_cbranch_execz .LBB221_108
; %bb.111:                              ;   in Loop: Header=BB221_109 Depth=1
	s_mov_b32 s7, 1
	s_mov_b64 s[36:37], 0
.LBB221_112:                            ;   Parent Loop BB221_109 Depth=1
                                        ; =>  This Loop Header: Depth=2
                                        ;       Child Loop BB221_113 Depth 3
	s_max_u32 s33, s7, 1
.LBB221_113:                            ;   Parent Loop BB221_109 Depth=1
                                        ;     Parent Loop BB221_112 Depth=2
                                        ; =>    This Inner Loop Header: Depth=3
	s_add_i32 s33, s33, -1
	s_cmp_eq_u32 s33, 0
	s_sleep 1
	s_cbranch_scc0 .LBB221_113
; %bb.114:                              ;   in Loop: Header=BB221_112 Depth=2
	global_load_dwordx2 v[16:17], v[18:19], off glc
	s_cmp_lt_u32 s7, 32
	s_cselect_b64 s[38:39], -1, 0
	s_cmp_lg_u64 s[38:39], 0
	s_addc_u32 s7, s7, 0
	s_waitcnt vmcnt(0)
	v_cmp_ne_u16_sdwa s[38:39], v17, v13 src0_sel:BYTE_0 src1_sel:DWORD
	s_or_b64 s[36:37], s[38:39], s[36:37]
	s_andn2_b64 exec, exec, s[36:37]
	s_cbranch_execnz .LBB221_112
; %bb.115:                              ;   in Loop: Header=BB221_109 Depth=1
	s_or_b64 exec, exec, s[36:37]
	s_branch .LBB221_108
.LBB221_116:                            ;   in Loop: Header=BB221_109 Depth=1
                                        ; implicit-def: $vgpr16
                                        ; implicit-def: $vgpr17
	s_cbranch_execz .LBB221_109
; %bb.117:
	s_and_saveexec_b64 s[34:35], s[16:17]
	s_cbranch_execz .LBB221_119
; %bb.118:
	s_add_i32 s6, s6, 64
	s_mov_b32 s7, 0
	s_lshl_b64 s[6:7], s[6:7], 3
	s_add_u32 s6, s28, s6
	v_add_u32_e32 v12, v11, v10
	v_mov_b32_e32 v13, 2
	s_addc_u32 s7, s29, s7
	v_mov_b32_e32 v14, 0
	global_store_dwordx2 v14, v[12:13], s[6:7]
	ds_write_b64 v14, v[10:11] offset:4224
.LBB221_119:
	s_or_b64 exec, exec, s[34:35]
	v_cmp_eq_u32_e32 vcc, 0, v0
	s_and_b64 exec, exec, vcc
	s_cbranch_execz .LBB221_121
; %bb.120:
	v_mov_b32_e32 v10, 0
	ds_write_b32 v10, v11 offset:4
.LBB221_121:
	s_or_b64 exec, exec, s[30:31]
	v_mov_b32_e32 v11, 0
	s_waitcnt lgkmcnt(0)
	s_barrier
	ds_read_b32 v12, v11 offset:4
	s_waitcnt lgkmcnt(0)
	s_barrier
	ds_read_b64 v[16:17], v11 offset:4224
	v_cndmask_b32_e64 v10, v94, v93, s[16:17]
	v_cmp_ne_u32_e32 vcc, 0, v0
	v_cndmask_b32_e32 v10, 0, v10, vcc
	v_add_u32_e32 v96, v12, v10
	s_load_dwordx2 s[4:5], s[4:5], 0x28
	s_branch .LBB221_132
.LBB221_122:
                                        ; implicit-def: $vgpr17
                                        ; implicit-def: $vgpr96
	s_load_dwordx2 s[4:5], s[4:5], 0x28
	s_cbranch_execz .LBB221_132
; %bb.123:
	v_mov_b32_dpp v10, v92 row_shr:1 row_mask:0xf bank_mask:0xf
	v_cndmask_b32_e64 v10, v10, 0, s[12:13]
	v_add_u32_e32 v10, v10, v92
	s_waitcnt vmcnt(0)
	s_nop 0
	v_mov_b32_dpp v11, v10 row_shr:2 row_mask:0xf bank_mask:0xf
	v_cndmask_b32_e64 v11, 0, v11, s[10:11]
	v_add_u32_e32 v10, v10, v11
	s_nop 1
	v_mov_b32_dpp v11, v10 row_shr:4 row_mask:0xf bank_mask:0xf
	v_cndmask_b32_e64 v11, 0, v11, s[8:9]
	v_add_u32_e32 v10, v10, v11
	;; [unrolled: 4-line block ×3, first 2 shown]
	s_nop 1
	v_mov_b32_dpp v11, v10 row_bcast:15 row_mask:0xf bank_mask:0xf
	v_cndmask_b32_e64 v11, v11, 0, s[2:3]
	v_add_u32_e32 v10, v10, v11
	s_nop 1
	v_mov_b32_dpp v11, v10 row_bcast:31 row_mask:0xf bank_mask:0xf
	v_cndmask_b32_e64 v11, 0, v11, s[14:15]
	v_add_u32_e32 v10, v10, v11
	s_and_saveexec_b64 s[2:3], s[0:1]
	s_cbranch_execz .LBB221_125
; %bb.124:
	v_lshlrev_b32_e32 v11, 2, v91
	ds_write_b32 v11, v10
.LBB221_125:
	s_or_b64 exec, exec, s[2:3]
	v_cmp_gt_u32_e32 vcc, 2, v0
	s_waitcnt lgkmcnt(0)
	s_barrier
	s_and_saveexec_b64 s[0:1], vcc
	s_cbranch_execz .LBB221_127
; %bb.126:
	v_lshlrev_b32_e32 v11, 2, v0
	ds_read_b32 v12, v11
	v_bfe_i32 v13, v86, 0, 1
	s_waitcnt lgkmcnt(0)
	v_mov_b32_dpp v14, v12 row_shr:1 row_mask:0xf bank_mask:0xf
	v_and_b32_e32 v13, v13, v14
	v_add_u32_e32 v12, v13, v12
	ds_write_b32 v11, v12
.LBB221_127:
	s_or_b64 exec, exec, s[0:1]
	v_cmp_lt_u32_e32 vcc, 63, v0
	v_mov_b32_e32 v12, 0
	v_mov_b32_e32 v11, 0
	s_waitcnt lgkmcnt(0)
	s_barrier
	s_and_saveexec_b64 s[0:1], vcc
	s_cbranch_execz .LBB221_129
; %bb.128:
	v_lshl_add_u32 v11, v91, 2, -4
	ds_read_b32 v11, v11
.LBB221_129:
	s_or_b64 exec, exec, s[0:1]
	v_add_u32_e32 v13, -1, v86
	v_and_b32_e32 v14, 64, v86
	v_cmp_lt_i32_e32 vcc, v13, v14
	v_cndmask_b32_e32 v13, v13, v86, vcc
	s_waitcnt lgkmcnt(0)
	v_add_u32_e32 v10, v11, v10
	v_lshlrev_b32_e32 v13, 2, v13
	ds_bpermute_b32 v10, v13, v10
	ds_read_b32 v16, v12 offset:4
	v_cmp_eq_u32_e32 vcc, 0, v0
	s_and_saveexec_b64 s[0:1], vcc
	s_cbranch_execz .LBB221_131
; %bb.130:
	v_mov_b32_e32 v12, 0
	v_mov_b32_e32 v17, 2
	s_waitcnt lgkmcnt(0)
	global_store_dwordx2 v12, v[16:17], s[28:29] offset:512
.LBB221_131:
	s_or_b64 exec, exec, s[0:1]
	v_cmp_eq_u32_e64 s[0:1], 0, v86
	s_waitcnt lgkmcnt(1)
	v_cndmask_b32_e64 v10, v10, v11, s[0:1]
	v_mov_b32_e32 v17, 0
	v_cndmask_b32_e64 v96, v10, 0, vcc
	s_waitcnt lgkmcnt(0)
	s_barrier
.LBB221_132:
	v_add_u32_e32 v99, v96, v89
	v_add_u32_e32 v98, v99, v90
	;; [unrolled: 1-line block ×29, first 2 shown]
	s_movk_i32 s0, 0x81
	s_waitcnt vmcnt(0)
	v_add_u32_e32 v11, v12, v115
	s_waitcnt lgkmcnt(0)
	v_cmp_gt_u32_e32 vcc, s0, v16
	v_add_u32_sdwa v10, v11, v36 dst_sel:DWORD dst_unused:UNUSED_PAD src0_sel:DWORD src1_sel:BYTE_0
	s_mov_b64 s[0:1], -1
	s_cbranch_vccnz .LBB221_136
; %bb.133:
	s_and_b64 vcc, exec, s[0:1]
	s_cbranch_vccnz .LBB221_233
.LBB221_134:
	v_cmp_eq_u32_e32 vcc, 0, v0
	s_and_b64 s[0:1], vcc, s[24:25]
	s_and_saveexec_b64 s[2:3], s[0:1]
	s_cbranch_execnz .LBB221_312
.LBB221_135:
	s_endpgm
.LBB221_136:
	v_add_u32_e32 v100, v17, v16
	v_cmp_lt_u32_e32 vcc, v96, v100
	s_or_b64 s[2:3], s[26:27], vcc
	s_and_saveexec_b64 s[0:1], s[2:3]
	s_cbranch_execz .LBB221_139
; %bb.137:
	v_and_b32_e32 v101, 1, v75
	v_cmp_eq_u32_e32 vcc, 1, v101
	s_and_b64 exec, exec, vcc
	s_cbranch_execz .LBB221_139
; %bb.138:
	s_add_u32 s2, s4, s22
	s_addc_u32 s3, s5, s23
	global_store_byte v96, v8, s[2:3]
.LBB221_139:
	s_or_b64 exec, exec, s[0:1]
	v_cmp_lt_u32_e32 vcc, v99, v100
	s_or_b64 s[2:3], s[26:27], vcc
	s_and_saveexec_b64 s[0:1], s[2:3]
	s_cbranch_execz .LBB221_142
; %bb.140:
	v_and_b32_e32 v101, 1, v74
	v_cmp_eq_u32_e32 vcc, 1, v101
	s_and_b64 exec, exec, vcc
	s_cbranch_execz .LBB221_142
; %bb.141:
	s_add_u32 s2, s4, s22
	s_addc_u32 s3, s5, s23
	global_store_byte v99, v50, s[2:3]
.LBB221_142:
	s_or_b64 exec, exec, s[0:1]
	v_cmp_lt_u32_e32 vcc, v98, v100
	s_or_b64 s[2:3], s[26:27], vcc
	s_and_saveexec_b64 s[0:1], s[2:3]
	s_cbranch_execz .LBB221_145
; %bb.143:
	v_and_b32_e32 v101, 1, v73
	v_cmp_eq_u32_e32 vcc, 1, v101
	s_and_b64 exec, exec, vcc
	s_cbranch_execz .LBB221_145
; %bb.144:
	s_add_u32 s2, s4, s22
	s_addc_u32 s3, s5, s23
	global_store_byte v98, v48, s[2:3]
.LBB221_145:
	s_or_b64 exec, exec, s[0:1]
	v_cmp_lt_u32_e32 vcc, v97, v100
	s_or_b64 s[2:3], s[26:27], vcc
	s_and_saveexec_b64 s[0:1], s[2:3]
	s_cbranch_execz .LBB221_148
; %bb.146:
	v_and_b32_e32 v101, 1, v72
	v_cmp_eq_u32_e32 vcc, 1, v101
	s_and_b64 exec, exec, vcc
	s_cbranch_execz .LBB221_148
; %bb.147:
	s_add_u32 s2, s4, s22
	s_addc_u32 s3, s5, s23
	global_store_byte v97, v47, s[2:3]
.LBB221_148:
	s_or_b64 exec, exec, s[0:1]
	v_cmp_lt_u32_e32 vcc, v95, v100
	s_or_b64 s[2:3], s[26:27], vcc
	s_and_saveexec_b64 s[0:1], s[2:3]
	s_cbranch_execz .LBB221_151
; %bb.149:
	v_and_b32_e32 v101, 1, v71
	v_cmp_eq_u32_e32 vcc, 1, v101
	s_and_b64 exec, exec, vcc
	s_cbranch_execz .LBB221_151
; %bb.150:
	s_add_u32 s2, s4, s22
	s_addc_u32 s3, s5, s23
	global_store_byte v95, v9, s[2:3]
.LBB221_151:
	s_or_b64 exec, exec, s[0:1]
	v_cmp_lt_u32_e32 vcc, v94, v100
	s_or_b64 s[2:3], s[26:27], vcc
	s_and_saveexec_b64 s[0:1], s[2:3]
	s_cbranch_execz .LBB221_154
; %bb.152:
	v_and_b32_e32 v101, 1, v70
	v_cmp_eq_u32_e32 vcc, 1, v101
	s_and_b64 exec, exec, vcc
	s_cbranch_execz .LBB221_154
; %bb.153:
	s_add_u32 s2, s4, s22
	s_addc_u32 s3, s5, s23
	global_store_byte v94, v45, s[2:3]
.LBB221_154:
	s_or_b64 exec, exec, s[0:1]
	v_cmp_lt_u32_e32 vcc, v93, v100
	s_or_b64 s[2:3], s[26:27], vcc
	s_and_saveexec_b64 s[0:1], s[2:3]
	s_cbranch_execz .LBB221_157
; %bb.155:
	v_and_b32_e32 v101, 1, v69
	v_cmp_eq_u32_e32 vcc, 1, v101
	s_and_b64 exec, exec, vcc
	s_cbranch_execz .LBB221_157
; %bb.156:
	s_add_u32 s2, s4, s22
	s_addc_u32 s3, s5, s23
	global_store_byte v93, v43, s[2:3]
.LBB221_157:
	s_or_b64 exec, exec, s[0:1]
	v_cmp_lt_u32_e32 vcc, v92, v100
	s_or_b64 s[2:3], s[26:27], vcc
	s_and_saveexec_b64 s[0:1], s[2:3]
	s_cbranch_execz .LBB221_160
; %bb.158:
	v_and_b32_e32 v101, 1, v68
	v_cmp_eq_u32_e32 vcc, 1, v101
	s_and_b64 exec, exec, vcc
	s_cbranch_execz .LBB221_160
; %bb.159:
	s_add_u32 s2, s4, s22
	s_addc_u32 s3, s5, s23
	global_store_byte v92, v42, s[2:3]
.LBB221_160:
	s_or_b64 exec, exec, s[0:1]
	v_cmp_lt_u32_e32 vcc, v91, v100
	s_or_b64 s[2:3], s[26:27], vcc
	s_and_saveexec_b64 s[0:1], s[2:3]
	s_cbranch_execz .LBB221_163
; %bb.161:
	v_and_b32_e32 v101, 1, v67
	v_cmp_eq_u32_e32 vcc, 1, v101
	s_and_b64 exec, exec, vcc
	s_cbranch_execz .LBB221_163
; %bb.162:
	s_add_u32 s2, s4, s22
	s_addc_u32 s3, s5, s23
	global_store_byte v91, v6, s[2:3]
.LBB221_163:
	s_or_b64 exec, exec, s[0:1]
	v_cmp_lt_u32_e32 vcc, v90, v100
	s_or_b64 s[2:3], s[26:27], vcc
	s_and_saveexec_b64 s[0:1], s[2:3]
	s_cbranch_execz .LBB221_166
; %bb.164:
	v_and_b32_e32 v101, 1, v66
	v_cmp_eq_u32_e32 vcc, 1, v101
	s_and_b64 exec, exec, vcc
	s_cbranch_execz .LBB221_166
; %bb.165:
	s_add_u32 s2, s4, s22
	s_addc_u32 s3, s5, s23
	global_store_byte v90, v40, s[2:3]
.LBB221_166:
	s_or_b64 exec, exec, s[0:1]
	v_cmp_lt_u32_e32 vcc, v89, v100
	s_or_b64 s[2:3], s[26:27], vcc
	s_and_saveexec_b64 s[0:1], s[2:3]
	s_cbranch_execz .LBB221_169
; %bb.167:
	v_and_b32_e32 v101, 1, v65
	v_cmp_eq_u32_e32 vcc, 1, v101
	s_and_b64 exec, exec, vcc
	s_cbranch_execz .LBB221_169
; %bb.168:
	s_add_u32 s2, s4, s22
	s_addc_u32 s3, s5, s23
	global_store_byte v89, v38, s[2:3]
.LBB221_169:
	s_or_b64 exec, exec, s[0:1]
	v_cmp_lt_u32_e32 vcc, v88, v100
	s_or_b64 s[2:3], s[26:27], vcc
	s_and_saveexec_b64 s[0:1], s[2:3]
	s_cbranch_execz .LBB221_172
; %bb.170:
	v_and_b32_e32 v101, 1, v64
	v_cmp_eq_u32_e32 vcc, 1, v101
	s_and_b64 exec, exec, vcc
	s_cbranch_execz .LBB221_172
; %bb.171:
	s_add_u32 s2, s4, s22
	s_addc_u32 s3, s5, s23
	global_store_byte v88, v37, s[2:3]
.LBB221_172:
	s_or_b64 exec, exec, s[0:1]
	v_cmp_lt_u32_e32 vcc, v87, v100
	s_or_b64 s[2:3], s[26:27], vcc
	s_and_saveexec_b64 s[0:1], s[2:3]
	s_cbranch_execz .LBB221_175
; %bb.173:
	v_and_b32_e32 v101, 1, v63
	v_cmp_eq_u32_e32 vcc, 1, v101
	s_and_b64 exec, exec, vcc
	s_cbranch_execz .LBB221_175
; %bb.174:
	s_add_u32 s2, s4, s22
	s_addc_u32 s3, s5, s23
	global_store_byte v87, v7, s[2:3]
.LBB221_175:
	s_or_b64 exec, exec, s[0:1]
	v_cmp_lt_u32_e32 vcc, v86, v100
	s_or_b64 s[2:3], s[26:27], vcc
	s_and_saveexec_b64 s[0:1], s[2:3]
	s_cbranch_execz .LBB221_178
; %bb.176:
	v_and_b32_e32 v101, 1, v62
	v_cmp_eq_u32_e32 vcc, 1, v101
	s_and_b64 exec, exec, vcc
	s_cbranch_execz .LBB221_178
; %bb.177:
	s_add_u32 s2, s4, s22
	s_addc_u32 s3, s5, s23
	global_store_byte v86, v35, s[2:3]
.LBB221_178:
	s_or_b64 exec, exec, s[0:1]
	v_cmp_lt_u32_e32 vcc, v85, v100
	s_or_b64 s[2:3], s[26:27], vcc
	s_and_saveexec_b64 s[0:1], s[2:3]
	s_cbranch_execz .LBB221_181
; %bb.179:
	v_and_b32_e32 v101, 1, v61
	v_cmp_eq_u32_e32 vcc, 1, v101
	s_and_b64 exec, exec, vcc
	s_cbranch_execz .LBB221_181
; %bb.180:
	s_add_u32 s2, s4, s22
	s_addc_u32 s3, s5, s23
	global_store_byte v85, v33, s[2:3]
.LBB221_181:
	s_or_b64 exec, exec, s[0:1]
	v_cmp_lt_u32_e32 vcc, v84, v100
	s_or_b64 s[2:3], s[26:27], vcc
	s_and_saveexec_b64 s[0:1], s[2:3]
	s_cbranch_execz .LBB221_184
; %bb.182:
	v_and_b32_e32 v101, 1, v60
	v_cmp_eq_u32_e32 vcc, 1, v101
	s_and_b64 exec, exec, vcc
	s_cbranch_execz .LBB221_184
; %bb.183:
	s_add_u32 s2, s4, s22
	s_addc_u32 s3, s5, s23
	global_store_byte v84, v32, s[2:3]
.LBB221_184:
	s_or_b64 exec, exec, s[0:1]
	v_cmp_lt_u32_e32 vcc, v83, v100
	s_or_b64 s[2:3], s[26:27], vcc
	s_and_saveexec_b64 s[0:1], s[2:3]
	s_cbranch_execz .LBB221_187
; %bb.185:
	v_and_b32_e32 v101, 1, v59
	v_cmp_eq_u32_e32 vcc, 1, v101
	s_and_b64 exec, exec, vcc
	s_cbranch_execz .LBB221_187
; %bb.186:
	s_add_u32 s2, s4, s22
	s_addc_u32 s3, s5, s23
	global_store_byte v83, v4, s[2:3]
.LBB221_187:
	s_or_b64 exec, exec, s[0:1]
	v_cmp_lt_u32_e32 vcc, v82, v100
	s_or_b64 s[2:3], s[26:27], vcc
	s_and_saveexec_b64 s[0:1], s[2:3]
	s_cbranch_execz .LBB221_190
; %bb.188:
	v_and_b32_e32 v101, 1, v58
	v_cmp_eq_u32_e32 vcc, 1, v101
	s_and_b64 exec, exec, vcc
	s_cbranch_execz .LBB221_190
; %bb.189:
	s_add_u32 s2, s4, s22
	s_addc_u32 s3, s5, s23
	global_store_byte v82, v31, s[2:3]
.LBB221_190:
	s_or_b64 exec, exec, s[0:1]
	v_cmp_lt_u32_e32 vcc, v81, v100
	s_or_b64 s[2:3], s[26:27], vcc
	s_and_saveexec_b64 s[0:1], s[2:3]
	s_cbranch_execz .LBB221_193
; %bb.191:
	v_and_b32_e32 v101, 1, v57
	v_cmp_eq_u32_e32 vcc, 1, v101
	s_and_b64 exec, exec, vcc
	s_cbranch_execz .LBB221_193
; %bb.192:
	s_add_u32 s2, s4, s22
	s_addc_u32 s3, s5, s23
	global_store_byte v81, v30, s[2:3]
.LBB221_193:
	s_or_b64 exec, exec, s[0:1]
	v_cmp_lt_u32_e32 vcc, v80, v100
	s_or_b64 s[2:3], s[26:27], vcc
	s_and_saveexec_b64 s[0:1], s[2:3]
	s_cbranch_execz .LBB221_196
; %bb.194:
	v_and_b32_e32 v101, 1, v56
	v_cmp_eq_u32_e32 vcc, 1, v101
	s_and_b64 exec, exec, vcc
	s_cbranch_execz .LBB221_196
; %bb.195:
	s_add_u32 s2, s4, s22
	s_addc_u32 s3, s5, s23
	global_store_byte v80, v29, s[2:3]
.LBB221_196:
	s_or_b64 exec, exec, s[0:1]
	v_cmp_lt_u32_e32 vcc, v79, v100
	s_or_b64 s[2:3], s[26:27], vcc
	s_and_saveexec_b64 s[0:1], s[2:3]
	s_cbranch_execz .LBB221_199
; %bb.197:
	v_and_b32_e32 v101, 1, v55
	v_cmp_eq_u32_e32 vcc, 1, v101
	s_and_b64 exec, exec, vcc
	s_cbranch_execz .LBB221_199
; %bb.198:
	s_add_u32 s2, s4, s22
	s_addc_u32 s3, s5, s23
	global_store_byte v79, v5, s[2:3]
.LBB221_199:
	s_or_b64 exec, exec, s[0:1]
	v_cmp_lt_u32_e32 vcc, v78, v100
	s_or_b64 s[2:3], s[26:27], vcc
	s_and_saveexec_b64 s[0:1], s[2:3]
	s_cbranch_execz .LBB221_202
; %bb.200:
	v_and_b32_e32 v101, 1, v54
	v_cmp_eq_u32_e32 vcc, 1, v101
	s_and_b64 exec, exec, vcc
	s_cbranch_execz .LBB221_202
; %bb.201:
	s_add_u32 s2, s4, s22
	s_addc_u32 s3, s5, s23
	global_store_byte v78, v28, s[2:3]
.LBB221_202:
	s_or_b64 exec, exec, s[0:1]
	v_cmp_lt_u32_e32 vcc, v77, v100
	s_or_b64 s[2:3], s[26:27], vcc
	s_and_saveexec_b64 s[0:1], s[2:3]
	s_cbranch_execz .LBB221_205
; %bb.203:
	v_and_b32_e32 v101, 1, v53
	v_cmp_eq_u32_e32 vcc, 1, v101
	s_and_b64 exec, exec, vcc
	s_cbranch_execz .LBB221_205
; %bb.204:
	s_add_u32 s2, s4, s22
	s_addc_u32 s3, s5, s23
	global_store_byte v77, v27, s[2:3]
.LBB221_205:
	s_or_b64 exec, exec, s[0:1]
	v_cmp_lt_u32_e32 vcc, v76, v100
	s_or_b64 s[2:3], s[26:27], vcc
	s_and_saveexec_b64 s[0:1], s[2:3]
	s_cbranch_execz .LBB221_208
; %bb.206:
	v_and_b32_e32 v101, 1, v52
	v_cmp_eq_u32_e32 vcc, 1, v101
	s_and_b64 exec, exec, vcc
	s_cbranch_execz .LBB221_208
; %bb.207:
	s_add_u32 s2, s4, s22
	s_addc_u32 s3, s5, s23
	global_store_byte v76, v26, s[2:3]
.LBB221_208:
	s_or_b64 exec, exec, s[0:1]
	v_cmp_lt_u32_e32 vcc, v19, v100
	s_or_b64 s[2:3], s[26:27], vcc
	s_and_saveexec_b64 s[0:1], s[2:3]
	s_cbranch_execz .LBB221_211
; %bb.209:
	v_and_b32_e32 v101, 1, v51
	v_cmp_eq_u32_e32 vcc, 1, v101
	s_and_b64 exec, exec, vcc
	s_cbranch_execz .LBB221_211
; %bb.210:
	s_add_u32 s2, s4, s22
	s_addc_u32 s3, s5, s23
	global_store_byte v19, v2, s[2:3]
.LBB221_211:
	s_or_b64 exec, exec, s[0:1]
	v_cmp_lt_u32_e32 vcc, v18, v100
	s_or_b64 s[2:3], s[26:27], vcc
	s_and_saveexec_b64 s[0:1], s[2:3]
	s_cbranch_execz .LBB221_214
; %bb.212:
	v_and_b32_e32 v101, 1, v49
	v_cmp_eq_u32_e32 vcc, 1, v101
	s_and_b64 exec, exec, vcc
	s_cbranch_execz .LBB221_214
; %bb.213:
	s_add_u32 s2, s4, s22
	s_addc_u32 s3, s5, s23
	global_store_byte v18, v25, s[2:3]
.LBB221_214:
	s_or_b64 exec, exec, s[0:1]
	v_cmp_lt_u32_e32 vcc, v15, v100
	s_or_b64 s[2:3], s[26:27], vcc
	s_and_saveexec_b64 s[0:1], s[2:3]
	s_cbranch_execz .LBB221_217
; %bb.215:
	v_and_b32_e32 v101, 1, v46
	v_cmp_eq_u32_e32 vcc, 1, v101
	s_and_b64 exec, exec, vcc
	s_cbranch_execz .LBB221_217
; %bb.216:
	s_add_u32 s2, s4, s22
	s_addc_u32 s3, s5, s23
	global_store_byte v15, v24, s[2:3]
.LBB221_217:
	s_or_b64 exec, exec, s[0:1]
	v_cmp_lt_u32_e32 vcc, v14, v100
	s_or_b64 s[2:3], s[26:27], vcc
	s_and_saveexec_b64 s[0:1], s[2:3]
	s_cbranch_execz .LBB221_220
; %bb.218:
	v_and_b32_e32 v101, 1, v44
	v_cmp_eq_u32_e32 vcc, 1, v101
	s_and_b64 exec, exec, vcc
	s_cbranch_execz .LBB221_220
; %bb.219:
	s_add_u32 s2, s4, s22
	s_addc_u32 s3, s5, s23
	global_store_byte v14, v23, s[2:3]
.LBB221_220:
	s_or_b64 exec, exec, s[0:1]
	v_cmp_lt_u32_e32 vcc, v13, v100
	s_or_b64 s[2:3], s[26:27], vcc
	s_and_saveexec_b64 s[0:1], s[2:3]
	s_cbranch_execz .LBB221_223
; %bb.221:
	v_and_b32_e32 v101, 1, v41
	v_cmp_eq_u32_e32 vcc, 1, v101
	s_and_b64 exec, exec, vcc
	s_cbranch_execz .LBB221_223
; %bb.222:
	s_add_u32 s2, s4, s22
	s_addc_u32 s3, s5, s23
	global_store_byte v13, v3, s[2:3]
.LBB221_223:
	s_or_b64 exec, exec, s[0:1]
	v_cmp_lt_u32_e32 vcc, v12, v100
	s_or_b64 s[2:3], s[26:27], vcc
	s_and_saveexec_b64 s[0:1], s[2:3]
	s_cbranch_execz .LBB221_226
; %bb.224:
	v_and_b32_e32 v101, 1, v39
	v_cmp_eq_u32_e32 vcc, 1, v101
	s_and_b64 exec, exec, vcc
	s_cbranch_execz .LBB221_226
; %bb.225:
	s_add_u32 s2, s4, s22
	s_addc_u32 s3, s5, s23
	global_store_byte v12, v22, s[2:3]
.LBB221_226:
	s_or_b64 exec, exec, s[0:1]
	v_cmp_lt_u32_e32 vcc, v11, v100
	s_or_b64 s[2:3], s[26:27], vcc
	s_and_saveexec_b64 s[0:1], s[2:3]
	s_cbranch_execz .LBB221_229
; %bb.227:
	v_and_b32_e32 v101, 1, v36
	v_cmp_eq_u32_e32 vcc, 1, v101
	s_and_b64 exec, exec, vcc
	s_cbranch_execz .LBB221_229
; %bb.228:
	s_add_u32 s2, s4, s22
	s_addc_u32 s3, s5, s23
	global_store_byte v11, v21, s[2:3]
.LBB221_229:
	s_or_b64 exec, exec, s[0:1]
	v_cmp_lt_u32_e32 vcc, v10, v100
	s_or_b64 s[2:3], s[26:27], vcc
	s_and_saveexec_b64 s[0:1], s[2:3]
	s_cbranch_execz .LBB221_232
; %bb.230:
	v_and_b32_e32 v100, 1, v34
	v_cmp_eq_u32_e32 vcc, 1, v100
	s_and_b64 exec, exec, vcc
	s_cbranch_execz .LBB221_232
; %bb.231:
	s_add_u32 s2, s4, s22
	s_addc_u32 s3, s5, s23
	global_store_byte v10, v20, s[2:3]
.LBB221_232:
	s_or_b64 exec, exec, s[0:1]
	s_branch .LBB221_134
.LBB221_233:
	v_and_b32_e32 v75, 1, v75
	v_cmp_eq_u32_e32 vcc, 1, v75
	s_and_saveexec_b64 s[0:1], vcc
	s_cbranch_execz .LBB221_235
; %bb.234:
	v_sub_u32_e32 v75, v96, v17
	ds_write_b8 v75, v8
.LBB221_235:
	s_or_b64 exec, exec, s[0:1]
	v_and_b32_e32 v8, 1, v74
	v_cmp_eq_u32_e32 vcc, 1, v8
	s_and_saveexec_b64 s[0:1], vcc
	s_cbranch_execz .LBB221_237
; %bb.236:
	v_sub_u32_e32 v8, v99, v17
	ds_write_b8 v8, v50
.LBB221_237:
	s_or_b64 exec, exec, s[0:1]
	;; [unrolled: 9-line block ×32, first 2 shown]
	v_cmp_lt_u32_e32 vcc, v0, v16
	s_waitcnt lgkmcnt(0)
	s_barrier
	s_and_saveexec_b64 s[2:3], vcc
	s_cbranch_execz .LBB221_311
; %bb.298:
	v_mov_b32_e32 v2, s5
	v_add_co_u32_e32 v3, vcc, s4, v17
	v_addc_co_u32_e32 v2, vcc, 0, v2, vcc
	v_mov_b32_e32 v4, s23
	v_add_co_u32_e32 v18, vcc, s22, v3
	v_addc_co_u32_e32 v19, vcc, v2, v4, vcc
	v_xad_u32 v2, v0, -1, v16
	s_movk_i32 s0, 0xb80
	v_cmp_gt_u32_e32 vcc, s0, v2
	s_movk_i32 s0, 0xb7f
	v_cmp_lt_u32_e64 s[0:1], s0, v2
	s_and_saveexec_b64 s[4:5], s[0:1]
	s_cbranch_execz .LBB221_308
; %bb.299:
	v_sub_u32_e32 v3, v0, v16
	v_or_b32_e32 v3, 0x7f, v3
	v_cmp_ge_u32_e64 s[0:1], v3, v0
	s_mov_b64 s[8:9], -1
	s_and_saveexec_b64 s[6:7], s[0:1]
	s_cbranch_execz .LBB221_307
; %bb.300:
	v_lshrrev_b32_e32 v20, 7, v2
	v_or_b32_e32 v7, 0x380, v0
	v_or_b32_e32 v6, 0x300, v0
	;; [unrolled: 1-line block ×7, first 2 shown]
	v_add_u32_e32 v21, -7, v20
	v_pk_mov_b32 v[14:15], v[6:7], v[6:7] op_sel:[0,1]
	v_cmp_lt_u32_e64 s[0:1], 7, v21
	v_mov_b32_e32 v22, 0
	v_pk_mov_b32 v[12:13], v[4:5], v[4:5] op_sel:[0,1]
	v_pk_mov_b32 v[10:11], v[2:3], v[2:3] op_sel:[0,1]
	;; [unrolled: 1-line block ×3, first 2 shown]
	s_and_saveexec_b64 s[8:9], s[0:1]
	s_cbranch_execz .LBB221_304
; %bb.301:
	v_lshrrev_b32_e32 v8, 3, v21
	v_add_u32_e32 v8, 1, v8
	v_and_b32_e32 v22, 0x3ffffffe, v8
	v_pk_mov_b32 v[14:15], v[6:7], v[6:7] op_sel:[0,1]
	s_mov_b32 s12, 0
	s_mov_b64 s[10:11], 0
	v_mov_b32_e32 v23, v0
	v_pk_mov_b32 v[12:13], v[4:5], v[4:5] op_sel:[0,1]
	v_pk_mov_b32 v[10:11], v[2:3], v[2:3] op_sel:[0,1]
	;; [unrolled: 1-line block ×3, first 2 shown]
.LBB221_302:                            ; =>This Inner Loop Header: Depth=1
	v_add_co_u32_e64 v2, s[0:1], v18, v8
	v_addc_co_u32_e64 v3, s[0:1], 0, v19, s[0:1]
	v_add_co_u32_e64 v4, s[0:1], v18, v9
	v_addc_co_u32_e64 v5, s[0:1], 0, v19, s[0:1]
	;; [unrolled: 2-line block ×8, first 2 shown]
	v_add_u32_e32 v34, 0x400, v8
	v_add_co_u32_e64 v34, s[0:1], v18, v34
	v_add_u32_e32 v36, 0x400, v9
	v_addc_co_u32_e64 v35, s[0:1], 0, v19, s[0:1]
	v_add_co_u32_e64 v36, s[0:1], v18, v36
	v_add_u32_e32 v38, 0x400, v10
	v_addc_co_u32_e64 v37, s[0:1], 0, v19, s[0:1]
	;; [unrolled: 3-line block ×6, first 2 shown]
	v_add_co_u32_e64 v46, s[0:1], v18, v46
	ds_read_u8 v50, v23
	ds_read_u8 v51, v23 offset:128
	ds_read_u8 v52, v23 offset:256
	;; [unrolled: 1-line block ×7, first 2 shown]
	v_add_u32_e32 v1, 0x400, v15
	ds_read_u8 v58, v23 offset:1024
	ds_read_u8 v59, v23 offset:1152
	;; [unrolled: 1-line block ×8, first 2 shown]
	v_addc_co_u32_e64 v47, s[0:1], 0, v19, s[0:1]
	v_add_co_u32_e64 v48, s[0:1], v18, v1
	v_add_u32_e32 v22, -2, v22
	v_addc_co_u32_e64 v49, s[0:1], 0, v19, s[0:1]
	s_add_i32 s12, s12, 16
	v_cmp_eq_u32_e64 s[0:1], 0, v22
	v_add_u32_e32 v15, 0x800, v15
	v_add_u32_e32 v14, 0x800, v14
	;; [unrolled: 1-line block ×9, first 2 shown]
	v_mov_b32_e32 v1, s12
	s_or_b64 s[10:11], s[0:1], s[10:11]
	s_waitcnt lgkmcnt(14)
	global_store_byte v[2:3], v50, off
	global_store_byte v[4:5], v51, off
	s_waitcnt lgkmcnt(13)
	global_store_byte v[6:7], v52, off
	s_waitcnt lgkmcnt(12)
	;; [unrolled: 2-line block ×14, first 2 shown]
	global_store_byte v[48:49], v65, off
	s_andn2_b64 exec, exec, s[10:11]
	s_cbranch_execnz .LBB221_302
; %bb.303:
	s_or_b64 exec, exec, s[10:11]
	v_lshlrev_b32_e32 v22, 7, v1
.LBB221_304:
	s_or_b64 exec, exec, s[8:9]
	v_and_b32_e32 v1, 8, v21
	v_cmp_eq_u32_e64 s[0:1], 0, v1
	s_and_saveexec_b64 s[8:9], s[0:1]
	s_cbranch_execz .LBB221_306
; %bb.305:
	v_add_co_u32_e64 v2, s[0:1], v18, v8
	v_addc_co_u32_e64 v3, s[0:1], 0, v19, s[0:1]
	v_add_co_u32_e64 v4, s[0:1], v18, v9
	v_addc_co_u32_e64 v5, s[0:1], 0, v19, s[0:1]
	;; [unrolled: 2-line block ×4, first 2 shown]
	v_add_co_u32_e64 v10, s[0:1], v18, v12
	v_or_b32_e32 v1, v0, v22
	v_addc_co_u32_e64 v11, s[0:1], 0, v19, s[0:1]
	ds_read_u8 v21, v1
	ds_read_u8 v24, v1 offset:128
	ds_read_u8 v25, v1 offset:256
	ds_read_u8 v26, v1 offset:384
	ds_read_u8 v27, v1 offset:512
	ds_read_u8 v28, v1 offset:640
	ds_read_u8 v29, v1 offset:768
	ds_read_u8 v1, v1 offset:896
	v_add_co_u32_e64 v12, s[0:1], v18, v13
	v_addc_co_u32_e64 v13, s[0:1], 0, v19, s[0:1]
	v_add_co_u32_e64 v22, s[0:1], v18, v14
	v_addc_co_u32_e64 v23, s[0:1], 0, v19, s[0:1]
	;; [unrolled: 2-line block ×3, first 2 shown]
	s_waitcnt lgkmcnt(7)
	global_store_byte v[2:3], v21, off
	s_waitcnt lgkmcnt(6)
	global_store_byte v[4:5], v24, off
	s_waitcnt lgkmcnt(5)
	global_store_byte v[6:7], v25, off
	s_waitcnt lgkmcnt(4)
	global_store_byte v[8:9], v26, off
	s_waitcnt lgkmcnt(3)
	global_store_byte v[10:11], v27, off
	s_waitcnt lgkmcnt(2)
	global_store_byte v[12:13], v28, off
	s_waitcnt lgkmcnt(1)
	global_store_byte v[22:23], v29, off
	s_waitcnt lgkmcnt(0)
	global_store_byte v[14:15], v1, off
.LBB221_306:
	s_or_b64 exec, exec, s[8:9]
	v_add_u32_e32 v2, 1, v20
	v_and_b32_e32 v3, 0x3fffff8, v2
	v_cmp_ne_u32_e64 s[0:1], v2, v3
	v_lshl_or_b32 v1, v3, 7, v0
	s_orn2_b64 s[8:9], s[0:1], exec
.LBB221_307:
	s_or_b64 exec, exec, s[6:7]
	s_andn2_b64 s[0:1], vcc, exec
	s_and_b64 s[6:7], s[8:9], exec
	s_or_b64 vcc, s[0:1], s[6:7]
.LBB221_308:
	s_or_b64 exec, exec, s[4:5]
	s_and_b64 exec, exec, vcc
	s_cbranch_execz .LBB221_311
; %bb.309:
	s_mov_b64 s[0:1], 0
.LBB221_310:                            ; =>This Inner Loop Header: Depth=1
	ds_read_u8 v2, v1
	v_readfirstlane_b32 s4, v18
	v_readfirstlane_b32 s5, v19
	s_waitcnt lgkmcnt(0)
	s_nop 3
	global_store_byte v1, v2, s[4:5]
	v_add_u32_e32 v1, 0x80, v1
	v_cmp_ge_u32_e32 vcc, v1, v16
	s_or_b64 s[0:1], vcc, s[0:1]
	s_andn2_b64 exec, exec, s[0:1]
	s_cbranch_execnz .LBB221_310
.LBB221_311:
	s_or_b64 exec, exec, s[2:3]
	v_cmp_eq_u32_e32 vcc, 0, v0
	s_and_b64 s[0:1], vcc, s[24:25]
	s_and_saveexec_b64 s[2:3], s[0:1]
	s_cbranch_execz .LBB221_135
.LBB221_312:
	v_mov_b32_e32 v0, s23
	v_add_co_u32_e32 v1, vcc, s22, v16
	v_addc_co_u32_e32 v3, vcc, 0, v0, vcc
	v_add_co_u32_e32 v0, vcc, v1, v17
	v_mov_b32_e32 v2, 0
	v_addc_co_u32_e32 v1, vcc, 0, v3, vcc
	global_store_dwordx2 v2, v[0:1], s[20:21]
	s_endpgm
.LBB221_313:
	s_or_b64 exec, exec, s[0:1]
	v_mov_b32_e32 v75, s28
	s_and_saveexec_b64 s[0:1], s[14:15]
	s_cbranch_execnz .LBB221_88
	s_branch .LBB221_89
	.section	.rodata,"a",@progbits
	.p2align	6, 0x0
	.amdhsa_kernel _ZN7rocprim17ROCPRIM_400000_NS6detail17trampoline_kernelINS0_14default_configENS1_25partition_config_selectorILNS1_17partition_subalgoE8EaNS0_10empty_typeEbEEZZNS1_14partition_implILS5_8ELb0ES3_jPKaPS6_PKS6_NS0_5tupleIJPaS6_EEENSE_IJSB_SB_EEENS0_18inequality_wrapperIN6hipcub16HIPCUB_304000_NS8EqualityEEEPlJS6_EEE10hipError_tPvRmT3_T4_T5_T6_T7_T9_mT8_P12ihipStream_tbDpT10_ENKUlT_T0_E_clISt17integral_constantIbLb1EES16_IbLb0EEEEDaS12_S13_EUlS12_E_NS1_11comp_targetILNS1_3genE4ELNS1_11target_archE910ELNS1_3gpuE8ELNS1_3repE0EEENS1_30default_config_static_selectorELNS0_4arch9wavefront6targetE1EEEvT1_
		.amdhsa_group_segment_fixed_size 4232
		.amdhsa_private_segment_fixed_size 0
		.amdhsa_kernarg_size 112
		.amdhsa_user_sgpr_count 6
		.amdhsa_user_sgpr_private_segment_buffer 1
		.amdhsa_user_sgpr_dispatch_ptr 0
		.amdhsa_user_sgpr_queue_ptr 0
		.amdhsa_user_sgpr_kernarg_segment_ptr 1
		.amdhsa_user_sgpr_dispatch_id 0
		.amdhsa_user_sgpr_flat_scratch_init 0
		.amdhsa_user_sgpr_kernarg_preload_length 0
		.amdhsa_user_sgpr_kernarg_preload_offset 0
		.amdhsa_user_sgpr_private_segment_size 0
		.amdhsa_uses_dynamic_stack 0
		.amdhsa_system_sgpr_private_segment_wavefront_offset 0
		.amdhsa_system_sgpr_workgroup_id_x 1
		.amdhsa_system_sgpr_workgroup_id_y 0
		.amdhsa_system_sgpr_workgroup_id_z 0
		.amdhsa_system_sgpr_workgroup_info 0
		.amdhsa_system_vgpr_workitem_id 0
		.amdhsa_next_free_vgpr 125
		.amdhsa_next_free_sgpr 54
		.amdhsa_accum_offset 128
		.amdhsa_reserve_vcc 1
		.amdhsa_reserve_flat_scratch 0
		.amdhsa_float_round_mode_32 0
		.amdhsa_float_round_mode_16_64 0
		.amdhsa_float_denorm_mode_32 3
		.amdhsa_float_denorm_mode_16_64 3
		.amdhsa_dx10_clamp 1
		.amdhsa_ieee_mode 1
		.amdhsa_fp16_overflow 0
		.amdhsa_tg_split 0
		.amdhsa_exception_fp_ieee_invalid_op 0
		.amdhsa_exception_fp_denorm_src 0
		.amdhsa_exception_fp_ieee_div_zero 0
		.amdhsa_exception_fp_ieee_overflow 0
		.amdhsa_exception_fp_ieee_underflow 0
		.amdhsa_exception_fp_ieee_inexact 0
		.amdhsa_exception_int_div_zero 0
	.end_amdhsa_kernel
	.section	.text._ZN7rocprim17ROCPRIM_400000_NS6detail17trampoline_kernelINS0_14default_configENS1_25partition_config_selectorILNS1_17partition_subalgoE8EaNS0_10empty_typeEbEEZZNS1_14partition_implILS5_8ELb0ES3_jPKaPS6_PKS6_NS0_5tupleIJPaS6_EEENSE_IJSB_SB_EEENS0_18inequality_wrapperIN6hipcub16HIPCUB_304000_NS8EqualityEEEPlJS6_EEE10hipError_tPvRmT3_T4_T5_T6_T7_T9_mT8_P12ihipStream_tbDpT10_ENKUlT_T0_E_clISt17integral_constantIbLb1EES16_IbLb0EEEEDaS12_S13_EUlS12_E_NS1_11comp_targetILNS1_3genE4ELNS1_11target_archE910ELNS1_3gpuE8ELNS1_3repE0EEENS1_30default_config_static_selectorELNS0_4arch9wavefront6targetE1EEEvT1_,"axG",@progbits,_ZN7rocprim17ROCPRIM_400000_NS6detail17trampoline_kernelINS0_14default_configENS1_25partition_config_selectorILNS1_17partition_subalgoE8EaNS0_10empty_typeEbEEZZNS1_14partition_implILS5_8ELb0ES3_jPKaPS6_PKS6_NS0_5tupleIJPaS6_EEENSE_IJSB_SB_EEENS0_18inequality_wrapperIN6hipcub16HIPCUB_304000_NS8EqualityEEEPlJS6_EEE10hipError_tPvRmT3_T4_T5_T6_T7_T9_mT8_P12ihipStream_tbDpT10_ENKUlT_T0_E_clISt17integral_constantIbLb1EES16_IbLb0EEEEDaS12_S13_EUlS12_E_NS1_11comp_targetILNS1_3genE4ELNS1_11target_archE910ELNS1_3gpuE8ELNS1_3repE0EEENS1_30default_config_static_selectorELNS0_4arch9wavefront6targetE1EEEvT1_,comdat
.Lfunc_end221:
	.size	_ZN7rocprim17ROCPRIM_400000_NS6detail17trampoline_kernelINS0_14default_configENS1_25partition_config_selectorILNS1_17partition_subalgoE8EaNS0_10empty_typeEbEEZZNS1_14partition_implILS5_8ELb0ES3_jPKaPS6_PKS6_NS0_5tupleIJPaS6_EEENSE_IJSB_SB_EEENS0_18inequality_wrapperIN6hipcub16HIPCUB_304000_NS8EqualityEEEPlJS6_EEE10hipError_tPvRmT3_T4_T5_T6_T7_T9_mT8_P12ihipStream_tbDpT10_ENKUlT_T0_E_clISt17integral_constantIbLb1EES16_IbLb0EEEEDaS12_S13_EUlS12_E_NS1_11comp_targetILNS1_3genE4ELNS1_11target_archE910ELNS1_3gpuE8ELNS1_3repE0EEENS1_30default_config_static_selectorELNS0_4arch9wavefront6targetE1EEEvT1_, .Lfunc_end221-_ZN7rocprim17ROCPRIM_400000_NS6detail17trampoline_kernelINS0_14default_configENS1_25partition_config_selectorILNS1_17partition_subalgoE8EaNS0_10empty_typeEbEEZZNS1_14partition_implILS5_8ELb0ES3_jPKaPS6_PKS6_NS0_5tupleIJPaS6_EEENSE_IJSB_SB_EEENS0_18inequality_wrapperIN6hipcub16HIPCUB_304000_NS8EqualityEEEPlJS6_EEE10hipError_tPvRmT3_T4_T5_T6_T7_T9_mT8_P12ihipStream_tbDpT10_ENKUlT_T0_E_clISt17integral_constantIbLb1EES16_IbLb0EEEEDaS12_S13_EUlS12_E_NS1_11comp_targetILNS1_3genE4ELNS1_11target_archE910ELNS1_3gpuE8ELNS1_3repE0EEENS1_30default_config_static_selectorELNS0_4arch9wavefront6targetE1EEEvT1_
                                        ; -- End function
	.section	.AMDGPU.csdata,"",@progbits
; Kernel info:
; codeLenInByte = 13000
; NumSgprs: 58
; NumVgprs: 125
; NumAgprs: 0
; TotalNumVgprs: 125
; ScratchSize: 0
; MemoryBound: 0
; FloatMode: 240
; IeeeMode: 1
; LDSByteSize: 4232 bytes/workgroup (compile time only)
; SGPRBlocks: 7
; VGPRBlocks: 15
; NumSGPRsForWavesPerEU: 58
; NumVGPRsForWavesPerEU: 125
; AccumOffset: 128
; Occupancy: 4
; WaveLimiterHint : 1
; COMPUTE_PGM_RSRC2:SCRATCH_EN: 0
; COMPUTE_PGM_RSRC2:USER_SGPR: 6
; COMPUTE_PGM_RSRC2:TRAP_HANDLER: 0
; COMPUTE_PGM_RSRC2:TGID_X_EN: 1
; COMPUTE_PGM_RSRC2:TGID_Y_EN: 0
; COMPUTE_PGM_RSRC2:TGID_Z_EN: 0
; COMPUTE_PGM_RSRC2:TIDIG_COMP_CNT: 0
; COMPUTE_PGM_RSRC3_GFX90A:ACCUM_OFFSET: 31
; COMPUTE_PGM_RSRC3_GFX90A:TG_SPLIT: 0
	.section	.text._ZN7rocprim17ROCPRIM_400000_NS6detail17trampoline_kernelINS0_14default_configENS1_25partition_config_selectorILNS1_17partition_subalgoE8EaNS0_10empty_typeEbEEZZNS1_14partition_implILS5_8ELb0ES3_jPKaPS6_PKS6_NS0_5tupleIJPaS6_EEENSE_IJSB_SB_EEENS0_18inequality_wrapperIN6hipcub16HIPCUB_304000_NS8EqualityEEEPlJS6_EEE10hipError_tPvRmT3_T4_T5_T6_T7_T9_mT8_P12ihipStream_tbDpT10_ENKUlT_T0_E_clISt17integral_constantIbLb1EES16_IbLb0EEEEDaS12_S13_EUlS12_E_NS1_11comp_targetILNS1_3genE3ELNS1_11target_archE908ELNS1_3gpuE7ELNS1_3repE0EEENS1_30default_config_static_selectorELNS0_4arch9wavefront6targetE1EEEvT1_,"axG",@progbits,_ZN7rocprim17ROCPRIM_400000_NS6detail17trampoline_kernelINS0_14default_configENS1_25partition_config_selectorILNS1_17partition_subalgoE8EaNS0_10empty_typeEbEEZZNS1_14partition_implILS5_8ELb0ES3_jPKaPS6_PKS6_NS0_5tupleIJPaS6_EEENSE_IJSB_SB_EEENS0_18inequality_wrapperIN6hipcub16HIPCUB_304000_NS8EqualityEEEPlJS6_EEE10hipError_tPvRmT3_T4_T5_T6_T7_T9_mT8_P12ihipStream_tbDpT10_ENKUlT_T0_E_clISt17integral_constantIbLb1EES16_IbLb0EEEEDaS12_S13_EUlS12_E_NS1_11comp_targetILNS1_3genE3ELNS1_11target_archE908ELNS1_3gpuE7ELNS1_3repE0EEENS1_30default_config_static_selectorELNS0_4arch9wavefront6targetE1EEEvT1_,comdat
	.protected	_ZN7rocprim17ROCPRIM_400000_NS6detail17trampoline_kernelINS0_14default_configENS1_25partition_config_selectorILNS1_17partition_subalgoE8EaNS0_10empty_typeEbEEZZNS1_14partition_implILS5_8ELb0ES3_jPKaPS6_PKS6_NS0_5tupleIJPaS6_EEENSE_IJSB_SB_EEENS0_18inequality_wrapperIN6hipcub16HIPCUB_304000_NS8EqualityEEEPlJS6_EEE10hipError_tPvRmT3_T4_T5_T6_T7_T9_mT8_P12ihipStream_tbDpT10_ENKUlT_T0_E_clISt17integral_constantIbLb1EES16_IbLb0EEEEDaS12_S13_EUlS12_E_NS1_11comp_targetILNS1_3genE3ELNS1_11target_archE908ELNS1_3gpuE7ELNS1_3repE0EEENS1_30default_config_static_selectorELNS0_4arch9wavefront6targetE1EEEvT1_ ; -- Begin function _ZN7rocprim17ROCPRIM_400000_NS6detail17trampoline_kernelINS0_14default_configENS1_25partition_config_selectorILNS1_17partition_subalgoE8EaNS0_10empty_typeEbEEZZNS1_14partition_implILS5_8ELb0ES3_jPKaPS6_PKS6_NS0_5tupleIJPaS6_EEENSE_IJSB_SB_EEENS0_18inequality_wrapperIN6hipcub16HIPCUB_304000_NS8EqualityEEEPlJS6_EEE10hipError_tPvRmT3_T4_T5_T6_T7_T9_mT8_P12ihipStream_tbDpT10_ENKUlT_T0_E_clISt17integral_constantIbLb1EES16_IbLb0EEEEDaS12_S13_EUlS12_E_NS1_11comp_targetILNS1_3genE3ELNS1_11target_archE908ELNS1_3gpuE7ELNS1_3repE0EEENS1_30default_config_static_selectorELNS0_4arch9wavefront6targetE1EEEvT1_
	.globl	_ZN7rocprim17ROCPRIM_400000_NS6detail17trampoline_kernelINS0_14default_configENS1_25partition_config_selectorILNS1_17partition_subalgoE8EaNS0_10empty_typeEbEEZZNS1_14partition_implILS5_8ELb0ES3_jPKaPS6_PKS6_NS0_5tupleIJPaS6_EEENSE_IJSB_SB_EEENS0_18inequality_wrapperIN6hipcub16HIPCUB_304000_NS8EqualityEEEPlJS6_EEE10hipError_tPvRmT3_T4_T5_T6_T7_T9_mT8_P12ihipStream_tbDpT10_ENKUlT_T0_E_clISt17integral_constantIbLb1EES16_IbLb0EEEEDaS12_S13_EUlS12_E_NS1_11comp_targetILNS1_3genE3ELNS1_11target_archE908ELNS1_3gpuE7ELNS1_3repE0EEENS1_30default_config_static_selectorELNS0_4arch9wavefront6targetE1EEEvT1_
	.p2align	8
	.type	_ZN7rocprim17ROCPRIM_400000_NS6detail17trampoline_kernelINS0_14default_configENS1_25partition_config_selectorILNS1_17partition_subalgoE8EaNS0_10empty_typeEbEEZZNS1_14partition_implILS5_8ELb0ES3_jPKaPS6_PKS6_NS0_5tupleIJPaS6_EEENSE_IJSB_SB_EEENS0_18inequality_wrapperIN6hipcub16HIPCUB_304000_NS8EqualityEEEPlJS6_EEE10hipError_tPvRmT3_T4_T5_T6_T7_T9_mT8_P12ihipStream_tbDpT10_ENKUlT_T0_E_clISt17integral_constantIbLb1EES16_IbLb0EEEEDaS12_S13_EUlS12_E_NS1_11comp_targetILNS1_3genE3ELNS1_11target_archE908ELNS1_3gpuE7ELNS1_3repE0EEENS1_30default_config_static_selectorELNS0_4arch9wavefront6targetE1EEEvT1_,@function
_ZN7rocprim17ROCPRIM_400000_NS6detail17trampoline_kernelINS0_14default_configENS1_25partition_config_selectorILNS1_17partition_subalgoE8EaNS0_10empty_typeEbEEZZNS1_14partition_implILS5_8ELb0ES3_jPKaPS6_PKS6_NS0_5tupleIJPaS6_EEENSE_IJSB_SB_EEENS0_18inequality_wrapperIN6hipcub16HIPCUB_304000_NS8EqualityEEEPlJS6_EEE10hipError_tPvRmT3_T4_T5_T6_T7_T9_mT8_P12ihipStream_tbDpT10_ENKUlT_T0_E_clISt17integral_constantIbLb1EES16_IbLb0EEEEDaS12_S13_EUlS12_E_NS1_11comp_targetILNS1_3genE3ELNS1_11target_archE908ELNS1_3gpuE7ELNS1_3repE0EEENS1_30default_config_static_selectorELNS0_4arch9wavefront6targetE1EEEvT1_: ; @_ZN7rocprim17ROCPRIM_400000_NS6detail17trampoline_kernelINS0_14default_configENS1_25partition_config_selectorILNS1_17partition_subalgoE8EaNS0_10empty_typeEbEEZZNS1_14partition_implILS5_8ELb0ES3_jPKaPS6_PKS6_NS0_5tupleIJPaS6_EEENSE_IJSB_SB_EEENS0_18inequality_wrapperIN6hipcub16HIPCUB_304000_NS8EqualityEEEPlJS6_EEE10hipError_tPvRmT3_T4_T5_T6_T7_T9_mT8_P12ihipStream_tbDpT10_ENKUlT_T0_E_clISt17integral_constantIbLb1EES16_IbLb0EEEEDaS12_S13_EUlS12_E_NS1_11comp_targetILNS1_3genE3ELNS1_11target_archE908ELNS1_3gpuE7ELNS1_3repE0EEENS1_30default_config_static_selectorELNS0_4arch9wavefront6targetE1EEEvT1_
; %bb.0:
	.section	.rodata,"a",@progbits
	.p2align	6, 0x0
	.amdhsa_kernel _ZN7rocprim17ROCPRIM_400000_NS6detail17trampoline_kernelINS0_14default_configENS1_25partition_config_selectorILNS1_17partition_subalgoE8EaNS0_10empty_typeEbEEZZNS1_14partition_implILS5_8ELb0ES3_jPKaPS6_PKS6_NS0_5tupleIJPaS6_EEENSE_IJSB_SB_EEENS0_18inequality_wrapperIN6hipcub16HIPCUB_304000_NS8EqualityEEEPlJS6_EEE10hipError_tPvRmT3_T4_T5_T6_T7_T9_mT8_P12ihipStream_tbDpT10_ENKUlT_T0_E_clISt17integral_constantIbLb1EES16_IbLb0EEEEDaS12_S13_EUlS12_E_NS1_11comp_targetILNS1_3genE3ELNS1_11target_archE908ELNS1_3gpuE7ELNS1_3repE0EEENS1_30default_config_static_selectorELNS0_4arch9wavefront6targetE1EEEvT1_
		.amdhsa_group_segment_fixed_size 0
		.amdhsa_private_segment_fixed_size 0
		.amdhsa_kernarg_size 112
		.amdhsa_user_sgpr_count 6
		.amdhsa_user_sgpr_private_segment_buffer 1
		.amdhsa_user_sgpr_dispatch_ptr 0
		.amdhsa_user_sgpr_queue_ptr 0
		.amdhsa_user_sgpr_kernarg_segment_ptr 1
		.amdhsa_user_sgpr_dispatch_id 0
		.amdhsa_user_sgpr_flat_scratch_init 0
		.amdhsa_user_sgpr_kernarg_preload_length 0
		.amdhsa_user_sgpr_kernarg_preload_offset 0
		.amdhsa_user_sgpr_private_segment_size 0
		.amdhsa_uses_dynamic_stack 0
		.amdhsa_system_sgpr_private_segment_wavefront_offset 0
		.amdhsa_system_sgpr_workgroup_id_x 1
		.amdhsa_system_sgpr_workgroup_id_y 0
		.amdhsa_system_sgpr_workgroup_id_z 0
		.amdhsa_system_sgpr_workgroup_info 0
		.amdhsa_system_vgpr_workitem_id 0
		.amdhsa_next_free_vgpr 1
		.amdhsa_next_free_sgpr 0
		.amdhsa_accum_offset 4
		.amdhsa_reserve_vcc 0
		.amdhsa_reserve_flat_scratch 0
		.amdhsa_float_round_mode_32 0
		.amdhsa_float_round_mode_16_64 0
		.amdhsa_float_denorm_mode_32 3
		.amdhsa_float_denorm_mode_16_64 3
		.amdhsa_dx10_clamp 1
		.amdhsa_ieee_mode 1
		.amdhsa_fp16_overflow 0
		.amdhsa_tg_split 0
		.amdhsa_exception_fp_ieee_invalid_op 0
		.amdhsa_exception_fp_denorm_src 0
		.amdhsa_exception_fp_ieee_div_zero 0
		.amdhsa_exception_fp_ieee_overflow 0
		.amdhsa_exception_fp_ieee_underflow 0
		.amdhsa_exception_fp_ieee_inexact 0
		.amdhsa_exception_int_div_zero 0
	.end_amdhsa_kernel
	.section	.text._ZN7rocprim17ROCPRIM_400000_NS6detail17trampoline_kernelINS0_14default_configENS1_25partition_config_selectorILNS1_17partition_subalgoE8EaNS0_10empty_typeEbEEZZNS1_14partition_implILS5_8ELb0ES3_jPKaPS6_PKS6_NS0_5tupleIJPaS6_EEENSE_IJSB_SB_EEENS0_18inequality_wrapperIN6hipcub16HIPCUB_304000_NS8EqualityEEEPlJS6_EEE10hipError_tPvRmT3_T4_T5_T6_T7_T9_mT8_P12ihipStream_tbDpT10_ENKUlT_T0_E_clISt17integral_constantIbLb1EES16_IbLb0EEEEDaS12_S13_EUlS12_E_NS1_11comp_targetILNS1_3genE3ELNS1_11target_archE908ELNS1_3gpuE7ELNS1_3repE0EEENS1_30default_config_static_selectorELNS0_4arch9wavefront6targetE1EEEvT1_,"axG",@progbits,_ZN7rocprim17ROCPRIM_400000_NS6detail17trampoline_kernelINS0_14default_configENS1_25partition_config_selectorILNS1_17partition_subalgoE8EaNS0_10empty_typeEbEEZZNS1_14partition_implILS5_8ELb0ES3_jPKaPS6_PKS6_NS0_5tupleIJPaS6_EEENSE_IJSB_SB_EEENS0_18inequality_wrapperIN6hipcub16HIPCUB_304000_NS8EqualityEEEPlJS6_EEE10hipError_tPvRmT3_T4_T5_T6_T7_T9_mT8_P12ihipStream_tbDpT10_ENKUlT_T0_E_clISt17integral_constantIbLb1EES16_IbLb0EEEEDaS12_S13_EUlS12_E_NS1_11comp_targetILNS1_3genE3ELNS1_11target_archE908ELNS1_3gpuE7ELNS1_3repE0EEENS1_30default_config_static_selectorELNS0_4arch9wavefront6targetE1EEEvT1_,comdat
.Lfunc_end222:
	.size	_ZN7rocprim17ROCPRIM_400000_NS6detail17trampoline_kernelINS0_14default_configENS1_25partition_config_selectorILNS1_17partition_subalgoE8EaNS0_10empty_typeEbEEZZNS1_14partition_implILS5_8ELb0ES3_jPKaPS6_PKS6_NS0_5tupleIJPaS6_EEENSE_IJSB_SB_EEENS0_18inequality_wrapperIN6hipcub16HIPCUB_304000_NS8EqualityEEEPlJS6_EEE10hipError_tPvRmT3_T4_T5_T6_T7_T9_mT8_P12ihipStream_tbDpT10_ENKUlT_T0_E_clISt17integral_constantIbLb1EES16_IbLb0EEEEDaS12_S13_EUlS12_E_NS1_11comp_targetILNS1_3genE3ELNS1_11target_archE908ELNS1_3gpuE7ELNS1_3repE0EEENS1_30default_config_static_selectorELNS0_4arch9wavefront6targetE1EEEvT1_, .Lfunc_end222-_ZN7rocprim17ROCPRIM_400000_NS6detail17trampoline_kernelINS0_14default_configENS1_25partition_config_selectorILNS1_17partition_subalgoE8EaNS0_10empty_typeEbEEZZNS1_14partition_implILS5_8ELb0ES3_jPKaPS6_PKS6_NS0_5tupleIJPaS6_EEENSE_IJSB_SB_EEENS0_18inequality_wrapperIN6hipcub16HIPCUB_304000_NS8EqualityEEEPlJS6_EEE10hipError_tPvRmT3_T4_T5_T6_T7_T9_mT8_P12ihipStream_tbDpT10_ENKUlT_T0_E_clISt17integral_constantIbLb1EES16_IbLb0EEEEDaS12_S13_EUlS12_E_NS1_11comp_targetILNS1_3genE3ELNS1_11target_archE908ELNS1_3gpuE7ELNS1_3repE0EEENS1_30default_config_static_selectorELNS0_4arch9wavefront6targetE1EEEvT1_
                                        ; -- End function
	.section	.AMDGPU.csdata,"",@progbits
; Kernel info:
; codeLenInByte = 0
; NumSgprs: 4
; NumVgprs: 0
; NumAgprs: 0
; TotalNumVgprs: 0
; ScratchSize: 0
; MemoryBound: 0
; FloatMode: 240
; IeeeMode: 1
; LDSByteSize: 0 bytes/workgroup (compile time only)
; SGPRBlocks: 0
; VGPRBlocks: 0
; NumSGPRsForWavesPerEU: 4
; NumVGPRsForWavesPerEU: 1
; AccumOffset: 4
; Occupancy: 8
; WaveLimiterHint : 0
; COMPUTE_PGM_RSRC2:SCRATCH_EN: 0
; COMPUTE_PGM_RSRC2:USER_SGPR: 6
; COMPUTE_PGM_RSRC2:TRAP_HANDLER: 0
; COMPUTE_PGM_RSRC2:TGID_X_EN: 1
; COMPUTE_PGM_RSRC2:TGID_Y_EN: 0
; COMPUTE_PGM_RSRC2:TGID_Z_EN: 0
; COMPUTE_PGM_RSRC2:TIDIG_COMP_CNT: 0
; COMPUTE_PGM_RSRC3_GFX90A:ACCUM_OFFSET: 0
; COMPUTE_PGM_RSRC3_GFX90A:TG_SPLIT: 0
	.section	.text._ZN7rocprim17ROCPRIM_400000_NS6detail17trampoline_kernelINS0_14default_configENS1_25partition_config_selectorILNS1_17partition_subalgoE8EaNS0_10empty_typeEbEEZZNS1_14partition_implILS5_8ELb0ES3_jPKaPS6_PKS6_NS0_5tupleIJPaS6_EEENSE_IJSB_SB_EEENS0_18inequality_wrapperIN6hipcub16HIPCUB_304000_NS8EqualityEEEPlJS6_EEE10hipError_tPvRmT3_T4_T5_T6_T7_T9_mT8_P12ihipStream_tbDpT10_ENKUlT_T0_E_clISt17integral_constantIbLb1EES16_IbLb0EEEEDaS12_S13_EUlS12_E_NS1_11comp_targetILNS1_3genE2ELNS1_11target_archE906ELNS1_3gpuE6ELNS1_3repE0EEENS1_30default_config_static_selectorELNS0_4arch9wavefront6targetE1EEEvT1_,"axG",@progbits,_ZN7rocprim17ROCPRIM_400000_NS6detail17trampoline_kernelINS0_14default_configENS1_25partition_config_selectorILNS1_17partition_subalgoE8EaNS0_10empty_typeEbEEZZNS1_14partition_implILS5_8ELb0ES3_jPKaPS6_PKS6_NS0_5tupleIJPaS6_EEENSE_IJSB_SB_EEENS0_18inequality_wrapperIN6hipcub16HIPCUB_304000_NS8EqualityEEEPlJS6_EEE10hipError_tPvRmT3_T4_T5_T6_T7_T9_mT8_P12ihipStream_tbDpT10_ENKUlT_T0_E_clISt17integral_constantIbLb1EES16_IbLb0EEEEDaS12_S13_EUlS12_E_NS1_11comp_targetILNS1_3genE2ELNS1_11target_archE906ELNS1_3gpuE6ELNS1_3repE0EEENS1_30default_config_static_selectorELNS0_4arch9wavefront6targetE1EEEvT1_,comdat
	.protected	_ZN7rocprim17ROCPRIM_400000_NS6detail17trampoline_kernelINS0_14default_configENS1_25partition_config_selectorILNS1_17partition_subalgoE8EaNS0_10empty_typeEbEEZZNS1_14partition_implILS5_8ELb0ES3_jPKaPS6_PKS6_NS0_5tupleIJPaS6_EEENSE_IJSB_SB_EEENS0_18inequality_wrapperIN6hipcub16HIPCUB_304000_NS8EqualityEEEPlJS6_EEE10hipError_tPvRmT3_T4_T5_T6_T7_T9_mT8_P12ihipStream_tbDpT10_ENKUlT_T0_E_clISt17integral_constantIbLb1EES16_IbLb0EEEEDaS12_S13_EUlS12_E_NS1_11comp_targetILNS1_3genE2ELNS1_11target_archE906ELNS1_3gpuE6ELNS1_3repE0EEENS1_30default_config_static_selectorELNS0_4arch9wavefront6targetE1EEEvT1_ ; -- Begin function _ZN7rocprim17ROCPRIM_400000_NS6detail17trampoline_kernelINS0_14default_configENS1_25partition_config_selectorILNS1_17partition_subalgoE8EaNS0_10empty_typeEbEEZZNS1_14partition_implILS5_8ELb0ES3_jPKaPS6_PKS6_NS0_5tupleIJPaS6_EEENSE_IJSB_SB_EEENS0_18inequality_wrapperIN6hipcub16HIPCUB_304000_NS8EqualityEEEPlJS6_EEE10hipError_tPvRmT3_T4_T5_T6_T7_T9_mT8_P12ihipStream_tbDpT10_ENKUlT_T0_E_clISt17integral_constantIbLb1EES16_IbLb0EEEEDaS12_S13_EUlS12_E_NS1_11comp_targetILNS1_3genE2ELNS1_11target_archE906ELNS1_3gpuE6ELNS1_3repE0EEENS1_30default_config_static_selectorELNS0_4arch9wavefront6targetE1EEEvT1_
	.globl	_ZN7rocprim17ROCPRIM_400000_NS6detail17trampoline_kernelINS0_14default_configENS1_25partition_config_selectorILNS1_17partition_subalgoE8EaNS0_10empty_typeEbEEZZNS1_14partition_implILS5_8ELb0ES3_jPKaPS6_PKS6_NS0_5tupleIJPaS6_EEENSE_IJSB_SB_EEENS0_18inequality_wrapperIN6hipcub16HIPCUB_304000_NS8EqualityEEEPlJS6_EEE10hipError_tPvRmT3_T4_T5_T6_T7_T9_mT8_P12ihipStream_tbDpT10_ENKUlT_T0_E_clISt17integral_constantIbLb1EES16_IbLb0EEEEDaS12_S13_EUlS12_E_NS1_11comp_targetILNS1_3genE2ELNS1_11target_archE906ELNS1_3gpuE6ELNS1_3repE0EEENS1_30default_config_static_selectorELNS0_4arch9wavefront6targetE1EEEvT1_
	.p2align	8
	.type	_ZN7rocprim17ROCPRIM_400000_NS6detail17trampoline_kernelINS0_14default_configENS1_25partition_config_selectorILNS1_17partition_subalgoE8EaNS0_10empty_typeEbEEZZNS1_14partition_implILS5_8ELb0ES3_jPKaPS6_PKS6_NS0_5tupleIJPaS6_EEENSE_IJSB_SB_EEENS0_18inequality_wrapperIN6hipcub16HIPCUB_304000_NS8EqualityEEEPlJS6_EEE10hipError_tPvRmT3_T4_T5_T6_T7_T9_mT8_P12ihipStream_tbDpT10_ENKUlT_T0_E_clISt17integral_constantIbLb1EES16_IbLb0EEEEDaS12_S13_EUlS12_E_NS1_11comp_targetILNS1_3genE2ELNS1_11target_archE906ELNS1_3gpuE6ELNS1_3repE0EEENS1_30default_config_static_selectorELNS0_4arch9wavefront6targetE1EEEvT1_,@function
_ZN7rocprim17ROCPRIM_400000_NS6detail17trampoline_kernelINS0_14default_configENS1_25partition_config_selectorILNS1_17partition_subalgoE8EaNS0_10empty_typeEbEEZZNS1_14partition_implILS5_8ELb0ES3_jPKaPS6_PKS6_NS0_5tupleIJPaS6_EEENSE_IJSB_SB_EEENS0_18inequality_wrapperIN6hipcub16HIPCUB_304000_NS8EqualityEEEPlJS6_EEE10hipError_tPvRmT3_T4_T5_T6_T7_T9_mT8_P12ihipStream_tbDpT10_ENKUlT_T0_E_clISt17integral_constantIbLb1EES16_IbLb0EEEEDaS12_S13_EUlS12_E_NS1_11comp_targetILNS1_3genE2ELNS1_11target_archE906ELNS1_3gpuE6ELNS1_3repE0EEENS1_30default_config_static_selectorELNS0_4arch9wavefront6targetE1EEEvT1_: ; @_ZN7rocprim17ROCPRIM_400000_NS6detail17trampoline_kernelINS0_14default_configENS1_25partition_config_selectorILNS1_17partition_subalgoE8EaNS0_10empty_typeEbEEZZNS1_14partition_implILS5_8ELb0ES3_jPKaPS6_PKS6_NS0_5tupleIJPaS6_EEENSE_IJSB_SB_EEENS0_18inequality_wrapperIN6hipcub16HIPCUB_304000_NS8EqualityEEEPlJS6_EEE10hipError_tPvRmT3_T4_T5_T6_T7_T9_mT8_P12ihipStream_tbDpT10_ENKUlT_T0_E_clISt17integral_constantIbLb1EES16_IbLb0EEEEDaS12_S13_EUlS12_E_NS1_11comp_targetILNS1_3genE2ELNS1_11target_archE906ELNS1_3gpuE6ELNS1_3repE0EEENS1_30default_config_static_selectorELNS0_4arch9wavefront6targetE1EEEvT1_
; %bb.0:
	.section	.rodata,"a",@progbits
	.p2align	6, 0x0
	.amdhsa_kernel _ZN7rocprim17ROCPRIM_400000_NS6detail17trampoline_kernelINS0_14default_configENS1_25partition_config_selectorILNS1_17partition_subalgoE8EaNS0_10empty_typeEbEEZZNS1_14partition_implILS5_8ELb0ES3_jPKaPS6_PKS6_NS0_5tupleIJPaS6_EEENSE_IJSB_SB_EEENS0_18inequality_wrapperIN6hipcub16HIPCUB_304000_NS8EqualityEEEPlJS6_EEE10hipError_tPvRmT3_T4_T5_T6_T7_T9_mT8_P12ihipStream_tbDpT10_ENKUlT_T0_E_clISt17integral_constantIbLb1EES16_IbLb0EEEEDaS12_S13_EUlS12_E_NS1_11comp_targetILNS1_3genE2ELNS1_11target_archE906ELNS1_3gpuE6ELNS1_3repE0EEENS1_30default_config_static_selectorELNS0_4arch9wavefront6targetE1EEEvT1_
		.amdhsa_group_segment_fixed_size 0
		.amdhsa_private_segment_fixed_size 0
		.amdhsa_kernarg_size 112
		.amdhsa_user_sgpr_count 6
		.amdhsa_user_sgpr_private_segment_buffer 1
		.amdhsa_user_sgpr_dispatch_ptr 0
		.amdhsa_user_sgpr_queue_ptr 0
		.amdhsa_user_sgpr_kernarg_segment_ptr 1
		.amdhsa_user_sgpr_dispatch_id 0
		.amdhsa_user_sgpr_flat_scratch_init 0
		.amdhsa_user_sgpr_kernarg_preload_length 0
		.amdhsa_user_sgpr_kernarg_preload_offset 0
		.amdhsa_user_sgpr_private_segment_size 0
		.amdhsa_uses_dynamic_stack 0
		.amdhsa_system_sgpr_private_segment_wavefront_offset 0
		.amdhsa_system_sgpr_workgroup_id_x 1
		.amdhsa_system_sgpr_workgroup_id_y 0
		.amdhsa_system_sgpr_workgroup_id_z 0
		.amdhsa_system_sgpr_workgroup_info 0
		.amdhsa_system_vgpr_workitem_id 0
		.amdhsa_next_free_vgpr 1
		.amdhsa_next_free_sgpr 0
		.amdhsa_accum_offset 4
		.amdhsa_reserve_vcc 0
		.amdhsa_reserve_flat_scratch 0
		.amdhsa_float_round_mode_32 0
		.amdhsa_float_round_mode_16_64 0
		.amdhsa_float_denorm_mode_32 3
		.amdhsa_float_denorm_mode_16_64 3
		.amdhsa_dx10_clamp 1
		.amdhsa_ieee_mode 1
		.amdhsa_fp16_overflow 0
		.amdhsa_tg_split 0
		.amdhsa_exception_fp_ieee_invalid_op 0
		.amdhsa_exception_fp_denorm_src 0
		.amdhsa_exception_fp_ieee_div_zero 0
		.amdhsa_exception_fp_ieee_overflow 0
		.amdhsa_exception_fp_ieee_underflow 0
		.amdhsa_exception_fp_ieee_inexact 0
		.amdhsa_exception_int_div_zero 0
	.end_amdhsa_kernel
	.section	.text._ZN7rocprim17ROCPRIM_400000_NS6detail17trampoline_kernelINS0_14default_configENS1_25partition_config_selectorILNS1_17partition_subalgoE8EaNS0_10empty_typeEbEEZZNS1_14partition_implILS5_8ELb0ES3_jPKaPS6_PKS6_NS0_5tupleIJPaS6_EEENSE_IJSB_SB_EEENS0_18inequality_wrapperIN6hipcub16HIPCUB_304000_NS8EqualityEEEPlJS6_EEE10hipError_tPvRmT3_T4_T5_T6_T7_T9_mT8_P12ihipStream_tbDpT10_ENKUlT_T0_E_clISt17integral_constantIbLb1EES16_IbLb0EEEEDaS12_S13_EUlS12_E_NS1_11comp_targetILNS1_3genE2ELNS1_11target_archE906ELNS1_3gpuE6ELNS1_3repE0EEENS1_30default_config_static_selectorELNS0_4arch9wavefront6targetE1EEEvT1_,"axG",@progbits,_ZN7rocprim17ROCPRIM_400000_NS6detail17trampoline_kernelINS0_14default_configENS1_25partition_config_selectorILNS1_17partition_subalgoE8EaNS0_10empty_typeEbEEZZNS1_14partition_implILS5_8ELb0ES3_jPKaPS6_PKS6_NS0_5tupleIJPaS6_EEENSE_IJSB_SB_EEENS0_18inequality_wrapperIN6hipcub16HIPCUB_304000_NS8EqualityEEEPlJS6_EEE10hipError_tPvRmT3_T4_T5_T6_T7_T9_mT8_P12ihipStream_tbDpT10_ENKUlT_T0_E_clISt17integral_constantIbLb1EES16_IbLb0EEEEDaS12_S13_EUlS12_E_NS1_11comp_targetILNS1_3genE2ELNS1_11target_archE906ELNS1_3gpuE6ELNS1_3repE0EEENS1_30default_config_static_selectorELNS0_4arch9wavefront6targetE1EEEvT1_,comdat
.Lfunc_end223:
	.size	_ZN7rocprim17ROCPRIM_400000_NS6detail17trampoline_kernelINS0_14default_configENS1_25partition_config_selectorILNS1_17partition_subalgoE8EaNS0_10empty_typeEbEEZZNS1_14partition_implILS5_8ELb0ES3_jPKaPS6_PKS6_NS0_5tupleIJPaS6_EEENSE_IJSB_SB_EEENS0_18inequality_wrapperIN6hipcub16HIPCUB_304000_NS8EqualityEEEPlJS6_EEE10hipError_tPvRmT3_T4_T5_T6_T7_T9_mT8_P12ihipStream_tbDpT10_ENKUlT_T0_E_clISt17integral_constantIbLb1EES16_IbLb0EEEEDaS12_S13_EUlS12_E_NS1_11comp_targetILNS1_3genE2ELNS1_11target_archE906ELNS1_3gpuE6ELNS1_3repE0EEENS1_30default_config_static_selectorELNS0_4arch9wavefront6targetE1EEEvT1_, .Lfunc_end223-_ZN7rocprim17ROCPRIM_400000_NS6detail17trampoline_kernelINS0_14default_configENS1_25partition_config_selectorILNS1_17partition_subalgoE8EaNS0_10empty_typeEbEEZZNS1_14partition_implILS5_8ELb0ES3_jPKaPS6_PKS6_NS0_5tupleIJPaS6_EEENSE_IJSB_SB_EEENS0_18inequality_wrapperIN6hipcub16HIPCUB_304000_NS8EqualityEEEPlJS6_EEE10hipError_tPvRmT3_T4_T5_T6_T7_T9_mT8_P12ihipStream_tbDpT10_ENKUlT_T0_E_clISt17integral_constantIbLb1EES16_IbLb0EEEEDaS12_S13_EUlS12_E_NS1_11comp_targetILNS1_3genE2ELNS1_11target_archE906ELNS1_3gpuE6ELNS1_3repE0EEENS1_30default_config_static_selectorELNS0_4arch9wavefront6targetE1EEEvT1_
                                        ; -- End function
	.section	.AMDGPU.csdata,"",@progbits
; Kernel info:
; codeLenInByte = 0
; NumSgprs: 4
; NumVgprs: 0
; NumAgprs: 0
; TotalNumVgprs: 0
; ScratchSize: 0
; MemoryBound: 0
; FloatMode: 240
; IeeeMode: 1
; LDSByteSize: 0 bytes/workgroup (compile time only)
; SGPRBlocks: 0
; VGPRBlocks: 0
; NumSGPRsForWavesPerEU: 4
; NumVGPRsForWavesPerEU: 1
; AccumOffset: 4
; Occupancy: 8
; WaveLimiterHint : 0
; COMPUTE_PGM_RSRC2:SCRATCH_EN: 0
; COMPUTE_PGM_RSRC2:USER_SGPR: 6
; COMPUTE_PGM_RSRC2:TRAP_HANDLER: 0
; COMPUTE_PGM_RSRC2:TGID_X_EN: 1
; COMPUTE_PGM_RSRC2:TGID_Y_EN: 0
; COMPUTE_PGM_RSRC2:TGID_Z_EN: 0
; COMPUTE_PGM_RSRC2:TIDIG_COMP_CNT: 0
; COMPUTE_PGM_RSRC3_GFX90A:ACCUM_OFFSET: 0
; COMPUTE_PGM_RSRC3_GFX90A:TG_SPLIT: 0
	.section	.text._ZN7rocprim17ROCPRIM_400000_NS6detail17trampoline_kernelINS0_14default_configENS1_25partition_config_selectorILNS1_17partition_subalgoE8EaNS0_10empty_typeEbEEZZNS1_14partition_implILS5_8ELb0ES3_jPKaPS6_PKS6_NS0_5tupleIJPaS6_EEENSE_IJSB_SB_EEENS0_18inequality_wrapperIN6hipcub16HIPCUB_304000_NS8EqualityEEEPlJS6_EEE10hipError_tPvRmT3_T4_T5_T6_T7_T9_mT8_P12ihipStream_tbDpT10_ENKUlT_T0_E_clISt17integral_constantIbLb1EES16_IbLb0EEEEDaS12_S13_EUlS12_E_NS1_11comp_targetILNS1_3genE10ELNS1_11target_archE1200ELNS1_3gpuE4ELNS1_3repE0EEENS1_30default_config_static_selectorELNS0_4arch9wavefront6targetE1EEEvT1_,"axG",@progbits,_ZN7rocprim17ROCPRIM_400000_NS6detail17trampoline_kernelINS0_14default_configENS1_25partition_config_selectorILNS1_17partition_subalgoE8EaNS0_10empty_typeEbEEZZNS1_14partition_implILS5_8ELb0ES3_jPKaPS6_PKS6_NS0_5tupleIJPaS6_EEENSE_IJSB_SB_EEENS0_18inequality_wrapperIN6hipcub16HIPCUB_304000_NS8EqualityEEEPlJS6_EEE10hipError_tPvRmT3_T4_T5_T6_T7_T9_mT8_P12ihipStream_tbDpT10_ENKUlT_T0_E_clISt17integral_constantIbLb1EES16_IbLb0EEEEDaS12_S13_EUlS12_E_NS1_11comp_targetILNS1_3genE10ELNS1_11target_archE1200ELNS1_3gpuE4ELNS1_3repE0EEENS1_30default_config_static_selectorELNS0_4arch9wavefront6targetE1EEEvT1_,comdat
	.protected	_ZN7rocprim17ROCPRIM_400000_NS6detail17trampoline_kernelINS0_14default_configENS1_25partition_config_selectorILNS1_17partition_subalgoE8EaNS0_10empty_typeEbEEZZNS1_14partition_implILS5_8ELb0ES3_jPKaPS6_PKS6_NS0_5tupleIJPaS6_EEENSE_IJSB_SB_EEENS0_18inequality_wrapperIN6hipcub16HIPCUB_304000_NS8EqualityEEEPlJS6_EEE10hipError_tPvRmT3_T4_T5_T6_T7_T9_mT8_P12ihipStream_tbDpT10_ENKUlT_T0_E_clISt17integral_constantIbLb1EES16_IbLb0EEEEDaS12_S13_EUlS12_E_NS1_11comp_targetILNS1_3genE10ELNS1_11target_archE1200ELNS1_3gpuE4ELNS1_3repE0EEENS1_30default_config_static_selectorELNS0_4arch9wavefront6targetE1EEEvT1_ ; -- Begin function _ZN7rocprim17ROCPRIM_400000_NS6detail17trampoline_kernelINS0_14default_configENS1_25partition_config_selectorILNS1_17partition_subalgoE8EaNS0_10empty_typeEbEEZZNS1_14partition_implILS5_8ELb0ES3_jPKaPS6_PKS6_NS0_5tupleIJPaS6_EEENSE_IJSB_SB_EEENS0_18inequality_wrapperIN6hipcub16HIPCUB_304000_NS8EqualityEEEPlJS6_EEE10hipError_tPvRmT3_T4_T5_T6_T7_T9_mT8_P12ihipStream_tbDpT10_ENKUlT_T0_E_clISt17integral_constantIbLb1EES16_IbLb0EEEEDaS12_S13_EUlS12_E_NS1_11comp_targetILNS1_3genE10ELNS1_11target_archE1200ELNS1_3gpuE4ELNS1_3repE0EEENS1_30default_config_static_selectorELNS0_4arch9wavefront6targetE1EEEvT1_
	.globl	_ZN7rocprim17ROCPRIM_400000_NS6detail17trampoline_kernelINS0_14default_configENS1_25partition_config_selectorILNS1_17partition_subalgoE8EaNS0_10empty_typeEbEEZZNS1_14partition_implILS5_8ELb0ES3_jPKaPS6_PKS6_NS0_5tupleIJPaS6_EEENSE_IJSB_SB_EEENS0_18inequality_wrapperIN6hipcub16HIPCUB_304000_NS8EqualityEEEPlJS6_EEE10hipError_tPvRmT3_T4_T5_T6_T7_T9_mT8_P12ihipStream_tbDpT10_ENKUlT_T0_E_clISt17integral_constantIbLb1EES16_IbLb0EEEEDaS12_S13_EUlS12_E_NS1_11comp_targetILNS1_3genE10ELNS1_11target_archE1200ELNS1_3gpuE4ELNS1_3repE0EEENS1_30default_config_static_selectorELNS0_4arch9wavefront6targetE1EEEvT1_
	.p2align	8
	.type	_ZN7rocprim17ROCPRIM_400000_NS6detail17trampoline_kernelINS0_14default_configENS1_25partition_config_selectorILNS1_17partition_subalgoE8EaNS0_10empty_typeEbEEZZNS1_14partition_implILS5_8ELb0ES3_jPKaPS6_PKS6_NS0_5tupleIJPaS6_EEENSE_IJSB_SB_EEENS0_18inequality_wrapperIN6hipcub16HIPCUB_304000_NS8EqualityEEEPlJS6_EEE10hipError_tPvRmT3_T4_T5_T6_T7_T9_mT8_P12ihipStream_tbDpT10_ENKUlT_T0_E_clISt17integral_constantIbLb1EES16_IbLb0EEEEDaS12_S13_EUlS12_E_NS1_11comp_targetILNS1_3genE10ELNS1_11target_archE1200ELNS1_3gpuE4ELNS1_3repE0EEENS1_30default_config_static_selectorELNS0_4arch9wavefront6targetE1EEEvT1_,@function
_ZN7rocprim17ROCPRIM_400000_NS6detail17trampoline_kernelINS0_14default_configENS1_25partition_config_selectorILNS1_17partition_subalgoE8EaNS0_10empty_typeEbEEZZNS1_14partition_implILS5_8ELb0ES3_jPKaPS6_PKS6_NS0_5tupleIJPaS6_EEENSE_IJSB_SB_EEENS0_18inequality_wrapperIN6hipcub16HIPCUB_304000_NS8EqualityEEEPlJS6_EEE10hipError_tPvRmT3_T4_T5_T6_T7_T9_mT8_P12ihipStream_tbDpT10_ENKUlT_T0_E_clISt17integral_constantIbLb1EES16_IbLb0EEEEDaS12_S13_EUlS12_E_NS1_11comp_targetILNS1_3genE10ELNS1_11target_archE1200ELNS1_3gpuE4ELNS1_3repE0EEENS1_30default_config_static_selectorELNS0_4arch9wavefront6targetE1EEEvT1_: ; @_ZN7rocprim17ROCPRIM_400000_NS6detail17trampoline_kernelINS0_14default_configENS1_25partition_config_selectorILNS1_17partition_subalgoE8EaNS0_10empty_typeEbEEZZNS1_14partition_implILS5_8ELb0ES3_jPKaPS6_PKS6_NS0_5tupleIJPaS6_EEENSE_IJSB_SB_EEENS0_18inequality_wrapperIN6hipcub16HIPCUB_304000_NS8EqualityEEEPlJS6_EEE10hipError_tPvRmT3_T4_T5_T6_T7_T9_mT8_P12ihipStream_tbDpT10_ENKUlT_T0_E_clISt17integral_constantIbLb1EES16_IbLb0EEEEDaS12_S13_EUlS12_E_NS1_11comp_targetILNS1_3genE10ELNS1_11target_archE1200ELNS1_3gpuE4ELNS1_3repE0EEENS1_30default_config_static_selectorELNS0_4arch9wavefront6targetE1EEEvT1_
; %bb.0:
	.section	.rodata,"a",@progbits
	.p2align	6, 0x0
	.amdhsa_kernel _ZN7rocprim17ROCPRIM_400000_NS6detail17trampoline_kernelINS0_14default_configENS1_25partition_config_selectorILNS1_17partition_subalgoE8EaNS0_10empty_typeEbEEZZNS1_14partition_implILS5_8ELb0ES3_jPKaPS6_PKS6_NS0_5tupleIJPaS6_EEENSE_IJSB_SB_EEENS0_18inequality_wrapperIN6hipcub16HIPCUB_304000_NS8EqualityEEEPlJS6_EEE10hipError_tPvRmT3_T4_T5_T6_T7_T9_mT8_P12ihipStream_tbDpT10_ENKUlT_T0_E_clISt17integral_constantIbLb1EES16_IbLb0EEEEDaS12_S13_EUlS12_E_NS1_11comp_targetILNS1_3genE10ELNS1_11target_archE1200ELNS1_3gpuE4ELNS1_3repE0EEENS1_30default_config_static_selectorELNS0_4arch9wavefront6targetE1EEEvT1_
		.amdhsa_group_segment_fixed_size 0
		.amdhsa_private_segment_fixed_size 0
		.amdhsa_kernarg_size 112
		.amdhsa_user_sgpr_count 6
		.amdhsa_user_sgpr_private_segment_buffer 1
		.amdhsa_user_sgpr_dispatch_ptr 0
		.amdhsa_user_sgpr_queue_ptr 0
		.amdhsa_user_sgpr_kernarg_segment_ptr 1
		.amdhsa_user_sgpr_dispatch_id 0
		.amdhsa_user_sgpr_flat_scratch_init 0
		.amdhsa_user_sgpr_kernarg_preload_length 0
		.amdhsa_user_sgpr_kernarg_preload_offset 0
		.amdhsa_user_sgpr_private_segment_size 0
		.amdhsa_uses_dynamic_stack 0
		.amdhsa_system_sgpr_private_segment_wavefront_offset 0
		.amdhsa_system_sgpr_workgroup_id_x 1
		.amdhsa_system_sgpr_workgroup_id_y 0
		.amdhsa_system_sgpr_workgroup_id_z 0
		.amdhsa_system_sgpr_workgroup_info 0
		.amdhsa_system_vgpr_workitem_id 0
		.amdhsa_next_free_vgpr 1
		.amdhsa_next_free_sgpr 0
		.amdhsa_accum_offset 4
		.amdhsa_reserve_vcc 0
		.amdhsa_reserve_flat_scratch 0
		.amdhsa_float_round_mode_32 0
		.amdhsa_float_round_mode_16_64 0
		.amdhsa_float_denorm_mode_32 3
		.amdhsa_float_denorm_mode_16_64 3
		.amdhsa_dx10_clamp 1
		.amdhsa_ieee_mode 1
		.amdhsa_fp16_overflow 0
		.amdhsa_tg_split 0
		.amdhsa_exception_fp_ieee_invalid_op 0
		.amdhsa_exception_fp_denorm_src 0
		.amdhsa_exception_fp_ieee_div_zero 0
		.amdhsa_exception_fp_ieee_overflow 0
		.amdhsa_exception_fp_ieee_underflow 0
		.amdhsa_exception_fp_ieee_inexact 0
		.amdhsa_exception_int_div_zero 0
	.end_amdhsa_kernel
	.section	.text._ZN7rocprim17ROCPRIM_400000_NS6detail17trampoline_kernelINS0_14default_configENS1_25partition_config_selectorILNS1_17partition_subalgoE8EaNS0_10empty_typeEbEEZZNS1_14partition_implILS5_8ELb0ES3_jPKaPS6_PKS6_NS0_5tupleIJPaS6_EEENSE_IJSB_SB_EEENS0_18inequality_wrapperIN6hipcub16HIPCUB_304000_NS8EqualityEEEPlJS6_EEE10hipError_tPvRmT3_T4_T5_T6_T7_T9_mT8_P12ihipStream_tbDpT10_ENKUlT_T0_E_clISt17integral_constantIbLb1EES16_IbLb0EEEEDaS12_S13_EUlS12_E_NS1_11comp_targetILNS1_3genE10ELNS1_11target_archE1200ELNS1_3gpuE4ELNS1_3repE0EEENS1_30default_config_static_selectorELNS0_4arch9wavefront6targetE1EEEvT1_,"axG",@progbits,_ZN7rocprim17ROCPRIM_400000_NS6detail17trampoline_kernelINS0_14default_configENS1_25partition_config_selectorILNS1_17partition_subalgoE8EaNS0_10empty_typeEbEEZZNS1_14partition_implILS5_8ELb0ES3_jPKaPS6_PKS6_NS0_5tupleIJPaS6_EEENSE_IJSB_SB_EEENS0_18inequality_wrapperIN6hipcub16HIPCUB_304000_NS8EqualityEEEPlJS6_EEE10hipError_tPvRmT3_T4_T5_T6_T7_T9_mT8_P12ihipStream_tbDpT10_ENKUlT_T0_E_clISt17integral_constantIbLb1EES16_IbLb0EEEEDaS12_S13_EUlS12_E_NS1_11comp_targetILNS1_3genE10ELNS1_11target_archE1200ELNS1_3gpuE4ELNS1_3repE0EEENS1_30default_config_static_selectorELNS0_4arch9wavefront6targetE1EEEvT1_,comdat
.Lfunc_end224:
	.size	_ZN7rocprim17ROCPRIM_400000_NS6detail17trampoline_kernelINS0_14default_configENS1_25partition_config_selectorILNS1_17partition_subalgoE8EaNS0_10empty_typeEbEEZZNS1_14partition_implILS5_8ELb0ES3_jPKaPS6_PKS6_NS0_5tupleIJPaS6_EEENSE_IJSB_SB_EEENS0_18inequality_wrapperIN6hipcub16HIPCUB_304000_NS8EqualityEEEPlJS6_EEE10hipError_tPvRmT3_T4_T5_T6_T7_T9_mT8_P12ihipStream_tbDpT10_ENKUlT_T0_E_clISt17integral_constantIbLb1EES16_IbLb0EEEEDaS12_S13_EUlS12_E_NS1_11comp_targetILNS1_3genE10ELNS1_11target_archE1200ELNS1_3gpuE4ELNS1_3repE0EEENS1_30default_config_static_selectorELNS0_4arch9wavefront6targetE1EEEvT1_, .Lfunc_end224-_ZN7rocprim17ROCPRIM_400000_NS6detail17trampoline_kernelINS0_14default_configENS1_25partition_config_selectorILNS1_17partition_subalgoE8EaNS0_10empty_typeEbEEZZNS1_14partition_implILS5_8ELb0ES3_jPKaPS6_PKS6_NS0_5tupleIJPaS6_EEENSE_IJSB_SB_EEENS0_18inequality_wrapperIN6hipcub16HIPCUB_304000_NS8EqualityEEEPlJS6_EEE10hipError_tPvRmT3_T4_T5_T6_T7_T9_mT8_P12ihipStream_tbDpT10_ENKUlT_T0_E_clISt17integral_constantIbLb1EES16_IbLb0EEEEDaS12_S13_EUlS12_E_NS1_11comp_targetILNS1_3genE10ELNS1_11target_archE1200ELNS1_3gpuE4ELNS1_3repE0EEENS1_30default_config_static_selectorELNS0_4arch9wavefront6targetE1EEEvT1_
                                        ; -- End function
	.section	.AMDGPU.csdata,"",@progbits
; Kernel info:
; codeLenInByte = 0
; NumSgprs: 4
; NumVgprs: 0
; NumAgprs: 0
; TotalNumVgprs: 0
; ScratchSize: 0
; MemoryBound: 0
; FloatMode: 240
; IeeeMode: 1
; LDSByteSize: 0 bytes/workgroup (compile time only)
; SGPRBlocks: 0
; VGPRBlocks: 0
; NumSGPRsForWavesPerEU: 4
; NumVGPRsForWavesPerEU: 1
; AccumOffset: 4
; Occupancy: 8
; WaveLimiterHint : 0
; COMPUTE_PGM_RSRC2:SCRATCH_EN: 0
; COMPUTE_PGM_RSRC2:USER_SGPR: 6
; COMPUTE_PGM_RSRC2:TRAP_HANDLER: 0
; COMPUTE_PGM_RSRC2:TGID_X_EN: 1
; COMPUTE_PGM_RSRC2:TGID_Y_EN: 0
; COMPUTE_PGM_RSRC2:TGID_Z_EN: 0
; COMPUTE_PGM_RSRC2:TIDIG_COMP_CNT: 0
; COMPUTE_PGM_RSRC3_GFX90A:ACCUM_OFFSET: 0
; COMPUTE_PGM_RSRC3_GFX90A:TG_SPLIT: 0
	.section	.text._ZN7rocprim17ROCPRIM_400000_NS6detail17trampoline_kernelINS0_14default_configENS1_25partition_config_selectorILNS1_17partition_subalgoE8EaNS0_10empty_typeEbEEZZNS1_14partition_implILS5_8ELb0ES3_jPKaPS6_PKS6_NS0_5tupleIJPaS6_EEENSE_IJSB_SB_EEENS0_18inequality_wrapperIN6hipcub16HIPCUB_304000_NS8EqualityEEEPlJS6_EEE10hipError_tPvRmT3_T4_T5_T6_T7_T9_mT8_P12ihipStream_tbDpT10_ENKUlT_T0_E_clISt17integral_constantIbLb1EES16_IbLb0EEEEDaS12_S13_EUlS12_E_NS1_11comp_targetILNS1_3genE9ELNS1_11target_archE1100ELNS1_3gpuE3ELNS1_3repE0EEENS1_30default_config_static_selectorELNS0_4arch9wavefront6targetE1EEEvT1_,"axG",@progbits,_ZN7rocprim17ROCPRIM_400000_NS6detail17trampoline_kernelINS0_14default_configENS1_25partition_config_selectorILNS1_17partition_subalgoE8EaNS0_10empty_typeEbEEZZNS1_14partition_implILS5_8ELb0ES3_jPKaPS6_PKS6_NS0_5tupleIJPaS6_EEENSE_IJSB_SB_EEENS0_18inequality_wrapperIN6hipcub16HIPCUB_304000_NS8EqualityEEEPlJS6_EEE10hipError_tPvRmT3_T4_T5_T6_T7_T9_mT8_P12ihipStream_tbDpT10_ENKUlT_T0_E_clISt17integral_constantIbLb1EES16_IbLb0EEEEDaS12_S13_EUlS12_E_NS1_11comp_targetILNS1_3genE9ELNS1_11target_archE1100ELNS1_3gpuE3ELNS1_3repE0EEENS1_30default_config_static_selectorELNS0_4arch9wavefront6targetE1EEEvT1_,comdat
	.protected	_ZN7rocprim17ROCPRIM_400000_NS6detail17trampoline_kernelINS0_14default_configENS1_25partition_config_selectorILNS1_17partition_subalgoE8EaNS0_10empty_typeEbEEZZNS1_14partition_implILS5_8ELb0ES3_jPKaPS6_PKS6_NS0_5tupleIJPaS6_EEENSE_IJSB_SB_EEENS0_18inequality_wrapperIN6hipcub16HIPCUB_304000_NS8EqualityEEEPlJS6_EEE10hipError_tPvRmT3_T4_T5_T6_T7_T9_mT8_P12ihipStream_tbDpT10_ENKUlT_T0_E_clISt17integral_constantIbLb1EES16_IbLb0EEEEDaS12_S13_EUlS12_E_NS1_11comp_targetILNS1_3genE9ELNS1_11target_archE1100ELNS1_3gpuE3ELNS1_3repE0EEENS1_30default_config_static_selectorELNS0_4arch9wavefront6targetE1EEEvT1_ ; -- Begin function _ZN7rocprim17ROCPRIM_400000_NS6detail17trampoline_kernelINS0_14default_configENS1_25partition_config_selectorILNS1_17partition_subalgoE8EaNS0_10empty_typeEbEEZZNS1_14partition_implILS5_8ELb0ES3_jPKaPS6_PKS6_NS0_5tupleIJPaS6_EEENSE_IJSB_SB_EEENS0_18inequality_wrapperIN6hipcub16HIPCUB_304000_NS8EqualityEEEPlJS6_EEE10hipError_tPvRmT3_T4_T5_T6_T7_T9_mT8_P12ihipStream_tbDpT10_ENKUlT_T0_E_clISt17integral_constantIbLb1EES16_IbLb0EEEEDaS12_S13_EUlS12_E_NS1_11comp_targetILNS1_3genE9ELNS1_11target_archE1100ELNS1_3gpuE3ELNS1_3repE0EEENS1_30default_config_static_selectorELNS0_4arch9wavefront6targetE1EEEvT1_
	.globl	_ZN7rocprim17ROCPRIM_400000_NS6detail17trampoline_kernelINS0_14default_configENS1_25partition_config_selectorILNS1_17partition_subalgoE8EaNS0_10empty_typeEbEEZZNS1_14partition_implILS5_8ELb0ES3_jPKaPS6_PKS6_NS0_5tupleIJPaS6_EEENSE_IJSB_SB_EEENS0_18inequality_wrapperIN6hipcub16HIPCUB_304000_NS8EqualityEEEPlJS6_EEE10hipError_tPvRmT3_T4_T5_T6_T7_T9_mT8_P12ihipStream_tbDpT10_ENKUlT_T0_E_clISt17integral_constantIbLb1EES16_IbLb0EEEEDaS12_S13_EUlS12_E_NS1_11comp_targetILNS1_3genE9ELNS1_11target_archE1100ELNS1_3gpuE3ELNS1_3repE0EEENS1_30default_config_static_selectorELNS0_4arch9wavefront6targetE1EEEvT1_
	.p2align	8
	.type	_ZN7rocprim17ROCPRIM_400000_NS6detail17trampoline_kernelINS0_14default_configENS1_25partition_config_selectorILNS1_17partition_subalgoE8EaNS0_10empty_typeEbEEZZNS1_14partition_implILS5_8ELb0ES3_jPKaPS6_PKS6_NS0_5tupleIJPaS6_EEENSE_IJSB_SB_EEENS0_18inequality_wrapperIN6hipcub16HIPCUB_304000_NS8EqualityEEEPlJS6_EEE10hipError_tPvRmT3_T4_T5_T6_T7_T9_mT8_P12ihipStream_tbDpT10_ENKUlT_T0_E_clISt17integral_constantIbLb1EES16_IbLb0EEEEDaS12_S13_EUlS12_E_NS1_11comp_targetILNS1_3genE9ELNS1_11target_archE1100ELNS1_3gpuE3ELNS1_3repE0EEENS1_30default_config_static_selectorELNS0_4arch9wavefront6targetE1EEEvT1_,@function
_ZN7rocprim17ROCPRIM_400000_NS6detail17trampoline_kernelINS0_14default_configENS1_25partition_config_selectorILNS1_17partition_subalgoE8EaNS0_10empty_typeEbEEZZNS1_14partition_implILS5_8ELb0ES3_jPKaPS6_PKS6_NS0_5tupleIJPaS6_EEENSE_IJSB_SB_EEENS0_18inequality_wrapperIN6hipcub16HIPCUB_304000_NS8EqualityEEEPlJS6_EEE10hipError_tPvRmT3_T4_T5_T6_T7_T9_mT8_P12ihipStream_tbDpT10_ENKUlT_T0_E_clISt17integral_constantIbLb1EES16_IbLb0EEEEDaS12_S13_EUlS12_E_NS1_11comp_targetILNS1_3genE9ELNS1_11target_archE1100ELNS1_3gpuE3ELNS1_3repE0EEENS1_30default_config_static_selectorELNS0_4arch9wavefront6targetE1EEEvT1_: ; @_ZN7rocprim17ROCPRIM_400000_NS6detail17trampoline_kernelINS0_14default_configENS1_25partition_config_selectorILNS1_17partition_subalgoE8EaNS0_10empty_typeEbEEZZNS1_14partition_implILS5_8ELb0ES3_jPKaPS6_PKS6_NS0_5tupleIJPaS6_EEENSE_IJSB_SB_EEENS0_18inequality_wrapperIN6hipcub16HIPCUB_304000_NS8EqualityEEEPlJS6_EEE10hipError_tPvRmT3_T4_T5_T6_T7_T9_mT8_P12ihipStream_tbDpT10_ENKUlT_T0_E_clISt17integral_constantIbLb1EES16_IbLb0EEEEDaS12_S13_EUlS12_E_NS1_11comp_targetILNS1_3genE9ELNS1_11target_archE1100ELNS1_3gpuE3ELNS1_3repE0EEENS1_30default_config_static_selectorELNS0_4arch9wavefront6targetE1EEEvT1_
; %bb.0:
	.section	.rodata,"a",@progbits
	.p2align	6, 0x0
	.amdhsa_kernel _ZN7rocprim17ROCPRIM_400000_NS6detail17trampoline_kernelINS0_14default_configENS1_25partition_config_selectorILNS1_17partition_subalgoE8EaNS0_10empty_typeEbEEZZNS1_14partition_implILS5_8ELb0ES3_jPKaPS6_PKS6_NS0_5tupleIJPaS6_EEENSE_IJSB_SB_EEENS0_18inequality_wrapperIN6hipcub16HIPCUB_304000_NS8EqualityEEEPlJS6_EEE10hipError_tPvRmT3_T4_T5_T6_T7_T9_mT8_P12ihipStream_tbDpT10_ENKUlT_T0_E_clISt17integral_constantIbLb1EES16_IbLb0EEEEDaS12_S13_EUlS12_E_NS1_11comp_targetILNS1_3genE9ELNS1_11target_archE1100ELNS1_3gpuE3ELNS1_3repE0EEENS1_30default_config_static_selectorELNS0_4arch9wavefront6targetE1EEEvT1_
		.amdhsa_group_segment_fixed_size 0
		.amdhsa_private_segment_fixed_size 0
		.amdhsa_kernarg_size 112
		.amdhsa_user_sgpr_count 6
		.amdhsa_user_sgpr_private_segment_buffer 1
		.amdhsa_user_sgpr_dispatch_ptr 0
		.amdhsa_user_sgpr_queue_ptr 0
		.amdhsa_user_sgpr_kernarg_segment_ptr 1
		.amdhsa_user_sgpr_dispatch_id 0
		.amdhsa_user_sgpr_flat_scratch_init 0
		.amdhsa_user_sgpr_kernarg_preload_length 0
		.amdhsa_user_sgpr_kernarg_preload_offset 0
		.amdhsa_user_sgpr_private_segment_size 0
		.amdhsa_uses_dynamic_stack 0
		.amdhsa_system_sgpr_private_segment_wavefront_offset 0
		.amdhsa_system_sgpr_workgroup_id_x 1
		.amdhsa_system_sgpr_workgroup_id_y 0
		.amdhsa_system_sgpr_workgroup_id_z 0
		.amdhsa_system_sgpr_workgroup_info 0
		.amdhsa_system_vgpr_workitem_id 0
		.amdhsa_next_free_vgpr 1
		.amdhsa_next_free_sgpr 0
		.amdhsa_accum_offset 4
		.amdhsa_reserve_vcc 0
		.amdhsa_reserve_flat_scratch 0
		.amdhsa_float_round_mode_32 0
		.amdhsa_float_round_mode_16_64 0
		.amdhsa_float_denorm_mode_32 3
		.amdhsa_float_denorm_mode_16_64 3
		.amdhsa_dx10_clamp 1
		.amdhsa_ieee_mode 1
		.amdhsa_fp16_overflow 0
		.amdhsa_tg_split 0
		.amdhsa_exception_fp_ieee_invalid_op 0
		.amdhsa_exception_fp_denorm_src 0
		.amdhsa_exception_fp_ieee_div_zero 0
		.amdhsa_exception_fp_ieee_overflow 0
		.amdhsa_exception_fp_ieee_underflow 0
		.amdhsa_exception_fp_ieee_inexact 0
		.amdhsa_exception_int_div_zero 0
	.end_amdhsa_kernel
	.section	.text._ZN7rocprim17ROCPRIM_400000_NS6detail17trampoline_kernelINS0_14default_configENS1_25partition_config_selectorILNS1_17partition_subalgoE8EaNS0_10empty_typeEbEEZZNS1_14partition_implILS5_8ELb0ES3_jPKaPS6_PKS6_NS0_5tupleIJPaS6_EEENSE_IJSB_SB_EEENS0_18inequality_wrapperIN6hipcub16HIPCUB_304000_NS8EqualityEEEPlJS6_EEE10hipError_tPvRmT3_T4_T5_T6_T7_T9_mT8_P12ihipStream_tbDpT10_ENKUlT_T0_E_clISt17integral_constantIbLb1EES16_IbLb0EEEEDaS12_S13_EUlS12_E_NS1_11comp_targetILNS1_3genE9ELNS1_11target_archE1100ELNS1_3gpuE3ELNS1_3repE0EEENS1_30default_config_static_selectorELNS0_4arch9wavefront6targetE1EEEvT1_,"axG",@progbits,_ZN7rocprim17ROCPRIM_400000_NS6detail17trampoline_kernelINS0_14default_configENS1_25partition_config_selectorILNS1_17partition_subalgoE8EaNS0_10empty_typeEbEEZZNS1_14partition_implILS5_8ELb0ES3_jPKaPS6_PKS6_NS0_5tupleIJPaS6_EEENSE_IJSB_SB_EEENS0_18inequality_wrapperIN6hipcub16HIPCUB_304000_NS8EqualityEEEPlJS6_EEE10hipError_tPvRmT3_T4_T5_T6_T7_T9_mT8_P12ihipStream_tbDpT10_ENKUlT_T0_E_clISt17integral_constantIbLb1EES16_IbLb0EEEEDaS12_S13_EUlS12_E_NS1_11comp_targetILNS1_3genE9ELNS1_11target_archE1100ELNS1_3gpuE3ELNS1_3repE0EEENS1_30default_config_static_selectorELNS0_4arch9wavefront6targetE1EEEvT1_,comdat
.Lfunc_end225:
	.size	_ZN7rocprim17ROCPRIM_400000_NS6detail17trampoline_kernelINS0_14default_configENS1_25partition_config_selectorILNS1_17partition_subalgoE8EaNS0_10empty_typeEbEEZZNS1_14partition_implILS5_8ELb0ES3_jPKaPS6_PKS6_NS0_5tupleIJPaS6_EEENSE_IJSB_SB_EEENS0_18inequality_wrapperIN6hipcub16HIPCUB_304000_NS8EqualityEEEPlJS6_EEE10hipError_tPvRmT3_T4_T5_T6_T7_T9_mT8_P12ihipStream_tbDpT10_ENKUlT_T0_E_clISt17integral_constantIbLb1EES16_IbLb0EEEEDaS12_S13_EUlS12_E_NS1_11comp_targetILNS1_3genE9ELNS1_11target_archE1100ELNS1_3gpuE3ELNS1_3repE0EEENS1_30default_config_static_selectorELNS0_4arch9wavefront6targetE1EEEvT1_, .Lfunc_end225-_ZN7rocprim17ROCPRIM_400000_NS6detail17trampoline_kernelINS0_14default_configENS1_25partition_config_selectorILNS1_17partition_subalgoE8EaNS0_10empty_typeEbEEZZNS1_14partition_implILS5_8ELb0ES3_jPKaPS6_PKS6_NS0_5tupleIJPaS6_EEENSE_IJSB_SB_EEENS0_18inequality_wrapperIN6hipcub16HIPCUB_304000_NS8EqualityEEEPlJS6_EEE10hipError_tPvRmT3_T4_T5_T6_T7_T9_mT8_P12ihipStream_tbDpT10_ENKUlT_T0_E_clISt17integral_constantIbLb1EES16_IbLb0EEEEDaS12_S13_EUlS12_E_NS1_11comp_targetILNS1_3genE9ELNS1_11target_archE1100ELNS1_3gpuE3ELNS1_3repE0EEENS1_30default_config_static_selectorELNS0_4arch9wavefront6targetE1EEEvT1_
                                        ; -- End function
	.section	.AMDGPU.csdata,"",@progbits
; Kernel info:
; codeLenInByte = 0
; NumSgprs: 4
; NumVgprs: 0
; NumAgprs: 0
; TotalNumVgprs: 0
; ScratchSize: 0
; MemoryBound: 0
; FloatMode: 240
; IeeeMode: 1
; LDSByteSize: 0 bytes/workgroup (compile time only)
; SGPRBlocks: 0
; VGPRBlocks: 0
; NumSGPRsForWavesPerEU: 4
; NumVGPRsForWavesPerEU: 1
; AccumOffset: 4
; Occupancy: 8
; WaveLimiterHint : 0
; COMPUTE_PGM_RSRC2:SCRATCH_EN: 0
; COMPUTE_PGM_RSRC2:USER_SGPR: 6
; COMPUTE_PGM_RSRC2:TRAP_HANDLER: 0
; COMPUTE_PGM_RSRC2:TGID_X_EN: 1
; COMPUTE_PGM_RSRC2:TGID_Y_EN: 0
; COMPUTE_PGM_RSRC2:TGID_Z_EN: 0
; COMPUTE_PGM_RSRC2:TIDIG_COMP_CNT: 0
; COMPUTE_PGM_RSRC3_GFX90A:ACCUM_OFFSET: 0
; COMPUTE_PGM_RSRC3_GFX90A:TG_SPLIT: 0
	.section	.text._ZN7rocprim17ROCPRIM_400000_NS6detail17trampoline_kernelINS0_14default_configENS1_25partition_config_selectorILNS1_17partition_subalgoE8EaNS0_10empty_typeEbEEZZNS1_14partition_implILS5_8ELb0ES3_jPKaPS6_PKS6_NS0_5tupleIJPaS6_EEENSE_IJSB_SB_EEENS0_18inequality_wrapperIN6hipcub16HIPCUB_304000_NS8EqualityEEEPlJS6_EEE10hipError_tPvRmT3_T4_T5_T6_T7_T9_mT8_P12ihipStream_tbDpT10_ENKUlT_T0_E_clISt17integral_constantIbLb1EES16_IbLb0EEEEDaS12_S13_EUlS12_E_NS1_11comp_targetILNS1_3genE8ELNS1_11target_archE1030ELNS1_3gpuE2ELNS1_3repE0EEENS1_30default_config_static_selectorELNS0_4arch9wavefront6targetE1EEEvT1_,"axG",@progbits,_ZN7rocprim17ROCPRIM_400000_NS6detail17trampoline_kernelINS0_14default_configENS1_25partition_config_selectorILNS1_17partition_subalgoE8EaNS0_10empty_typeEbEEZZNS1_14partition_implILS5_8ELb0ES3_jPKaPS6_PKS6_NS0_5tupleIJPaS6_EEENSE_IJSB_SB_EEENS0_18inequality_wrapperIN6hipcub16HIPCUB_304000_NS8EqualityEEEPlJS6_EEE10hipError_tPvRmT3_T4_T5_T6_T7_T9_mT8_P12ihipStream_tbDpT10_ENKUlT_T0_E_clISt17integral_constantIbLb1EES16_IbLb0EEEEDaS12_S13_EUlS12_E_NS1_11comp_targetILNS1_3genE8ELNS1_11target_archE1030ELNS1_3gpuE2ELNS1_3repE0EEENS1_30default_config_static_selectorELNS0_4arch9wavefront6targetE1EEEvT1_,comdat
	.protected	_ZN7rocprim17ROCPRIM_400000_NS6detail17trampoline_kernelINS0_14default_configENS1_25partition_config_selectorILNS1_17partition_subalgoE8EaNS0_10empty_typeEbEEZZNS1_14partition_implILS5_8ELb0ES3_jPKaPS6_PKS6_NS0_5tupleIJPaS6_EEENSE_IJSB_SB_EEENS0_18inequality_wrapperIN6hipcub16HIPCUB_304000_NS8EqualityEEEPlJS6_EEE10hipError_tPvRmT3_T4_T5_T6_T7_T9_mT8_P12ihipStream_tbDpT10_ENKUlT_T0_E_clISt17integral_constantIbLb1EES16_IbLb0EEEEDaS12_S13_EUlS12_E_NS1_11comp_targetILNS1_3genE8ELNS1_11target_archE1030ELNS1_3gpuE2ELNS1_3repE0EEENS1_30default_config_static_selectorELNS0_4arch9wavefront6targetE1EEEvT1_ ; -- Begin function _ZN7rocprim17ROCPRIM_400000_NS6detail17trampoline_kernelINS0_14default_configENS1_25partition_config_selectorILNS1_17partition_subalgoE8EaNS0_10empty_typeEbEEZZNS1_14partition_implILS5_8ELb0ES3_jPKaPS6_PKS6_NS0_5tupleIJPaS6_EEENSE_IJSB_SB_EEENS0_18inequality_wrapperIN6hipcub16HIPCUB_304000_NS8EqualityEEEPlJS6_EEE10hipError_tPvRmT3_T4_T5_T6_T7_T9_mT8_P12ihipStream_tbDpT10_ENKUlT_T0_E_clISt17integral_constantIbLb1EES16_IbLb0EEEEDaS12_S13_EUlS12_E_NS1_11comp_targetILNS1_3genE8ELNS1_11target_archE1030ELNS1_3gpuE2ELNS1_3repE0EEENS1_30default_config_static_selectorELNS0_4arch9wavefront6targetE1EEEvT1_
	.globl	_ZN7rocprim17ROCPRIM_400000_NS6detail17trampoline_kernelINS0_14default_configENS1_25partition_config_selectorILNS1_17partition_subalgoE8EaNS0_10empty_typeEbEEZZNS1_14partition_implILS5_8ELb0ES3_jPKaPS6_PKS6_NS0_5tupleIJPaS6_EEENSE_IJSB_SB_EEENS0_18inequality_wrapperIN6hipcub16HIPCUB_304000_NS8EqualityEEEPlJS6_EEE10hipError_tPvRmT3_T4_T5_T6_T7_T9_mT8_P12ihipStream_tbDpT10_ENKUlT_T0_E_clISt17integral_constantIbLb1EES16_IbLb0EEEEDaS12_S13_EUlS12_E_NS1_11comp_targetILNS1_3genE8ELNS1_11target_archE1030ELNS1_3gpuE2ELNS1_3repE0EEENS1_30default_config_static_selectorELNS0_4arch9wavefront6targetE1EEEvT1_
	.p2align	8
	.type	_ZN7rocprim17ROCPRIM_400000_NS6detail17trampoline_kernelINS0_14default_configENS1_25partition_config_selectorILNS1_17partition_subalgoE8EaNS0_10empty_typeEbEEZZNS1_14partition_implILS5_8ELb0ES3_jPKaPS6_PKS6_NS0_5tupleIJPaS6_EEENSE_IJSB_SB_EEENS0_18inequality_wrapperIN6hipcub16HIPCUB_304000_NS8EqualityEEEPlJS6_EEE10hipError_tPvRmT3_T4_T5_T6_T7_T9_mT8_P12ihipStream_tbDpT10_ENKUlT_T0_E_clISt17integral_constantIbLb1EES16_IbLb0EEEEDaS12_S13_EUlS12_E_NS1_11comp_targetILNS1_3genE8ELNS1_11target_archE1030ELNS1_3gpuE2ELNS1_3repE0EEENS1_30default_config_static_selectorELNS0_4arch9wavefront6targetE1EEEvT1_,@function
_ZN7rocprim17ROCPRIM_400000_NS6detail17trampoline_kernelINS0_14default_configENS1_25partition_config_selectorILNS1_17partition_subalgoE8EaNS0_10empty_typeEbEEZZNS1_14partition_implILS5_8ELb0ES3_jPKaPS6_PKS6_NS0_5tupleIJPaS6_EEENSE_IJSB_SB_EEENS0_18inequality_wrapperIN6hipcub16HIPCUB_304000_NS8EqualityEEEPlJS6_EEE10hipError_tPvRmT3_T4_T5_T6_T7_T9_mT8_P12ihipStream_tbDpT10_ENKUlT_T0_E_clISt17integral_constantIbLb1EES16_IbLb0EEEEDaS12_S13_EUlS12_E_NS1_11comp_targetILNS1_3genE8ELNS1_11target_archE1030ELNS1_3gpuE2ELNS1_3repE0EEENS1_30default_config_static_selectorELNS0_4arch9wavefront6targetE1EEEvT1_: ; @_ZN7rocprim17ROCPRIM_400000_NS6detail17trampoline_kernelINS0_14default_configENS1_25partition_config_selectorILNS1_17partition_subalgoE8EaNS0_10empty_typeEbEEZZNS1_14partition_implILS5_8ELb0ES3_jPKaPS6_PKS6_NS0_5tupleIJPaS6_EEENSE_IJSB_SB_EEENS0_18inequality_wrapperIN6hipcub16HIPCUB_304000_NS8EqualityEEEPlJS6_EEE10hipError_tPvRmT3_T4_T5_T6_T7_T9_mT8_P12ihipStream_tbDpT10_ENKUlT_T0_E_clISt17integral_constantIbLb1EES16_IbLb0EEEEDaS12_S13_EUlS12_E_NS1_11comp_targetILNS1_3genE8ELNS1_11target_archE1030ELNS1_3gpuE2ELNS1_3repE0EEENS1_30default_config_static_selectorELNS0_4arch9wavefront6targetE1EEEvT1_
; %bb.0:
	.section	.rodata,"a",@progbits
	.p2align	6, 0x0
	.amdhsa_kernel _ZN7rocprim17ROCPRIM_400000_NS6detail17trampoline_kernelINS0_14default_configENS1_25partition_config_selectorILNS1_17partition_subalgoE8EaNS0_10empty_typeEbEEZZNS1_14partition_implILS5_8ELb0ES3_jPKaPS6_PKS6_NS0_5tupleIJPaS6_EEENSE_IJSB_SB_EEENS0_18inequality_wrapperIN6hipcub16HIPCUB_304000_NS8EqualityEEEPlJS6_EEE10hipError_tPvRmT3_T4_T5_T6_T7_T9_mT8_P12ihipStream_tbDpT10_ENKUlT_T0_E_clISt17integral_constantIbLb1EES16_IbLb0EEEEDaS12_S13_EUlS12_E_NS1_11comp_targetILNS1_3genE8ELNS1_11target_archE1030ELNS1_3gpuE2ELNS1_3repE0EEENS1_30default_config_static_selectorELNS0_4arch9wavefront6targetE1EEEvT1_
		.amdhsa_group_segment_fixed_size 0
		.amdhsa_private_segment_fixed_size 0
		.amdhsa_kernarg_size 112
		.amdhsa_user_sgpr_count 6
		.amdhsa_user_sgpr_private_segment_buffer 1
		.amdhsa_user_sgpr_dispatch_ptr 0
		.amdhsa_user_sgpr_queue_ptr 0
		.amdhsa_user_sgpr_kernarg_segment_ptr 1
		.amdhsa_user_sgpr_dispatch_id 0
		.amdhsa_user_sgpr_flat_scratch_init 0
		.amdhsa_user_sgpr_kernarg_preload_length 0
		.amdhsa_user_sgpr_kernarg_preload_offset 0
		.amdhsa_user_sgpr_private_segment_size 0
		.amdhsa_uses_dynamic_stack 0
		.amdhsa_system_sgpr_private_segment_wavefront_offset 0
		.amdhsa_system_sgpr_workgroup_id_x 1
		.amdhsa_system_sgpr_workgroup_id_y 0
		.amdhsa_system_sgpr_workgroup_id_z 0
		.amdhsa_system_sgpr_workgroup_info 0
		.amdhsa_system_vgpr_workitem_id 0
		.amdhsa_next_free_vgpr 1
		.amdhsa_next_free_sgpr 0
		.amdhsa_accum_offset 4
		.amdhsa_reserve_vcc 0
		.amdhsa_reserve_flat_scratch 0
		.amdhsa_float_round_mode_32 0
		.amdhsa_float_round_mode_16_64 0
		.amdhsa_float_denorm_mode_32 3
		.amdhsa_float_denorm_mode_16_64 3
		.amdhsa_dx10_clamp 1
		.amdhsa_ieee_mode 1
		.amdhsa_fp16_overflow 0
		.amdhsa_tg_split 0
		.amdhsa_exception_fp_ieee_invalid_op 0
		.amdhsa_exception_fp_denorm_src 0
		.amdhsa_exception_fp_ieee_div_zero 0
		.amdhsa_exception_fp_ieee_overflow 0
		.amdhsa_exception_fp_ieee_underflow 0
		.amdhsa_exception_fp_ieee_inexact 0
		.amdhsa_exception_int_div_zero 0
	.end_amdhsa_kernel
	.section	.text._ZN7rocprim17ROCPRIM_400000_NS6detail17trampoline_kernelINS0_14default_configENS1_25partition_config_selectorILNS1_17partition_subalgoE8EaNS0_10empty_typeEbEEZZNS1_14partition_implILS5_8ELb0ES3_jPKaPS6_PKS6_NS0_5tupleIJPaS6_EEENSE_IJSB_SB_EEENS0_18inequality_wrapperIN6hipcub16HIPCUB_304000_NS8EqualityEEEPlJS6_EEE10hipError_tPvRmT3_T4_T5_T6_T7_T9_mT8_P12ihipStream_tbDpT10_ENKUlT_T0_E_clISt17integral_constantIbLb1EES16_IbLb0EEEEDaS12_S13_EUlS12_E_NS1_11comp_targetILNS1_3genE8ELNS1_11target_archE1030ELNS1_3gpuE2ELNS1_3repE0EEENS1_30default_config_static_selectorELNS0_4arch9wavefront6targetE1EEEvT1_,"axG",@progbits,_ZN7rocprim17ROCPRIM_400000_NS6detail17trampoline_kernelINS0_14default_configENS1_25partition_config_selectorILNS1_17partition_subalgoE8EaNS0_10empty_typeEbEEZZNS1_14partition_implILS5_8ELb0ES3_jPKaPS6_PKS6_NS0_5tupleIJPaS6_EEENSE_IJSB_SB_EEENS0_18inequality_wrapperIN6hipcub16HIPCUB_304000_NS8EqualityEEEPlJS6_EEE10hipError_tPvRmT3_T4_T5_T6_T7_T9_mT8_P12ihipStream_tbDpT10_ENKUlT_T0_E_clISt17integral_constantIbLb1EES16_IbLb0EEEEDaS12_S13_EUlS12_E_NS1_11comp_targetILNS1_3genE8ELNS1_11target_archE1030ELNS1_3gpuE2ELNS1_3repE0EEENS1_30default_config_static_selectorELNS0_4arch9wavefront6targetE1EEEvT1_,comdat
.Lfunc_end226:
	.size	_ZN7rocprim17ROCPRIM_400000_NS6detail17trampoline_kernelINS0_14default_configENS1_25partition_config_selectorILNS1_17partition_subalgoE8EaNS0_10empty_typeEbEEZZNS1_14partition_implILS5_8ELb0ES3_jPKaPS6_PKS6_NS0_5tupleIJPaS6_EEENSE_IJSB_SB_EEENS0_18inequality_wrapperIN6hipcub16HIPCUB_304000_NS8EqualityEEEPlJS6_EEE10hipError_tPvRmT3_T4_T5_T6_T7_T9_mT8_P12ihipStream_tbDpT10_ENKUlT_T0_E_clISt17integral_constantIbLb1EES16_IbLb0EEEEDaS12_S13_EUlS12_E_NS1_11comp_targetILNS1_3genE8ELNS1_11target_archE1030ELNS1_3gpuE2ELNS1_3repE0EEENS1_30default_config_static_selectorELNS0_4arch9wavefront6targetE1EEEvT1_, .Lfunc_end226-_ZN7rocprim17ROCPRIM_400000_NS6detail17trampoline_kernelINS0_14default_configENS1_25partition_config_selectorILNS1_17partition_subalgoE8EaNS0_10empty_typeEbEEZZNS1_14partition_implILS5_8ELb0ES3_jPKaPS6_PKS6_NS0_5tupleIJPaS6_EEENSE_IJSB_SB_EEENS0_18inequality_wrapperIN6hipcub16HIPCUB_304000_NS8EqualityEEEPlJS6_EEE10hipError_tPvRmT3_T4_T5_T6_T7_T9_mT8_P12ihipStream_tbDpT10_ENKUlT_T0_E_clISt17integral_constantIbLb1EES16_IbLb0EEEEDaS12_S13_EUlS12_E_NS1_11comp_targetILNS1_3genE8ELNS1_11target_archE1030ELNS1_3gpuE2ELNS1_3repE0EEENS1_30default_config_static_selectorELNS0_4arch9wavefront6targetE1EEEvT1_
                                        ; -- End function
	.section	.AMDGPU.csdata,"",@progbits
; Kernel info:
; codeLenInByte = 0
; NumSgprs: 4
; NumVgprs: 0
; NumAgprs: 0
; TotalNumVgprs: 0
; ScratchSize: 0
; MemoryBound: 0
; FloatMode: 240
; IeeeMode: 1
; LDSByteSize: 0 bytes/workgroup (compile time only)
; SGPRBlocks: 0
; VGPRBlocks: 0
; NumSGPRsForWavesPerEU: 4
; NumVGPRsForWavesPerEU: 1
; AccumOffset: 4
; Occupancy: 8
; WaveLimiterHint : 0
; COMPUTE_PGM_RSRC2:SCRATCH_EN: 0
; COMPUTE_PGM_RSRC2:USER_SGPR: 6
; COMPUTE_PGM_RSRC2:TRAP_HANDLER: 0
; COMPUTE_PGM_RSRC2:TGID_X_EN: 1
; COMPUTE_PGM_RSRC2:TGID_Y_EN: 0
; COMPUTE_PGM_RSRC2:TGID_Z_EN: 0
; COMPUTE_PGM_RSRC2:TIDIG_COMP_CNT: 0
; COMPUTE_PGM_RSRC3_GFX90A:ACCUM_OFFSET: 0
; COMPUTE_PGM_RSRC3_GFX90A:TG_SPLIT: 0
	.section	.text._ZN7rocprim17ROCPRIM_400000_NS6detail17trampoline_kernelINS0_14default_configENS1_25partition_config_selectorILNS1_17partition_subalgoE8EaNS0_10empty_typeEbEEZZNS1_14partition_implILS5_8ELb0ES3_jPKaPS6_PKS6_NS0_5tupleIJPaS6_EEENSE_IJSB_SB_EEENS0_18inequality_wrapperIN6hipcub16HIPCUB_304000_NS8EqualityEEEPlJS6_EEE10hipError_tPvRmT3_T4_T5_T6_T7_T9_mT8_P12ihipStream_tbDpT10_ENKUlT_T0_E_clISt17integral_constantIbLb0EES16_IbLb1EEEEDaS12_S13_EUlS12_E_NS1_11comp_targetILNS1_3genE0ELNS1_11target_archE4294967295ELNS1_3gpuE0ELNS1_3repE0EEENS1_30default_config_static_selectorELNS0_4arch9wavefront6targetE1EEEvT1_,"axG",@progbits,_ZN7rocprim17ROCPRIM_400000_NS6detail17trampoline_kernelINS0_14default_configENS1_25partition_config_selectorILNS1_17partition_subalgoE8EaNS0_10empty_typeEbEEZZNS1_14partition_implILS5_8ELb0ES3_jPKaPS6_PKS6_NS0_5tupleIJPaS6_EEENSE_IJSB_SB_EEENS0_18inequality_wrapperIN6hipcub16HIPCUB_304000_NS8EqualityEEEPlJS6_EEE10hipError_tPvRmT3_T4_T5_T6_T7_T9_mT8_P12ihipStream_tbDpT10_ENKUlT_T0_E_clISt17integral_constantIbLb0EES16_IbLb1EEEEDaS12_S13_EUlS12_E_NS1_11comp_targetILNS1_3genE0ELNS1_11target_archE4294967295ELNS1_3gpuE0ELNS1_3repE0EEENS1_30default_config_static_selectorELNS0_4arch9wavefront6targetE1EEEvT1_,comdat
	.protected	_ZN7rocprim17ROCPRIM_400000_NS6detail17trampoline_kernelINS0_14default_configENS1_25partition_config_selectorILNS1_17partition_subalgoE8EaNS0_10empty_typeEbEEZZNS1_14partition_implILS5_8ELb0ES3_jPKaPS6_PKS6_NS0_5tupleIJPaS6_EEENSE_IJSB_SB_EEENS0_18inequality_wrapperIN6hipcub16HIPCUB_304000_NS8EqualityEEEPlJS6_EEE10hipError_tPvRmT3_T4_T5_T6_T7_T9_mT8_P12ihipStream_tbDpT10_ENKUlT_T0_E_clISt17integral_constantIbLb0EES16_IbLb1EEEEDaS12_S13_EUlS12_E_NS1_11comp_targetILNS1_3genE0ELNS1_11target_archE4294967295ELNS1_3gpuE0ELNS1_3repE0EEENS1_30default_config_static_selectorELNS0_4arch9wavefront6targetE1EEEvT1_ ; -- Begin function _ZN7rocprim17ROCPRIM_400000_NS6detail17trampoline_kernelINS0_14default_configENS1_25partition_config_selectorILNS1_17partition_subalgoE8EaNS0_10empty_typeEbEEZZNS1_14partition_implILS5_8ELb0ES3_jPKaPS6_PKS6_NS0_5tupleIJPaS6_EEENSE_IJSB_SB_EEENS0_18inequality_wrapperIN6hipcub16HIPCUB_304000_NS8EqualityEEEPlJS6_EEE10hipError_tPvRmT3_T4_T5_T6_T7_T9_mT8_P12ihipStream_tbDpT10_ENKUlT_T0_E_clISt17integral_constantIbLb0EES16_IbLb1EEEEDaS12_S13_EUlS12_E_NS1_11comp_targetILNS1_3genE0ELNS1_11target_archE4294967295ELNS1_3gpuE0ELNS1_3repE0EEENS1_30default_config_static_selectorELNS0_4arch9wavefront6targetE1EEEvT1_
	.globl	_ZN7rocprim17ROCPRIM_400000_NS6detail17trampoline_kernelINS0_14default_configENS1_25partition_config_selectorILNS1_17partition_subalgoE8EaNS0_10empty_typeEbEEZZNS1_14partition_implILS5_8ELb0ES3_jPKaPS6_PKS6_NS0_5tupleIJPaS6_EEENSE_IJSB_SB_EEENS0_18inequality_wrapperIN6hipcub16HIPCUB_304000_NS8EqualityEEEPlJS6_EEE10hipError_tPvRmT3_T4_T5_T6_T7_T9_mT8_P12ihipStream_tbDpT10_ENKUlT_T0_E_clISt17integral_constantIbLb0EES16_IbLb1EEEEDaS12_S13_EUlS12_E_NS1_11comp_targetILNS1_3genE0ELNS1_11target_archE4294967295ELNS1_3gpuE0ELNS1_3repE0EEENS1_30default_config_static_selectorELNS0_4arch9wavefront6targetE1EEEvT1_
	.p2align	8
	.type	_ZN7rocprim17ROCPRIM_400000_NS6detail17trampoline_kernelINS0_14default_configENS1_25partition_config_selectorILNS1_17partition_subalgoE8EaNS0_10empty_typeEbEEZZNS1_14partition_implILS5_8ELb0ES3_jPKaPS6_PKS6_NS0_5tupleIJPaS6_EEENSE_IJSB_SB_EEENS0_18inequality_wrapperIN6hipcub16HIPCUB_304000_NS8EqualityEEEPlJS6_EEE10hipError_tPvRmT3_T4_T5_T6_T7_T9_mT8_P12ihipStream_tbDpT10_ENKUlT_T0_E_clISt17integral_constantIbLb0EES16_IbLb1EEEEDaS12_S13_EUlS12_E_NS1_11comp_targetILNS1_3genE0ELNS1_11target_archE4294967295ELNS1_3gpuE0ELNS1_3repE0EEENS1_30default_config_static_selectorELNS0_4arch9wavefront6targetE1EEEvT1_,@function
_ZN7rocprim17ROCPRIM_400000_NS6detail17trampoline_kernelINS0_14default_configENS1_25partition_config_selectorILNS1_17partition_subalgoE8EaNS0_10empty_typeEbEEZZNS1_14partition_implILS5_8ELb0ES3_jPKaPS6_PKS6_NS0_5tupleIJPaS6_EEENSE_IJSB_SB_EEENS0_18inequality_wrapperIN6hipcub16HIPCUB_304000_NS8EqualityEEEPlJS6_EEE10hipError_tPvRmT3_T4_T5_T6_T7_T9_mT8_P12ihipStream_tbDpT10_ENKUlT_T0_E_clISt17integral_constantIbLb0EES16_IbLb1EEEEDaS12_S13_EUlS12_E_NS1_11comp_targetILNS1_3genE0ELNS1_11target_archE4294967295ELNS1_3gpuE0ELNS1_3repE0EEENS1_30default_config_static_selectorELNS0_4arch9wavefront6targetE1EEEvT1_: ; @_ZN7rocprim17ROCPRIM_400000_NS6detail17trampoline_kernelINS0_14default_configENS1_25partition_config_selectorILNS1_17partition_subalgoE8EaNS0_10empty_typeEbEEZZNS1_14partition_implILS5_8ELb0ES3_jPKaPS6_PKS6_NS0_5tupleIJPaS6_EEENSE_IJSB_SB_EEENS0_18inequality_wrapperIN6hipcub16HIPCUB_304000_NS8EqualityEEEPlJS6_EEE10hipError_tPvRmT3_T4_T5_T6_T7_T9_mT8_P12ihipStream_tbDpT10_ENKUlT_T0_E_clISt17integral_constantIbLb0EES16_IbLb1EEEEDaS12_S13_EUlS12_E_NS1_11comp_targetILNS1_3genE0ELNS1_11target_archE4294967295ELNS1_3gpuE0ELNS1_3repE0EEENS1_30default_config_static_selectorELNS0_4arch9wavefront6targetE1EEEvT1_
; %bb.0:
	.section	.rodata,"a",@progbits
	.p2align	6, 0x0
	.amdhsa_kernel _ZN7rocprim17ROCPRIM_400000_NS6detail17trampoline_kernelINS0_14default_configENS1_25partition_config_selectorILNS1_17partition_subalgoE8EaNS0_10empty_typeEbEEZZNS1_14partition_implILS5_8ELb0ES3_jPKaPS6_PKS6_NS0_5tupleIJPaS6_EEENSE_IJSB_SB_EEENS0_18inequality_wrapperIN6hipcub16HIPCUB_304000_NS8EqualityEEEPlJS6_EEE10hipError_tPvRmT3_T4_T5_T6_T7_T9_mT8_P12ihipStream_tbDpT10_ENKUlT_T0_E_clISt17integral_constantIbLb0EES16_IbLb1EEEEDaS12_S13_EUlS12_E_NS1_11comp_targetILNS1_3genE0ELNS1_11target_archE4294967295ELNS1_3gpuE0ELNS1_3repE0EEENS1_30default_config_static_selectorELNS0_4arch9wavefront6targetE1EEEvT1_
		.amdhsa_group_segment_fixed_size 0
		.amdhsa_private_segment_fixed_size 0
		.amdhsa_kernarg_size 128
		.amdhsa_user_sgpr_count 6
		.amdhsa_user_sgpr_private_segment_buffer 1
		.amdhsa_user_sgpr_dispatch_ptr 0
		.amdhsa_user_sgpr_queue_ptr 0
		.amdhsa_user_sgpr_kernarg_segment_ptr 1
		.amdhsa_user_sgpr_dispatch_id 0
		.amdhsa_user_sgpr_flat_scratch_init 0
		.amdhsa_user_sgpr_kernarg_preload_length 0
		.amdhsa_user_sgpr_kernarg_preload_offset 0
		.amdhsa_user_sgpr_private_segment_size 0
		.amdhsa_uses_dynamic_stack 0
		.amdhsa_system_sgpr_private_segment_wavefront_offset 0
		.amdhsa_system_sgpr_workgroup_id_x 1
		.amdhsa_system_sgpr_workgroup_id_y 0
		.amdhsa_system_sgpr_workgroup_id_z 0
		.amdhsa_system_sgpr_workgroup_info 0
		.amdhsa_system_vgpr_workitem_id 0
		.amdhsa_next_free_vgpr 1
		.amdhsa_next_free_sgpr 0
		.amdhsa_accum_offset 4
		.amdhsa_reserve_vcc 0
		.amdhsa_reserve_flat_scratch 0
		.amdhsa_float_round_mode_32 0
		.amdhsa_float_round_mode_16_64 0
		.amdhsa_float_denorm_mode_32 3
		.amdhsa_float_denorm_mode_16_64 3
		.amdhsa_dx10_clamp 1
		.amdhsa_ieee_mode 1
		.amdhsa_fp16_overflow 0
		.amdhsa_tg_split 0
		.amdhsa_exception_fp_ieee_invalid_op 0
		.amdhsa_exception_fp_denorm_src 0
		.amdhsa_exception_fp_ieee_div_zero 0
		.amdhsa_exception_fp_ieee_overflow 0
		.amdhsa_exception_fp_ieee_underflow 0
		.amdhsa_exception_fp_ieee_inexact 0
		.amdhsa_exception_int_div_zero 0
	.end_amdhsa_kernel
	.section	.text._ZN7rocprim17ROCPRIM_400000_NS6detail17trampoline_kernelINS0_14default_configENS1_25partition_config_selectorILNS1_17partition_subalgoE8EaNS0_10empty_typeEbEEZZNS1_14partition_implILS5_8ELb0ES3_jPKaPS6_PKS6_NS0_5tupleIJPaS6_EEENSE_IJSB_SB_EEENS0_18inequality_wrapperIN6hipcub16HIPCUB_304000_NS8EqualityEEEPlJS6_EEE10hipError_tPvRmT3_T4_T5_T6_T7_T9_mT8_P12ihipStream_tbDpT10_ENKUlT_T0_E_clISt17integral_constantIbLb0EES16_IbLb1EEEEDaS12_S13_EUlS12_E_NS1_11comp_targetILNS1_3genE0ELNS1_11target_archE4294967295ELNS1_3gpuE0ELNS1_3repE0EEENS1_30default_config_static_selectorELNS0_4arch9wavefront6targetE1EEEvT1_,"axG",@progbits,_ZN7rocprim17ROCPRIM_400000_NS6detail17trampoline_kernelINS0_14default_configENS1_25partition_config_selectorILNS1_17partition_subalgoE8EaNS0_10empty_typeEbEEZZNS1_14partition_implILS5_8ELb0ES3_jPKaPS6_PKS6_NS0_5tupleIJPaS6_EEENSE_IJSB_SB_EEENS0_18inequality_wrapperIN6hipcub16HIPCUB_304000_NS8EqualityEEEPlJS6_EEE10hipError_tPvRmT3_T4_T5_T6_T7_T9_mT8_P12ihipStream_tbDpT10_ENKUlT_T0_E_clISt17integral_constantIbLb0EES16_IbLb1EEEEDaS12_S13_EUlS12_E_NS1_11comp_targetILNS1_3genE0ELNS1_11target_archE4294967295ELNS1_3gpuE0ELNS1_3repE0EEENS1_30default_config_static_selectorELNS0_4arch9wavefront6targetE1EEEvT1_,comdat
.Lfunc_end227:
	.size	_ZN7rocprim17ROCPRIM_400000_NS6detail17trampoline_kernelINS0_14default_configENS1_25partition_config_selectorILNS1_17partition_subalgoE8EaNS0_10empty_typeEbEEZZNS1_14partition_implILS5_8ELb0ES3_jPKaPS6_PKS6_NS0_5tupleIJPaS6_EEENSE_IJSB_SB_EEENS0_18inequality_wrapperIN6hipcub16HIPCUB_304000_NS8EqualityEEEPlJS6_EEE10hipError_tPvRmT3_T4_T5_T6_T7_T9_mT8_P12ihipStream_tbDpT10_ENKUlT_T0_E_clISt17integral_constantIbLb0EES16_IbLb1EEEEDaS12_S13_EUlS12_E_NS1_11comp_targetILNS1_3genE0ELNS1_11target_archE4294967295ELNS1_3gpuE0ELNS1_3repE0EEENS1_30default_config_static_selectorELNS0_4arch9wavefront6targetE1EEEvT1_, .Lfunc_end227-_ZN7rocprim17ROCPRIM_400000_NS6detail17trampoline_kernelINS0_14default_configENS1_25partition_config_selectorILNS1_17partition_subalgoE8EaNS0_10empty_typeEbEEZZNS1_14partition_implILS5_8ELb0ES3_jPKaPS6_PKS6_NS0_5tupleIJPaS6_EEENSE_IJSB_SB_EEENS0_18inequality_wrapperIN6hipcub16HIPCUB_304000_NS8EqualityEEEPlJS6_EEE10hipError_tPvRmT3_T4_T5_T6_T7_T9_mT8_P12ihipStream_tbDpT10_ENKUlT_T0_E_clISt17integral_constantIbLb0EES16_IbLb1EEEEDaS12_S13_EUlS12_E_NS1_11comp_targetILNS1_3genE0ELNS1_11target_archE4294967295ELNS1_3gpuE0ELNS1_3repE0EEENS1_30default_config_static_selectorELNS0_4arch9wavefront6targetE1EEEvT1_
                                        ; -- End function
	.section	.AMDGPU.csdata,"",@progbits
; Kernel info:
; codeLenInByte = 0
; NumSgprs: 4
; NumVgprs: 0
; NumAgprs: 0
; TotalNumVgprs: 0
; ScratchSize: 0
; MemoryBound: 0
; FloatMode: 240
; IeeeMode: 1
; LDSByteSize: 0 bytes/workgroup (compile time only)
; SGPRBlocks: 0
; VGPRBlocks: 0
; NumSGPRsForWavesPerEU: 4
; NumVGPRsForWavesPerEU: 1
; AccumOffset: 4
; Occupancy: 8
; WaveLimiterHint : 0
; COMPUTE_PGM_RSRC2:SCRATCH_EN: 0
; COMPUTE_PGM_RSRC2:USER_SGPR: 6
; COMPUTE_PGM_RSRC2:TRAP_HANDLER: 0
; COMPUTE_PGM_RSRC2:TGID_X_EN: 1
; COMPUTE_PGM_RSRC2:TGID_Y_EN: 0
; COMPUTE_PGM_RSRC2:TGID_Z_EN: 0
; COMPUTE_PGM_RSRC2:TIDIG_COMP_CNT: 0
; COMPUTE_PGM_RSRC3_GFX90A:ACCUM_OFFSET: 0
; COMPUTE_PGM_RSRC3_GFX90A:TG_SPLIT: 0
	.section	.text._ZN7rocprim17ROCPRIM_400000_NS6detail17trampoline_kernelINS0_14default_configENS1_25partition_config_selectorILNS1_17partition_subalgoE8EaNS0_10empty_typeEbEEZZNS1_14partition_implILS5_8ELb0ES3_jPKaPS6_PKS6_NS0_5tupleIJPaS6_EEENSE_IJSB_SB_EEENS0_18inequality_wrapperIN6hipcub16HIPCUB_304000_NS8EqualityEEEPlJS6_EEE10hipError_tPvRmT3_T4_T5_T6_T7_T9_mT8_P12ihipStream_tbDpT10_ENKUlT_T0_E_clISt17integral_constantIbLb0EES16_IbLb1EEEEDaS12_S13_EUlS12_E_NS1_11comp_targetILNS1_3genE5ELNS1_11target_archE942ELNS1_3gpuE9ELNS1_3repE0EEENS1_30default_config_static_selectorELNS0_4arch9wavefront6targetE1EEEvT1_,"axG",@progbits,_ZN7rocprim17ROCPRIM_400000_NS6detail17trampoline_kernelINS0_14default_configENS1_25partition_config_selectorILNS1_17partition_subalgoE8EaNS0_10empty_typeEbEEZZNS1_14partition_implILS5_8ELb0ES3_jPKaPS6_PKS6_NS0_5tupleIJPaS6_EEENSE_IJSB_SB_EEENS0_18inequality_wrapperIN6hipcub16HIPCUB_304000_NS8EqualityEEEPlJS6_EEE10hipError_tPvRmT3_T4_T5_T6_T7_T9_mT8_P12ihipStream_tbDpT10_ENKUlT_T0_E_clISt17integral_constantIbLb0EES16_IbLb1EEEEDaS12_S13_EUlS12_E_NS1_11comp_targetILNS1_3genE5ELNS1_11target_archE942ELNS1_3gpuE9ELNS1_3repE0EEENS1_30default_config_static_selectorELNS0_4arch9wavefront6targetE1EEEvT1_,comdat
	.protected	_ZN7rocprim17ROCPRIM_400000_NS6detail17trampoline_kernelINS0_14default_configENS1_25partition_config_selectorILNS1_17partition_subalgoE8EaNS0_10empty_typeEbEEZZNS1_14partition_implILS5_8ELb0ES3_jPKaPS6_PKS6_NS0_5tupleIJPaS6_EEENSE_IJSB_SB_EEENS0_18inequality_wrapperIN6hipcub16HIPCUB_304000_NS8EqualityEEEPlJS6_EEE10hipError_tPvRmT3_T4_T5_T6_T7_T9_mT8_P12ihipStream_tbDpT10_ENKUlT_T0_E_clISt17integral_constantIbLb0EES16_IbLb1EEEEDaS12_S13_EUlS12_E_NS1_11comp_targetILNS1_3genE5ELNS1_11target_archE942ELNS1_3gpuE9ELNS1_3repE0EEENS1_30default_config_static_selectorELNS0_4arch9wavefront6targetE1EEEvT1_ ; -- Begin function _ZN7rocprim17ROCPRIM_400000_NS6detail17trampoline_kernelINS0_14default_configENS1_25partition_config_selectorILNS1_17partition_subalgoE8EaNS0_10empty_typeEbEEZZNS1_14partition_implILS5_8ELb0ES3_jPKaPS6_PKS6_NS0_5tupleIJPaS6_EEENSE_IJSB_SB_EEENS0_18inequality_wrapperIN6hipcub16HIPCUB_304000_NS8EqualityEEEPlJS6_EEE10hipError_tPvRmT3_T4_T5_T6_T7_T9_mT8_P12ihipStream_tbDpT10_ENKUlT_T0_E_clISt17integral_constantIbLb0EES16_IbLb1EEEEDaS12_S13_EUlS12_E_NS1_11comp_targetILNS1_3genE5ELNS1_11target_archE942ELNS1_3gpuE9ELNS1_3repE0EEENS1_30default_config_static_selectorELNS0_4arch9wavefront6targetE1EEEvT1_
	.globl	_ZN7rocprim17ROCPRIM_400000_NS6detail17trampoline_kernelINS0_14default_configENS1_25partition_config_selectorILNS1_17partition_subalgoE8EaNS0_10empty_typeEbEEZZNS1_14partition_implILS5_8ELb0ES3_jPKaPS6_PKS6_NS0_5tupleIJPaS6_EEENSE_IJSB_SB_EEENS0_18inequality_wrapperIN6hipcub16HIPCUB_304000_NS8EqualityEEEPlJS6_EEE10hipError_tPvRmT3_T4_T5_T6_T7_T9_mT8_P12ihipStream_tbDpT10_ENKUlT_T0_E_clISt17integral_constantIbLb0EES16_IbLb1EEEEDaS12_S13_EUlS12_E_NS1_11comp_targetILNS1_3genE5ELNS1_11target_archE942ELNS1_3gpuE9ELNS1_3repE0EEENS1_30default_config_static_selectorELNS0_4arch9wavefront6targetE1EEEvT1_
	.p2align	8
	.type	_ZN7rocprim17ROCPRIM_400000_NS6detail17trampoline_kernelINS0_14default_configENS1_25partition_config_selectorILNS1_17partition_subalgoE8EaNS0_10empty_typeEbEEZZNS1_14partition_implILS5_8ELb0ES3_jPKaPS6_PKS6_NS0_5tupleIJPaS6_EEENSE_IJSB_SB_EEENS0_18inequality_wrapperIN6hipcub16HIPCUB_304000_NS8EqualityEEEPlJS6_EEE10hipError_tPvRmT3_T4_T5_T6_T7_T9_mT8_P12ihipStream_tbDpT10_ENKUlT_T0_E_clISt17integral_constantIbLb0EES16_IbLb1EEEEDaS12_S13_EUlS12_E_NS1_11comp_targetILNS1_3genE5ELNS1_11target_archE942ELNS1_3gpuE9ELNS1_3repE0EEENS1_30default_config_static_selectorELNS0_4arch9wavefront6targetE1EEEvT1_,@function
_ZN7rocprim17ROCPRIM_400000_NS6detail17trampoline_kernelINS0_14default_configENS1_25partition_config_selectorILNS1_17partition_subalgoE8EaNS0_10empty_typeEbEEZZNS1_14partition_implILS5_8ELb0ES3_jPKaPS6_PKS6_NS0_5tupleIJPaS6_EEENSE_IJSB_SB_EEENS0_18inequality_wrapperIN6hipcub16HIPCUB_304000_NS8EqualityEEEPlJS6_EEE10hipError_tPvRmT3_T4_T5_T6_T7_T9_mT8_P12ihipStream_tbDpT10_ENKUlT_T0_E_clISt17integral_constantIbLb0EES16_IbLb1EEEEDaS12_S13_EUlS12_E_NS1_11comp_targetILNS1_3genE5ELNS1_11target_archE942ELNS1_3gpuE9ELNS1_3repE0EEENS1_30default_config_static_selectorELNS0_4arch9wavefront6targetE1EEEvT1_: ; @_ZN7rocprim17ROCPRIM_400000_NS6detail17trampoline_kernelINS0_14default_configENS1_25partition_config_selectorILNS1_17partition_subalgoE8EaNS0_10empty_typeEbEEZZNS1_14partition_implILS5_8ELb0ES3_jPKaPS6_PKS6_NS0_5tupleIJPaS6_EEENSE_IJSB_SB_EEENS0_18inequality_wrapperIN6hipcub16HIPCUB_304000_NS8EqualityEEEPlJS6_EEE10hipError_tPvRmT3_T4_T5_T6_T7_T9_mT8_P12ihipStream_tbDpT10_ENKUlT_T0_E_clISt17integral_constantIbLb0EES16_IbLb1EEEEDaS12_S13_EUlS12_E_NS1_11comp_targetILNS1_3genE5ELNS1_11target_archE942ELNS1_3gpuE9ELNS1_3repE0EEENS1_30default_config_static_selectorELNS0_4arch9wavefront6targetE1EEEvT1_
; %bb.0:
	.section	.rodata,"a",@progbits
	.p2align	6, 0x0
	.amdhsa_kernel _ZN7rocprim17ROCPRIM_400000_NS6detail17trampoline_kernelINS0_14default_configENS1_25partition_config_selectorILNS1_17partition_subalgoE8EaNS0_10empty_typeEbEEZZNS1_14partition_implILS5_8ELb0ES3_jPKaPS6_PKS6_NS0_5tupleIJPaS6_EEENSE_IJSB_SB_EEENS0_18inequality_wrapperIN6hipcub16HIPCUB_304000_NS8EqualityEEEPlJS6_EEE10hipError_tPvRmT3_T4_T5_T6_T7_T9_mT8_P12ihipStream_tbDpT10_ENKUlT_T0_E_clISt17integral_constantIbLb0EES16_IbLb1EEEEDaS12_S13_EUlS12_E_NS1_11comp_targetILNS1_3genE5ELNS1_11target_archE942ELNS1_3gpuE9ELNS1_3repE0EEENS1_30default_config_static_selectorELNS0_4arch9wavefront6targetE1EEEvT1_
		.amdhsa_group_segment_fixed_size 0
		.amdhsa_private_segment_fixed_size 0
		.amdhsa_kernarg_size 128
		.amdhsa_user_sgpr_count 6
		.amdhsa_user_sgpr_private_segment_buffer 1
		.amdhsa_user_sgpr_dispatch_ptr 0
		.amdhsa_user_sgpr_queue_ptr 0
		.amdhsa_user_sgpr_kernarg_segment_ptr 1
		.amdhsa_user_sgpr_dispatch_id 0
		.amdhsa_user_sgpr_flat_scratch_init 0
		.amdhsa_user_sgpr_kernarg_preload_length 0
		.amdhsa_user_sgpr_kernarg_preload_offset 0
		.amdhsa_user_sgpr_private_segment_size 0
		.amdhsa_uses_dynamic_stack 0
		.amdhsa_system_sgpr_private_segment_wavefront_offset 0
		.amdhsa_system_sgpr_workgroup_id_x 1
		.amdhsa_system_sgpr_workgroup_id_y 0
		.amdhsa_system_sgpr_workgroup_id_z 0
		.amdhsa_system_sgpr_workgroup_info 0
		.amdhsa_system_vgpr_workitem_id 0
		.amdhsa_next_free_vgpr 1
		.amdhsa_next_free_sgpr 0
		.amdhsa_accum_offset 4
		.amdhsa_reserve_vcc 0
		.amdhsa_reserve_flat_scratch 0
		.amdhsa_float_round_mode_32 0
		.amdhsa_float_round_mode_16_64 0
		.amdhsa_float_denorm_mode_32 3
		.amdhsa_float_denorm_mode_16_64 3
		.amdhsa_dx10_clamp 1
		.amdhsa_ieee_mode 1
		.amdhsa_fp16_overflow 0
		.amdhsa_tg_split 0
		.amdhsa_exception_fp_ieee_invalid_op 0
		.amdhsa_exception_fp_denorm_src 0
		.amdhsa_exception_fp_ieee_div_zero 0
		.amdhsa_exception_fp_ieee_overflow 0
		.amdhsa_exception_fp_ieee_underflow 0
		.amdhsa_exception_fp_ieee_inexact 0
		.amdhsa_exception_int_div_zero 0
	.end_amdhsa_kernel
	.section	.text._ZN7rocprim17ROCPRIM_400000_NS6detail17trampoline_kernelINS0_14default_configENS1_25partition_config_selectorILNS1_17partition_subalgoE8EaNS0_10empty_typeEbEEZZNS1_14partition_implILS5_8ELb0ES3_jPKaPS6_PKS6_NS0_5tupleIJPaS6_EEENSE_IJSB_SB_EEENS0_18inequality_wrapperIN6hipcub16HIPCUB_304000_NS8EqualityEEEPlJS6_EEE10hipError_tPvRmT3_T4_T5_T6_T7_T9_mT8_P12ihipStream_tbDpT10_ENKUlT_T0_E_clISt17integral_constantIbLb0EES16_IbLb1EEEEDaS12_S13_EUlS12_E_NS1_11comp_targetILNS1_3genE5ELNS1_11target_archE942ELNS1_3gpuE9ELNS1_3repE0EEENS1_30default_config_static_selectorELNS0_4arch9wavefront6targetE1EEEvT1_,"axG",@progbits,_ZN7rocprim17ROCPRIM_400000_NS6detail17trampoline_kernelINS0_14default_configENS1_25partition_config_selectorILNS1_17partition_subalgoE8EaNS0_10empty_typeEbEEZZNS1_14partition_implILS5_8ELb0ES3_jPKaPS6_PKS6_NS0_5tupleIJPaS6_EEENSE_IJSB_SB_EEENS0_18inequality_wrapperIN6hipcub16HIPCUB_304000_NS8EqualityEEEPlJS6_EEE10hipError_tPvRmT3_T4_T5_T6_T7_T9_mT8_P12ihipStream_tbDpT10_ENKUlT_T0_E_clISt17integral_constantIbLb0EES16_IbLb1EEEEDaS12_S13_EUlS12_E_NS1_11comp_targetILNS1_3genE5ELNS1_11target_archE942ELNS1_3gpuE9ELNS1_3repE0EEENS1_30default_config_static_selectorELNS0_4arch9wavefront6targetE1EEEvT1_,comdat
.Lfunc_end228:
	.size	_ZN7rocprim17ROCPRIM_400000_NS6detail17trampoline_kernelINS0_14default_configENS1_25partition_config_selectorILNS1_17partition_subalgoE8EaNS0_10empty_typeEbEEZZNS1_14partition_implILS5_8ELb0ES3_jPKaPS6_PKS6_NS0_5tupleIJPaS6_EEENSE_IJSB_SB_EEENS0_18inequality_wrapperIN6hipcub16HIPCUB_304000_NS8EqualityEEEPlJS6_EEE10hipError_tPvRmT3_T4_T5_T6_T7_T9_mT8_P12ihipStream_tbDpT10_ENKUlT_T0_E_clISt17integral_constantIbLb0EES16_IbLb1EEEEDaS12_S13_EUlS12_E_NS1_11comp_targetILNS1_3genE5ELNS1_11target_archE942ELNS1_3gpuE9ELNS1_3repE0EEENS1_30default_config_static_selectorELNS0_4arch9wavefront6targetE1EEEvT1_, .Lfunc_end228-_ZN7rocprim17ROCPRIM_400000_NS6detail17trampoline_kernelINS0_14default_configENS1_25partition_config_selectorILNS1_17partition_subalgoE8EaNS0_10empty_typeEbEEZZNS1_14partition_implILS5_8ELb0ES3_jPKaPS6_PKS6_NS0_5tupleIJPaS6_EEENSE_IJSB_SB_EEENS0_18inequality_wrapperIN6hipcub16HIPCUB_304000_NS8EqualityEEEPlJS6_EEE10hipError_tPvRmT3_T4_T5_T6_T7_T9_mT8_P12ihipStream_tbDpT10_ENKUlT_T0_E_clISt17integral_constantIbLb0EES16_IbLb1EEEEDaS12_S13_EUlS12_E_NS1_11comp_targetILNS1_3genE5ELNS1_11target_archE942ELNS1_3gpuE9ELNS1_3repE0EEENS1_30default_config_static_selectorELNS0_4arch9wavefront6targetE1EEEvT1_
                                        ; -- End function
	.section	.AMDGPU.csdata,"",@progbits
; Kernel info:
; codeLenInByte = 0
; NumSgprs: 4
; NumVgprs: 0
; NumAgprs: 0
; TotalNumVgprs: 0
; ScratchSize: 0
; MemoryBound: 0
; FloatMode: 240
; IeeeMode: 1
; LDSByteSize: 0 bytes/workgroup (compile time only)
; SGPRBlocks: 0
; VGPRBlocks: 0
; NumSGPRsForWavesPerEU: 4
; NumVGPRsForWavesPerEU: 1
; AccumOffset: 4
; Occupancy: 8
; WaveLimiterHint : 0
; COMPUTE_PGM_RSRC2:SCRATCH_EN: 0
; COMPUTE_PGM_RSRC2:USER_SGPR: 6
; COMPUTE_PGM_RSRC2:TRAP_HANDLER: 0
; COMPUTE_PGM_RSRC2:TGID_X_EN: 1
; COMPUTE_PGM_RSRC2:TGID_Y_EN: 0
; COMPUTE_PGM_RSRC2:TGID_Z_EN: 0
; COMPUTE_PGM_RSRC2:TIDIG_COMP_CNT: 0
; COMPUTE_PGM_RSRC3_GFX90A:ACCUM_OFFSET: 0
; COMPUTE_PGM_RSRC3_GFX90A:TG_SPLIT: 0
	.section	.text._ZN7rocprim17ROCPRIM_400000_NS6detail17trampoline_kernelINS0_14default_configENS1_25partition_config_selectorILNS1_17partition_subalgoE8EaNS0_10empty_typeEbEEZZNS1_14partition_implILS5_8ELb0ES3_jPKaPS6_PKS6_NS0_5tupleIJPaS6_EEENSE_IJSB_SB_EEENS0_18inequality_wrapperIN6hipcub16HIPCUB_304000_NS8EqualityEEEPlJS6_EEE10hipError_tPvRmT3_T4_T5_T6_T7_T9_mT8_P12ihipStream_tbDpT10_ENKUlT_T0_E_clISt17integral_constantIbLb0EES16_IbLb1EEEEDaS12_S13_EUlS12_E_NS1_11comp_targetILNS1_3genE4ELNS1_11target_archE910ELNS1_3gpuE8ELNS1_3repE0EEENS1_30default_config_static_selectorELNS0_4arch9wavefront6targetE1EEEvT1_,"axG",@progbits,_ZN7rocprim17ROCPRIM_400000_NS6detail17trampoline_kernelINS0_14default_configENS1_25partition_config_selectorILNS1_17partition_subalgoE8EaNS0_10empty_typeEbEEZZNS1_14partition_implILS5_8ELb0ES3_jPKaPS6_PKS6_NS0_5tupleIJPaS6_EEENSE_IJSB_SB_EEENS0_18inequality_wrapperIN6hipcub16HIPCUB_304000_NS8EqualityEEEPlJS6_EEE10hipError_tPvRmT3_T4_T5_T6_T7_T9_mT8_P12ihipStream_tbDpT10_ENKUlT_T0_E_clISt17integral_constantIbLb0EES16_IbLb1EEEEDaS12_S13_EUlS12_E_NS1_11comp_targetILNS1_3genE4ELNS1_11target_archE910ELNS1_3gpuE8ELNS1_3repE0EEENS1_30default_config_static_selectorELNS0_4arch9wavefront6targetE1EEEvT1_,comdat
	.protected	_ZN7rocprim17ROCPRIM_400000_NS6detail17trampoline_kernelINS0_14default_configENS1_25partition_config_selectorILNS1_17partition_subalgoE8EaNS0_10empty_typeEbEEZZNS1_14partition_implILS5_8ELb0ES3_jPKaPS6_PKS6_NS0_5tupleIJPaS6_EEENSE_IJSB_SB_EEENS0_18inequality_wrapperIN6hipcub16HIPCUB_304000_NS8EqualityEEEPlJS6_EEE10hipError_tPvRmT3_T4_T5_T6_T7_T9_mT8_P12ihipStream_tbDpT10_ENKUlT_T0_E_clISt17integral_constantIbLb0EES16_IbLb1EEEEDaS12_S13_EUlS12_E_NS1_11comp_targetILNS1_3genE4ELNS1_11target_archE910ELNS1_3gpuE8ELNS1_3repE0EEENS1_30default_config_static_selectorELNS0_4arch9wavefront6targetE1EEEvT1_ ; -- Begin function _ZN7rocprim17ROCPRIM_400000_NS6detail17trampoline_kernelINS0_14default_configENS1_25partition_config_selectorILNS1_17partition_subalgoE8EaNS0_10empty_typeEbEEZZNS1_14partition_implILS5_8ELb0ES3_jPKaPS6_PKS6_NS0_5tupleIJPaS6_EEENSE_IJSB_SB_EEENS0_18inequality_wrapperIN6hipcub16HIPCUB_304000_NS8EqualityEEEPlJS6_EEE10hipError_tPvRmT3_T4_T5_T6_T7_T9_mT8_P12ihipStream_tbDpT10_ENKUlT_T0_E_clISt17integral_constantIbLb0EES16_IbLb1EEEEDaS12_S13_EUlS12_E_NS1_11comp_targetILNS1_3genE4ELNS1_11target_archE910ELNS1_3gpuE8ELNS1_3repE0EEENS1_30default_config_static_selectorELNS0_4arch9wavefront6targetE1EEEvT1_
	.globl	_ZN7rocprim17ROCPRIM_400000_NS6detail17trampoline_kernelINS0_14default_configENS1_25partition_config_selectorILNS1_17partition_subalgoE8EaNS0_10empty_typeEbEEZZNS1_14partition_implILS5_8ELb0ES3_jPKaPS6_PKS6_NS0_5tupleIJPaS6_EEENSE_IJSB_SB_EEENS0_18inequality_wrapperIN6hipcub16HIPCUB_304000_NS8EqualityEEEPlJS6_EEE10hipError_tPvRmT3_T4_T5_T6_T7_T9_mT8_P12ihipStream_tbDpT10_ENKUlT_T0_E_clISt17integral_constantIbLb0EES16_IbLb1EEEEDaS12_S13_EUlS12_E_NS1_11comp_targetILNS1_3genE4ELNS1_11target_archE910ELNS1_3gpuE8ELNS1_3repE0EEENS1_30default_config_static_selectorELNS0_4arch9wavefront6targetE1EEEvT1_
	.p2align	8
	.type	_ZN7rocprim17ROCPRIM_400000_NS6detail17trampoline_kernelINS0_14default_configENS1_25partition_config_selectorILNS1_17partition_subalgoE8EaNS0_10empty_typeEbEEZZNS1_14partition_implILS5_8ELb0ES3_jPKaPS6_PKS6_NS0_5tupleIJPaS6_EEENSE_IJSB_SB_EEENS0_18inequality_wrapperIN6hipcub16HIPCUB_304000_NS8EqualityEEEPlJS6_EEE10hipError_tPvRmT3_T4_T5_T6_T7_T9_mT8_P12ihipStream_tbDpT10_ENKUlT_T0_E_clISt17integral_constantIbLb0EES16_IbLb1EEEEDaS12_S13_EUlS12_E_NS1_11comp_targetILNS1_3genE4ELNS1_11target_archE910ELNS1_3gpuE8ELNS1_3repE0EEENS1_30default_config_static_selectorELNS0_4arch9wavefront6targetE1EEEvT1_,@function
_ZN7rocprim17ROCPRIM_400000_NS6detail17trampoline_kernelINS0_14default_configENS1_25partition_config_selectorILNS1_17partition_subalgoE8EaNS0_10empty_typeEbEEZZNS1_14partition_implILS5_8ELb0ES3_jPKaPS6_PKS6_NS0_5tupleIJPaS6_EEENSE_IJSB_SB_EEENS0_18inequality_wrapperIN6hipcub16HIPCUB_304000_NS8EqualityEEEPlJS6_EEE10hipError_tPvRmT3_T4_T5_T6_T7_T9_mT8_P12ihipStream_tbDpT10_ENKUlT_T0_E_clISt17integral_constantIbLb0EES16_IbLb1EEEEDaS12_S13_EUlS12_E_NS1_11comp_targetILNS1_3genE4ELNS1_11target_archE910ELNS1_3gpuE8ELNS1_3repE0EEENS1_30default_config_static_selectorELNS0_4arch9wavefront6targetE1EEEvT1_: ; @_ZN7rocprim17ROCPRIM_400000_NS6detail17trampoline_kernelINS0_14default_configENS1_25partition_config_selectorILNS1_17partition_subalgoE8EaNS0_10empty_typeEbEEZZNS1_14partition_implILS5_8ELb0ES3_jPKaPS6_PKS6_NS0_5tupleIJPaS6_EEENSE_IJSB_SB_EEENS0_18inequality_wrapperIN6hipcub16HIPCUB_304000_NS8EqualityEEEPlJS6_EEE10hipError_tPvRmT3_T4_T5_T6_T7_T9_mT8_P12ihipStream_tbDpT10_ENKUlT_T0_E_clISt17integral_constantIbLb0EES16_IbLb1EEEEDaS12_S13_EUlS12_E_NS1_11comp_targetILNS1_3genE4ELNS1_11target_archE910ELNS1_3gpuE8ELNS1_3repE0EEENS1_30default_config_static_selectorELNS0_4arch9wavefront6targetE1EEEvT1_
; %bb.0:
	s_load_dwordx2 s[24:25], s[4:5], 0x28
	s_load_dwordx4 s[20:23], s[4:5], 0x40
	s_load_dwordx2 s[6:7], s[4:5], 0x50
	s_load_dwordx2 s[26:27], s[4:5], 0x60
	v_cmp_ne_u32_e64 s[2:3], 0, v0
	v_cmp_eq_u32_e64 s[0:1], 0, v0
	s_and_saveexec_b64 s[8:9], s[0:1]
	s_cbranch_execz .LBB229_4
; %bb.1:
	s_mov_b64 s[12:13], exec
	v_mbcnt_lo_u32_b32 v1, s12, 0
	v_mbcnt_hi_u32_b32 v1, s13, v1
	v_cmp_eq_u32_e32 vcc, 0, v1
                                        ; implicit-def: $vgpr2
	s_and_saveexec_b64 s[10:11], vcc
	s_cbranch_execz .LBB229_3
; %bb.2:
	s_load_dwordx2 s[14:15], s[4:5], 0x70
	s_bcnt1_i32_b64 s12, s[12:13]
	v_mov_b32_e32 v2, 0
	v_mov_b32_e32 v3, s12
	s_waitcnt lgkmcnt(0)
	global_atomic_add v2, v2, v3, s[14:15] glc
.LBB229_3:
	s_or_b64 exec, exec, s[10:11]
	s_waitcnt vmcnt(0)
	v_readfirstlane_b32 s10, v2
	v_add_u32_e32 v1, s10, v1
	v_mov_b32_e32 v2, 0
	ds_write_b32 v2, v1
.LBB229_4:
	s_or_b64 exec, exec, s[8:9]
	v_mov_b32_e32 v1, 0
	s_load_dwordx4 s[8:11], s[4:5], 0x8
	s_load_dword s14, s[4:5], 0x68
	s_waitcnt lgkmcnt(0)
	s_barrier
	ds_read_b32 v6, v1
	s_waitcnt lgkmcnt(0)
	s_barrier
	global_load_dwordx2 v[2:3], v1, s[22:23]
	s_add_u32 s8, s8, s10
	s_addc_u32 s4, s9, s11
	s_add_i32 s9, s14, -1
	v_mov_b32_e32 v5, s7
	s_lshl_b32 s7, s9, 12
	s_lshl_b32 s5, s14, 12
	s_add_i32 s7, s10, s7
	v_mov_b32_e32 v1, s4
	s_add_u32 s4, s10, s5
	v_mov_b32_e32 v4, s6
	s_addc_u32 s5, s11, 0
	v_readfirstlane_b32 s55, v6
	v_lshlrev_b32_e32 v6, 12, v6
	v_cmp_ge_u64_e32 vcc, s[4:5], v[4:5]
	s_cmp_eq_u32 s55, s9
	v_add_co_u32_e64 v10, s[4:5], s8, v6
	v_addc_co_u32_e64 v11, s[4:5], 0, v1, s[4:5]
	s_cselect_b64 s[18:19], -1, 0
	s_and_b64 s[4:5], vcc, s[18:19]
	s_xor_b64 s[22:23], s[4:5], -1
	s_mov_b64 s[12:13], -1
	s_and_b64 vcc, exec, s[22:23]
	s_waitcnt vmcnt(0)
	v_readfirstlane_b32 s33, v2
	v_readfirstlane_b32 s54, v3
	s_cbranch_vccz .LBB229_6
; %bb.5:
	v_readfirstlane_b32 s8, v10
	v_readfirstlane_b32 s9, v11
	s_nop 4
	global_load_ubyte v1, v0, s[8:9]
	global_load_ubyte v2, v0, s[8:9] offset:128
	global_load_ubyte v3, v0, s[8:9] offset:256
	;; [unrolled: 1-line block ×31, first 2 shown]
	s_mov_b64 s[12:13], 0
	s_waitcnt vmcnt(31)
	ds_write_b8 v0, v1
	s_waitcnt vmcnt(30)
	ds_write_b8 v0, v2 offset:132
	s_waitcnt vmcnt(29)
	ds_write_b8 v0, v3 offset:264
	s_waitcnt vmcnt(28)
	ds_write_b8 v0, v4 offset:396
	s_waitcnt vmcnt(27)
	ds_write_b8 v0, v5 offset:528
	s_waitcnt vmcnt(26)
	ds_write_b8 v0, v6 offset:660
	s_waitcnt vmcnt(25)
	ds_write_b8 v0, v7 offset:792
	s_waitcnt vmcnt(24)
	ds_write_b8 v0, v8 offset:924
	s_waitcnt vmcnt(23)
	ds_write_b8 v0, v9 offset:1056
	s_waitcnt vmcnt(22)
	ds_write_b8 v0, v12 offset:1188
	s_waitcnt vmcnt(21)
	ds_write_b8 v0, v13 offset:1320
	s_waitcnt vmcnt(20)
	ds_write_b8 v0, v14 offset:1452
	s_waitcnt vmcnt(19)
	ds_write_b8 v0, v15 offset:1584
	s_waitcnt vmcnt(18)
	ds_write_b8 v0, v16 offset:1716
	s_waitcnt vmcnt(17)
	ds_write_b8 v0, v17 offset:1848
	s_waitcnt vmcnt(16)
	ds_write_b8 v0, v18 offset:1980
	s_waitcnt vmcnt(15)
	ds_write_b8 v0, v19 offset:2112
	s_waitcnt vmcnt(14)
	ds_write_b8 v0, v20 offset:2244
	s_waitcnt vmcnt(13)
	ds_write_b8 v0, v21 offset:2376
	s_waitcnt vmcnt(12)
	ds_write_b8 v0, v22 offset:2508
	s_waitcnt vmcnt(11)
	ds_write_b8 v0, v23 offset:2640
	s_waitcnt vmcnt(10)
	ds_write_b8 v0, v24 offset:2772
	s_waitcnt vmcnt(9)
	ds_write_b8 v0, v25 offset:2904
	s_waitcnt vmcnt(8)
	ds_write_b8 v0, v26 offset:3036
	s_waitcnt vmcnt(7)
	ds_write_b8 v0, v27 offset:3168
	s_waitcnt vmcnt(6)
	ds_write_b8 v0, v28 offset:3300
	s_waitcnt vmcnt(5)
	ds_write_b8 v0, v29 offset:3432
	s_waitcnt vmcnt(4)
	ds_write_b8 v0, v30 offset:3564
	s_waitcnt vmcnt(3)
	ds_write_b8 v0, v31 offset:3696
	s_waitcnt vmcnt(2)
	ds_write_b8 v0, v32 offset:3828
	s_waitcnt vmcnt(1)
	ds_write_b8 v0, v33 offset:3960
	s_waitcnt vmcnt(0)
	ds_write_b8 v0, v34 offset:4092
	s_waitcnt lgkmcnt(0)
	s_barrier
.LBB229_6:
	s_andn2_b64 vcc, exec, s[12:13]
	s_sub_i32 s56, s6, s7
	s_cbranch_vccnz .LBB229_72
; %bb.7:
	v_cmp_gt_u32_e32 vcc, s56, v0
                                        ; implicit-def: $vgpr1
	s_and_saveexec_b64 s[6:7], vcc
	s_cbranch_execz .LBB229_9
; %bb.8:
	v_readfirstlane_b32 s8, v10
	v_readfirstlane_b32 s9, v11
	s_nop 4
	global_load_ubyte v1, v0, s[8:9]
.LBB229_9:
	s_or_b64 exec, exec, s[6:7]
	v_or_b32_e32 v2, 0x80, v0
	v_cmp_gt_u32_e32 vcc, s56, v2
                                        ; implicit-def: $vgpr3
	s_and_saveexec_b64 s[6:7], vcc
	s_cbranch_execz .LBB229_11
; %bb.10:
	v_readfirstlane_b32 s8, v10
	v_readfirstlane_b32 s9, v11
	s_nop 4
	global_load_ubyte v3, v0, s[8:9] offset:128
.LBB229_11:
	s_or_b64 exec, exec, s[6:7]
	v_or_b32_e32 v4, 0x100, v0
	v_cmp_gt_u32_e32 vcc, s56, v4
                                        ; implicit-def: $vgpr5
	s_and_saveexec_b64 s[6:7], vcc
	s_cbranch_execz .LBB229_13
; %bb.12:
	v_readfirstlane_b32 s8, v10
	v_readfirstlane_b32 s9, v11
	s_nop 4
	global_load_ubyte v5, v0, s[8:9] offset:256
.LBB229_13:
	s_or_b64 exec, exec, s[6:7]
	v_or_b32_e32 v6, 0x180, v0
	v_cmp_gt_u32_e32 vcc, s56, v6
                                        ; implicit-def: $vgpr7
	s_and_saveexec_b64 s[6:7], vcc
	s_cbranch_execz .LBB229_15
; %bb.14:
	v_readfirstlane_b32 s8, v10
	v_readfirstlane_b32 s9, v11
	s_nop 4
	global_load_ubyte v7, v0, s[8:9] offset:384
.LBB229_15:
	s_or_b64 exec, exec, s[6:7]
	v_or_b32_e32 v8, 0x200, v0
	v_cmp_gt_u32_e32 vcc, s56, v8
                                        ; implicit-def: $vgpr9
	s_and_saveexec_b64 s[6:7], vcc
	s_cbranch_execz .LBB229_17
; %bb.16:
	v_readfirstlane_b32 s8, v10
	v_readfirstlane_b32 s9, v11
	s_nop 4
	global_load_ubyte v9, v0, s[8:9] offset:512
.LBB229_17:
	s_or_b64 exec, exec, s[6:7]
	v_or_b32_e32 v12, 0x280, v0
	v_cmp_gt_u32_e32 vcc, s56, v12
                                        ; implicit-def: $vgpr13
	s_and_saveexec_b64 s[6:7], vcc
	s_cbranch_execz .LBB229_19
; %bb.18:
	v_readfirstlane_b32 s8, v10
	v_readfirstlane_b32 s9, v11
	s_nop 4
	global_load_ubyte v13, v0, s[8:9] offset:640
.LBB229_19:
	s_or_b64 exec, exec, s[6:7]
	v_or_b32_e32 v14, 0x300, v0
	v_cmp_gt_u32_e32 vcc, s56, v14
                                        ; implicit-def: $vgpr15
	s_and_saveexec_b64 s[6:7], vcc
	s_cbranch_execz .LBB229_21
; %bb.20:
	v_readfirstlane_b32 s8, v10
	v_readfirstlane_b32 s9, v11
	s_nop 4
	global_load_ubyte v15, v0, s[8:9] offset:768
.LBB229_21:
	s_or_b64 exec, exec, s[6:7]
	v_or_b32_e32 v16, 0x380, v0
	v_cmp_gt_u32_e32 vcc, s56, v16
                                        ; implicit-def: $vgpr17
	s_and_saveexec_b64 s[6:7], vcc
	s_cbranch_execz .LBB229_23
; %bb.22:
	v_readfirstlane_b32 s8, v10
	v_readfirstlane_b32 s9, v11
	s_nop 4
	global_load_ubyte v17, v0, s[8:9] offset:896
.LBB229_23:
	s_or_b64 exec, exec, s[6:7]
	v_or_b32_e32 v18, 0x400, v0
	v_cmp_gt_u32_e32 vcc, s56, v18
                                        ; implicit-def: $vgpr19
	s_and_saveexec_b64 s[6:7], vcc
	s_cbranch_execz .LBB229_25
; %bb.24:
	v_readfirstlane_b32 s8, v10
	v_readfirstlane_b32 s9, v11
	s_nop 4
	global_load_ubyte v19, v0, s[8:9] offset:1024
.LBB229_25:
	s_or_b64 exec, exec, s[6:7]
	v_or_b32_e32 v20, 0x480, v0
	v_cmp_gt_u32_e32 vcc, s56, v20
                                        ; implicit-def: $vgpr21
	s_and_saveexec_b64 s[6:7], vcc
	s_cbranch_execz .LBB229_27
; %bb.26:
	v_readfirstlane_b32 s8, v10
	v_readfirstlane_b32 s9, v11
	s_nop 4
	global_load_ubyte v21, v0, s[8:9] offset:1152
.LBB229_27:
	s_or_b64 exec, exec, s[6:7]
	v_or_b32_e32 v22, 0x500, v0
	v_cmp_gt_u32_e32 vcc, s56, v22
                                        ; implicit-def: $vgpr23
	s_and_saveexec_b64 s[6:7], vcc
	s_cbranch_execz .LBB229_29
; %bb.28:
	v_readfirstlane_b32 s8, v10
	v_readfirstlane_b32 s9, v11
	s_nop 4
	global_load_ubyte v23, v0, s[8:9] offset:1280
.LBB229_29:
	s_or_b64 exec, exec, s[6:7]
	v_or_b32_e32 v24, 0x580, v0
	v_cmp_gt_u32_e32 vcc, s56, v24
                                        ; implicit-def: $vgpr25
	s_and_saveexec_b64 s[6:7], vcc
	s_cbranch_execz .LBB229_31
; %bb.30:
	v_readfirstlane_b32 s8, v10
	v_readfirstlane_b32 s9, v11
	s_nop 4
	global_load_ubyte v25, v0, s[8:9] offset:1408
.LBB229_31:
	s_or_b64 exec, exec, s[6:7]
	v_or_b32_e32 v26, 0x600, v0
	v_cmp_gt_u32_e32 vcc, s56, v26
                                        ; implicit-def: $vgpr27
	s_and_saveexec_b64 s[6:7], vcc
	s_cbranch_execz .LBB229_33
; %bb.32:
	v_readfirstlane_b32 s8, v10
	v_readfirstlane_b32 s9, v11
	s_nop 4
	global_load_ubyte v27, v0, s[8:9] offset:1536
.LBB229_33:
	s_or_b64 exec, exec, s[6:7]
	v_or_b32_e32 v28, 0x680, v0
	v_cmp_gt_u32_e32 vcc, s56, v28
                                        ; implicit-def: $vgpr29
	s_and_saveexec_b64 s[6:7], vcc
	s_cbranch_execz .LBB229_35
; %bb.34:
	v_readfirstlane_b32 s8, v10
	v_readfirstlane_b32 s9, v11
	s_nop 4
	global_load_ubyte v29, v0, s[8:9] offset:1664
.LBB229_35:
	s_or_b64 exec, exec, s[6:7]
	v_or_b32_e32 v30, 0x700, v0
	v_cmp_gt_u32_e32 vcc, s56, v30
                                        ; implicit-def: $vgpr31
	s_and_saveexec_b64 s[6:7], vcc
	s_cbranch_execz .LBB229_37
; %bb.36:
	v_readfirstlane_b32 s8, v10
	v_readfirstlane_b32 s9, v11
	s_nop 4
	global_load_ubyte v31, v0, s[8:9] offset:1792
.LBB229_37:
	s_or_b64 exec, exec, s[6:7]
	v_or_b32_e32 v32, 0x780, v0
	v_cmp_gt_u32_e32 vcc, s56, v32
                                        ; implicit-def: $vgpr33
	s_and_saveexec_b64 s[6:7], vcc
	s_cbranch_execz .LBB229_39
; %bb.38:
	v_readfirstlane_b32 s8, v10
	v_readfirstlane_b32 s9, v11
	s_nop 4
	global_load_ubyte v33, v0, s[8:9] offset:1920
.LBB229_39:
	s_or_b64 exec, exec, s[6:7]
	v_or_b32_e32 v34, 0x800, v0
	v_cmp_gt_u32_e32 vcc, s56, v34
                                        ; implicit-def: $vgpr35
	s_and_saveexec_b64 s[6:7], vcc
	s_cbranch_execz .LBB229_41
; %bb.40:
	v_readfirstlane_b32 s8, v10
	v_readfirstlane_b32 s9, v11
	s_nop 4
	global_load_ubyte v35, v0, s[8:9] offset:2048
.LBB229_41:
	s_or_b64 exec, exec, s[6:7]
	v_or_b32_e32 v36, 0x880, v0
	v_cmp_gt_u32_e32 vcc, s56, v36
                                        ; implicit-def: $vgpr37
	s_and_saveexec_b64 s[6:7], vcc
	s_cbranch_execz .LBB229_43
; %bb.42:
	v_readfirstlane_b32 s8, v10
	v_readfirstlane_b32 s9, v11
	s_nop 4
	global_load_ubyte v37, v0, s[8:9] offset:2176
.LBB229_43:
	s_or_b64 exec, exec, s[6:7]
	v_or_b32_e32 v38, 0x900, v0
	v_cmp_gt_u32_e32 vcc, s56, v38
                                        ; implicit-def: $vgpr39
	s_and_saveexec_b64 s[6:7], vcc
	s_cbranch_execz .LBB229_45
; %bb.44:
	v_readfirstlane_b32 s8, v10
	v_readfirstlane_b32 s9, v11
	s_nop 4
	global_load_ubyte v39, v0, s[8:9] offset:2304
.LBB229_45:
	s_or_b64 exec, exec, s[6:7]
	v_or_b32_e32 v40, 0x980, v0
	v_cmp_gt_u32_e32 vcc, s56, v40
                                        ; implicit-def: $vgpr41
	s_and_saveexec_b64 s[6:7], vcc
	s_cbranch_execz .LBB229_47
; %bb.46:
	v_readfirstlane_b32 s8, v10
	v_readfirstlane_b32 s9, v11
	s_nop 4
	global_load_ubyte v41, v0, s[8:9] offset:2432
.LBB229_47:
	s_or_b64 exec, exec, s[6:7]
	v_or_b32_e32 v42, 0xa00, v0
	v_cmp_gt_u32_e32 vcc, s56, v42
                                        ; implicit-def: $vgpr43
	s_and_saveexec_b64 s[6:7], vcc
	s_cbranch_execz .LBB229_49
; %bb.48:
	v_readfirstlane_b32 s8, v10
	v_readfirstlane_b32 s9, v11
	s_nop 4
	global_load_ubyte v43, v0, s[8:9] offset:2560
.LBB229_49:
	s_or_b64 exec, exec, s[6:7]
	v_or_b32_e32 v44, 0xa80, v0
	v_cmp_gt_u32_e32 vcc, s56, v44
                                        ; implicit-def: $vgpr45
	s_and_saveexec_b64 s[6:7], vcc
	s_cbranch_execz .LBB229_51
; %bb.50:
	v_readfirstlane_b32 s8, v10
	v_readfirstlane_b32 s9, v11
	s_nop 4
	global_load_ubyte v45, v0, s[8:9] offset:2688
.LBB229_51:
	s_or_b64 exec, exec, s[6:7]
	v_or_b32_e32 v46, 0xb00, v0
	v_cmp_gt_u32_e32 vcc, s56, v46
                                        ; implicit-def: $vgpr47
	s_and_saveexec_b64 s[6:7], vcc
	s_cbranch_execz .LBB229_53
; %bb.52:
	v_readfirstlane_b32 s8, v10
	v_readfirstlane_b32 s9, v11
	s_nop 4
	global_load_ubyte v47, v0, s[8:9] offset:2816
.LBB229_53:
	s_or_b64 exec, exec, s[6:7]
	v_or_b32_e32 v48, 0xb80, v0
	v_cmp_gt_u32_e32 vcc, s56, v48
                                        ; implicit-def: $vgpr49
	s_and_saveexec_b64 s[6:7], vcc
	s_cbranch_execz .LBB229_55
; %bb.54:
	v_readfirstlane_b32 s8, v10
	v_readfirstlane_b32 s9, v11
	s_nop 4
	global_load_ubyte v49, v0, s[8:9] offset:2944
.LBB229_55:
	s_or_b64 exec, exec, s[6:7]
	v_or_b32_e32 v50, 0xc00, v0
	v_cmp_gt_u32_e32 vcc, s56, v50
                                        ; implicit-def: $vgpr51
	s_and_saveexec_b64 s[6:7], vcc
	s_cbranch_execz .LBB229_57
; %bb.56:
	v_readfirstlane_b32 s8, v10
	v_readfirstlane_b32 s9, v11
	s_nop 4
	global_load_ubyte v51, v0, s[8:9] offset:3072
.LBB229_57:
	s_or_b64 exec, exec, s[6:7]
	v_or_b32_e32 v52, 0xc80, v0
	v_cmp_gt_u32_e32 vcc, s56, v52
                                        ; implicit-def: $vgpr53
	s_and_saveexec_b64 s[6:7], vcc
	s_cbranch_execz .LBB229_59
; %bb.58:
	v_readfirstlane_b32 s8, v10
	v_readfirstlane_b32 s9, v11
	s_nop 4
	global_load_ubyte v53, v0, s[8:9] offset:3200
.LBB229_59:
	s_or_b64 exec, exec, s[6:7]
	v_or_b32_e32 v54, 0xd00, v0
	v_cmp_gt_u32_e32 vcc, s56, v54
                                        ; implicit-def: $vgpr55
	s_and_saveexec_b64 s[6:7], vcc
	s_cbranch_execz .LBB229_61
; %bb.60:
	v_readfirstlane_b32 s8, v10
	v_readfirstlane_b32 s9, v11
	s_nop 4
	global_load_ubyte v55, v0, s[8:9] offset:3328
.LBB229_61:
	s_or_b64 exec, exec, s[6:7]
	v_or_b32_e32 v56, 0xd80, v0
	v_cmp_gt_u32_e32 vcc, s56, v56
                                        ; implicit-def: $vgpr57
	s_and_saveexec_b64 s[6:7], vcc
	s_cbranch_execz .LBB229_63
; %bb.62:
	v_readfirstlane_b32 s8, v10
	v_readfirstlane_b32 s9, v11
	s_nop 4
	global_load_ubyte v57, v0, s[8:9] offset:3456
.LBB229_63:
	s_or_b64 exec, exec, s[6:7]
	v_or_b32_e32 v58, 0xe00, v0
	v_cmp_gt_u32_e32 vcc, s56, v58
                                        ; implicit-def: $vgpr59
	s_and_saveexec_b64 s[6:7], vcc
	s_cbranch_execz .LBB229_65
; %bb.64:
	v_readfirstlane_b32 s8, v10
	v_readfirstlane_b32 s9, v11
	s_nop 4
	global_load_ubyte v59, v0, s[8:9] offset:3584
.LBB229_65:
	s_or_b64 exec, exec, s[6:7]
	v_or_b32_e32 v60, 0xe80, v0
	v_cmp_gt_u32_e32 vcc, s56, v60
                                        ; implicit-def: $vgpr61
	s_and_saveexec_b64 s[6:7], vcc
	s_cbranch_execz .LBB229_67
; %bb.66:
	v_readfirstlane_b32 s8, v10
	v_readfirstlane_b32 s9, v11
	s_nop 4
	global_load_ubyte v61, v0, s[8:9] offset:3712
.LBB229_67:
	s_or_b64 exec, exec, s[6:7]
	v_or_b32_e32 v62, 0xf00, v0
	v_cmp_gt_u32_e32 vcc, s56, v62
                                        ; implicit-def: $vgpr63
	s_and_saveexec_b64 s[6:7], vcc
	s_cbranch_execz .LBB229_69
; %bb.68:
	v_readfirstlane_b32 s8, v10
	v_readfirstlane_b32 s9, v11
	s_nop 4
	global_load_ubyte v63, v0, s[8:9] offset:3840
.LBB229_69:
	s_or_b64 exec, exec, s[6:7]
	v_or_b32_e32 v64, 0xf80, v0
	v_cmp_gt_u32_e32 vcc, s56, v64
                                        ; implicit-def: $vgpr65
	s_and_saveexec_b64 s[6:7], vcc
	s_cbranch_execz .LBB229_71
; %bb.70:
	v_readfirstlane_b32 s8, v10
	v_readfirstlane_b32 s9, v11
	s_nop 4
	global_load_ubyte v65, v0, s[8:9] offset:3968
.LBB229_71:
	s_or_b64 exec, exec, s[6:7]
	s_waitcnt vmcnt(0)
	ds_write_b8 v0, v1
	v_lshrrev_b32_e32 v1, 5, v2
	v_and_b32_e32 v1, 4, v1
	v_add_u32_e32 v1, v0, v1
	ds_write_b8 v1, v3 offset:128
	v_lshrrev_b32_e32 v1, 5, v4
	v_and_b32_e32 v1, 12, v1
	v_add_u32_e32 v1, v0, v1
	ds_write_b8 v1, v5 offset:256
	;; [unrolled: 4-line block ×31, first 2 shown]
	s_waitcnt lgkmcnt(0)
	s_barrier
.LBB229_72:
	v_lshlrev_b32_e32 v12, 5, v0
	v_and_b32_e32 v1, 0x7c, v0
	v_add_u32_e32 v1, v1, v12
	ds_read2_b32 v[2:3], v1 offset0:6 offset1:7
	ds_read2_b32 v[8:9], v1 offset1:1
	ds_read2_b32 v[6:7], v1 offset0:2 offset1:3
	ds_read2_b32 v[4:5], v1 offset0:4 offset1:5
	s_cmp_lg_u32 s55, 0
	s_cselect_b64 s[16:17], -1, 0
	s_cmp_lg_u64 s[10:11], 0
	s_cselect_b64 s[8:9], -1, 0
	s_or_b64 s[8:9], s[8:9], s[16:17]
	s_waitcnt lgkmcnt(3)
	v_lshrrev_b32_e32 v24, 8, v2
	v_lshrrev_b32_e32 v23, 16, v2
	v_lshrrev_b32_e32 v22, 24, v2
	v_lshrrev_b32_e32 v21, 8, v3
	v_lshrrev_b32_e32 v20, 16, v3
	v_lshrrev_b32_e32 v1, 24, v3
	s_waitcnt lgkmcnt(2)
	v_lshrrev_b32_e32 v49, 8, v8
	v_lshrrev_b32_e32 v47, 16, v8
	v_lshrrev_b32_e32 v46, 24, v8
	v_lshrrev_b32_e32 v44, 8, v9
	v_lshrrev_b32_e32 v42, 16, v9
	v_lshrrev_b32_e32 v41, 24, v9
	;; [unrolled: 7-line block ×4, first 2 shown]
	s_mov_b64 s[6:7], 0
	s_and_b64 vcc, exec, s[8:9]
	s_barrier
	s_cbranch_vccz .LBB229_77
; %bb.73:
	global_load_ubyte v10, v[10:11], off offset:-1
	s_and_b64 vcc, exec, s[22:23]
	ds_write_b8 v0, v1
	s_cbranch_vccz .LBB229_79
; %bb.74:
	s_waitcnt vmcnt(0)
	v_mov_b32_e32 v11, v10
	s_waitcnt lgkmcnt(0)
	s_barrier
	s_and_saveexec_b64 s[6:7], s[2:3]
	s_cbranch_execz .LBB229_76
; %bb.75:
	v_add_u32_e32 v11, -1, v0
	ds_read_u8 v11, v11
.LBB229_76:
	s_or_b64 exec, exec, s[6:7]
	v_cmp_ne_u16_sdwa s[6:7], v20, v1 src0_sel:BYTE_0 src1_sel:DWORD
	v_cndmask_b32_e64 v33, 0, 1, s[6:7]
	v_cmp_ne_u16_sdwa s[6:7], v21, v20 src0_sel:BYTE_0 src1_sel:BYTE_0
	v_cndmask_b32_e64 v35, 0, 1, s[6:7]
	v_cmp_ne_u16_sdwa s[6:7], v3, v21 src0_sel:BYTE_0 src1_sel:BYTE_0
	v_cndmask_b32_e64 v38, 0, 1, s[6:7]
	v_cmp_ne_u16_sdwa s[6:7], v22, v3 src0_sel:DWORD src1_sel:BYTE_0
	v_cndmask_b32_e64 v40, 0, 1, s[6:7]
	v_cmp_ne_u16_sdwa s[6:7], v23, v22 src0_sel:BYTE_0 src1_sel:DWORD
	v_cndmask_b32_e64 v43, 0, 1, s[6:7]
	v_cmp_ne_u16_sdwa s[6:7], v24, v23 src0_sel:BYTE_0 src1_sel:BYTE_0
	v_cndmask_b32_e64 v45, 0, 1, s[6:7]
	v_cmp_ne_u16_sdwa s[6:7], v2, v24 src0_sel:BYTE_0 src1_sel:BYTE_0
	v_cndmask_b32_e64 v48, 0, 1, s[6:7]
	v_cmp_ne_u16_sdwa s[6:7], v25, v2 src0_sel:DWORD src1_sel:BYTE_0
	v_cndmask_b32_e64 v50, 0, 1, s[6:7]
	v_cmp_ne_u16_sdwa s[6:7], v26, v25 src0_sel:BYTE_0 src1_sel:DWORD
	v_cndmask_b32_e64 v51, 0, 1, s[6:7]
	v_cmp_ne_u16_sdwa s[6:7], v27, v26 src0_sel:BYTE_0 src1_sel:BYTE_0
	v_cndmask_b32_e64 v52, 0, 1, s[6:7]
	v_cmp_ne_u16_sdwa s[6:7], v5, v27 src0_sel:BYTE_0 src1_sel:BYTE_0
	v_cndmask_b32_e64 v53, 0, 1, s[6:7]
	v_cmp_ne_u16_sdwa s[6:7], v28, v5 src0_sel:DWORD src1_sel:BYTE_0
	v_cndmask_b32_e64 v54, 0, 1, s[6:7]
	v_cmp_ne_u16_sdwa s[6:7], v29, v28 src0_sel:BYTE_0 src1_sel:DWORD
	v_cndmask_b32_e64 v55, 0, 1, s[6:7]
	v_cmp_ne_u16_sdwa s[6:7], v30, v29 src0_sel:BYTE_0 src1_sel:BYTE_0
	v_cndmask_b32_e64 v56, 0, 1, s[6:7]
	v_cmp_ne_u16_sdwa s[6:7], v4, v30 src0_sel:BYTE_0 src1_sel:BYTE_0
	v_cndmask_b32_e64 v57, 0, 1, s[6:7]
	v_cmp_ne_u16_sdwa s[6:7], v31, v4 src0_sel:DWORD src1_sel:BYTE_0
	v_cndmask_b32_e64 v58, 0, 1, s[6:7]
	v_cmp_ne_u16_sdwa s[6:7], v32, v31 src0_sel:BYTE_0 src1_sel:DWORD
	v_cndmask_b32_e64 v59, 0, 1, s[6:7]
	v_cmp_ne_u16_sdwa s[6:7], v34, v32 src0_sel:BYTE_0 src1_sel:BYTE_0
	v_cndmask_b32_e64 v60, 0, 1, s[6:7]
	v_cmp_ne_u16_sdwa s[6:7], v7, v34 src0_sel:BYTE_0 src1_sel:BYTE_0
	v_cndmask_b32_e64 v61, 0, 1, s[6:7]
	v_cmp_ne_u16_sdwa s[6:7], v36, v7 src0_sel:DWORD src1_sel:BYTE_0
	v_cndmask_b32_e64 v62, 0, 1, s[6:7]
	v_cmp_ne_u16_sdwa s[6:7], v37, v36 src0_sel:BYTE_0 src1_sel:DWORD
	v_cndmask_b32_e64 v63, 0, 1, s[6:7]
	v_cmp_ne_u16_sdwa s[6:7], v39, v37 src0_sel:BYTE_0 src1_sel:BYTE_0
	v_cndmask_b32_e64 v64, 0, 1, s[6:7]
	v_cmp_ne_u16_sdwa s[6:7], v6, v39 src0_sel:BYTE_0 src1_sel:BYTE_0
	v_cndmask_b32_e64 v65, 0, 1, s[6:7]
	v_cmp_ne_u16_sdwa s[6:7], v41, v6 src0_sel:DWORD src1_sel:BYTE_0
	v_cndmask_b32_e64 v66, 0, 1, s[6:7]
	v_cmp_ne_u16_sdwa s[6:7], v42, v41 src0_sel:BYTE_0 src1_sel:DWORD
	v_cndmask_b32_e64 v67, 0, 1, s[6:7]
	v_cmp_ne_u16_sdwa s[6:7], v44, v42 src0_sel:BYTE_0 src1_sel:BYTE_0
	v_cndmask_b32_e64 v68, 0, 1, s[6:7]
	v_cmp_ne_u16_sdwa s[6:7], v9, v44 src0_sel:BYTE_0 src1_sel:BYTE_0
	v_cndmask_b32_e64 v69, 0, 1, s[6:7]
	v_cmp_ne_u16_sdwa s[6:7], v46, v9 src0_sel:DWORD src1_sel:BYTE_0
	v_cndmask_b32_e64 v70, 0, 1, s[6:7]
	v_cmp_ne_u16_sdwa s[6:7], v47, v46 src0_sel:BYTE_0 src1_sel:DWORD
	v_cndmask_b32_e64 v71, 0, 1, s[6:7]
	v_cmp_ne_u16_sdwa s[6:7], v49, v47 src0_sel:BYTE_0 src1_sel:BYTE_0
	v_cndmask_b32_e64 v72, 0, 1, s[6:7]
	v_cmp_ne_u16_sdwa s[6:7], v8, v49 src0_sel:BYTE_0 src1_sel:BYTE_0
	v_cndmask_b32_e64 v73, 0, 1, s[6:7]
	s_waitcnt lgkmcnt(0)
	v_cmp_ne_u16_sdwa s[8:9], v11, v8 src0_sel:BYTE_0 src1_sel:BYTE_0
	s_branch .LBB229_83
.LBB229_77:
                                        ; implicit-def: $sgpr8_sgpr9
                                        ; implicit-def: $vgpr73
                                        ; implicit-def: $vgpr72
                                        ; implicit-def: $vgpr71
                                        ; implicit-def: $vgpr70
                                        ; implicit-def: $vgpr69
                                        ; implicit-def: $vgpr68
                                        ; implicit-def: $vgpr67
                                        ; implicit-def: $vgpr66
                                        ; implicit-def: $vgpr65
                                        ; implicit-def: $vgpr64
                                        ; implicit-def: $vgpr63
                                        ; implicit-def: $vgpr62
                                        ; implicit-def: $vgpr61
                                        ; implicit-def: $vgpr60
                                        ; implicit-def: $vgpr59
                                        ; implicit-def: $vgpr58
                                        ; implicit-def: $vgpr57
                                        ; implicit-def: $vgpr56
                                        ; implicit-def: $vgpr55
                                        ; implicit-def: $vgpr54
                                        ; implicit-def: $vgpr53
                                        ; implicit-def: $vgpr52
                                        ; implicit-def: $vgpr51
                                        ; implicit-def: $vgpr50
                                        ; implicit-def: $vgpr48
                                        ; implicit-def: $vgpr45
                                        ; implicit-def: $vgpr43
                                        ; implicit-def: $vgpr40
                                        ; implicit-def: $vgpr38
                                        ; implicit-def: $vgpr35
                                        ; implicit-def: $vgpr33
	s_branch .LBB229_84
.LBB229_78:
                                        ; implicit-def: $sgpr12
	v_mov_b32_e32 v74, s12
	s_and_saveexec_b64 s[2:3], s[6:7]
	s_cbranch_execnz .LBB229_92
	s_branch .LBB229_93
.LBB229_79:
                                        ; implicit-def: $sgpr8_sgpr9
                                        ; implicit-def: $vgpr73
                                        ; implicit-def: $vgpr72
                                        ; implicit-def: $vgpr71
                                        ; implicit-def: $vgpr70
                                        ; implicit-def: $vgpr69
                                        ; implicit-def: $vgpr68
                                        ; implicit-def: $vgpr67
                                        ; implicit-def: $vgpr66
                                        ; implicit-def: $vgpr65
                                        ; implicit-def: $vgpr64
                                        ; implicit-def: $vgpr63
                                        ; implicit-def: $vgpr62
                                        ; implicit-def: $vgpr61
                                        ; implicit-def: $vgpr60
                                        ; implicit-def: $vgpr59
                                        ; implicit-def: $vgpr58
                                        ; implicit-def: $vgpr57
                                        ; implicit-def: $vgpr56
                                        ; implicit-def: $vgpr55
                                        ; implicit-def: $vgpr54
                                        ; implicit-def: $vgpr53
                                        ; implicit-def: $vgpr52
                                        ; implicit-def: $vgpr51
                                        ; implicit-def: $vgpr50
                                        ; implicit-def: $vgpr48
                                        ; implicit-def: $vgpr45
                                        ; implicit-def: $vgpr43
                                        ; implicit-def: $vgpr40
                                        ; implicit-def: $vgpr38
                                        ; implicit-def: $vgpr35
                                        ; implicit-def: $vgpr33
	s_cbranch_execz .LBB229_83
; %bb.80:
	s_waitcnt lgkmcnt(0)
	s_barrier
	s_and_saveexec_b64 s[6:7], s[2:3]
	s_cbranch_execz .LBB229_82
; %bb.81:
	s_waitcnt vmcnt(0)
	v_add_u32_e32 v10, -1, v0
	ds_read_u8 v10, v10
.LBB229_82:
	s_or_b64 exec, exec, s[6:7]
	v_or_b32_e32 v11, 31, v12
	v_cmp_gt_u32_e32 vcc, s56, v11
	v_cmp_ne_u16_sdwa s[6:7], v20, v1 src0_sel:BYTE_0 src1_sel:BYTE_0
	s_and_b64 s[6:7], vcc, s[6:7]
	v_or_b32_e32 v11, 30, v12
	v_cndmask_b32_e64 v33, 0, 1, s[6:7]
	v_cmp_gt_u32_e32 vcc, s56, v11
	v_cmp_ne_u16_sdwa s[6:7], v21, v20 src0_sel:BYTE_0 src1_sel:BYTE_0
	s_and_b64 s[6:7], vcc, s[6:7]
	v_or_b32_e32 v11, 29, v12
	v_cndmask_b32_e64 v35, 0, 1, s[6:7]
	;; [unrolled: 5-line block ×30, first 2 shown]
	v_cmp_gt_u32_e32 vcc, s56, v11
	v_cmp_ne_u16_sdwa s[6:7], v8, v49 src0_sel:BYTE_0 src1_sel:BYTE_0
	s_and_b64 s[6:7], vcc, s[6:7]
	v_cndmask_b32_e64 v73, 0, 1, s[6:7]
	v_cmp_gt_u32_e32 vcc, s56, v12
	s_waitcnt vmcnt(0) lgkmcnt(0)
	v_cmp_ne_u16_sdwa s[6:7], v10, v8 src0_sel:BYTE_0 src1_sel:BYTE_0
	s_and_b64 s[8:9], vcc, s[6:7]
.LBB229_83:
	s_mov_b64 s[6:7], -1
	s_cbranch_execnz .LBB229_78
.LBB229_84:
	s_and_b64 vcc, exec, s[22:23]
	v_cmp_ne_u16_sdwa s[50:51], v21, v20 src0_sel:BYTE_0 src1_sel:BYTE_0
	v_cmp_ne_u16_sdwa s[52:53], v3, v21 src0_sel:BYTE_0 src1_sel:BYTE_0
	;; [unrolled: 1-line block ×16, first 2 shown]
	ds_write_b8 v0, v1
	s_cbranch_vccz .LBB229_88
; %bb.85:
	v_cndmask_b32_e64 v35, 0, 1, s[50:51]
	v_cmp_ne_u16_sdwa s[50:51], v22, v3 src0_sel:DWORD src1_sel:BYTE_0
	v_cndmask_b32_e64 v45, 0, 1, s[46:47]
	v_cmp_ne_u16_sdwa s[46:47], v25, v2 src0_sel:DWORD src1_sel:BYTE_0
	;; [unrolled: 2-line block ×7, first 2 shown]
	v_cmp_ne_u16_sdwa s[58:59], v20, v1 src0_sel:BYTE_0 src1_sel:DWORD
	v_cndmask_b32_e64 v40, 0, 1, s[50:51]
	v_cmp_ne_u16_sdwa s[50:51], v23, v22 src0_sel:BYTE_0 src1_sel:DWORD
	v_cndmask_b32_e64 v50, 0, 1, s[46:47]
	;; [unrolled: 2-line block ×8, first 2 shown]
	v_cndmask_b32_e64 v38, 0, 1, s[52:53]
	v_cndmask_b32_e64 v43, 0, 1, s[50:51]
	;; [unrolled: 1-line block ×16, first 2 shown]
	s_waitcnt lgkmcnt(0)
	s_barrier
	s_waitcnt lgkmcnt(0)
                                        ; implicit-def: $sgpr8_sgpr9
	s_and_saveexec_b64 s[10:11], s[2:3]
	s_xor_b64 s[10:11], exec, s[10:11]
	s_cbranch_execz .LBB229_87
; %bb.86:
	s_waitcnt vmcnt(0)
	v_add_u32_e32 v10, -1, v0
	ds_read_u8 v10, v10
	s_or_b64 s[6:7], s[6:7], exec
	s_waitcnt lgkmcnt(0)
	v_cmp_ne_u16_sdwa s[8:9], v10, v8 src0_sel:DWORD src1_sel:BYTE_0
	s_and_b64 s[8:9], s[8:9], exec
.LBB229_87:
	s_or_b64 exec, exec, s[10:11]
	s_mov_b32 s12, 1
	s_branch .LBB229_91
.LBB229_88:
                                        ; implicit-def: $sgpr8_sgpr9
                                        ; implicit-def: $vgpr73
                                        ; implicit-def: $vgpr72
                                        ; implicit-def: $vgpr71
                                        ; implicit-def: $vgpr70
                                        ; implicit-def: $vgpr69
                                        ; implicit-def: $vgpr68
                                        ; implicit-def: $vgpr67
                                        ; implicit-def: $vgpr66
                                        ; implicit-def: $vgpr65
                                        ; implicit-def: $vgpr64
                                        ; implicit-def: $vgpr63
                                        ; implicit-def: $vgpr62
                                        ; implicit-def: $vgpr61
                                        ; implicit-def: $vgpr60
                                        ; implicit-def: $vgpr59
                                        ; implicit-def: $vgpr58
                                        ; implicit-def: $vgpr57
                                        ; implicit-def: $vgpr56
                                        ; implicit-def: $vgpr55
                                        ; implicit-def: $vgpr54
                                        ; implicit-def: $vgpr53
                                        ; implicit-def: $vgpr52
                                        ; implicit-def: $vgpr51
                                        ; implicit-def: $vgpr50
                                        ; implicit-def: $vgpr48
                                        ; implicit-def: $vgpr45
                                        ; implicit-def: $vgpr43
                                        ; implicit-def: $vgpr40
                                        ; implicit-def: $vgpr38
                                        ; implicit-def: $vgpr35
                                        ; implicit-def: $vgpr33
                                        ; implicit-def: $sgpr12
	s_cbranch_execz .LBB229_91
; %bb.89:
	s_waitcnt vmcnt(0)
	v_or_b32_e32 v10, 31, v12
	v_cmp_gt_u32_e32 vcc, s56, v10
	v_cmp_ne_u16_sdwa s[8:9], v20, v1 src0_sel:BYTE_0 src1_sel:BYTE_0
	s_and_b64 s[8:9], vcc, s[8:9]
	v_or_b32_e32 v10, 30, v12
	v_cndmask_b32_e64 v33, 0, 1, s[8:9]
	v_cmp_gt_u32_e32 vcc, s56, v10
	v_cmp_ne_u16_sdwa s[8:9], v21, v20 src0_sel:BYTE_0 src1_sel:BYTE_0
	s_and_b64 s[8:9], vcc, s[8:9]
	v_or_b32_e32 v10, 29, v12
	v_cndmask_b32_e64 v35, 0, 1, s[8:9]
	;; [unrolled: 5-line block ×30, first 2 shown]
	v_cmp_gt_u32_e32 vcc, s56, v10
	v_cmp_ne_u16_sdwa s[8:9], v8, v49 src0_sel:BYTE_0 src1_sel:BYTE_0
	s_and_b64 s[8:9], vcc, s[8:9]
	s_mov_b32 s12, 1
	v_cndmask_b32_e64 v73, 0, 1, s[8:9]
	s_waitcnt lgkmcnt(0)
	s_barrier
	s_waitcnt lgkmcnt(0)
                                        ; implicit-def: $sgpr8_sgpr9
	s_and_saveexec_b64 s[10:11], s[2:3]
	s_cbranch_execz .LBB229_313
; %bb.90:
	v_add_u32_e32 v10, -1, v0
	ds_read_u8 v10, v10
	v_cmp_gt_u32_e32 vcc, s56, v12
	s_or_b64 s[6:7], s[6:7], exec
	s_waitcnt lgkmcnt(0)
	v_and_b32_e32 v10, 0xff, v10
	v_cmp_ne_u16_sdwa s[2:3], v10, v8 src0_sel:DWORD src1_sel:BYTE_0
	s_and_b64 s[2:3], vcc, s[2:3]
	s_and_b64 s[8:9], s[2:3], exec
	s_or_b64 exec, exec, s[10:11]
.LBB229_91:
	v_mov_b32_e32 v74, s12
	s_and_saveexec_b64 s[2:3], s[6:7]
.LBB229_92:
	v_cndmask_b32_e64 v74, 0, 1, s[8:9]
.LBB229_93:
	s_or_b64 exec, exec, s[2:3]
	s_andn2_b64 vcc, exec, s[4:5]
	s_cbranch_vccnz .LBB229_95
; %bb.94:
	v_cmp_gt_u32_e32 vcc, s56, v12
	s_waitcnt vmcnt(0)
	v_or_b32_e32 v10, 1, v12
	v_cndmask_b32_e32 v74, 0, v74, vcc
	v_cmp_gt_u32_e32 vcc, s56, v10
	v_or_b32_e32 v10, 2, v12
	v_cndmask_b32_e32 v73, 0, v73, vcc
	v_cmp_gt_u32_e32 vcc, s56, v10
	;; [unrolled: 3-line block ×31, first 2 shown]
	v_cndmask_b32_e32 v33, 0, v33, vcc
.LBB229_95:
	s_waitcnt vmcnt(0)
	v_mbcnt_lo_u32_b32 v10, -1, 0
	v_mbcnt_hi_u32_b32 v85, -1, v10
	v_and_b32_e32 v10, 15, v85
	v_cmp_eq_u32_e64 s[12:13], 0, v10
	v_cmp_lt_u32_e64 s[10:11], 1, v10
	v_cmp_lt_u32_e64 s[8:9], 3, v10
	;; [unrolled: 1-line block ×3, first 2 shown]
	v_and_b32_e32 v10, 16, v85
	v_cmp_eq_u32_e64 s[4:5], 0, v10
	v_or_b32_e32 v10, 63, v0
	v_and_b32_e32 v113, 0xff, v40
	v_and_b32_e32 v114, 0xff, v38
	v_cmp_eq_u32_e64 s[2:3], v10, v0
	v_add_u32_sdwa v10, v35, v33 dst_sel:DWORD dst_unused:UNUSED_PAD src0_sel:BYTE_0 src1_sel:BYTE_0
	v_and_b32_e32 v111, 0xff, v45
	v_and_b32_e32 v112, 0xff, v43
	v_add3_u32 v10, v10, v114, v113
	v_and_b32_e32 v109, 0xff, v50
	v_and_b32_e32 v110, 0xff, v48
	v_add3_u32 v10, v10, v112, v111
	;; [unrolled: 3-line block ×12, first 2 shown]
	v_add3_u32 v10, v10, v76, v75
	v_and_b32_e32 v86, 0xff, v72
	v_and_b32_e32 v87, 0xff, v71
	v_add3_u32 v10, v10, v87, v86
	v_and_b32_e32 v88, 0xff, v74
	v_and_b32_e32 v89, 0xff, v73
	v_add3_u32 v91, v10, v89, v88
	v_cmp_lt_u32_e64 s[14:15], 31, v85
	s_and_b64 vcc, exec, s[16:17]
	v_lshrrev_b32_e32 v90, 6, v0
	s_waitcnt lgkmcnt(0)
	s_barrier
	s_cbranch_vccz .LBB229_122
; %bb.96:
	v_mov_b32_dpp v10, v91 row_shr:1 row_mask:0xf bank_mask:0xf
	v_cndmask_b32_e64 v10, v10, 0, s[12:13]
	v_add_u32_e32 v10, v10, v91
	s_nop 1
	v_mov_b32_dpp v11, v10 row_shr:2 row_mask:0xf bank_mask:0xf
	v_cndmask_b32_e64 v11, 0, v11, s[10:11]
	v_add_u32_e32 v10, v10, v11
	s_nop 1
	v_mov_b32_dpp v11, v10 row_shr:4 row_mask:0xf bank_mask:0xf
	v_cndmask_b32_e64 v11, 0, v11, s[8:9]
	v_add_u32_e32 v10, v10, v11
	s_nop 1
	v_mov_b32_dpp v11, v10 row_shr:8 row_mask:0xf bank_mask:0xf
	v_cndmask_b32_e64 v11, 0, v11, s[6:7]
	v_add_u32_e32 v10, v10, v11
	s_nop 1
	v_mov_b32_dpp v11, v10 row_bcast:15 row_mask:0xf bank_mask:0xf
	v_cndmask_b32_e64 v11, v11, 0, s[4:5]
	v_add_u32_e32 v10, v10, v11
	s_nop 1
	v_mov_b32_dpp v11, v10 row_bcast:31 row_mask:0xf bank_mask:0xf
	v_cndmask_b32_e64 v11, 0, v11, s[14:15]
	v_add_u32_e32 v10, v10, v11
	s_and_saveexec_b64 s[16:17], s[2:3]
	s_cbranch_execz .LBB229_98
; %bb.97:
	v_lshlrev_b32_e32 v11, 2, v90
	ds_write_b32 v11, v10
.LBB229_98:
	s_or_b64 exec, exec, s[16:17]
	v_cmp_gt_u32_e32 vcc, 2, v0
	s_waitcnt lgkmcnt(0)
	s_barrier
	s_and_saveexec_b64 s[16:17], vcc
	s_cbranch_execz .LBB229_100
; %bb.99:
	v_lshlrev_b32_e32 v11, 2, v0
	ds_read_b32 v12, v11
	v_bfe_i32 v13, v85, 0, 1
	s_waitcnt lgkmcnt(0)
	v_mov_b32_dpp v14, v12 row_shr:1 row_mask:0xf bank_mask:0xf
	v_and_b32_e32 v13, v13, v14
	v_add_u32_e32 v12, v13, v12
	ds_write_b32 v11, v12
.LBB229_100:
	s_or_b64 exec, exec, s[16:17]
	v_cmp_gt_u32_e32 vcc, 64, v0
	v_cmp_lt_u32_e64 s[16:17], 63, v0
	s_waitcnt lgkmcnt(0)
	s_barrier
	s_waitcnt lgkmcnt(0)
                                        ; implicit-def: $vgpr92
	s_and_saveexec_b64 s[28:29], s[16:17]
	s_cbranch_execz .LBB229_102
; %bb.101:
	v_lshl_add_u32 v11, v90, 2, -4
	ds_read_b32 v92, v11
	s_waitcnt lgkmcnt(0)
	v_add_u32_e32 v10, v92, v10
.LBB229_102:
	s_or_b64 exec, exec, s[28:29]
	v_add_u32_e32 v11, -1, v85
	v_and_b32_e32 v12, 64, v85
	v_cmp_lt_i32_e64 s[16:17], v11, v12
	v_cndmask_b32_e64 v11, v11, v85, s[16:17]
	v_lshlrev_b32_e32 v11, 2, v11
	ds_bpermute_b32 v93, v11, v10
	v_cmp_eq_u32_e64 s[16:17], 0, v85
	s_and_saveexec_b64 s[28:29], vcc
	s_cbranch_execz .LBB229_121
; %bb.103:
	v_mov_b32_e32 v17, 0
	ds_read_b32 v10, v17 offset:4
	s_and_saveexec_b64 s[30:31], s[16:17]
	s_cbranch_execz .LBB229_105
; %bb.104:
	s_add_i32 s34, s55, 64
	s_mov_b32 s35, 0
	s_lshl_b64 s[34:35], s[34:35], 3
	s_add_u32 s34, s26, s34
	v_mov_b32_e32 v11, 1
	s_addc_u32 s35, s27, s35
	s_waitcnt lgkmcnt(0)
	global_store_dwordx2 v17, v[10:11], s[34:35]
.LBB229_105:
	s_or_b64 exec, exec, s[30:31]
	v_xad_u32 v12, v85, -1, s55
	v_add_u32_e32 v16, 64, v12
	v_lshlrev_b64 v[14:15], 3, v[16:17]
	v_mov_b32_e32 v11, s27
	v_add_co_u32_e32 v18, vcc, s26, v14
	v_addc_co_u32_e32 v19, vcc, v11, v15, vcc
	global_load_dwordx2 v[14:15], v[18:19], off glc
	s_waitcnt vmcnt(0)
	v_cmp_eq_u16_sdwa s[34:35], v15, v17 src0_sel:BYTE_0 src1_sel:DWORD
	s_and_saveexec_b64 s[30:31], s[34:35]
	s_cbranch_execz .LBB229_109
; %bb.106:
	s_mov_b64 s[34:35], 0
	v_mov_b32_e32 v11, 0
.LBB229_107:                            ; =>This Inner Loop Header: Depth=1
	global_load_dwordx2 v[14:15], v[18:19], off glc
	s_waitcnt vmcnt(0)
	v_cmp_ne_u16_sdwa s[36:37], v15, v11 src0_sel:BYTE_0 src1_sel:DWORD
	s_or_b64 s[34:35], s[36:37], s[34:35]
	s_andn2_b64 exec, exec, s[34:35]
	s_cbranch_execnz .LBB229_107
; %bb.108:
	s_or_b64 exec, exec, s[34:35]
.LBB229_109:
	s_or_b64 exec, exec, s[30:31]
	v_and_b32_e32 v95, 63, v85
	v_mov_b32_e32 v94, 2
	v_cmp_ne_u32_e32 vcc, 63, v95
	v_cmp_eq_u16_sdwa s[30:31], v15, v94 src0_sel:BYTE_0 src1_sel:DWORD
	v_lshlrev_b64 v[16:17], v85, -1
	v_addc_co_u32_e32 v18, vcc, 0, v85, vcc
	v_and_b32_e32 v11, s31, v17
	v_lshlrev_b32_e32 v96, 2, v18
	v_or_b32_e32 v11, 0x80000000, v11
	ds_bpermute_b32 v18, v96, v14
	v_and_b32_e32 v13, s30, v16
	v_ffbl_b32_e32 v11, v11
	v_add_u32_e32 v11, 32, v11
	v_ffbl_b32_e32 v13, v13
	v_min_u32_e32 v11, v13, v11
	v_cmp_lt_u32_e32 vcc, v95, v11
	s_waitcnt lgkmcnt(0)
	v_cndmask_b32_e32 v13, 0, v18, vcc
	v_cmp_gt_u32_e32 vcc, 62, v95
	v_add_u32_e32 v13, v13, v14
	v_cndmask_b32_e64 v14, 0, 1, vcc
	v_lshlrev_b32_e32 v14, 1, v14
	v_add_lshl_u32 v97, v14, v85, 2
	ds_bpermute_b32 v14, v97, v13
	v_add_u32_e32 v98, 2, v95
	v_cmp_le_u32_e32 vcc, v98, v11
	v_add_u32_e32 v116, 4, v95
	v_add_u32_e32 v118, 8, v95
	s_waitcnt lgkmcnt(0)
	v_cndmask_b32_e32 v14, 0, v14, vcc
	v_cmp_gt_u32_e32 vcc, 60, v95
	v_add_u32_e32 v13, v13, v14
	v_cndmask_b32_e64 v14, 0, 1, vcc
	v_lshlrev_b32_e32 v14, 2, v14
	v_add_lshl_u32 v115, v14, v85, 2
	ds_bpermute_b32 v14, v115, v13
	v_cmp_le_u32_e32 vcc, v116, v11
	v_add_u32_e32 v120, 16, v95
	v_add_u32_e32 v122, 32, v95
	s_waitcnt lgkmcnt(0)
	v_cndmask_b32_e32 v14, 0, v14, vcc
	v_cmp_gt_u32_e32 vcc, 56, v95
	v_add_u32_e32 v13, v13, v14
	v_cndmask_b32_e64 v14, 0, 1, vcc
	v_lshlrev_b32_e32 v14, 3, v14
	v_add_lshl_u32 v117, v14, v85, 2
	ds_bpermute_b32 v14, v117, v13
	v_cmp_le_u32_e32 vcc, v118, v11
	s_waitcnt lgkmcnt(0)
	v_cndmask_b32_e32 v14, 0, v14, vcc
	v_cmp_gt_u32_e32 vcc, 48, v95
	v_add_u32_e32 v13, v13, v14
	v_cndmask_b32_e64 v14, 0, 1, vcc
	v_lshlrev_b32_e32 v14, 4, v14
	v_add_lshl_u32 v119, v14, v85, 2
	ds_bpermute_b32 v14, v119, v13
	v_cmp_le_u32_e32 vcc, v120, v11
	;; [unrolled: 9-line block ×3, first 2 shown]
	s_waitcnt lgkmcnt(0)
	v_cndmask_b32_e32 v11, 0, v14, vcc
	v_add_u32_e32 v14, v13, v11
	v_mov_b32_e32 v13, 0
	s_branch .LBB229_111
.LBB229_110:                            ;   in Loop: Header=BB229_111 Depth=1
	s_or_b64 exec, exec, s[30:31]
	v_cmp_eq_u16_sdwa s[30:31], v15, v94 src0_sel:BYTE_0 src1_sel:DWORD
	v_and_b32_e32 v18, s31, v17
	v_or_b32_e32 v18, 0x80000000, v18
	ds_bpermute_b32 v123, v96, v14
	v_and_b32_e32 v19, s30, v16
	v_ffbl_b32_e32 v18, v18
	v_add_u32_e32 v18, 32, v18
	v_ffbl_b32_e32 v19, v19
	v_min_u32_e32 v18, v19, v18
	v_cmp_lt_u32_e32 vcc, v95, v18
	s_waitcnt lgkmcnt(0)
	v_cndmask_b32_e32 v19, 0, v123, vcc
	v_add_u32_e32 v14, v19, v14
	ds_bpermute_b32 v19, v97, v14
	v_cmp_le_u32_e32 vcc, v98, v18
	v_subrev_u32_e32 v12, 64, v12
	s_waitcnt lgkmcnt(0)
	v_cndmask_b32_e32 v19, 0, v19, vcc
	v_add_u32_e32 v14, v14, v19
	ds_bpermute_b32 v19, v115, v14
	v_cmp_le_u32_e32 vcc, v116, v18
	s_waitcnt lgkmcnt(0)
	v_cndmask_b32_e32 v19, 0, v19, vcc
	v_add_u32_e32 v14, v14, v19
	ds_bpermute_b32 v19, v117, v14
	v_cmp_le_u32_e32 vcc, v118, v18
	;; [unrolled: 5-line block ×4, first 2 shown]
	s_waitcnt lgkmcnt(0)
	v_cndmask_b32_e32 v18, 0, v19, vcc
	v_add3_u32 v14, v18, v11, v14
.LBB229_111:                            ; =>This Loop Header: Depth=1
                                        ;     Child Loop BB229_114 Depth 2
	v_cmp_ne_u16_sdwa s[30:31], v15, v94 src0_sel:BYTE_0 src1_sel:DWORD
	v_cndmask_b32_e64 v11, 0, 1, s[30:31]
	;;#ASMSTART
	;;#ASMEND
	v_cmp_ne_u32_e32 vcc, 0, v11
	s_cmp_lg_u64 vcc, exec
	v_mov_b32_e32 v11, v14
	s_cbranch_scc1 .LBB229_116
; %bb.112:                              ;   in Loop: Header=BB229_111 Depth=1
	v_lshlrev_b64 v[14:15], 3, v[12:13]
	v_mov_b32_e32 v19, s27
	v_add_co_u32_e32 v18, vcc, s26, v14
	v_addc_co_u32_e32 v19, vcc, v19, v15, vcc
	global_load_dwordx2 v[14:15], v[18:19], off glc
	s_waitcnt vmcnt(0)
	v_cmp_eq_u16_sdwa s[34:35], v15, v13 src0_sel:BYTE_0 src1_sel:DWORD
	s_and_saveexec_b64 s[30:31], s[34:35]
	s_cbranch_execz .LBB229_110
; %bb.113:                              ;   in Loop: Header=BB229_111 Depth=1
	s_mov_b64 s[34:35], 0
.LBB229_114:                            ;   Parent Loop BB229_111 Depth=1
                                        ; =>  This Inner Loop Header: Depth=2
	global_load_dwordx2 v[14:15], v[18:19], off glc
	s_waitcnt vmcnt(0)
	v_cmp_ne_u16_sdwa s[36:37], v15, v13 src0_sel:BYTE_0 src1_sel:DWORD
	s_or_b64 s[34:35], s[36:37], s[34:35]
	s_andn2_b64 exec, exec, s[34:35]
	s_cbranch_execnz .LBB229_114
; %bb.115:                              ;   in Loop: Header=BB229_111 Depth=1
	s_or_b64 exec, exec, s[34:35]
	s_branch .LBB229_110
.LBB229_116:                            ;   in Loop: Header=BB229_111 Depth=1
                                        ; implicit-def: $vgpr14
                                        ; implicit-def: $vgpr15
	s_cbranch_execz .LBB229_111
; %bb.117:
	s_and_saveexec_b64 s[30:31], s[16:17]
	s_cbranch_execz .LBB229_119
; %bb.118:
	s_add_i32 s34, s55, 64
	s_mov_b32 s35, 0
	s_lshl_b64 s[34:35], s[34:35], 3
	s_add_u32 s34, s26, s34
	v_add_u32_e32 v12, v11, v10
	v_mov_b32_e32 v13, 2
	s_addc_u32 s35, s27, s35
	v_mov_b32_e32 v14, 0
	global_store_dwordx2 v14, v[12:13], s[34:35]
	ds_write_b64 v14, v[10:11] offset:4224
.LBB229_119:
	s_or_b64 exec, exec, s[30:31]
	s_and_b64 exec, exec, s[0:1]
	s_cbranch_execz .LBB229_121
; %bb.120:
	v_mov_b32_e32 v10, 0
	ds_write_b32 v10, v11 offset:4
.LBB229_121:
	s_or_b64 exec, exec, s[28:29]
	v_mov_b32_e32 v10, 0
	s_waitcnt lgkmcnt(0)
	s_barrier
	ds_read_b32 v11, v10 offset:4
	s_waitcnt lgkmcnt(0)
	s_barrier
	ds_read_b64 v[16:17], v10 offset:4224
	v_cndmask_b32_e64 v10, v93, v92, s[16:17]
	v_cndmask_b32_e64 v10, v10, 0, s[0:1]
	v_add_u32_e32 v95, v11, v10
	s_branch .LBB229_132
.LBB229_122:
                                        ; implicit-def: $vgpr17
                                        ; implicit-def: $vgpr95
	s_cbranch_execz .LBB229_132
; %bb.123:
	v_mov_b32_dpp v10, v91 row_shr:1 row_mask:0xf bank_mask:0xf
	v_cndmask_b32_e64 v10, v10, 0, s[12:13]
	v_add_u32_e32 v10, v10, v91
	s_nop 1
	v_mov_b32_dpp v11, v10 row_shr:2 row_mask:0xf bank_mask:0xf
	v_cndmask_b32_e64 v11, 0, v11, s[10:11]
	v_add_u32_e32 v10, v10, v11
	s_nop 1
	;; [unrolled: 4-line block ×4, first 2 shown]
	v_mov_b32_dpp v11, v10 row_bcast:15 row_mask:0xf bank_mask:0xf
	v_cndmask_b32_e64 v11, v11, 0, s[4:5]
	v_add_u32_e32 v10, v10, v11
	s_nop 1
	v_mov_b32_dpp v11, v10 row_bcast:31 row_mask:0xf bank_mask:0xf
	v_cndmask_b32_e64 v11, 0, v11, s[14:15]
	v_add_u32_e32 v10, v10, v11
	s_and_saveexec_b64 s[4:5], s[2:3]
	s_cbranch_execz .LBB229_125
; %bb.124:
	v_lshlrev_b32_e32 v11, 2, v90
	ds_write_b32 v11, v10
.LBB229_125:
	s_or_b64 exec, exec, s[4:5]
	v_cmp_gt_u32_e32 vcc, 2, v0
	s_waitcnt lgkmcnt(0)
	s_barrier
	s_and_saveexec_b64 s[2:3], vcc
	s_cbranch_execz .LBB229_127
; %bb.126:
	v_lshlrev_b32_e32 v11, 2, v0
	ds_read_b32 v12, v11
	v_bfe_i32 v13, v85, 0, 1
	s_waitcnt lgkmcnt(0)
	v_mov_b32_dpp v14, v12 row_shr:1 row_mask:0xf bank_mask:0xf
	v_and_b32_e32 v13, v13, v14
	v_add_u32_e32 v12, v13, v12
	ds_write_b32 v11, v12
.LBB229_127:
	s_or_b64 exec, exec, s[2:3]
	v_cmp_lt_u32_e32 vcc, 63, v0
	v_mov_b32_e32 v12, 0
	v_mov_b32_e32 v11, 0
	s_waitcnt lgkmcnt(0)
	s_barrier
	s_and_saveexec_b64 s[2:3], vcc
	s_cbranch_execz .LBB229_129
; %bb.128:
	v_lshl_add_u32 v11, v90, 2, -4
	ds_read_b32 v11, v11
.LBB229_129:
	s_or_b64 exec, exec, s[2:3]
	v_add_u32_e32 v13, -1, v85
	v_and_b32_e32 v14, 64, v85
	v_cmp_lt_i32_e32 vcc, v13, v14
	v_cndmask_b32_e32 v13, v13, v85, vcc
	s_waitcnt lgkmcnt(0)
	v_add_u32_e32 v10, v11, v10
	v_lshlrev_b32_e32 v13, 2, v13
	ds_bpermute_b32 v10, v13, v10
	ds_read_b32 v16, v12 offset:4
	s_and_saveexec_b64 s[2:3], s[0:1]
	s_cbranch_execz .LBB229_131
; %bb.130:
	v_mov_b32_e32 v12, 0
	v_mov_b32_e32 v17, 2
	s_waitcnt lgkmcnt(0)
	global_store_dwordx2 v12, v[16:17], s[26:27] offset:512
.LBB229_131:
	s_or_b64 exec, exec, s[2:3]
	v_cmp_eq_u32_e32 vcc, 0, v85
	s_waitcnt lgkmcnt(1)
	v_cndmask_b32_e32 v10, v10, v11, vcc
	v_mov_b32_e32 v17, 0
	v_cndmask_b32_e64 v95, v10, 0, s[0:1]
	s_waitcnt lgkmcnt(0)
	s_barrier
.LBB229_132:
	v_add_u32_e32 v98, v95, v88
	v_add_u32_e32 v97, v98, v89
	;; [unrolled: 1-line block ×29, first 2 shown]
	s_movk_i32 s2, 0x81
	v_add_u32_e32 v11, v12, v114
	s_waitcnt lgkmcnt(0)
	v_cmp_gt_u32_e32 vcc, s2, v16
	v_add_u32_sdwa v10, v11, v35 dst_sel:DWORD dst_unused:UNUSED_PAD src0_sel:DWORD src1_sel:BYTE_0
	s_mov_b64 s[2:3], -1
	s_cbranch_vccnz .LBB229_136
; %bb.133:
	s_and_b64 vcc, exec, s[2:3]
	s_cbranch_vccnz .LBB229_233
.LBB229_134:
	s_and_b64 s[0:1], s[0:1], s[18:19]
	s_and_saveexec_b64 s[2:3], s[0:1]
	s_cbranch_execnz .LBB229_312
.LBB229_135:
	s_endpgm
.LBB229_136:
	v_add_u32_e32 v99, v17, v16
	v_cmp_lt_u32_e32 vcc, v95, v99
	s_or_b64 s[4:5], s[22:23], vcc
	s_and_saveexec_b64 s[2:3], s[4:5]
	s_cbranch_execz .LBB229_139
; %bb.137:
	v_and_b32_e32 v100, 1, v74
	v_cmp_eq_u32_e32 vcc, 1, v100
	s_and_b64 exec, exec, vcc
	s_cbranch_execz .LBB229_139
; %bb.138:
	s_add_u32 s4, s24, s33
	s_addc_u32 s5, s25, s54
	global_store_byte v95, v8, s[4:5]
.LBB229_139:
	s_or_b64 exec, exec, s[2:3]
	v_cmp_lt_u32_e32 vcc, v98, v99
	s_or_b64 s[4:5], s[22:23], vcc
	s_and_saveexec_b64 s[2:3], s[4:5]
	s_cbranch_execz .LBB229_142
; %bb.140:
	v_and_b32_e32 v100, 1, v73
	v_cmp_eq_u32_e32 vcc, 1, v100
	s_and_b64 exec, exec, vcc
	s_cbranch_execz .LBB229_142
; %bb.141:
	s_add_u32 s4, s24, s33
	s_addc_u32 s5, s25, s54
	global_store_byte v98, v49, s[4:5]
.LBB229_142:
	s_or_b64 exec, exec, s[2:3]
	;; [unrolled: 15-line block ×32, first 2 shown]
	s_branch .LBB229_134
.LBB229_233:
	v_and_b32_e32 v74, 1, v74
	v_cmp_eq_u32_e32 vcc, 1, v74
	s_and_saveexec_b64 s[2:3], vcc
	s_cbranch_execz .LBB229_235
; %bb.234:
	v_sub_u32_e32 v74, v95, v17
	ds_write_b8 v74, v8
.LBB229_235:
	s_or_b64 exec, exec, s[2:3]
	v_and_b32_e32 v8, 1, v73
	v_cmp_eq_u32_e32 vcc, 1, v8
	s_and_saveexec_b64 s[2:3], vcc
	s_cbranch_execz .LBB229_237
; %bb.236:
	v_sub_u32_e32 v8, v98, v17
	ds_write_b8 v8, v49
.LBB229_237:
	s_or_b64 exec, exec, s[2:3]
	;; [unrolled: 9-line block ×32, first 2 shown]
	v_cmp_lt_u32_e32 vcc, v0, v16
	s_waitcnt lgkmcnt(0)
	s_barrier
	s_and_saveexec_b64 s[4:5], vcc
	s_cbranch_execz .LBB229_311
; %bb.298:
	v_mov_b32_e32 v1, s25
	v_add_co_u32_e32 v2, vcc, s24, v17
	v_addc_co_u32_e32 v1, vcc, 0, v1, vcc
	v_mov_b32_e32 v3, s54
	v_add_co_u32_e32 v18, vcc, s33, v2
	v_addc_co_u32_e32 v19, vcc, v1, v3, vcc
	v_xad_u32 v1, v0, -1, v16
	s_movk_i32 s2, 0xb80
	v_cmp_gt_u32_e32 vcc, s2, v1
	s_movk_i32 s2, 0xb7f
	v_cmp_lt_u32_e64 s[2:3], s2, v1
	s_and_saveexec_b64 s[6:7], s[2:3]
	s_cbranch_execz .LBB229_308
; %bb.299:
	v_sub_u32_e32 v2, v0, v16
	v_or_b32_e32 v2, 0x7f, v2
	v_cmp_ge_u32_e64 s[2:3], v2, v0
	s_mov_b64 s[10:11], -1
	s_and_saveexec_b64 s[8:9], s[2:3]
	s_cbranch_execz .LBB229_307
; %bb.300:
	v_lshrrev_b32_e32 v20, 7, v1
	v_or_b32_e32 v7, 0x380, v0
	v_or_b32_e32 v6, 0x300, v0
	;; [unrolled: 1-line block ×7, first 2 shown]
	v_add_u32_e32 v21, -7, v20
	v_pk_mov_b32 v[14:15], v[6:7], v[6:7] op_sel:[0,1]
	v_cmp_lt_u32_e64 s[2:3], 7, v21
	v_mov_b32_e32 v22, 0
	v_pk_mov_b32 v[12:13], v[4:5], v[4:5] op_sel:[0,1]
	v_pk_mov_b32 v[10:11], v[2:3], v[2:3] op_sel:[0,1]
	;; [unrolled: 1-line block ×3, first 2 shown]
	s_and_saveexec_b64 s[10:11], s[2:3]
	s_cbranch_execz .LBB229_304
; %bb.301:
	v_lshrrev_b32_e32 v8, 3, v21
	v_add_u32_e32 v8, 1, v8
	v_and_b32_e32 v22, 0x3ffffffe, v8
	v_pk_mov_b32 v[14:15], v[6:7], v[6:7] op_sel:[0,1]
	s_mov_b32 s14, 0
	s_mov_b64 s[12:13], 0
	v_mov_b32_e32 v23, v0
	v_pk_mov_b32 v[12:13], v[4:5], v[4:5] op_sel:[0,1]
	v_pk_mov_b32 v[10:11], v[2:3], v[2:3] op_sel:[0,1]
	;; [unrolled: 1-line block ×3, first 2 shown]
.LBB229_302:                            ; =>This Inner Loop Header: Depth=1
	v_add_co_u32_e64 v2, s[2:3], v18, v8
	v_addc_co_u32_e64 v3, s[2:3], 0, v19, s[2:3]
	v_add_co_u32_e64 v4, s[2:3], v18, v9
	v_addc_co_u32_e64 v5, s[2:3], 0, v19, s[2:3]
	v_add_co_u32_e64 v6, s[2:3], v18, v10
	v_addc_co_u32_e64 v7, s[2:3], 0, v19, s[2:3]
	v_add_co_u32_e64 v24, s[2:3], v18, v11
	v_addc_co_u32_e64 v25, s[2:3], 0, v19, s[2:3]
	v_add_co_u32_e64 v26, s[2:3], v18, v12
	v_addc_co_u32_e64 v27, s[2:3], 0, v19, s[2:3]
	v_add_co_u32_e64 v28, s[2:3], v18, v13
	v_addc_co_u32_e64 v29, s[2:3], 0, v19, s[2:3]
	v_add_co_u32_e64 v30, s[2:3], v18, v14
	v_addc_co_u32_e64 v31, s[2:3], 0, v19, s[2:3]
	v_add_co_u32_e64 v32, s[2:3], v18, v15
	v_addc_co_u32_e64 v33, s[2:3], 0, v19, s[2:3]
	v_add_u32_e32 v34, 0x400, v8
	v_add_co_u32_e64 v34, s[2:3], v18, v34
	v_add_u32_e32 v36, 0x400, v9
	v_addc_co_u32_e64 v35, s[2:3], 0, v19, s[2:3]
	v_add_co_u32_e64 v36, s[2:3], v18, v36
	v_add_u32_e32 v38, 0x400, v10
	v_addc_co_u32_e64 v37, s[2:3], 0, v19, s[2:3]
	v_add_co_u32_e64 v38, s[2:3], v18, v38
	v_add_u32_e32 v40, 0x400, v11
	v_addc_co_u32_e64 v39, s[2:3], 0, v19, s[2:3]
	v_add_co_u32_e64 v40, s[2:3], v18, v40
	v_add_u32_e32 v42, 0x400, v12
	v_addc_co_u32_e64 v41, s[2:3], 0, v19, s[2:3]
	v_add_co_u32_e64 v42, s[2:3], v18, v42
	v_add_u32_e32 v44, 0x400, v13
	v_addc_co_u32_e64 v43, s[2:3], 0, v19, s[2:3]
	v_add_co_u32_e64 v44, s[2:3], v18, v44
	v_add_u32_e32 v46, 0x400, v14
	v_addc_co_u32_e64 v45, s[2:3], 0, v19, s[2:3]
	v_add_co_u32_e64 v46, s[2:3], v18, v46
	ds_read_u8 v50, v23
	ds_read_u8 v51, v23 offset:128
	ds_read_u8 v52, v23 offset:256
	;; [unrolled: 1-line block ×7, first 2 shown]
	v_add_u32_e32 v1, 0x400, v15
	ds_read_u8 v58, v23 offset:1024
	ds_read_u8 v59, v23 offset:1152
	;; [unrolled: 1-line block ×8, first 2 shown]
	v_addc_co_u32_e64 v47, s[2:3], 0, v19, s[2:3]
	v_add_co_u32_e64 v48, s[2:3], v18, v1
	v_add_u32_e32 v22, -2, v22
	v_addc_co_u32_e64 v49, s[2:3], 0, v19, s[2:3]
	s_add_i32 s14, s14, 16
	v_cmp_eq_u32_e64 s[2:3], 0, v22
	v_add_u32_e32 v15, 0x800, v15
	v_add_u32_e32 v14, 0x800, v14
	;; [unrolled: 1-line block ×9, first 2 shown]
	v_mov_b32_e32 v1, s14
	s_or_b64 s[12:13], s[2:3], s[12:13]
	s_waitcnt lgkmcnt(14)
	global_store_byte v[2:3], v50, off
	global_store_byte v[4:5], v51, off
	s_waitcnt lgkmcnt(13)
	global_store_byte v[6:7], v52, off
	s_waitcnt lgkmcnt(12)
	;; [unrolled: 2-line block ×14, first 2 shown]
	global_store_byte v[48:49], v65, off
	s_andn2_b64 exec, exec, s[12:13]
	s_cbranch_execnz .LBB229_302
; %bb.303:
	s_or_b64 exec, exec, s[12:13]
	v_lshlrev_b32_e32 v22, 7, v1
.LBB229_304:
	s_or_b64 exec, exec, s[10:11]
	v_and_b32_e32 v1, 8, v21
	v_cmp_eq_u32_e64 s[2:3], 0, v1
	s_and_saveexec_b64 s[10:11], s[2:3]
	s_cbranch_execz .LBB229_306
; %bb.305:
	v_add_co_u32_e64 v2, s[2:3], v18, v8
	v_addc_co_u32_e64 v3, s[2:3], 0, v19, s[2:3]
	v_add_co_u32_e64 v4, s[2:3], v18, v9
	v_addc_co_u32_e64 v5, s[2:3], 0, v19, s[2:3]
	;; [unrolled: 2-line block ×4, first 2 shown]
	v_add_co_u32_e64 v10, s[2:3], v18, v12
	v_or_b32_e32 v1, v0, v22
	v_addc_co_u32_e64 v11, s[2:3], 0, v19, s[2:3]
	ds_read_u8 v21, v1
	ds_read_u8 v24, v1 offset:128
	ds_read_u8 v25, v1 offset:256
	;; [unrolled: 1-line block ×7, first 2 shown]
	v_add_co_u32_e64 v12, s[2:3], v18, v13
	v_addc_co_u32_e64 v13, s[2:3], 0, v19, s[2:3]
	v_add_co_u32_e64 v22, s[2:3], v18, v14
	v_addc_co_u32_e64 v23, s[2:3], 0, v19, s[2:3]
	;; [unrolled: 2-line block ×3, first 2 shown]
	s_waitcnt lgkmcnt(7)
	global_store_byte v[2:3], v21, off
	s_waitcnt lgkmcnt(6)
	global_store_byte v[4:5], v24, off
	s_waitcnt lgkmcnt(5)
	global_store_byte v[6:7], v25, off
	s_waitcnt lgkmcnt(4)
	global_store_byte v[8:9], v26, off
	s_waitcnt lgkmcnt(3)
	global_store_byte v[10:11], v27, off
	s_waitcnt lgkmcnt(2)
	global_store_byte v[12:13], v28, off
	s_waitcnt lgkmcnt(1)
	global_store_byte v[22:23], v29, off
	s_waitcnt lgkmcnt(0)
	global_store_byte v[14:15], v1, off
.LBB229_306:
	s_or_b64 exec, exec, s[10:11]
	v_add_u32_e32 v1, 1, v20
	v_and_b32_e32 v2, 0x3fffff8, v1
	v_cmp_ne_u32_e64 s[2:3], v1, v2
	v_lshl_or_b32 v0, v2, 7, v0
	s_orn2_b64 s[10:11], s[2:3], exec
.LBB229_307:
	s_or_b64 exec, exec, s[8:9]
	s_andn2_b64 s[2:3], vcc, exec
	s_and_b64 s[8:9], s[10:11], exec
	s_or_b64 vcc, s[2:3], s[8:9]
.LBB229_308:
	s_or_b64 exec, exec, s[6:7]
	s_and_b64 exec, exec, vcc
	s_cbranch_execz .LBB229_311
; %bb.309:
	s_mov_b64 s[2:3], 0
.LBB229_310:                            ; =>This Inner Loop Header: Depth=1
	ds_read_u8 v1, v0
	v_readfirstlane_b32 s6, v18
	v_readfirstlane_b32 s7, v19
	s_waitcnt lgkmcnt(0)
	s_nop 3
	global_store_byte v0, v1, s[6:7]
	v_add_u32_e32 v0, 0x80, v0
	v_cmp_ge_u32_e32 vcc, v0, v16
	s_or_b64 s[2:3], vcc, s[2:3]
	s_andn2_b64 exec, exec, s[2:3]
	s_cbranch_execnz .LBB229_310
.LBB229_311:
	s_or_b64 exec, exec, s[4:5]
	s_and_b64 s[0:1], s[0:1], s[18:19]
	s_and_saveexec_b64 s[2:3], s[0:1]
	s_cbranch_execz .LBB229_135
.LBB229_312:
	v_mov_b32_e32 v0, s54
	v_add_co_u32_e32 v1, vcc, s33, v16
	v_addc_co_u32_e32 v3, vcc, 0, v0, vcc
	v_add_co_u32_e32 v0, vcc, v1, v17
	v_mov_b32_e32 v2, 0
	v_addc_co_u32_e32 v1, vcc, 0, v3, vcc
	global_store_dwordx2 v2, v[0:1], s[20:21]
	s_endpgm
.LBB229_313:
	s_or_b64 exec, exec, s[10:11]
	v_mov_b32_e32 v74, s12
	s_and_saveexec_b64 s[2:3], s[6:7]
	s_cbranch_execnz .LBB229_92
	s_branch .LBB229_93
	.section	.rodata,"a",@progbits
	.p2align	6, 0x0
	.amdhsa_kernel _ZN7rocprim17ROCPRIM_400000_NS6detail17trampoline_kernelINS0_14default_configENS1_25partition_config_selectorILNS1_17partition_subalgoE8EaNS0_10empty_typeEbEEZZNS1_14partition_implILS5_8ELb0ES3_jPKaPS6_PKS6_NS0_5tupleIJPaS6_EEENSE_IJSB_SB_EEENS0_18inequality_wrapperIN6hipcub16HIPCUB_304000_NS8EqualityEEEPlJS6_EEE10hipError_tPvRmT3_T4_T5_T6_T7_T9_mT8_P12ihipStream_tbDpT10_ENKUlT_T0_E_clISt17integral_constantIbLb0EES16_IbLb1EEEEDaS12_S13_EUlS12_E_NS1_11comp_targetILNS1_3genE4ELNS1_11target_archE910ELNS1_3gpuE8ELNS1_3repE0EEENS1_30default_config_static_selectorELNS0_4arch9wavefront6targetE1EEEvT1_
		.amdhsa_group_segment_fixed_size 4232
		.amdhsa_private_segment_fixed_size 0
		.amdhsa_kernarg_size 128
		.amdhsa_user_sgpr_count 6
		.amdhsa_user_sgpr_private_segment_buffer 1
		.amdhsa_user_sgpr_dispatch_ptr 0
		.amdhsa_user_sgpr_queue_ptr 0
		.amdhsa_user_sgpr_kernarg_segment_ptr 1
		.amdhsa_user_sgpr_dispatch_id 0
		.amdhsa_user_sgpr_flat_scratch_init 0
		.amdhsa_user_sgpr_kernarg_preload_length 0
		.amdhsa_user_sgpr_kernarg_preload_offset 0
		.amdhsa_user_sgpr_private_segment_size 0
		.amdhsa_uses_dynamic_stack 0
		.amdhsa_system_sgpr_private_segment_wavefront_offset 0
		.amdhsa_system_sgpr_workgroup_id_x 1
		.amdhsa_system_sgpr_workgroup_id_y 0
		.amdhsa_system_sgpr_workgroup_id_z 0
		.amdhsa_system_sgpr_workgroup_info 0
		.amdhsa_system_vgpr_workitem_id 0
		.amdhsa_next_free_vgpr 124
		.amdhsa_next_free_sgpr 60
		.amdhsa_accum_offset 124
		.amdhsa_reserve_vcc 1
		.amdhsa_reserve_flat_scratch 0
		.amdhsa_float_round_mode_32 0
		.amdhsa_float_round_mode_16_64 0
		.amdhsa_float_denorm_mode_32 3
		.amdhsa_float_denorm_mode_16_64 3
		.amdhsa_dx10_clamp 1
		.amdhsa_ieee_mode 1
		.amdhsa_fp16_overflow 0
		.amdhsa_tg_split 0
		.amdhsa_exception_fp_ieee_invalid_op 0
		.amdhsa_exception_fp_denorm_src 0
		.amdhsa_exception_fp_ieee_div_zero 0
		.amdhsa_exception_fp_ieee_overflow 0
		.amdhsa_exception_fp_ieee_underflow 0
		.amdhsa_exception_fp_ieee_inexact 0
		.amdhsa_exception_int_div_zero 0
	.end_amdhsa_kernel
	.section	.text._ZN7rocprim17ROCPRIM_400000_NS6detail17trampoline_kernelINS0_14default_configENS1_25partition_config_selectorILNS1_17partition_subalgoE8EaNS0_10empty_typeEbEEZZNS1_14partition_implILS5_8ELb0ES3_jPKaPS6_PKS6_NS0_5tupleIJPaS6_EEENSE_IJSB_SB_EEENS0_18inequality_wrapperIN6hipcub16HIPCUB_304000_NS8EqualityEEEPlJS6_EEE10hipError_tPvRmT3_T4_T5_T6_T7_T9_mT8_P12ihipStream_tbDpT10_ENKUlT_T0_E_clISt17integral_constantIbLb0EES16_IbLb1EEEEDaS12_S13_EUlS12_E_NS1_11comp_targetILNS1_3genE4ELNS1_11target_archE910ELNS1_3gpuE8ELNS1_3repE0EEENS1_30default_config_static_selectorELNS0_4arch9wavefront6targetE1EEEvT1_,"axG",@progbits,_ZN7rocprim17ROCPRIM_400000_NS6detail17trampoline_kernelINS0_14default_configENS1_25partition_config_selectorILNS1_17partition_subalgoE8EaNS0_10empty_typeEbEEZZNS1_14partition_implILS5_8ELb0ES3_jPKaPS6_PKS6_NS0_5tupleIJPaS6_EEENSE_IJSB_SB_EEENS0_18inequality_wrapperIN6hipcub16HIPCUB_304000_NS8EqualityEEEPlJS6_EEE10hipError_tPvRmT3_T4_T5_T6_T7_T9_mT8_P12ihipStream_tbDpT10_ENKUlT_T0_E_clISt17integral_constantIbLb0EES16_IbLb1EEEEDaS12_S13_EUlS12_E_NS1_11comp_targetILNS1_3genE4ELNS1_11target_archE910ELNS1_3gpuE8ELNS1_3repE0EEENS1_30default_config_static_selectorELNS0_4arch9wavefront6targetE1EEEvT1_,comdat
.Lfunc_end229:
	.size	_ZN7rocprim17ROCPRIM_400000_NS6detail17trampoline_kernelINS0_14default_configENS1_25partition_config_selectorILNS1_17partition_subalgoE8EaNS0_10empty_typeEbEEZZNS1_14partition_implILS5_8ELb0ES3_jPKaPS6_PKS6_NS0_5tupleIJPaS6_EEENSE_IJSB_SB_EEENS0_18inequality_wrapperIN6hipcub16HIPCUB_304000_NS8EqualityEEEPlJS6_EEE10hipError_tPvRmT3_T4_T5_T6_T7_T9_mT8_P12ihipStream_tbDpT10_ENKUlT_T0_E_clISt17integral_constantIbLb0EES16_IbLb1EEEEDaS12_S13_EUlS12_E_NS1_11comp_targetILNS1_3genE4ELNS1_11target_archE910ELNS1_3gpuE8ELNS1_3repE0EEENS1_30default_config_static_selectorELNS0_4arch9wavefront6targetE1EEEvT1_, .Lfunc_end229-_ZN7rocprim17ROCPRIM_400000_NS6detail17trampoline_kernelINS0_14default_configENS1_25partition_config_selectorILNS1_17partition_subalgoE8EaNS0_10empty_typeEbEEZZNS1_14partition_implILS5_8ELb0ES3_jPKaPS6_PKS6_NS0_5tupleIJPaS6_EEENSE_IJSB_SB_EEENS0_18inequality_wrapperIN6hipcub16HIPCUB_304000_NS8EqualityEEEPlJS6_EEE10hipError_tPvRmT3_T4_T5_T6_T7_T9_mT8_P12ihipStream_tbDpT10_ENKUlT_T0_E_clISt17integral_constantIbLb0EES16_IbLb1EEEEDaS12_S13_EUlS12_E_NS1_11comp_targetILNS1_3genE4ELNS1_11target_archE910ELNS1_3gpuE8ELNS1_3repE0EEENS1_30default_config_static_selectorELNS0_4arch9wavefront6targetE1EEEvT1_
                                        ; -- End function
	.section	.AMDGPU.csdata,"",@progbits
; Kernel info:
; codeLenInByte = 13404
; NumSgprs: 64
; NumVgprs: 124
; NumAgprs: 0
; TotalNumVgprs: 124
; ScratchSize: 0
; MemoryBound: 0
; FloatMode: 240
; IeeeMode: 1
; LDSByteSize: 4232 bytes/workgroup (compile time only)
; SGPRBlocks: 7
; VGPRBlocks: 15
; NumSGPRsForWavesPerEU: 64
; NumVGPRsForWavesPerEU: 124
; AccumOffset: 124
; Occupancy: 4
; WaveLimiterHint : 1
; COMPUTE_PGM_RSRC2:SCRATCH_EN: 0
; COMPUTE_PGM_RSRC2:USER_SGPR: 6
; COMPUTE_PGM_RSRC2:TRAP_HANDLER: 0
; COMPUTE_PGM_RSRC2:TGID_X_EN: 1
; COMPUTE_PGM_RSRC2:TGID_Y_EN: 0
; COMPUTE_PGM_RSRC2:TGID_Z_EN: 0
; COMPUTE_PGM_RSRC2:TIDIG_COMP_CNT: 0
; COMPUTE_PGM_RSRC3_GFX90A:ACCUM_OFFSET: 30
; COMPUTE_PGM_RSRC3_GFX90A:TG_SPLIT: 0
	.section	.text._ZN7rocprim17ROCPRIM_400000_NS6detail17trampoline_kernelINS0_14default_configENS1_25partition_config_selectorILNS1_17partition_subalgoE8EaNS0_10empty_typeEbEEZZNS1_14partition_implILS5_8ELb0ES3_jPKaPS6_PKS6_NS0_5tupleIJPaS6_EEENSE_IJSB_SB_EEENS0_18inequality_wrapperIN6hipcub16HIPCUB_304000_NS8EqualityEEEPlJS6_EEE10hipError_tPvRmT3_T4_T5_T6_T7_T9_mT8_P12ihipStream_tbDpT10_ENKUlT_T0_E_clISt17integral_constantIbLb0EES16_IbLb1EEEEDaS12_S13_EUlS12_E_NS1_11comp_targetILNS1_3genE3ELNS1_11target_archE908ELNS1_3gpuE7ELNS1_3repE0EEENS1_30default_config_static_selectorELNS0_4arch9wavefront6targetE1EEEvT1_,"axG",@progbits,_ZN7rocprim17ROCPRIM_400000_NS6detail17trampoline_kernelINS0_14default_configENS1_25partition_config_selectorILNS1_17partition_subalgoE8EaNS0_10empty_typeEbEEZZNS1_14partition_implILS5_8ELb0ES3_jPKaPS6_PKS6_NS0_5tupleIJPaS6_EEENSE_IJSB_SB_EEENS0_18inequality_wrapperIN6hipcub16HIPCUB_304000_NS8EqualityEEEPlJS6_EEE10hipError_tPvRmT3_T4_T5_T6_T7_T9_mT8_P12ihipStream_tbDpT10_ENKUlT_T0_E_clISt17integral_constantIbLb0EES16_IbLb1EEEEDaS12_S13_EUlS12_E_NS1_11comp_targetILNS1_3genE3ELNS1_11target_archE908ELNS1_3gpuE7ELNS1_3repE0EEENS1_30default_config_static_selectorELNS0_4arch9wavefront6targetE1EEEvT1_,comdat
	.protected	_ZN7rocprim17ROCPRIM_400000_NS6detail17trampoline_kernelINS0_14default_configENS1_25partition_config_selectorILNS1_17partition_subalgoE8EaNS0_10empty_typeEbEEZZNS1_14partition_implILS5_8ELb0ES3_jPKaPS6_PKS6_NS0_5tupleIJPaS6_EEENSE_IJSB_SB_EEENS0_18inequality_wrapperIN6hipcub16HIPCUB_304000_NS8EqualityEEEPlJS6_EEE10hipError_tPvRmT3_T4_T5_T6_T7_T9_mT8_P12ihipStream_tbDpT10_ENKUlT_T0_E_clISt17integral_constantIbLb0EES16_IbLb1EEEEDaS12_S13_EUlS12_E_NS1_11comp_targetILNS1_3genE3ELNS1_11target_archE908ELNS1_3gpuE7ELNS1_3repE0EEENS1_30default_config_static_selectorELNS0_4arch9wavefront6targetE1EEEvT1_ ; -- Begin function _ZN7rocprim17ROCPRIM_400000_NS6detail17trampoline_kernelINS0_14default_configENS1_25partition_config_selectorILNS1_17partition_subalgoE8EaNS0_10empty_typeEbEEZZNS1_14partition_implILS5_8ELb0ES3_jPKaPS6_PKS6_NS0_5tupleIJPaS6_EEENSE_IJSB_SB_EEENS0_18inequality_wrapperIN6hipcub16HIPCUB_304000_NS8EqualityEEEPlJS6_EEE10hipError_tPvRmT3_T4_T5_T6_T7_T9_mT8_P12ihipStream_tbDpT10_ENKUlT_T0_E_clISt17integral_constantIbLb0EES16_IbLb1EEEEDaS12_S13_EUlS12_E_NS1_11comp_targetILNS1_3genE3ELNS1_11target_archE908ELNS1_3gpuE7ELNS1_3repE0EEENS1_30default_config_static_selectorELNS0_4arch9wavefront6targetE1EEEvT1_
	.globl	_ZN7rocprim17ROCPRIM_400000_NS6detail17trampoline_kernelINS0_14default_configENS1_25partition_config_selectorILNS1_17partition_subalgoE8EaNS0_10empty_typeEbEEZZNS1_14partition_implILS5_8ELb0ES3_jPKaPS6_PKS6_NS0_5tupleIJPaS6_EEENSE_IJSB_SB_EEENS0_18inequality_wrapperIN6hipcub16HIPCUB_304000_NS8EqualityEEEPlJS6_EEE10hipError_tPvRmT3_T4_T5_T6_T7_T9_mT8_P12ihipStream_tbDpT10_ENKUlT_T0_E_clISt17integral_constantIbLb0EES16_IbLb1EEEEDaS12_S13_EUlS12_E_NS1_11comp_targetILNS1_3genE3ELNS1_11target_archE908ELNS1_3gpuE7ELNS1_3repE0EEENS1_30default_config_static_selectorELNS0_4arch9wavefront6targetE1EEEvT1_
	.p2align	8
	.type	_ZN7rocprim17ROCPRIM_400000_NS6detail17trampoline_kernelINS0_14default_configENS1_25partition_config_selectorILNS1_17partition_subalgoE8EaNS0_10empty_typeEbEEZZNS1_14partition_implILS5_8ELb0ES3_jPKaPS6_PKS6_NS0_5tupleIJPaS6_EEENSE_IJSB_SB_EEENS0_18inequality_wrapperIN6hipcub16HIPCUB_304000_NS8EqualityEEEPlJS6_EEE10hipError_tPvRmT3_T4_T5_T6_T7_T9_mT8_P12ihipStream_tbDpT10_ENKUlT_T0_E_clISt17integral_constantIbLb0EES16_IbLb1EEEEDaS12_S13_EUlS12_E_NS1_11comp_targetILNS1_3genE3ELNS1_11target_archE908ELNS1_3gpuE7ELNS1_3repE0EEENS1_30default_config_static_selectorELNS0_4arch9wavefront6targetE1EEEvT1_,@function
_ZN7rocprim17ROCPRIM_400000_NS6detail17trampoline_kernelINS0_14default_configENS1_25partition_config_selectorILNS1_17partition_subalgoE8EaNS0_10empty_typeEbEEZZNS1_14partition_implILS5_8ELb0ES3_jPKaPS6_PKS6_NS0_5tupleIJPaS6_EEENSE_IJSB_SB_EEENS0_18inequality_wrapperIN6hipcub16HIPCUB_304000_NS8EqualityEEEPlJS6_EEE10hipError_tPvRmT3_T4_T5_T6_T7_T9_mT8_P12ihipStream_tbDpT10_ENKUlT_T0_E_clISt17integral_constantIbLb0EES16_IbLb1EEEEDaS12_S13_EUlS12_E_NS1_11comp_targetILNS1_3genE3ELNS1_11target_archE908ELNS1_3gpuE7ELNS1_3repE0EEENS1_30default_config_static_selectorELNS0_4arch9wavefront6targetE1EEEvT1_: ; @_ZN7rocprim17ROCPRIM_400000_NS6detail17trampoline_kernelINS0_14default_configENS1_25partition_config_selectorILNS1_17partition_subalgoE8EaNS0_10empty_typeEbEEZZNS1_14partition_implILS5_8ELb0ES3_jPKaPS6_PKS6_NS0_5tupleIJPaS6_EEENSE_IJSB_SB_EEENS0_18inequality_wrapperIN6hipcub16HIPCUB_304000_NS8EqualityEEEPlJS6_EEE10hipError_tPvRmT3_T4_T5_T6_T7_T9_mT8_P12ihipStream_tbDpT10_ENKUlT_T0_E_clISt17integral_constantIbLb0EES16_IbLb1EEEEDaS12_S13_EUlS12_E_NS1_11comp_targetILNS1_3genE3ELNS1_11target_archE908ELNS1_3gpuE7ELNS1_3repE0EEENS1_30default_config_static_selectorELNS0_4arch9wavefront6targetE1EEEvT1_
; %bb.0:
	.section	.rodata,"a",@progbits
	.p2align	6, 0x0
	.amdhsa_kernel _ZN7rocprim17ROCPRIM_400000_NS6detail17trampoline_kernelINS0_14default_configENS1_25partition_config_selectorILNS1_17partition_subalgoE8EaNS0_10empty_typeEbEEZZNS1_14partition_implILS5_8ELb0ES3_jPKaPS6_PKS6_NS0_5tupleIJPaS6_EEENSE_IJSB_SB_EEENS0_18inequality_wrapperIN6hipcub16HIPCUB_304000_NS8EqualityEEEPlJS6_EEE10hipError_tPvRmT3_T4_T5_T6_T7_T9_mT8_P12ihipStream_tbDpT10_ENKUlT_T0_E_clISt17integral_constantIbLb0EES16_IbLb1EEEEDaS12_S13_EUlS12_E_NS1_11comp_targetILNS1_3genE3ELNS1_11target_archE908ELNS1_3gpuE7ELNS1_3repE0EEENS1_30default_config_static_selectorELNS0_4arch9wavefront6targetE1EEEvT1_
		.amdhsa_group_segment_fixed_size 0
		.amdhsa_private_segment_fixed_size 0
		.amdhsa_kernarg_size 128
		.amdhsa_user_sgpr_count 6
		.amdhsa_user_sgpr_private_segment_buffer 1
		.amdhsa_user_sgpr_dispatch_ptr 0
		.amdhsa_user_sgpr_queue_ptr 0
		.amdhsa_user_sgpr_kernarg_segment_ptr 1
		.amdhsa_user_sgpr_dispatch_id 0
		.amdhsa_user_sgpr_flat_scratch_init 0
		.amdhsa_user_sgpr_kernarg_preload_length 0
		.amdhsa_user_sgpr_kernarg_preload_offset 0
		.amdhsa_user_sgpr_private_segment_size 0
		.amdhsa_uses_dynamic_stack 0
		.amdhsa_system_sgpr_private_segment_wavefront_offset 0
		.amdhsa_system_sgpr_workgroup_id_x 1
		.amdhsa_system_sgpr_workgroup_id_y 0
		.amdhsa_system_sgpr_workgroup_id_z 0
		.amdhsa_system_sgpr_workgroup_info 0
		.amdhsa_system_vgpr_workitem_id 0
		.amdhsa_next_free_vgpr 1
		.amdhsa_next_free_sgpr 0
		.amdhsa_accum_offset 4
		.amdhsa_reserve_vcc 0
		.amdhsa_reserve_flat_scratch 0
		.amdhsa_float_round_mode_32 0
		.amdhsa_float_round_mode_16_64 0
		.amdhsa_float_denorm_mode_32 3
		.amdhsa_float_denorm_mode_16_64 3
		.amdhsa_dx10_clamp 1
		.amdhsa_ieee_mode 1
		.amdhsa_fp16_overflow 0
		.amdhsa_tg_split 0
		.amdhsa_exception_fp_ieee_invalid_op 0
		.amdhsa_exception_fp_denorm_src 0
		.amdhsa_exception_fp_ieee_div_zero 0
		.amdhsa_exception_fp_ieee_overflow 0
		.amdhsa_exception_fp_ieee_underflow 0
		.amdhsa_exception_fp_ieee_inexact 0
		.amdhsa_exception_int_div_zero 0
	.end_amdhsa_kernel
	.section	.text._ZN7rocprim17ROCPRIM_400000_NS6detail17trampoline_kernelINS0_14default_configENS1_25partition_config_selectorILNS1_17partition_subalgoE8EaNS0_10empty_typeEbEEZZNS1_14partition_implILS5_8ELb0ES3_jPKaPS6_PKS6_NS0_5tupleIJPaS6_EEENSE_IJSB_SB_EEENS0_18inequality_wrapperIN6hipcub16HIPCUB_304000_NS8EqualityEEEPlJS6_EEE10hipError_tPvRmT3_T4_T5_T6_T7_T9_mT8_P12ihipStream_tbDpT10_ENKUlT_T0_E_clISt17integral_constantIbLb0EES16_IbLb1EEEEDaS12_S13_EUlS12_E_NS1_11comp_targetILNS1_3genE3ELNS1_11target_archE908ELNS1_3gpuE7ELNS1_3repE0EEENS1_30default_config_static_selectorELNS0_4arch9wavefront6targetE1EEEvT1_,"axG",@progbits,_ZN7rocprim17ROCPRIM_400000_NS6detail17trampoline_kernelINS0_14default_configENS1_25partition_config_selectorILNS1_17partition_subalgoE8EaNS0_10empty_typeEbEEZZNS1_14partition_implILS5_8ELb0ES3_jPKaPS6_PKS6_NS0_5tupleIJPaS6_EEENSE_IJSB_SB_EEENS0_18inequality_wrapperIN6hipcub16HIPCUB_304000_NS8EqualityEEEPlJS6_EEE10hipError_tPvRmT3_T4_T5_T6_T7_T9_mT8_P12ihipStream_tbDpT10_ENKUlT_T0_E_clISt17integral_constantIbLb0EES16_IbLb1EEEEDaS12_S13_EUlS12_E_NS1_11comp_targetILNS1_3genE3ELNS1_11target_archE908ELNS1_3gpuE7ELNS1_3repE0EEENS1_30default_config_static_selectorELNS0_4arch9wavefront6targetE1EEEvT1_,comdat
.Lfunc_end230:
	.size	_ZN7rocprim17ROCPRIM_400000_NS6detail17trampoline_kernelINS0_14default_configENS1_25partition_config_selectorILNS1_17partition_subalgoE8EaNS0_10empty_typeEbEEZZNS1_14partition_implILS5_8ELb0ES3_jPKaPS6_PKS6_NS0_5tupleIJPaS6_EEENSE_IJSB_SB_EEENS0_18inequality_wrapperIN6hipcub16HIPCUB_304000_NS8EqualityEEEPlJS6_EEE10hipError_tPvRmT3_T4_T5_T6_T7_T9_mT8_P12ihipStream_tbDpT10_ENKUlT_T0_E_clISt17integral_constantIbLb0EES16_IbLb1EEEEDaS12_S13_EUlS12_E_NS1_11comp_targetILNS1_3genE3ELNS1_11target_archE908ELNS1_3gpuE7ELNS1_3repE0EEENS1_30default_config_static_selectorELNS0_4arch9wavefront6targetE1EEEvT1_, .Lfunc_end230-_ZN7rocprim17ROCPRIM_400000_NS6detail17trampoline_kernelINS0_14default_configENS1_25partition_config_selectorILNS1_17partition_subalgoE8EaNS0_10empty_typeEbEEZZNS1_14partition_implILS5_8ELb0ES3_jPKaPS6_PKS6_NS0_5tupleIJPaS6_EEENSE_IJSB_SB_EEENS0_18inequality_wrapperIN6hipcub16HIPCUB_304000_NS8EqualityEEEPlJS6_EEE10hipError_tPvRmT3_T4_T5_T6_T7_T9_mT8_P12ihipStream_tbDpT10_ENKUlT_T0_E_clISt17integral_constantIbLb0EES16_IbLb1EEEEDaS12_S13_EUlS12_E_NS1_11comp_targetILNS1_3genE3ELNS1_11target_archE908ELNS1_3gpuE7ELNS1_3repE0EEENS1_30default_config_static_selectorELNS0_4arch9wavefront6targetE1EEEvT1_
                                        ; -- End function
	.section	.AMDGPU.csdata,"",@progbits
; Kernel info:
; codeLenInByte = 0
; NumSgprs: 4
; NumVgprs: 0
; NumAgprs: 0
; TotalNumVgprs: 0
; ScratchSize: 0
; MemoryBound: 0
; FloatMode: 240
; IeeeMode: 1
; LDSByteSize: 0 bytes/workgroup (compile time only)
; SGPRBlocks: 0
; VGPRBlocks: 0
; NumSGPRsForWavesPerEU: 4
; NumVGPRsForWavesPerEU: 1
; AccumOffset: 4
; Occupancy: 8
; WaveLimiterHint : 0
; COMPUTE_PGM_RSRC2:SCRATCH_EN: 0
; COMPUTE_PGM_RSRC2:USER_SGPR: 6
; COMPUTE_PGM_RSRC2:TRAP_HANDLER: 0
; COMPUTE_PGM_RSRC2:TGID_X_EN: 1
; COMPUTE_PGM_RSRC2:TGID_Y_EN: 0
; COMPUTE_PGM_RSRC2:TGID_Z_EN: 0
; COMPUTE_PGM_RSRC2:TIDIG_COMP_CNT: 0
; COMPUTE_PGM_RSRC3_GFX90A:ACCUM_OFFSET: 0
; COMPUTE_PGM_RSRC3_GFX90A:TG_SPLIT: 0
	.section	.text._ZN7rocprim17ROCPRIM_400000_NS6detail17trampoline_kernelINS0_14default_configENS1_25partition_config_selectorILNS1_17partition_subalgoE8EaNS0_10empty_typeEbEEZZNS1_14partition_implILS5_8ELb0ES3_jPKaPS6_PKS6_NS0_5tupleIJPaS6_EEENSE_IJSB_SB_EEENS0_18inequality_wrapperIN6hipcub16HIPCUB_304000_NS8EqualityEEEPlJS6_EEE10hipError_tPvRmT3_T4_T5_T6_T7_T9_mT8_P12ihipStream_tbDpT10_ENKUlT_T0_E_clISt17integral_constantIbLb0EES16_IbLb1EEEEDaS12_S13_EUlS12_E_NS1_11comp_targetILNS1_3genE2ELNS1_11target_archE906ELNS1_3gpuE6ELNS1_3repE0EEENS1_30default_config_static_selectorELNS0_4arch9wavefront6targetE1EEEvT1_,"axG",@progbits,_ZN7rocprim17ROCPRIM_400000_NS6detail17trampoline_kernelINS0_14default_configENS1_25partition_config_selectorILNS1_17partition_subalgoE8EaNS0_10empty_typeEbEEZZNS1_14partition_implILS5_8ELb0ES3_jPKaPS6_PKS6_NS0_5tupleIJPaS6_EEENSE_IJSB_SB_EEENS0_18inequality_wrapperIN6hipcub16HIPCUB_304000_NS8EqualityEEEPlJS6_EEE10hipError_tPvRmT3_T4_T5_T6_T7_T9_mT8_P12ihipStream_tbDpT10_ENKUlT_T0_E_clISt17integral_constantIbLb0EES16_IbLb1EEEEDaS12_S13_EUlS12_E_NS1_11comp_targetILNS1_3genE2ELNS1_11target_archE906ELNS1_3gpuE6ELNS1_3repE0EEENS1_30default_config_static_selectorELNS0_4arch9wavefront6targetE1EEEvT1_,comdat
	.protected	_ZN7rocprim17ROCPRIM_400000_NS6detail17trampoline_kernelINS0_14default_configENS1_25partition_config_selectorILNS1_17partition_subalgoE8EaNS0_10empty_typeEbEEZZNS1_14partition_implILS5_8ELb0ES3_jPKaPS6_PKS6_NS0_5tupleIJPaS6_EEENSE_IJSB_SB_EEENS0_18inequality_wrapperIN6hipcub16HIPCUB_304000_NS8EqualityEEEPlJS6_EEE10hipError_tPvRmT3_T4_T5_T6_T7_T9_mT8_P12ihipStream_tbDpT10_ENKUlT_T0_E_clISt17integral_constantIbLb0EES16_IbLb1EEEEDaS12_S13_EUlS12_E_NS1_11comp_targetILNS1_3genE2ELNS1_11target_archE906ELNS1_3gpuE6ELNS1_3repE0EEENS1_30default_config_static_selectorELNS0_4arch9wavefront6targetE1EEEvT1_ ; -- Begin function _ZN7rocprim17ROCPRIM_400000_NS6detail17trampoline_kernelINS0_14default_configENS1_25partition_config_selectorILNS1_17partition_subalgoE8EaNS0_10empty_typeEbEEZZNS1_14partition_implILS5_8ELb0ES3_jPKaPS6_PKS6_NS0_5tupleIJPaS6_EEENSE_IJSB_SB_EEENS0_18inequality_wrapperIN6hipcub16HIPCUB_304000_NS8EqualityEEEPlJS6_EEE10hipError_tPvRmT3_T4_T5_T6_T7_T9_mT8_P12ihipStream_tbDpT10_ENKUlT_T0_E_clISt17integral_constantIbLb0EES16_IbLb1EEEEDaS12_S13_EUlS12_E_NS1_11comp_targetILNS1_3genE2ELNS1_11target_archE906ELNS1_3gpuE6ELNS1_3repE0EEENS1_30default_config_static_selectorELNS0_4arch9wavefront6targetE1EEEvT1_
	.globl	_ZN7rocprim17ROCPRIM_400000_NS6detail17trampoline_kernelINS0_14default_configENS1_25partition_config_selectorILNS1_17partition_subalgoE8EaNS0_10empty_typeEbEEZZNS1_14partition_implILS5_8ELb0ES3_jPKaPS6_PKS6_NS0_5tupleIJPaS6_EEENSE_IJSB_SB_EEENS0_18inequality_wrapperIN6hipcub16HIPCUB_304000_NS8EqualityEEEPlJS6_EEE10hipError_tPvRmT3_T4_T5_T6_T7_T9_mT8_P12ihipStream_tbDpT10_ENKUlT_T0_E_clISt17integral_constantIbLb0EES16_IbLb1EEEEDaS12_S13_EUlS12_E_NS1_11comp_targetILNS1_3genE2ELNS1_11target_archE906ELNS1_3gpuE6ELNS1_3repE0EEENS1_30default_config_static_selectorELNS0_4arch9wavefront6targetE1EEEvT1_
	.p2align	8
	.type	_ZN7rocprim17ROCPRIM_400000_NS6detail17trampoline_kernelINS0_14default_configENS1_25partition_config_selectorILNS1_17partition_subalgoE8EaNS0_10empty_typeEbEEZZNS1_14partition_implILS5_8ELb0ES3_jPKaPS6_PKS6_NS0_5tupleIJPaS6_EEENSE_IJSB_SB_EEENS0_18inequality_wrapperIN6hipcub16HIPCUB_304000_NS8EqualityEEEPlJS6_EEE10hipError_tPvRmT3_T4_T5_T6_T7_T9_mT8_P12ihipStream_tbDpT10_ENKUlT_T0_E_clISt17integral_constantIbLb0EES16_IbLb1EEEEDaS12_S13_EUlS12_E_NS1_11comp_targetILNS1_3genE2ELNS1_11target_archE906ELNS1_3gpuE6ELNS1_3repE0EEENS1_30default_config_static_selectorELNS0_4arch9wavefront6targetE1EEEvT1_,@function
_ZN7rocprim17ROCPRIM_400000_NS6detail17trampoline_kernelINS0_14default_configENS1_25partition_config_selectorILNS1_17partition_subalgoE8EaNS0_10empty_typeEbEEZZNS1_14partition_implILS5_8ELb0ES3_jPKaPS6_PKS6_NS0_5tupleIJPaS6_EEENSE_IJSB_SB_EEENS0_18inequality_wrapperIN6hipcub16HIPCUB_304000_NS8EqualityEEEPlJS6_EEE10hipError_tPvRmT3_T4_T5_T6_T7_T9_mT8_P12ihipStream_tbDpT10_ENKUlT_T0_E_clISt17integral_constantIbLb0EES16_IbLb1EEEEDaS12_S13_EUlS12_E_NS1_11comp_targetILNS1_3genE2ELNS1_11target_archE906ELNS1_3gpuE6ELNS1_3repE0EEENS1_30default_config_static_selectorELNS0_4arch9wavefront6targetE1EEEvT1_: ; @_ZN7rocprim17ROCPRIM_400000_NS6detail17trampoline_kernelINS0_14default_configENS1_25partition_config_selectorILNS1_17partition_subalgoE8EaNS0_10empty_typeEbEEZZNS1_14partition_implILS5_8ELb0ES3_jPKaPS6_PKS6_NS0_5tupleIJPaS6_EEENSE_IJSB_SB_EEENS0_18inequality_wrapperIN6hipcub16HIPCUB_304000_NS8EqualityEEEPlJS6_EEE10hipError_tPvRmT3_T4_T5_T6_T7_T9_mT8_P12ihipStream_tbDpT10_ENKUlT_T0_E_clISt17integral_constantIbLb0EES16_IbLb1EEEEDaS12_S13_EUlS12_E_NS1_11comp_targetILNS1_3genE2ELNS1_11target_archE906ELNS1_3gpuE6ELNS1_3repE0EEENS1_30default_config_static_selectorELNS0_4arch9wavefront6targetE1EEEvT1_
; %bb.0:
	.section	.rodata,"a",@progbits
	.p2align	6, 0x0
	.amdhsa_kernel _ZN7rocprim17ROCPRIM_400000_NS6detail17trampoline_kernelINS0_14default_configENS1_25partition_config_selectorILNS1_17partition_subalgoE8EaNS0_10empty_typeEbEEZZNS1_14partition_implILS5_8ELb0ES3_jPKaPS6_PKS6_NS0_5tupleIJPaS6_EEENSE_IJSB_SB_EEENS0_18inequality_wrapperIN6hipcub16HIPCUB_304000_NS8EqualityEEEPlJS6_EEE10hipError_tPvRmT3_T4_T5_T6_T7_T9_mT8_P12ihipStream_tbDpT10_ENKUlT_T0_E_clISt17integral_constantIbLb0EES16_IbLb1EEEEDaS12_S13_EUlS12_E_NS1_11comp_targetILNS1_3genE2ELNS1_11target_archE906ELNS1_3gpuE6ELNS1_3repE0EEENS1_30default_config_static_selectorELNS0_4arch9wavefront6targetE1EEEvT1_
		.amdhsa_group_segment_fixed_size 0
		.amdhsa_private_segment_fixed_size 0
		.amdhsa_kernarg_size 128
		.amdhsa_user_sgpr_count 6
		.amdhsa_user_sgpr_private_segment_buffer 1
		.amdhsa_user_sgpr_dispatch_ptr 0
		.amdhsa_user_sgpr_queue_ptr 0
		.amdhsa_user_sgpr_kernarg_segment_ptr 1
		.amdhsa_user_sgpr_dispatch_id 0
		.amdhsa_user_sgpr_flat_scratch_init 0
		.amdhsa_user_sgpr_kernarg_preload_length 0
		.amdhsa_user_sgpr_kernarg_preload_offset 0
		.amdhsa_user_sgpr_private_segment_size 0
		.amdhsa_uses_dynamic_stack 0
		.amdhsa_system_sgpr_private_segment_wavefront_offset 0
		.amdhsa_system_sgpr_workgroup_id_x 1
		.amdhsa_system_sgpr_workgroup_id_y 0
		.amdhsa_system_sgpr_workgroup_id_z 0
		.amdhsa_system_sgpr_workgroup_info 0
		.amdhsa_system_vgpr_workitem_id 0
		.amdhsa_next_free_vgpr 1
		.amdhsa_next_free_sgpr 0
		.amdhsa_accum_offset 4
		.amdhsa_reserve_vcc 0
		.amdhsa_reserve_flat_scratch 0
		.amdhsa_float_round_mode_32 0
		.amdhsa_float_round_mode_16_64 0
		.amdhsa_float_denorm_mode_32 3
		.amdhsa_float_denorm_mode_16_64 3
		.amdhsa_dx10_clamp 1
		.amdhsa_ieee_mode 1
		.amdhsa_fp16_overflow 0
		.amdhsa_tg_split 0
		.amdhsa_exception_fp_ieee_invalid_op 0
		.amdhsa_exception_fp_denorm_src 0
		.amdhsa_exception_fp_ieee_div_zero 0
		.amdhsa_exception_fp_ieee_overflow 0
		.amdhsa_exception_fp_ieee_underflow 0
		.amdhsa_exception_fp_ieee_inexact 0
		.amdhsa_exception_int_div_zero 0
	.end_amdhsa_kernel
	.section	.text._ZN7rocprim17ROCPRIM_400000_NS6detail17trampoline_kernelINS0_14default_configENS1_25partition_config_selectorILNS1_17partition_subalgoE8EaNS0_10empty_typeEbEEZZNS1_14partition_implILS5_8ELb0ES3_jPKaPS6_PKS6_NS0_5tupleIJPaS6_EEENSE_IJSB_SB_EEENS0_18inequality_wrapperIN6hipcub16HIPCUB_304000_NS8EqualityEEEPlJS6_EEE10hipError_tPvRmT3_T4_T5_T6_T7_T9_mT8_P12ihipStream_tbDpT10_ENKUlT_T0_E_clISt17integral_constantIbLb0EES16_IbLb1EEEEDaS12_S13_EUlS12_E_NS1_11comp_targetILNS1_3genE2ELNS1_11target_archE906ELNS1_3gpuE6ELNS1_3repE0EEENS1_30default_config_static_selectorELNS0_4arch9wavefront6targetE1EEEvT1_,"axG",@progbits,_ZN7rocprim17ROCPRIM_400000_NS6detail17trampoline_kernelINS0_14default_configENS1_25partition_config_selectorILNS1_17partition_subalgoE8EaNS0_10empty_typeEbEEZZNS1_14partition_implILS5_8ELb0ES3_jPKaPS6_PKS6_NS0_5tupleIJPaS6_EEENSE_IJSB_SB_EEENS0_18inequality_wrapperIN6hipcub16HIPCUB_304000_NS8EqualityEEEPlJS6_EEE10hipError_tPvRmT3_T4_T5_T6_T7_T9_mT8_P12ihipStream_tbDpT10_ENKUlT_T0_E_clISt17integral_constantIbLb0EES16_IbLb1EEEEDaS12_S13_EUlS12_E_NS1_11comp_targetILNS1_3genE2ELNS1_11target_archE906ELNS1_3gpuE6ELNS1_3repE0EEENS1_30default_config_static_selectorELNS0_4arch9wavefront6targetE1EEEvT1_,comdat
.Lfunc_end231:
	.size	_ZN7rocprim17ROCPRIM_400000_NS6detail17trampoline_kernelINS0_14default_configENS1_25partition_config_selectorILNS1_17partition_subalgoE8EaNS0_10empty_typeEbEEZZNS1_14partition_implILS5_8ELb0ES3_jPKaPS6_PKS6_NS0_5tupleIJPaS6_EEENSE_IJSB_SB_EEENS0_18inequality_wrapperIN6hipcub16HIPCUB_304000_NS8EqualityEEEPlJS6_EEE10hipError_tPvRmT3_T4_T5_T6_T7_T9_mT8_P12ihipStream_tbDpT10_ENKUlT_T0_E_clISt17integral_constantIbLb0EES16_IbLb1EEEEDaS12_S13_EUlS12_E_NS1_11comp_targetILNS1_3genE2ELNS1_11target_archE906ELNS1_3gpuE6ELNS1_3repE0EEENS1_30default_config_static_selectorELNS0_4arch9wavefront6targetE1EEEvT1_, .Lfunc_end231-_ZN7rocprim17ROCPRIM_400000_NS6detail17trampoline_kernelINS0_14default_configENS1_25partition_config_selectorILNS1_17partition_subalgoE8EaNS0_10empty_typeEbEEZZNS1_14partition_implILS5_8ELb0ES3_jPKaPS6_PKS6_NS0_5tupleIJPaS6_EEENSE_IJSB_SB_EEENS0_18inequality_wrapperIN6hipcub16HIPCUB_304000_NS8EqualityEEEPlJS6_EEE10hipError_tPvRmT3_T4_T5_T6_T7_T9_mT8_P12ihipStream_tbDpT10_ENKUlT_T0_E_clISt17integral_constantIbLb0EES16_IbLb1EEEEDaS12_S13_EUlS12_E_NS1_11comp_targetILNS1_3genE2ELNS1_11target_archE906ELNS1_3gpuE6ELNS1_3repE0EEENS1_30default_config_static_selectorELNS0_4arch9wavefront6targetE1EEEvT1_
                                        ; -- End function
	.section	.AMDGPU.csdata,"",@progbits
; Kernel info:
; codeLenInByte = 0
; NumSgprs: 4
; NumVgprs: 0
; NumAgprs: 0
; TotalNumVgprs: 0
; ScratchSize: 0
; MemoryBound: 0
; FloatMode: 240
; IeeeMode: 1
; LDSByteSize: 0 bytes/workgroup (compile time only)
; SGPRBlocks: 0
; VGPRBlocks: 0
; NumSGPRsForWavesPerEU: 4
; NumVGPRsForWavesPerEU: 1
; AccumOffset: 4
; Occupancy: 8
; WaveLimiterHint : 0
; COMPUTE_PGM_RSRC2:SCRATCH_EN: 0
; COMPUTE_PGM_RSRC2:USER_SGPR: 6
; COMPUTE_PGM_RSRC2:TRAP_HANDLER: 0
; COMPUTE_PGM_RSRC2:TGID_X_EN: 1
; COMPUTE_PGM_RSRC2:TGID_Y_EN: 0
; COMPUTE_PGM_RSRC2:TGID_Z_EN: 0
; COMPUTE_PGM_RSRC2:TIDIG_COMP_CNT: 0
; COMPUTE_PGM_RSRC3_GFX90A:ACCUM_OFFSET: 0
; COMPUTE_PGM_RSRC3_GFX90A:TG_SPLIT: 0
	.section	.text._ZN7rocprim17ROCPRIM_400000_NS6detail17trampoline_kernelINS0_14default_configENS1_25partition_config_selectorILNS1_17partition_subalgoE8EaNS0_10empty_typeEbEEZZNS1_14partition_implILS5_8ELb0ES3_jPKaPS6_PKS6_NS0_5tupleIJPaS6_EEENSE_IJSB_SB_EEENS0_18inequality_wrapperIN6hipcub16HIPCUB_304000_NS8EqualityEEEPlJS6_EEE10hipError_tPvRmT3_T4_T5_T6_T7_T9_mT8_P12ihipStream_tbDpT10_ENKUlT_T0_E_clISt17integral_constantIbLb0EES16_IbLb1EEEEDaS12_S13_EUlS12_E_NS1_11comp_targetILNS1_3genE10ELNS1_11target_archE1200ELNS1_3gpuE4ELNS1_3repE0EEENS1_30default_config_static_selectorELNS0_4arch9wavefront6targetE1EEEvT1_,"axG",@progbits,_ZN7rocprim17ROCPRIM_400000_NS6detail17trampoline_kernelINS0_14default_configENS1_25partition_config_selectorILNS1_17partition_subalgoE8EaNS0_10empty_typeEbEEZZNS1_14partition_implILS5_8ELb0ES3_jPKaPS6_PKS6_NS0_5tupleIJPaS6_EEENSE_IJSB_SB_EEENS0_18inequality_wrapperIN6hipcub16HIPCUB_304000_NS8EqualityEEEPlJS6_EEE10hipError_tPvRmT3_T4_T5_T6_T7_T9_mT8_P12ihipStream_tbDpT10_ENKUlT_T0_E_clISt17integral_constantIbLb0EES16_IbLb1EEEEDaS12_S13_EUlS12_E_NS1_11comp_targetILNS1_3genE10ELNS1_11target_archE1200ELNS1_3gpuE4ELNS1_3repE0EEENS1_30default_config_static_selectorELNS0_4arch9wavefront6targetE1EEEvT1_,comdat
	.protected	_ZN7rocprim17ROCPRIM_400000_NS6detail17trampoline_kernelINS0_14default_configENS1_25partition_config_selectorILNS1_17partition_subalgoE8EaNS0_10empty_typeEbEEZZNS1_14partition_implILS5_8ELb0ES3_jPKaPS6_PKS6_NS0_5tupleIJPaS6_EEENSE_IJSB_SB_EEENS0_18inequality_wrapperIN6hipcub16HIPCUB_304000_NS8EqualityEEEPlJS6_EEE10hipError_tPvRmT3_T4_T5_T6_T7_T9_mT8_P12ihipStream_tbDpT10_ENKUlT_T0_E_clISt17integral_constantIbLb0EES16_IbLb1EEEEDaS12_S13_EUlS12_E_NS1_11comp_targetILNS1_3genE10ELNS1_11target_archE1200ELNS1_3gpuE4ELNS1_3repE0EEENS1_30default_config_static_selectorELNS0_4arch9wavefront6targetE1EEEvT1_ ; -- Begin function _ZN7rocprim17ROCPRIM_400000_NS6detail17trampoline_kernelINS0_14default_configENS1_25partition_config_selectorILNS1_17partition_subalgoE8EaNS0_10empty_typeEbEEZZNS1_14partition_implILS5_8ELb0ES3_jPKaPS6_PKS6_NS0_5tupleIJPaS6_EEENSE_IJSB_SB_EEENS0_18inequality_wrapperIN6hipcub16HIPCUB_304000_NS8EqualityEEEPlJS6_EEE10hipError_tPvRmT3_T4_T5_T6_T7_T9_mT8_P12ihipStream_tbDpT10_ENKUlT_T0_E_clISt17integral_constantIbLb0EES16_IbLb1EEEEDaS12_S13_EUlS12_E_NS1_11comp_targetILNS1_3genE10ELNS1_11target_archE1200ELNS1_3gpuE4ELNS1_3repE0EEENS1_30default_config_static_selectorELNS0_4arch9wavefront6targetE1EEEvT1_
	.globl	_ZN7rocprim17ROCPRIM_400000_NS6detail17trampoline_kernelINS0_14default_configENS1_25partition_config_selectorILNS1_17partition_subalgoE8EaNS0_10empty_typeEbEEZZNS1_14partition_implILS5_8ELb0ES3_jPKaPS6_PKS6_NS0_5tupleIJPaS6_EEENSE_IJSB_SB_EEENS0_18inequality_wrapperIN6hipcub16HIPCUB_304000_NS8EqualityEEEPlJS6_EEE10hipError_tPvRmT3_T4_T5_T6_T7_T9_mT8_P12ihipStream_tbDpT10_ENKUlT_T0_E_clISt17integral_constantIbLb0EES16_IbLb1EEEEDaS12_S13_EUlS12_E_NS1_11comp_targetILNS1_3genE10ELNS1_11target_archE1200ELNS1_3gpuE4ELNS1_3repE0EEENS1_30default_config_static_selectorELNS0_4arch9wavefront6targetE1EEEvT1_
	.p2align	8
	.type	_ZN7rocprim17ROCPRIM_400000_NS6detail17trampoline_kernelINS0_14default_configENS1_25partition_config_selectorILNS1_17partition_subalgoE8EaNS0_10empty_typeEbEEZZNS1_14partition_implILS5_8ELb0ES3_jPKaPS6_PKS6_NS0_5tupleIJPaS6_EEENSE_IJSB_SB_EEENS0_18inequality_wrapperIN6hipcub16HIPCUB_304000_NS8EqualityEEEPlJS6_EEE10hipError_tPvRmT3_T4_T5_T6_T7_T9_mT8_P12ihipStream_tbDpT10_ENKUlT_T0_E_clISt17integral_constantIbLb0EES16_IbLb1EEEEDaS12_S13_EUlS12_E_NS1_11comp_targetILNS1_3genE10ELNS1_11target_archE1200ELNS1_3gpuE4ELNS1_3repE0EEENS1_30default_config_static_selectorELNS0_4arch9wavefront6targetE1EEEvT1_,@function
_ZN7rocprim17ROCPRIM_400000_NS6detail17trampoline_kernelINS0_14default_configENS1_25partition_config_selectorILNS1_17partition_subalgoE8EaNS0_10empty_typeEbEEZZNS1_14partition_implILS5_8ELb0ES3_jPKaPS6_PKS6_NS0_5tupleIJPaS6_EEENSE_IJSB_SB_EEENS0_18inequality_wrapperIN6hipcub16HIPCUB_304000_NS8EqualityEEEPlJS6_EEE10hipError_tPvRmT3_T4_T5_T6_T7_T9_mT8_P12ihipStream_tbDpT10_ENKUlT_T0_E_clISt17integral_constantIbLb0EES16_IbLb1EEEEDaS12_S13_EUlS12_E_NS1_11comp_targetILNS1_3genE10ELNS1_11target_archE1200ELNS1_3gpuE4ELNS1_3repE0EEENS1_30default_config_static_selectorELNS0_4arch9wavefront6targetE1EEEvT1_: ; @_ZN7rocprim17ROCPRIM_400000_NS6detail17trampoline_kernelINS0_14default_configENS1_25partition_config_selectorILNS1_17partition_subalgoE8EaNS0_10empty_typeEbEEZZNS1_14partition_implILS5_8ELb0ES3_jPKaPS6_PKS6_NS0_5tupleIJPaS6_EEENSE_IJSB_SB_EEENS0_18inequality_wrapperIN6hipcub16HIPCUB_304000_NS8EqualityEEEPlJS6_EEE10hipError_tPvRmT3_T4_T5_T6_T7_T9_mT8_P12ihipStream_tbDpT10_ENKUlT_T0_E_clISt17integral_constantIbLb0EES16_IbLb1EEEEDaS12_S13_EUlS12_E_NS1_11comp_targetILNS1_3genE10ELNS1_11target_archE1200ELNS1_3gpuE4ELNS1_3repE0EEENS1_30default_config_static_selectorELNS0_4arch9wavefront6targetE1EEEvT1_
; %bb.0:
	.section	.rodata,"a",@progbits
	.p2align	6, 0x0
	.amdhsa_kernel _ZN7rocprim17ROCPRIM_400000_NS6detail17trampoline_kernelINS0_14default_configENS1_25partition_config_selectorILNS1_17partition_subalgoE8EaNS0_10empty_typeEbEEZZNS1_14partition_implILS5_8ELb0ES3_jPKaPS6_PKS6_NS0_5tupleIJPaS6_EEENSE_IJSB_SB_EEENS0_18inequality_wrapperIN6hipcub16HIPCUB_304000_NS8EqualityEEEPlJS6_EEE10hipError_tPvRmT3_T4_T5_T6_T7_T9_mT8_P12ihipStream_tbDpT10_ENKUlT_T0_E_clISt17integral_constantIbLb0EES16_IbLb1EEEEDaS12_S13_EUlS12_E_NS1_11comp_targetILNS1_3genE10ELNS1_11target_archE1200ELNS1_3gpuE4ELNS1_3repE0EEENS1_30default_config_static_selectorELNS0_4arch9wavefront6targetE1EEEvT1_
		.amdhsa_group_segment_fixed_size 0
		.amdhsa_private_segment_fixed_size 0
		.amdhsa_kernarg_size 128
		.amdhsa_user_sgpr_count 6
		.amdhsa_user_sgpr_private_segment_buffer 1
		.amdhsa_user_sgpr_dispatch_ptr 0
		.amdhsa_user_sgpr_queue_ptr 0
		.amdhsa_user_sgpr_kernarg_segment_ptr 1
		.amdhsa_user_sgpr_dispatch_id 0
		.amdhsa_user_sgpr_flat_scratch_init 0
		.amdhsa_user_sgpr_kernarg_preload_length 0
		.amdhsa_user_sgpr_kernarg_preload_offset 0
		.amdhsa_user_sgpr_private_segment_size 0
		.amdhsa_uses_dynamic_stack 0
		.amdhsa_system_sgpr_private_segment_wavefront_offset 0
		.amdhsa_system_sgpr_workgroup_id_x 1
		.amdhsa_system_sgpr_workgroup_id_y 0
		.amdhsa_system_sgpr_workgroup_id_z 0
		.amdhsa_system_sgpr_workgroup_info 0
		.amdhsa_system_vgpr_workitem_id 0
		.amdhsa_next_free_vgpr 1
		.amdhsa_next_free_sgpr 0
		.amdhsa_accum_offset 4
		.amdhsa_reserve_vcc 0
		.amdhsa_reserve_flat_scratch 0
		.amdhsa_float_round_mode_32 0
		.amdhsa_float_round_mode_16_64 0
		.amdhsa_float_denorm_mode_32 3
		.amdhsa_float_denorm_mode_16_64 3
		.amdhsa_dx10_clamp 1
		.amdhsa_ieee_mode 1
		.amdhsa_fp16_overflow 0
		.amdhsa_tg_split 0
		.amdhsa_exception_fp_ieee_invalid_op 0
		.amdhsa_exception_fp_denorm_src 0
		.amdhsa_exception_fp_ieee_div_zero 0
		.amdhsa_exception_fp_ieee_overflow 0
		.amdhsa_exception_fp_ieee_underflow 0
		.amdhsa_exception_fp_ieee_inexact 0
		.amdhsa_exception_int_div_zero 0
	.end_amdhsa_kernel
	.section	.text._ZN7rocprim17ROCPRIM_400000_NS6detail17trampoline_kernelINS0_14default_configENS1_25partition_config_selectorILNS1_17partition_subalgoE8EaNS0_10empty_typeEbEEZZNS1_14partition_implILS5_8ELb0ES3_jPKaPS6_PKS6_NS0_5tupleIJPaS6_EEENSE_IJSB_SB_EEENS0_18inequality_wrapperIN6hipcub16HIPCUB_304000_NS8EqualityEEEPlJS6_EEE10hipError_tPvRmT3_T4_T5_T6_T7_T9_mT8_P12ihipStream_tbDpT10_ENKUlT_T0_E_clISt17integral_constantIbLb0EES16_IbLb1EEEEDaS12_S13_EUlS12_E_NS1_11comp_targetILNS1_3genE10ELNS1_11target_archE1200ELNS1_3gpuE4ELNS1_3repE0EEENS1_30default_config_static_selectorELNS0_4arch9wavefront6targetE1EEEvT1_,"axG",@progbits,_ZN7rocprim17ROCPRIM_400000_NS6detail17trampoline_kernelINS0_14default_configENS1_25partition_config_selectorILNS1_17partition_subalgoE8EaNS0_10empty_typeEbEEZZNS1_14partition_implILS5_8ELb0ES3_jPKaPS6_PKS6_NS0_5tupleIJPaS6_EEENSE_IJSB_SB_EEENS0_18inequality_wrapperIN6hipcub16HIPCUB_304000_NS8EqualityEEEPlJS6_EEE10hipError_tPvRmT3_T4_T5_T6_T7_T9_mT8_P12ihipStream_tbDpT10_ENKUlT_T0_E_clISt17integral_constantIbLb0EES16_IbLb1EEEEDaS12_S13_EUlS12_E_NS1_11comp_targetILNS1_3genE10ELNS1_11target_archE1200ELNS1_3gpuE4ELNS1_3repE0EEENS1_30default_config_static_selectorELNS0_4arch9wavefront6targetE1EEEvT1_,comdat
.Lfunc_end232:
	.size	_ZN7rocprim17ROCPRIM_400000_NS6detail17trampoline_kernelINS0_14default_configENS1_25partition_config_selectorILNS1_17partition_subalgoE8EaNS0_10empty_typeEbEEZZNS1_14partition_implILS5_8ELb0ES3_jPKaPS6_PKS6_NS0_5tupleIJPaS6_EEENSE_IJSB_SB_EEENS0_18inequality_wrapperIN6hipcub16HIPCUB_304000_NS8EqualityEEEPlJS6_EEE10hipError_tPvRmT3_T4_T5_T6_T7_T9_mT8_P12ihipStream_tbDpT10_ENKUlT_T0_E_clISt17integral_constantIbLb0EES16_IbLb1EEEEDaS12_S13_EUlS12_E_NS1_11comp_targetILNS1_3genE10ELNS1_11target_archE1200ELNS1_3gpuE4ELNS1_3repE0EEENS1_30default_config_static_selectorELNS0_4arch9wavefront6targetE1EEEvT1_, .Lfunc_end232-_ZN7rocprim17ROCPRIM_400000_NS6detail17trampoline_kernelINS0_14default_configENS1_25partition_config_selectorILNS1_17partition_subalgoE8EaNS0_10empty_typeEbEEZZNS1_14partition_implILS5_8ELb0ES3_jPKaPS6_PKS6_NS0_5tupleIJPaS6_EEENSE_IJSB_SB_EEENS0_18inequality_wrapperIN6hipcub16HIPCUB_304000_NS8EqualityEEEPlJS6_EEE10hipError_tPvRmT3_T4_T5_T6_T7_T9_mT8_P12ihipStream_tbDpT10_ENKUlT_T0_E_clISt17integral_constantIbLb0EES16_IbLb1EEEEDaS12_S13_EUlS12_E_NS1_11comp_targetILNS1_3genE10ELNS1_11target_archE1200ELNS1_3gpuE4ELNS1_3repE0EEENS1_30default_config_static_selectorELNS0_4arch9wavefront6targetE1EEEvT1_
                                        ; -- End function
	.section	.AMDGPU.csdata,"",@progbits
; Kernel info:
; codeLenInByte = 0
; NumSgprs: 4
; NumVgprs: 0
; NumAgprs: 0
; TotalNumVgprs: 0
; ScratchSize: 0
; MemoryBound: 0
; FloatMode: 240
; IeeeMode: 1
; LDSByteSize: 0 bytes/workgroup (compile time only)
; SGPRBlocks: 0
; VGPRBlocks: 0
; NumSGPRsForWavesPerEU: 4
; NumVGPRsForWavesPerEU: 1
; AccumOffset: 4
; Occupancy: 8
; WaveLimiterHint : 0
; COMPUTE_PGM_RSRC2:SCRATCH_EN: 0
; COMPUTE_PGM_RSRC2:USER_SGPR: 6
; COMPUTE_PGM_RSRC2:TRAP_HANDLER: 0
; COMPUTE_PGM_RSRC2:TGID_X_EN: 1
; COMPUTE_PGM_RSRC2:TGID_Y_EN: 0
; COMPUTE_PGM_RSRC2:TGID_Z_EN: 0
; COMPUTE_PGM_RSRC2:TIDIG_COMP_CNT: 0
; COMPUTE_PGM_RSRC3_GFX90A:ACCUM_OFFSET: 0
; COMPUTE_PGM_RSRC3_GFX90A:TG_SPLIT: 0
	.section	.text._ZN7rocprim17ROCPRIM_400000_NS6detail17trampoline_kernelINS0_14default_configENS1_25partition_config_selectorILNS1_17partition_subalgoE8EaNS0_10empty_typeEbEEZZNS1_14partition_implILS5_8ELb0ES3_jPKaPS6_PKS6_NS0_5tupleIJPaS6_EEENSE_IJSB_SB_EEENS0_18inequality_wrapperIN6hipcub16HIPCUB_304000_NS8EqualityEEEPlJS6_EEE10hipError_tPvRmT3_T4_T5_T6_T7_T9_mT8_P12ihipStream_tbDpT10_ENKUlT_T0_E_clISt17integral_constantIbLb0EES16_IbLb1EEEEDaS12_S13_EUlS12_E_NS1_11comp_targetILNS1_3genE9ELNS1_11target_archE1100ELNS1_3gpuE3ELNS1_3repE0EEENS1_30default_config_static_selectorELNS0_4arch9wavefront6targetE1EEEvT1_,"axG",@progbits,_ZN7rocprim17ROCPRIM_400000_NS6detail17trampoline_kernelINS0_14default_configENS1_25partition_config_selectorILNS1_17partition_subalgoE8EaNS0_10empty_typeEbEEZZNS1_14partition_implILS5_8ELb0ES3_jPKaPS6_PKS6_NS0_5tupleIJPaS6_EEENSE_IJSB_SB_EEENS0_18inequality_wrapperIN6hipcub16HIPCUB_304000_NS8EqualityEEEPlJS6_EEE10hipError_tPvRmT3_T4_T5_T6_T7_T9_mT8_P12ihipStream_tbDpT10_ENKUlT_T0_E_clISt17integral_constantIbLb0EES16_IbLb1EEEEDaS12_S13_EUlS12_E_NS1_11comp_targetILNS1_3genE9ELNS1_11target_archE1100ELNS1_3gpuE3ELNS1_3repE0EEENS1_30default_config_static_selectorELNS0_4arch9wavefront6targetE1EEEvT1_,comdat
	.protected	_ZN7rocprim17ROCPRIM_400000_NS6detail17trampoline_kernelINS0_14default_configENS1_25partition_config_selectorILNS1_17partition_subalgoE8EaNS0_10empty_typeEbEEZZNS1_14partition_implILS5_8ELb0ES3_jPKaPS6_PKS6_NS0_5tupleIJPaS6_EEENSE_IJSB_SB_EEENS0_18inequality_wrapperIN6hipcub16HIPCUB_304000_NS8EqualityEEEPlJS6_EEE10hipError_tPvRmT3_T4_T5_T6_T7_T9_mT8_P12ihipStream_tbDpT10_ENKUlT_T0_E_clISt17integral_constantIbLb0EES16_IbLb1EEEEDaS12_S13_EUlS12_E_NS1_11comp_targetILNS1_3genE9ELNS1_11target_archE1100ELNS1_3gpuE3ELNS1_3repE0EEENS1_30default_config_static_selectorELNS0_4arch9wavefront6targetE1EEEvT1_ ; -- Begin function _ZN7rocprim17ROCPRIM_400000_NS6detail17trampoline_kernelINS0_14default_configENS1_25partition_config_selectorILNS1_17partition_subalgoE8EaNS0_10empty_typeEbEEZZNS1_14partition_implILS5_8ELb0ES3_jPKaPS6_PKS6_NS0_5tupleIJPaS6_EEENSE_IJSB_SB_EEENS0_18inequality_wrapperIN6hipcub16HIPCUB_304000_NS8EqualityEEEPlJS6_EEE10hipError_tPvRmT3_T4_T5_T6_T7_T9_mT8_P12ihipStream_tbDpT10_ENKUlT_T0_E_clISt17integral_constantIbLb0EES16_IbLb1EEEEDaS12_S13_EUlS12_E_NS1_11comp_targetILNS1_3genE9ELNS1_11target_archE1100ELNS1_3gpuE3ELNS1_3repE0EEENS1_30default_config_static_selectorELNS0_4arch9wavefront6targetE1EEEvT1_
	.globl	_ZN7rocprim17ROCPRIM_400000_NS6detail17trampoline_kernelINS0_14default_configENS1_25partition_config_selectorILNS1_17partition_subalgoE8EaNS0_10empty_typeEbEEZZNS1_14partition_implILS5_8ELb0ES3_jPKaPS6_PKS6_NS0_5tupleIJPaS6_EEENSE_IJSB_SB_EEENS0_18inequality_wrapperIN6hipcub16HIPCUB_304000_NS8EqualityEEEPlJS6_EEE10hipError_tPvRmT3_T4_T5_T6_T7_T9_mT8_P12ihipStream_tbDpT10_ENKUlT_T0_E_clISt17integral_constantIbLb0EES16_IbLb1EEEEDaS12_S13_EUlS12_E_NS1_11comp_targetILNS1_3genE9ELNS1_11target_archE1100ELNS1_3gpuE3ELNS1_3repE0EEENS1_30default_config_static_selectorELNS0_4arch9wavefront6targetE1EEEvT1_
	.p2align	8
	.type	_ZN7rocprim17ROCPRIM_400000_NS6detail17trampoline_kernelINS0_14default_configENS1_25partition_config_selectorILNS1_17partition_subalgoE8EaNS0_10empty_typeEbEEZZNS1_14partition_implILS5_8ELb0ES3_jPKaPS6_PKS6_NS0_5tupleIJPaS6_EEENSE_IJSB_SB_EEENS0_18inequality_wrapperIN6hipcub16HIPCUB_304000_NS8EqualityEEEPlJS6_EEE10hipError_tPvRmT3_T4_T5_T6_T7_T9_mT8_P12ihipStream_tbDpT10_ENKUlT_T0_E_clISt17integral_constantIbLb0EES16_IbLb1EEEEDaS12_S13_EUlS12_E_NS1_11comp_targetILNS1_3genE9ELNS1_11target_archE1100ELNS1_3gpuE3ELNS1_3repE0EEENS1_30default_config_static_selectorELNS0_4arch9wavefront6targetE1EEEvT1_,@function
_ZN7rocprim17ROCPRIM_400000_NS6detail17trampoline_kernelINS0_14default_configENS1_25partition_config_selectorILNS1_17partition_subalgoE8EaNS0_10empty_typeEbEEZZNS1_14partition_implILS5_8ELb0ES3_jPKaPS6_PKS6_NS0_5tupleIJPaS6_EEENSE_IJSB_SB_EEENS0_18inequality_wrapperIN6hipcub16HIPCUB_304000_NS8EqualityEEEPlJS6_EEE10hipError_tPvRmT3_T4_T5_T6_T7_T9_mT8_P12ihipStream_tbDpT10_ENKUlT_T0_E_clISt17integral_constantIbLb0EES16_IbLb1EEEEDaS12_S13_EUlS12_E_NS1_11comp_targetILNS1_3genE9ELNS1_11target_archE1100ELNS1_3gpuE3ELNS1_3repE0EEENS1_30default_config_static_selectorELNS0_4arch9wavefront6targetE1EEEvT1_: ; @_ZN7rocprim17ROCPRIM_400000_NS6detail17trampoline_kernelINS0_14default_configENS1_25partition_config_selectorILNS1_17partition_subalgoE8EaNS0_10empty_typeEbEEZZNS1_14partition_implILS5_8ELb0ES3_jPKaPS6_PKS6_NS0_5tupleIJPaS6_EEENSE_IJSB_SB_EEENS0_18inequality_wrapperIN6hipcub16HIPCUB_304000_NS8EqualityEEEPlJS6_EEE10hipError_tPvRmT3_T4_T5_T6_T7_T9_mT8_P12ihipStream_tbDpT10_ENKUlT_T0_E_clISt17integral_constantIbLb0EES16_IbLb1EEEEDaS12_S13_EUlS12_E_NS1_11comp_targetILNS1_3genE9ELNS1_11target_archE1100ELNS1_3gpuE3ELNS1_3repE0EEENS1_30default_config_static_selectorELNS0_4arch9wavefront6targetE1EEEvT1_
; %bb.0:
	.section	.rodata,"a",@progbits
	.p2align	6, 0x0
	.amdhsa_kernel _ZN7rocprim17ROCPRIM_400000_NS6detail17trampoline_kernelINS0_14default_configENS1_25partition_config_selectorILNS1_17partition_subalgoE8EaNS0_10empty_typeEbEEZZNS1_14partition_implILS5_8ELb0ES3_jPKaPS6_PKS6_NS0_5tupleIJPaS6_EEENSE_IJSB_SB_EEENS0_18inequality_wrapperIN6hipcub16HIPCUB_304000_NS8EqualityEEEPlJS6_EEE10hipError_tPvRmT3_T4_T5_T6_T7_T9_mT8_P12ihipStream_tbDpT10_ENKUlT_T0_E_clISt17integral_constantIbLb0EES16_IbLb1EEEEDaS12_S13_EUlS12_E_NS1_11comp_targetILNS1_3genE9ELNS1_11target_archE1100ELNS1_3gpuE3ELNS1_3repE0EEENS1_30default_config_static_selectorELNS0_4arch9wavefront6targetE1EEEvT1_
		.amdhsa_group_segment_fixed_size 0
		.amdhsa_private_segment_fixed_size 0
		.amdhsa_kernarg_size 128
		.amdhsa_user_sgpr_count 6
		.amdhsa_user_sgpr_private_segment_buffer 1
		.amdhsa_user_sgpr_dispatch_ptr 0
		.amdhsa_user_sgpr_queue_ptr 0
		.amdhsa_user_sgpr_kernarg_segment_ptr 1
		.amdhsa_user_sgpr_dispatch_id 0
		.amdhsa_user_sgpr_flat_scratch_init 0
		.amdhsa_user_sgpr_kernarg_preload_length 0
		.amdhsa_user_sgpr_kernarg_preload_offset 0
		.amdhsa_user_sgpr_private_segment_size 0
		.amdhsa_uses_dynamic_stack 0
		.amdhsa_system_sgpr_private_segment_wavefront_offset 0
		.amdhsa_system_sgpr_workgroup_id_x 1
		.amdhsa_system_sgpr_workgroup_id_y 0
		.amdhsa_system_sgpr_workgroup_id_z 0
		.amdhsa_system_sgpr_workgroup_info 0
		.amdhsa_system_vgpr_workitem_id 0
		.amdhsa_next_free_vgpr 1
		.amdhsa_next_free_sgpr 0
		.amdhsa_accum_offset 4
		.amdhsa_reserve_vcc 0
		.amdhsa_reserve_flat_scratch 0
		.amdhsa_float_round_mode_32 0
		.amdhsa_float_round_mode_16_64 0
		.amdhsa_float_denorm_mode_32 3
		.amdhsa_float_denorm_mode_16_64 3
		.amdhsa_dx10_clamp 1
		.amdhsa_ieee_mode 1
		.amdhsa_fp16_overflow 0
		.amdhsa_tg_split 0
		.amdhsa_exception_fp_ieee_invalid_op 0
		.amdhsa_exception_fp_denorm_src 0
		.amdhsa_exception_fp_ieee_div_zero 0
		.amdhsa_exception_fp_ieee_overflow 0
		.amdhsa_exception_fp_ieee_underflow 0
		.amdhsa_exception_fp_ieee_inexact 0
		.amdhsa_exception_int_div_zero 0
	.end_amdhsa_kernel
	.section	.text._ZN7rocprim17ROCPRIM_400000_NS6detail17trampoline_kernelINS0_14default_configENS1_25partition_config_selectorILNS1_17partition_subalgoE8EaNS0_10empty_typeEbEEZZNS1_14partition_implILS5_8ELb0ES3_jPKaPS6_PKS6_NS0_5tupleIJPaS6_EEENSE_IJSB_SB_EEENS0_18inequality_wrapperIN6hipcub16HIPCUB_304000_NS8EqualityEEEPlJS6_EEE10hipError_tPvRmT3_T4_T5_T6_T7_T9_mT8_P12ihipStream_tbDpT10_ENKUlT_T0_E_clISt17integral_constantIbLb0EES16_IbLb1EEEEDaS12_S13_EUlS12_E_NS1_11comp_targetILNS1_3genE9ELNS1_11target_archE1100ELNS1_3gpuE3ELNS1_3repE0EEENS1_30default_config_static_selectorELNS0_4arch9wavefront6targetE1EEEvT1_,"axG",@progbits,_ZN7rocprim17ROCPRIM_400000_NS6detail17trampoline_kernelINS0_14default_configENS1_25partition_config_selectorILNS1_17partition_subalgoE8EaNS0_10empty_typeEbEEZZNS1_14partition_implILS5_8ELb0ES3_jPKaPS6_PKS6_NS0_5tupleIJPaS6_EEENSE_IJSB_SB_EEENS0_18inequality_wrapperIN6hipcub16HIPCUB_304000_NS8EqualityEEEPlJS6_EEE10hipError_tPvRmT3_T4_T5_T6_T7_T9_mT8_P12ihipStream_tbDpT10_ENKUlT_T0_E_clISt17integral_constantIbLb0EES16_IbLb1EEEEDaS12_S13_EUlS12_E_NS1_11comp_targetILNS1_3genE9ELNS1_11target_archE1100ELNS1_3gpuE3ELNS1_3repE0EEENS1_30default_config_static_selectorELNS0_4arch9wavefront6targetE1EEEvT1_,comdat
.Lfunc_end233:
	.size	_ZN7rocprim17ROCPRIM_400000_NS6detail17trampoline_kernelINS0_14default_configENS1_25partition_config_selectorILNS1_17partition_subalgoE8EaNS0_10empty_typeEbEEZZNS1_14partition_implILS5_8ELb0ES3_jPKaPS6_PKS6_NS0_5tupleIJPaS6_EEENSE_IJSB_SB_EEENS0_18inequality_wrapperIN6hipcub16HIPCUB_304000_NS8EqualityEEEPlJS6_EEE10hipError_tPvRmT3_T4_T5_T6_T7_T9_mT8_P12ihipStream_tbDpT10_ENKUlT_T0_E_clISt17integral_constantIbLb0EES16_IbLb1EEEEDaS12_S13_EUlS12_E_NS1_11comp_targetILNS1_3genE9ELNS1_11target_archE1100ELNS1_3gpuE3ELNS1_3repE0EEENS1_30default_config_static_selectorELNS0_4arch9wavefront6targetE1EEEvT1_, .Lfunc_end233-_ZN7rocprim17ROCPRIM_400000_NS6detail17trampoline_kernelINS0_14default_configENS1_25partition_config_selectorILNS1_17partition_subalgoE8EaNS0_10empty_typeEbEEZZNS1_14partition_implILS5_8ELb0ES3_jPKaPS6_PKS6_NS0_5tupleIJPaS6_EEENSE_IJSB_SB_EEENS0_18inequality_wrapperIN6hipcub16HIPCUB_304000_NS8EqualityEEEPlJS6_EEE10hipError_tPvRmT3_T4_T5_T6_T7_T9_mT8_P12ihipStream_tbDpT10_ENKUlT_T0_E_clISt17integral_constantIbLb0EES16_IbLb1EEEEDaS12_S13_EUlS12_E_NS1_11comp_targetILNS1_3genE9ELNS1_11target_archE1100ELNS1_3gpuE3ELNS1_3repE0EEENS1_30default_config_static_selectorELNS0_4arch9wavefront6targetE1EEEvT1_
                                        ; -- End function
	.section	.AMDGPU.csdata,"",@progbits
; Kernel info:
; codeLenInByte = 0
; NumSgprs: 4
; NumVgprs: 0
; NumAgprs: 0
; TotalNumVgprs: 0
; ScratchSize: 0
; MemoryBound: 0
; FloatMode: 240
; IeeeMode: 1
; LDSByteSize: 0 bytes/workgroup (compile time only)
; SGPRBlocks: 0
; VGPRBlocks: 0
; NumSGPRsForWavesPerEU: 4
; NumVGPRsForWavesPerEU: 1
; AccumOffset: 4
; Occupancy: 8
; WaveLimiterHint : 0
; COMPUTE_PGM_RSRC2:SCRATCH_EN: 0
; COMPUTE_PGM_RSRC2:USER_SGPR: 6
; COMPUTE_PGM_RSRC2:TRAP_HANDLER: 0
; COMPUTE_PGM_RSRC2:TGID_X_EN: 1
; COMPUTE_PGM_RSRC2:TGID_Y_EN: 0
; COMPUTE_PGM_RSRC2:TGID_Z_EN: 0
; COMPUTE_PGM_RSRC2:TIDIG_COMP_CNT: 0
; COMPUTE_PGM_RSRC3_GFX90A:ACCUM_OFFSET: 0
; COMPUTE_PGM_RSRC3_GFX90A:TG_SPLIT: 0
	.section	.text._ZN7rocprim17ROCPRIM_400000_NS6detail17trampoline_kernelINS0_14default_configENS1_25partition_config_selectorILNS1_17partition_subalgoE8EaNS0_10empty_typeEbEEZZNS1_14partition_implILS5_8ELb0ES3_jPKaPS6_PKS6_NS0_5tupleIJPaS6_EEENSE_IJSB_SB_EEENS0_18inequality_wrapperIN6hipcub16HIPCUB_304000_NS8EqualityEEEPlJS6_EEE10hipError_tPvRmT3_T4_T5_T6_T7_T9_mT8_P12ihipStream_tbDpT10_ENKUlT_T0_E_clISt17integral_constantIbLb0EES16_IbLb1EEEEDaS12_S13_EUlS12_E_NS1_11comp_targetILNS1_3genE8ELNS1_11target_archE1030ELNS1_3gpuE2ELNS1_3repE0EEENS1_30default_config_static_selectorELNS0_4arch9wavefront6targetE1EEEvT1_,"axG",@progbits,_ZN7rocprim17ROCPRIM_400000_NS6detail17trampoline_kernelINS0_14default_configENS1_25partition_config_selectorILNS1_17partition_subalgoE8EaNS0_10empty_typeEbEEZZNS1_14partition_implILS5_8ELb0ES3_jPKaPS6_PKS6_NS0_5tupleIJPaS6_EEENSE_IJSB_SB_EEENS0_18inequality_wrapperIN6hipcub16HIPCUB_304000_NS8EqualityEEEPlJS6_EEE10hipError_tPvRmT3_T4_T5_T6_T7_T9_mT8_P12ihipStream_tbDpT10_ENKUlT_T0_E_clISt17integral_constantIbLb0EES16_IbLb1EEEEDaS12_S13_EUlS12_E_NS1_11comp_targetILNS1_3genE8ELNS1_11target_archE1030ELNS1_3gpuE2ELNS1_3repE0EEENS1_30default_config_static_selectorELNS0_4arch9wavefront6targetE1EEEvT1_,comdat
	.protected	_ZN7rocprim17ROCPRIM_400000_NS6detail17trampoline_kernelINS0_14default_configENS1_25partition_config_selectorILNS1_17partition_subalgoE8EaNS0_10empty_typeEbEEZZNS1_14partition_implILS5_8ELb0ES3_jPKaPS6_PKS6_NS0_5tupleIJPaS6_EEENSE_IJSB_SB_EEENS0_18inequality_wrapperIN6hipcub16HIPCUB_304000_NS8EqualityEEEPlJS6_EEE10hipError_tPvRmT3_T4_T5_T6_T7_T9_mT8_P12ihipStream_tbDpT10_ENKUlT_T0_E_clISt17integral_constantIbLb0EES16_IbLb1EEEEDaS12_S13_EUlS12_E_NS1_11comp_targetILNS1_3genE8ELNS1_11target_archE1030ELNS1_3gpuE2ELNS1_3repE0EEENS1_30default_config_static_selectorELNS0_4arch9wavefront6targetE1EEEvT1_ ; -- Begin function _ZN7rocprim17ROCPRIM_400000_NS6detail17trampoline_kernelINS0_14default_configENS1_25partition_config_selectorILNS1_17partition_subalgoE8EaNS0_10empty_typeEbEEZZNS1_14partition_implILS5_8ELb0ES3_jPKaPS6_PKS6_NS0_5tupleIJPaS6_EEENSE_IJSB_SB_EEENS0_18inequality_wrapperIN6hipcub16HIPCUB_304000_NS8EqualityEEEPlJS6_EEE10hipError_tPvRmT3_T4_T5_T6_T7_T9_mT8_P12ihipStream_tbDpT10_ENKUlT_T0_E_clISt17integral_constantIbLb0EES16_IbLb1EEEEDaS12_S13_EUlS12_E_NS1_11comp_targetILNS1_3genE8ELNS1_11target_archE1030ELNS1_3gpuE2ELNS1_3repE0EEENS1_30default_config_static_selectorELNS0_4arch9wavefront6targetE1EEEvT1_
	.globl	_ZN7rocprim17ROCPRIM_400000_NS6detail17trampoline_kernelINS0_14default_configENS1_25partition_config_selectorILNS1_17partition_subalgoE8EaNS0_10empty_typeEbEEZZNS1_14partition_implILS5_8ELb0ES3_jPKaPS6_PKS6_NS0_5tupleIJPaS6_EEENSE_IJSB_SB_EEENS0_18inequality_wrapperIN6hipcub16HIPCUB_304000_NS8EqualityEEEPlJS6_EEE10hipError_tPvRmT3_T4_T5_T6_T7_T9_mT8_P12ihipStream_tbDpT10_ENKUlT_T0_E_clISt17integral_constantIbLb0EES16_IbLb1EEEEDaS12_S13_EUlS12_E_NS1_11comp_targetILNS1_3genE8ELNS1_11target_archE1030ELNS1_3gpuE2ELNS1_3repE0EEENS1_30default_config_static_selectorELNS0_4arch9wavefront6targetE1EEEvT1_
	.p2align	8
	.type	_ZN7rocprim17ROCPRIM_400000_NS6detail17trampoline_kernelINS0_14default_configENS1_25partition_config_selectorILNS1_17partition_subalgoE8EaNS0_10empty_typeEbEEZZNS1_14partition_implILS5_8ELb0ES3_jPKaPS6_PKS6_NS0_5tupleIJPaS6_EEENSE_IJSB_SB_EEENS0_18inequality_wrapperIN6hipcub16HIPCUB_304000_NS8EqualityEEEPlJS6_EEE10hipError_tPvRmT3_T4_T5_T6_T7_T9_mT8_P12ihipStream_tbDpT10_ENKUlT_T0_E_clISt17integral_constantIbLb0EES16_IbLb1EEEEDaS12_S13_EUlS12_E_NS1_11comp_targetILNS1_3genE8ELNS1_11target_archE1030ELNS1_3gpuE2ELNS1_3repE0EEENS1_30default_config_static_selectorELNS0_4arch9wavefront6targetE1EEEvT1_,@function
_ZN7rocprim17ROCPRIM_400000_NS6detail17trampoline_kernelINS0_14default_configENS1_25partition_config_selectorILNS1_17partition_subalgoE8EaNS0_10empty_typeEbEEZZNS1_14partition_implILS5_8ELb0ES3_jPKaPS6_PKS6_NS0_5tupleIJPaS6_EEENSE_IJSB_SB_EEENS0_18inequality_wrapperIN6hipcub16HIPCUB_304000_NS8EqualityEEEPlJS6_EEE10hipError_tPvRmT3_T4_T5_T6_T7_T9_mT8_P12ihipStream_tbDpT10_ENKUlT_T0_E_clISt17integral_constantIbLb0EES16_IbLb1EEEEDaS12_S13_EUlS12_E_NS1_11comp_targetILNS1_3genE8ELNS1_11target_archE1030ELNS1_3gpuE2ELNS1_3repE0EEENS1_30default_config_static_selectorELNS0_4arch9wavefront6targetE1EEEvT1_: ; @_ZN7rocprim17ROCPRIM_400000_NS6detail17trampoline_kernelINS0_14default_configENS1_25partition_config_selectorILNS1_17partition_subalgoE8EaNS0_10empty_typeEbEEZZNS1_14partition_implILS5_8ELb0ES3_jPKaPS6_PKS6_NS0_5tupleIJPaS6_EEENSE_IJSB_SB_EEENS0_18inequality_wrapperIN6hipcub16HIPCUB_304000_NS8EqualityEEEPlJS6_EEE10hipError_tPvRmT3_T4_T5_T6_T7_T9_mT8_P12ihipStream_tbDpT10_ENKUlT_T0_E_clISt17integral_constantIbLb0EES16_IbLb1EEEEDaS12_S13_EUlS12_E_NS1_11comp_targetILNS1_3genE8ELNS1_11target_archE1030ELNS1_3gpuE2ELNS1_3repE0EEENS1_30default_config_static_selectorELNS0_4arch9wavefront6targetE1EEEvT1_
; %bb.0:
	.section	.rodata,"a",@progbits
	.p2align	6, 0x0
	.amdhsa_kernel _ZN7rocprim17ROCPRIM_400000_NS6detail17trampoline_kernelINS0_14default_configENS1_25partition_config_selectorILNS1_17partition_subalgoE8EaNS0_10empty_typeEbEEZZNS1_14partition_implILS5_8ELb0ES3_jPKaPS6_PKS6_NS0_5tupleIJPaS6_EEENSE_IJSB_SB_EEENS0_18inequality_wrapperIN6hipcub16HIPCUB_304000_NS8EqualityEEEPlJS6_EEE10hipError_tPvRmT3_T4_T5_T6_T7_T9_mT8_P12ihipStream_tbDpT10_ENKUlT_T0_E_clISt17integral_constantIbLb0EES16_IbLb1EEEEDaS12_S13_EUlS12_E_NS1_11comp_targetILNS1_3genE8ELNS1_11target_archE1030ELNS1_3gpuE2ELNS1_3repE0EEENS1_30default_config_static_selectorELNS0_4arch9wavefront6targetE1EEEvT1_
		.amdhsa_group_segment_fixed_size 0
		.amdhsa_private_segment_fixed_size 0
		.amdhsa_kernarg_size 128
		.amdhsa_user_sgpr_count 6
		.amdhsa_user_sgpr_private_segment_buffer 1
		.amdhsa_user_sgpr_dispatch_ptr 0
		.amdhsa_user_sgpr_queue_ptr 0
		.amdhsa_user_sgpr_kernarg_segment_ptr 1
		.amdhsa_user_sgpr_dispatch_id 0
		.amdhsa_user_sgpr_flat_scratch_init 0
		.amdhsa_user_sgpr_kernarg_preload_length 0
		.amdhsa_user_sgpr_kernarg_preload_offset 0
		.amdhsa_user_sgpr_private_segment_size 0
		.amdhsa_uses_dynamic_stack 0
		.amdhsa_system_sgpr_private_segment_wavefront_offset 0
		.amdhsa_system_sgpr_workgroup_id_x 1
		.amdhsa_system_sgpr_workgroup_id_y 0
		.amdhsa_system_sgpr_workgroup_id_z 0
		.amdhsa_system_sgpr_workgroup_info 0
		.amdhsa_system_vgpr_workitem_id 0
		.amdhsa_next_free_vgpr 1
		.amdhsa_next_free_sgpr 0
		.amdhsa_accum_offset 4
		.amdhsa_reserve_vcc 0
		.amdhsa_reserve_flat_scratch 0
		.amdhsa_float_round_mode_32 0
		.amdhsa_float_round_mode_16_64 0
		.amdhsa_float_denorm_mode_32 3
		.amdhsa_float_denorm_mode_16_64 3
		.amdhsa_dx10_clamp 1
		.amdhsa_ieee_mode 1
		.amdhsa_fp16_overflow 0
		.amdhsa_tg_split 0
		.amdhsa_exception_fp_ieee_invalid_op 0
		.amdhsa_exception_fp_denorm_src 0
		.amdhsa_exception_fp_ieee_div_zero 0
		.amdhsa_exception_fp_ieee_overflow 0
		.amdhsa_exception_fp_ieee_underflow 0
		.amdhsa_exception_fp_ieee_inexact 0
		.amdhsa_exception_int_div_zero 0
	.end_amdhsa_kernel
	.section	.text._ZN7rocprim17ROCPRIM_400000_NS6detail17trampoline_kernelINS0_14default_configENS1_25partition_config_selectorILNS1_17partition_subalgoE8EaNS0_10empty_typeEbEEZZNS1_14partition_implILS5_8ELb0ES3_jPKaPS6_PKS6_NS0_5tupleIJPaS6_EEENSE_IJSB_SB_EEENS0_18inequality_wrapperIN6hipcub16HIPCUB_304000_NS8EqualityEEEPlJS6_EEE10hipError_tPvRmT3_T4_T5_T6_T7_T9_mT8_P12ihipStream_tbDpT10_ENKUlT_T0_E_clISt17integral_constantIbLb0EES16_IbLb1EEEEDaS12_S13_EUlS12_E_NS1_11comp_targetILNS1_3genE8ELNS1_11target_archE1030ELNS1_3gpuE2ELNS1_3repE0EEENS1_30default_config_static_selectorELNS0_4arch9wavefront6targetE1EEEvT1_,"axG",@progbits,_ZN7rocprim17ROCPRIM_400000_NS6detail17trampoline_kernelINS0_14default_configENS1_25partition_config_selectorILNS1_17partition_subalgoE8EaNS0_10empty_typeEbEEZZNS1_14partition_implILS5_8ELb0ES3_jPKaPS6_PKS6_NS0_5tupleIJPaS6_EEENSE_IJSB_SB_EEENS0_18inequality_wrapperIN6hipcub16HIPCUB_304000_NS8EqualityEEEPlJS6_EEE10hipError_tPvRmT3_T4_T5_T6_T7_T9_mT8_P12ihipStream_tbDpT10_ENKUlT_T0_E_clISt17integral_constantIbLb0EES16_IbLb1EEEEDaS12_S13_EUlS12_E_NS1_11comp_targetILNS1_3genE8ELNS1_11target_archE1030ELNS1_3gpuE2ELNS1_3repE0EEENS1_30default_config_static_selectorELNS0_4arch9wavefront6targetE1EEEvT1_,comdat
.Lfunc_end234:
	.size	_ZN7rocprim17ROCPRIM_400000_NS6detail17trampoline_kernelINS0_14default_configENS1_25partition_config_selectorILNS1_17partition_subalgoE8EaNS0_10empty_typeEbEEZZNS1_14partition_implILS5_8ELb0ES3_jPKaPS6_PKS6_NS0_5tupleIJPaS6_EEENSE_IJSB_SB_EEENS0_18inequality_wrapperIN6hipcub16HIPCUB_304000_NS8EqualityEEEPlJS6_EEE10hipError_tPvRmT3_T4_T5_T6_T7_T9_mT8_P12ihipStream_tbDpT10_ENKUlT_T0_E_clISt17integral_constantIbLb0EES16_IbLb1EEEEDaS12_S13_EUlS12_E_NS1_11comp_targetILNS1_3genE8ELNS1_11target_archE1030ELNS1_3gpuE2ELNS1_3repE0EEENS1_30default_config_static_selectorELNS0_4arch9wavefront6targetE1EEEvT1_, .Lfunc_end234-_ZN7rocprim17ROCPRIM_400000_NS6detail17trampoline_kernelINS0_14default_configENS1_25partition_config_selectorILNS1_17partition_subalgoE8EaNS0_10empty_typeEbEEZZNS1_14partition_implILS5_8ELb0ES3_jPKaPS6_PKS6_NS0_5tupleIJPaS6_EEENSE_IJSB_SB_EEENS0_18inequality_wrapperIN6hipcub16HIPCUB_304000_NS8EqualityEEEPlJS6_EEE10hipError_tPvRmT3_T4_T5_T6_T7_T9_mT8_P12ihipStream_tbDpT10_ENKUlT_T0_E_clISt17integral_constantIbLb0EES16_IbLb1EEEEDaS12_S13_EUlS12_E_NS1_11comp_targetILNS1_3genE8ELNS1_11target_archE1030ELNS1_3gpuE2ELNS1_3repE0EEENS1_30default_config_static_selectorELNS0_4arch9wavefront6targetE1EEEvT1_
                                        ; -- End function
	.section	.AMDGPU.csdata,"",@progbits
; Kernel info:
; codeLenInByte = 0
; NumSgprs: 4
; NumVgprs: 0
; NumAgprs: 0
; TotalNumVgprs: 0
; ScratchSize: 0
; MemoryBound: 0
; FloatMode: 240
; IeeeMode: 1
; LDSByteSize: 0 bytes/workgroup (compile time only)
; SGPRBlocks: 0
; VGPRBlocks: 0
; NumSGPRsForWavesPerEU: 4
; NumVGPRsForWavesPerEU: 1
; AccumOffset: 4
; Occupancy: 8
; WaveLimiterHint : 0
; COMPUTE_PGM_RSRC2:SCRATCH_EN: 0
; COMPUTE_PGM_RSRC2:USER_SGPR: 6
; COMPUTE_PGM_RSRC2:TRAP_HANDLER: 0
; COMPUTE_PGM_RSRC2:TGID_X_EN: 1
; COMPUTE_PGM_RSRC2:TGID_Y_EN: 0
; COMPUTE_PGM_RSRC2:TGID_Z_EN: 0
; COMPUTE_PGM_RSRC2:TIDIG_COMP_CNT: 0
; COMPUTE_PGM_RSRC3_GFX90A:ACCUM_OFFSET: 0
; COMPUTE_PGM_RSRC3_GFX90A:TG_SPLIT: 0
	.section	.text._ZN7rocprim17ROCPRIM_400000_NS6detail17trampoline_kernelINS0_14default_configENS1_33run_length_encode_config_selectorIajNS0_4plusIjEEEEZZNS1_33reduce_by_key_impl_wrapped_configILNS1_25lookback_scan_determinismE0ES3_S7_PKaNS0_17constant_iteratorIjlEEPaPlSF_S6_NS0_8equal_toIaEEEE10hipError_tPvRmT2_T3_mT4_T5_T6_T7_T8_P12ihipStream_tbENKUlT_T0_E_clISt17integral_constantIbLb0EESZ_EEDaSU_SV_EUlSU_E_NS1_11comp_targetILNS1_3genE0ELNS1_11target_archE4294967295ELNS1_3gpuE0ELNS1_3repE0EEENS1_30default_config_static_selectorELNS0_4arch9wavefront6targetE1EEEvT1_,"axG",@progbits,_ZN7rocprim17ROCPRIM_400000_NS6detail17trampoline_kernelINS0_14default_configENS1_33run_length_encode_config_selectorIajNS0_4plusIjEEEEZZNS1_33reduce_by_key_impl_wrapped_configILNS1_25lookback_scan_determinismE0ES3_S7_PKaNS0_17constant_iteratorIjlEEPaPlSF_S6_NS0_8equal_toIaEEEE10hipError_tPvRmT2_T3_mT4_T5_T6_T7_T8_P12ihipStream_tbENKUlT_T0_E_clISt17integral_constantIbLb0EESZ_EEDaSU_SV_EUlSU_E_NS1_11comp_targetILNS1_3genE0ELNS1_11target_archE4294967295ELNS1_3gpuE0ELNS1_3repE0EEENS1_30default_config_static_selectorELNS0_4arch9wavefront6targetE1EEEvT1_,comdat
	.protected	_ZN7rocprim17ROCPRIM_400000_NS6detail17trampoline_kernelINS0_14default_configENS1_33run_length_encode_config_selectorIajNS0_4plusIjEEEEZZNS1_33reduce_by_key_impl_wrapped_configILNS1_25lookback_scan_determinismE0ES3_S7_PKaNS0_17constant_iteratorIjlEEPaPlSF_S6_NS0_8equal_toIaEEEE10hipError_tPvRmT2_T3_mT4_T5_T6_T7_T8_P12ihipStream_tbENKUlT_T0_E_clISt17integral_constantIbLb0EESZ_EEDaSU_SV_EUlSU_E_NS1_11comp_targetILNS1_3genE0ELNS1_11target_archE4294967295ELNS1_3gpuE0ELNS1_3repE0EEENS1_30default_config_static_selectorELNS0_4arch9wavefront6targetE1EEEvT1_ ; -- Begin function _ZN7rocprim17ROCPRIM_400000_NS6detail17trampoline_kernelINS0_14default_configENS1_33run_length_encode_config_selectorIajNS0_4plusIjEEEEZZNS1_33reduce_by_key_impl_wrapped_configILNS1_25lookback_scan_determinismE0ES3_S7_PKaNS0_17constant_iteratorIjlEEPaPlSF_S6_NS0_8equal_toIaEEEE10hipError_tPvRmT2_T3_mT4_T5_T6_T7_T8_P12ihipStream_tbENKUlT_T0_E_clISt17integral_constantIbLb0EESZ_EEDaSU_SV_EUlSU_E_NS1_11comp_targetILNS1_3genE0ELNS1_11target_archE4294967295ELNS1_3gpuE0ELNS1_3repE0EEENS1_30default_config_static_selectorELNS0_4arch9wavefront6targetE1EEEvT1_
	.globl	_ZN7rocprim17ROCPRIM_400000_NS6detail17trampoline_kernelINS0_14default_configENS1_33run_length_encode_config_selectorIajNS0_4plusIjEEEEZZNS1_33reduce_by_key_impl_wrapped_configILNS1_25lookback_scan_determinismE0ES3_S7_PKaNS0_17constant_iteratorIjlEEPaPlSF_S6_NS0_8equal_toIaEEEE10hipError_tPvRmT2_T3_mT4_T5_T6_T7_T8_P12ihipStream_tbENKUlT_T0_E_clISt17integral_constantIbLb0EESZ_EEDaSU_SV_EUlSU_E_NS1_11comp_targetILNS1_3genE0ELNS1_11target_archE4294967295ELNS1_3gpuE0ELNS1_3repE0EEENS1_30default_config_static_selectorELNS0_4arch9wavefront6targetE1EEEvT1_
	.p2align	8
	.type	_ZN7rocprim17ROCPRIM_400000_NS6detail17trampoline_kernelINS0_14default_configENS1_33run_length_encode_config_selectorIajNS0_4plusIjEEEEZZNS1_33reduce_by_key_impl_wrapped_configILNS1_25lookback_scan_determinismE0ES3_S7_PKaNS0_17constant_iteratorIjlEEPaPlSF_S6_NS0_8equal_toIaEEEE10hipError_tPvRmT2_T3_mT4_T5_T6_T7_T8_P12ihipStream_tbENKUlT_T0_E_clISt17integral_constantIbLb0EESZ_EEDaSU_SV_EUlSU_E_NS1_11comp_targetILNS1_3genE0ELNS1_11target_archE4294967295ELNS1_3gpuE0ELNS1_3repE0EEENS1_30default_config_static_selectorELNS0_4arch9wavefront6targetE1EEEvT1_,@function
_ZN7rocprim17ROCPRIM_400000_NS6detail17trampoline_kernelINS0_14default_configENS1_33run_length_encode_config_selectorIajNS0_4plusIjEEEEZZNS1_33reduce_by_key_impl_wrapped_configILNS1_25lookback_scan_determinismE0ES3_S7_PKaNS0_17constant_iteratorIjlEEPaPlSF_S6_NS0_8equal_toIaEEEE10hipError_tPvRmT2_T3_mT4_T5_T6_T7_T8_P12ihipStream_tbENKUlT_T0_E_clISt17integral_constantIbLb0EESZ_EEDaSU_SV_EUlSU_E_NS1_11comp_targetILNS1_3genE0ELNS1_11target_archE4294967295ELNS1_3gpuE0ELNS1_3repE0EEENS1_30default_config_static_selectorELNS0_4arch9wavefront6targetE1EEEvT1_: ; @_ZN7rocprim17ROCPRIM_400000_NS6detail17trampoline_kernelINS0_14default_configENS1_33run_length_encode_config_selectorIajNS0_4plusIjEEEEZZNS1_33reduce_by_key_impl_wrapped_configILNS1_25lookback_scan_determinismE0ES3_S7_PKaNS0_17constant_iteratorIjlEEPaPlSF_S6_NS0_8equal_toIaEEEE10hipError_tPvRmT2_T3_mT4_T5_T6_T7_T8_P12ihipStream_tbENKUlT_T0_E_clISt17integral_constantIbLb0EESZ_EEDaSU_SV_EUlSU_E_NS1_11comp_targetILNS1_3genE0ELNS1_11target_archE4294967295ELNS1_3gpuE0ELNS1_3repE0EEENS1_30default_config_static_selectorELNS0_4arch9wavefront6targetE1EEEvT1_
; %bb.0:
	.section	.rodata,"a",@progbits
	.p2align	6, 0x0
	.amdhsa_kernel _ZN7rocprim17ROCPRIM_400000_NS6detail17trampoline_kernelINS0_14default_configENS1_33run_length_encode_config_selectorIajNS0_4plusIjEEEEZZNS1_33reduce_by_key_impl_wrapped_configILNS1_25lookback_scan_determinismE0ES3_S7_PKaNS0_17constant_iteratorIjlEEPaPlSF_S6_NS0_8equal_toIaEEEE10hipError_tPvRmT2_T3_mT4_T5_T6_T7_T8_P12ihipStream_tbENKUlT_T0_E_clISt17integral_constantIbLb0EESZ_EEDaSU_SV_EUlSU_E_NS1_11comp_targetILNS1_3genE0ELNS1_11target_archE4294967295ELNS1_3gpuE0ELNS1_3repE0EEENS1_30default_config_static_selectorELNS0_4arch9wavefront6targetE1EEEvT1_
		.amdhsa_group_segment_fixed_size 0
		.amdhsa_private_segment_fixed_size 0
		.amdhsa_kernarg_size 128
		.amdhsa_user_sgpr_count 6
		.amdhsa_user_sgpr_private_segment_buffer 1
		.amdhsa_user_sgpr_dispatch_ptr 0
		.amdhsa_user_sgpr_queue_ptr 0
		.amdhsa_user_sgpr_kernarg_segment_ptr 1
		.amdhsa_user_sgpr_dispatch_id 0
		.amdhsa_user_sgpr_flat_scratch_init 0
		.amdhsa_user_sgpr_kernarg_preload_length 0
		.amdhsa_user_sgpr_kernarg_preload_offset 0
		.amdhsa_user_sgpr_private_segment_size 0
		.amdhsa_uses_dynamic_stack 0
		.amdhsa_system_sgpr_private_segment_wavefront_offset 0
		.amdhsa_system_sgpr_workgroup_id_x 1
		.amdhsa_system_sgpr_workgroup_id_y 0
		.amdhsa_system_sgpr_workgroup_id_z 0
		.amdhsa_system_sgpr_workgroup_info 0
		.amdhsa_system_vgpr_workitem_id 0
		.amdhsa_next_free_vgpr 1
		.amdhsa_next_free_sgpr 0
		.amdhsa_accum_offset 4
		.amdhsa_reserve_vcc 0
		.amdhsa_reserve_flat_scratch 0
		.amdhsa_float_round_mode_32 0
		.amdhsa_float_round_mode_16_64 0
		.amdhsa_float_denorm_mode_32 3
		.amdhsa_float_denorm_mode_16_64 3
		.amdhsa_dx10_clamp 1
		.amdhsa_ieee_mode 1
		.amdhsa_fp16_overflow 0
		.amdhsa_tg_split 0
		.amdhsa_exception_fp_ieee_invalid_op 0
		.amdhsa_exception_fp_denorm_src 0
		.amdhsa_exception_fp_ieee_div_zero 0
		.amdhsa_exception_fp_ieee_overflow 0
		.amdhsa_exception_fp_ieee_underflow 0
		.amdhsa_exception_fp_ieee_inexact 0
		.amdhsa_exception_int_div_zero 0
	.end_amdhsa_kernel
	.section	.text._ZN7rocprim17ROCPRIM_400000_NS6detail17trampoline_kernelINS0_14default_configENS1_33run_length_encode_config_selectorIajNS0_4plusIjEEEEZZNS1_33reduce_by_key_impl_wrapped_configILNS1_25lookback_scan_determinismE0ES3_S7_PKaNS0_17constant_iteratorIjlEEPaPlSF_S6_NS0_8equal_toIaEEEE10hipError_tPvRmT2_T3_mT4_T5_T6_T7_T8_P12ihipStream_tbENKUlT_T0_E_clISt17integral_constantIbLb0EESZ_EEDaSU_SV_EUlSU_E_NS1_11comp_targetILNS1_3genE0ELNS1_11target_archE4294967295ELNS1_3gpuE0ELNS1_3repE0EEENS1_30default_config_static_selectorELNS0_4arch9wavefront6targetE1EEEvT1_,"axG",@progbits,_ZN7rocprim17ROCPRIM_400000_NS6detail17trampoline_kernelINS0_14default_configENS1_33run_length_encode_config_selectorIajNS0_4plusIjEEEEZZNS1_33reduce_by_key_impl_wrapped_configILNS1_25lookback_scan_determinismE0ES3_S7_PKaNS0_17constant_iteratorIjlEEPaPlSF_S6_NS0_8equal_toIaEEEE10hipError_tPvRmT2_T3_mT4_T5_T6_T7_T8_P12ihipStream_tbENKUlT_T0_E_clISt17integral_constantIbLb0EESZ_EEDaSU_SV_EUlSU_E_NS1_11comp_targetILNS1_3genE0ELNS1_11target_archE4294967295ELNS1_3gpuE0ELNS1_3repE0EEENS1_30default_config_static_selectorELNS0_4arch9wavefront6targetE1EEEvT1_,comdat
.Lfunc_end235:
	.size	_ZN7rocprim17ROCPRIM_400000_NS6detail17trampoline_kernelINS0_14default_configENS1_33run_length_encode_config_selectorIajNS0_4plusIjEEEEZZNS1_33reduce_by_key_impl_wrapped_configILNS1_25lookback_scan_determinismE0ES3_S7_PKaNS0_17constant_iteratorIjlEEPaPlSF_S6_NS0_8equal_toIaEEEE10hipError_tPvRmT2_T3_mT4_T5_T6_T7_T8_P12ihipStream_tbENKUlT_T0_E_clISt17integral_constantIbLb0EESZ_EEDaSU_SV_EUlSU_E_NS1_11comp_targetILNS1_3genE0ELNS1_11target_archE4294967295ELNS1_3gpuE0ELNS1_3repE0EEENS1_30default_config_static_selectorELNS0_4arch9wavefront6targetE1EEEvT1_, .Lfunc_end235-_ZN7rocprim17ROCPRIM_400000_NS6detail17trampoline_kernelINS0_14default_configENS1_33run_length_encode_config_selectorIajNS0_4plusIjEEEEZZNS1_33reduce_by_key_impl_wrapped_configILNS1_25lookback_scan_determinismE0ES3_S7_PKaNS0_17constant_iteratorIjlEEPaPlSF_S6_NS0_8equal_toIaEEEE10hipError_tPvRmT2_T3_mT4_T5_T6_T7_T8_P12ihipStream_tbENKUlT_T0_E_clISt17integral_constantIbLb0EESZ_EEDaSU_SV_EUlSU_E_NS1_11comp_targetILNS1_3genE0ELNS1_11target_archE4294967295ELNS1_3gpuE0ELNS1_3repE0EEENS1_30default_config_static_selectorELNS0_4arch9wavefront6targetE1EEEvT1_
                                        ; -- End function
	.section	.AMDGPU.csdata,"",@progbits
; Kernel info:
; codeLenInByte = 0
; NumSgprs: 4
; NumVgprs: 0
; NumAgprs: 0
; TotalNumVgprs: 0
; ScratchSize: 0
; MemoryBound: 0
; FloatMode: 240
; IeeeMode: 1
; LDSByteSize: 0 bytes/workgroup (compile time only)
; SGPRBlocks: 0
; VGPRBlocks: 0
; NumSGPRsForWavesPerEU: 4
; NumVGPRsForWavesPerEU: 1
; AccumOffset: 4
; Occupancy: 8
; WaveLimiterHint : 0
; COMPUTE_PGM_RSRC2:SCRATCH_EN: 0
; COMPUTE_PGM_RSRC2:USER_SGPR: 6
; COMPUTE_PGM_RSRC2:TRAP_HANDLER: 0
; COMPUTE_PGM_RSRC2:TGID_X_EN: 1
; COMPUTE_PGM_RSRC2:TGID_Y_EN: 0
; COMPUTE_PGM_RSRC2:TGID_Z_EN: 0
; COMPUTE_PGM_RSRC2:TIDIG_COMP_CNT: 0
; COMPUTE_PGM_RSRC3_GFX90A:ACCUM_OFFSET: 0
; COMPUTE_PGM_RSRC3_GFX90A:TG_SPLIT: 0
	.section	.text._ZN7rocprim17ROCPRIM_400000_NS6detail17trampoline_kernelINS0_14default_configENS1_33run_length_encode_config_selectorIajNS0_4plusIjEEEEZZNS1_33reduce_by_key_impl_wrapped_configILNS1_25lookback_scan_determinismE0ES3_S7_PKaNS0_17constant_iteratorIjlEEPaPlSF_S6_NS0_8equal_toIaEEEE10hipError_tPvRmT2_T3_mT4_T5_T6_T7_T8_P12ihipStream_tbENKUlT_T0_E_clISt17integral_constantIbLb0EESZ_EEDaSU_SV_EUlSU_E_NS1_11comp_targetILNS1_3genE5ELNS1_11target_archE942ELNS1_3gpuE9ELNS1_3repE0EEENS1_30default_config_static_selectorELNS0_4arch9wavefront6targetE1EEEvT1_,"axG",@progbits,_ZN7rocprim17ROCPRIM_400000_NS6detail17trampoline_kernelINS0_14default_configENS1_33run_length_encode_config_selectorIajNS0_4plusIjEEEEZZNS1_33reduce_by_key_impl_wrapped_configILNS1_25lookback_scan_determinismE0ES3_S7_PKaNS0_17constant_iteratorIjlEEPaPlSF_S6_NS0_8equal_toIaEEEE10hipError_tPvRmT2_T3_mT4_T5_T6_T7_T8_P12ihipStream_tbENKUlT_T0_E_clISt17integral_constantIbLb0EESZ_EEDaSU_SV_EUlSU_E_NS1_11comp_targetILNS1_3genE5ELNS1_11target_archE942ELNS1_3gpuE9ELNS1_3repE0EEENS1_30default_config_static_selectorELNS0_4arch9wavefront6targetE1EEEvT1_,comdat
	.protected	_ZN7rocprim17ROCPRIM_400000_NS6detail17trampoline_kernelINS0_14default_configENS1_33run_length_encode_config_selectorIajNS0_4plusIjEEEEZZNS1_33reduce_by_key_impl_wrapped_configILNS1_25lookback_scan_determinismE0ES3_S7_PKaNS0_17constant_iteratorIjlEEPaPlSF_S6_NS0_8equal_toIaEEEE10hipError_tPvRmT2_T3_mT4_T5_T6_T7_T8_P12ihipStream_tbENKUlT_T0_E_clISt17integral_constantIbLb0EESZ_EEDaSU_SV_EUlSU_E_NS1_11comp_targetILNS1_3genE5ELNS1_11target_archE942ELNS1_3gpuE9ELNS1_3repE0EEENS1_30default_config_static_selectorELNS0_4arch9wavefront6targetE1EEEvT1_ ; -- Begin function _ZN7rocprim17ROCPRIM_400000_NS6detail17trampoline_kernelINS0_14default_configENS1_33run_length_encode_config_selectorIajNS0_4plusIjEEEEZZNS1_33reduce_by_key_impl_wrapped_configILNS1_25lookback_scan_determinismE0ES3_S7_PKaNS0_17constant_iteratorIjlEEPaPlSF_S6_NS0_8equal_toIaEEEE10hipError_tPvRmT2_T3_mT4_T5_T6_T7_T8_P12ihipStream_tbENKUlT_T0_E_clISt17integral_constantIbLb0EESZ_EEDaSU_SV_EUlSU_E_NS1_11comp_targetILNS1_3genE5ELNS1_11target_archE942ELNS1_3gpuE9ELNS1_3repE0EEENS1_30default_config_static_selectorELNS0_4arch9wavefront6targetE1EEEvT1_
	.globl	_ZN7rocprim17ROCPRIM_400000_NS6detail17trampoline_kernelINS0_14default_configENS1_33run_length_encode_config_selectorIajNS0_4plusIjEEEEZZNS1_33reduce_by_key_impl_wrapped_configILNS1_25lookback_scan_determinismE0ES3_S7_PKaNS0_17constant_iteratorIjlEEPaPlSF_S6_NS0_8equal_toIaEEEE10hipError_tPvRmT2_T3_mT4_T5_T6_T7_T8_P12ihipStream_tbENKUlT_T0_E_clISt17integral_constantIbLb0EESZ_EEDaSU_SV_EUlSU_E_NS1_11comp_targetILNS1_3genE5ELNS1_11target_archE942ELNS1_3gpuE9ELNS1_3repE0EEENS1_30default_config_static_selectorELNS0_4arch9wavefront6targetE1EEEvT1_
	.p2align	8
	.type	_ZN7rocprim17ROCPRIM_400000_NS6detail17trampoline_kernelINS0_14default_configENS1_33run_length_encode_config_selectorIajNS0_4plusIjEEEEZZNS1_33reduce_by_key_impl_wrapped_configILNS1_25lookback_scan_determinismE0ES3_S7_PKaNS0_17constant_iteratorIjlEEPaPlSF_S6_NS0_8equal_toIaEEEE10hipError_tPvRmT2_T3_mT4_T5_T6_T7_T8_P12ihipStream_tbENKUlT_T0_E_clISt17integral_constantIbLb0EESZ_EEDaSU_SV_EUlSU_E_NS1_11comp_targetILNS1_3genE5ELNS1_11target_archE942ELNS1_3gpuE9ELNS1_3repE0EEENS1_30default_config_static_selectorELNS0_4arch9wavefront6targetE1EEEvT1_,@function
_ZN7rocprim17ROCPRIM_400000_NS6detail17trampoline_kernelINS0_14default_configENS1_33run_length_encode_config_selectorIajNS0_4plusIjEEEEZZNS1_33reduce_by_key_impl_wrapped_configILNS1_25lookback_scan_determinismE0ES3_S7_PKaNS0_17constant_iteratorIjlEEPaPlSF_S6_NS0_8equal_toIaEEEE10hipError_tPvRmT2_T3_mT4_T5_T6_T7_T8_P12ihipStream_tbENKUlT_T0_E_clISt17integral_constantIbLb0EESZ_EEDaSU_SV_EUlSU_E_NS1_11comp_targetILNS1_3genE5ELNS1_11target_archE942ELNS1_3gpuE9ELNS1_3repE0EEENS1_30default_config_static_selectorELNS0_4arch9wavefront6targetE1EEEvT1_: ; @_ZN7rocprim17ROCPRIM_400000_NS6detail17trampoline_kernelINS0_14default_configENS1_33run_length_encode_config_selectorIajNS0_4plusIjEEEEZZNS1_33reduce_by_key_impl_wrapped_configILNS1_25lookback_scan_determinismE0ES3_S7_PKaNS0_17constant_iteratorIjlEEPaPlSF_S6_NS0_8equal_toIaEEEE10hipError_tPvRmT2_T3_mT4_T5_T6_T7_T8_P12ihipStream_tbENKUlT_T0_E_clISt17integral_constantIbLb0EESZ_EEDaSU_SV_EUlSU_E_NS1_11comp_targetILNS1_3genE5ELNS1_11target_archE942ELNS1_3gpuE9ELNS1_3repE0EEENS1_30default_config_static_selectorELNS0_4arch9wavefront6targetE1EEEvT1_
; %bb.0:
	.section	.rodata,"a",@progbits
	.p2align	6, 0x0
	.amdhsa_kernel _ZN7rocprim17ROCPRIM_400000_NS6detail17trampoline_kernelINS0_14default_configENS1_33run_length_encode_config_selectorIajNS0_4plusIjEEEEZZNS1_33reduce_by_key_impl_wrapped_configILNS1_25lookback_scan_determinismE0ES3_S7_PKaNS0_17constant_iteratorIjlEEPaPlSF_S6_NS0_8equal_toIaEEEE10hipError_tPvRmT2_T3_mT4_T5_T6_T7_T8_P12ihipStream_tbENKUlT_T0_E_clISt17integral_constantIbLb0EESZ_EEDaSU_SV_EUlSU_E_NS1_11comp_targetILNS1_3genE5ELNS1_11target_archE942ELNS1_3gpuE9ELNS1_3repE0EEENS1_30default_config_static_selectorELNS0_4arch9wavefront6targetE1EEEvT1_
		.amdhsa_group_segment_fixed_size 0
		.amdhsa_private_segment_fixed_size 0
		.amdhsa_kernarg_size 128
		.amdhsa_user_sgpr_count 6
		.amdhsa_user_sgpr_private_segment_buffer 1
		.amdhsa_user_sgpr_dispatch_ptr 0
		.amdhsa_user_sgpr_queue_ptr 0
		.amdhsa_user_sgpr_kernarg_segment_ptr 1
		.amdhsa_user_sgpr_dispatch_id 0
		.amdhsa_user_sgpr_flat_scratch_init 0
		.amdhsa_user_sgpr_kernarg_preload_length 0
		.amdhsa_user_sgpr_kernarg_preload_offset 0
		.amdhsa_user_sgpr_private_segment_size 0
		.amdhsa_uses_dynamic_stack 0
		.amdhsa_system_sgpr_private_segment_wavefront_offset 0
		.amdhsa_system_sgpr_workgroup_id_x 1
		.amdhsa_system_sgpr_workgroup_id_y 0
		.amdhsa_system_sgpr_workgroup_id_z 0
		.amdhsa_system_sgpr_workgroup_info 0
		.amdhsa_system_vgpr_workitem_id 0
		.amdhsa_next_free_vgpr 1
		.amdhsa_next_free_sgpr 0
		.amdhsa_accum_offset 4
		.amdhsa_reserve_vcc 0
		.amdhsa_reserve_flat_scratch 0
		.amdhsa_float_round_mode_32 0
		.amdhsa_float_round_mode_16_64 0
		.amdhsa_float_denorm_mode_32 3
		.amdhsa_float_denorm_mode_16_64 3
		.amdhsa_dx10_clamp 1
		.amdhsa_ieee_mode 1
		.amdhsa_fp16_overflow 0
		.amdhsa_tg_split 0
		.amdhsa_exception_fp_ieee_invalid_op 0
		.amdhsa_exception_fp_denorm_src 0
		.amdhsa_exception_fp_ieee_div_zero 0
		.amdhsa_exception_fp_ieee_overflow 0
		.amdhsa_exception_fp_ieee_underflow 0
		.amdhsa_exception_fp_ieee_inexact 0
		.amdhsa_exception_int_div_zero 0
	.end_amdhsa_kernel
	.section	.text._ZN7rocprim17ROCPRIM_400000_NS6detail17trampoline_kernelINS0_14default_configENS1_33run_length_encode_config_selectorIajNS0_4plusIjEEEEZZNS1_33reduce_by_key_impl_wrapped_configILNS1_25lookback_scan_determinismE0ES3_S7_PKaNS0_17constant_iteratorIjlEEPaPlSF_S6_NS0_8equal_toIaEEEE10hipError_tPvRmT2_T3_mT4_T5_T6_T7_T8_P12ihipStream_tbENKUlT_T0_E_clISt17integral_constantIbLb0EESZ_EEDaSU_SV_EUlSU_E_NS1_11comp_targetILNS1_3genE5ELNS1_11target_archE942ELNS1_3gpuE9ELNS1_3repE0EEENS1_30default_config_static_selectorELNS0_4arch9wavefront6targetE1EEEvT1_,"axG",@progbits,_ZN7rocprim17ROCPRIM_400000_NS6detail17trampoline_kernelINS0_14default_configENS1_33run_length_encode_config_selectorIajNS0_4plusIjEEEEZZNS1_33reduce_by_key_impl_wrapped_configILNS1_25lookback_scan_determinismE0ES3_S7_PKaNS0_17constant_iteratorIjlEEPaPlSF_S6_NS0_8equal_toIaEEEE10hipError_tPvRmT2_T3_mT4_T5_T6_T7_T8_P12ihipStream_tbENKUlT_T0_E_clISt17integral_constantIbLb0EESZ_EEDaSU_SV_EUlSU_E_NS1_11comp_targetILNS1_3genE5ELNS1_11target_archE942ELNS1_3gpuE9ELNS1_3repE0EEENS1_30default_config_static_selectorELNS0_4arch9wavefront6targetE1EEEvT1_,comdat
.Lfunc_end236:
	.size	_ZN7rocprim17ROCPRIM_400000_NS6detail17trampoline_kernelINS0_14default_configENS1_33run_length_encode_config_selectorIajNS0_4plusIjEEEEZZNS1_33reduce_by_key_impl_wrapped_configILNS1_25lookback_scan_determinismE0ES3_S7_PKaNS0_17constant_iteratorIjlEEPaPlSF_S6_NS0_8equal_toIaEEEE10hipError_tPvRmT2_T3_mT4_T5_T6_T7_T8_P12ihipStream_tbENKUlT_T0_E_clISt17integral_constantIbLb0EESZ_EEDaSU_SV_EUlSU_E_NS1_11comp_targetILNS1_3genE5ELNS1_11target_archE942ELNS1_3gpuE9ELNS1_3repE0EEENS1_30default_config_static_selectorELNS0_4arch9wavefront6targetE1EEEvT1_, .Lfunc_end236-_ZN7rocprim17ROCPRIM_400000_NS6detail17trampoline_kernelINS0_14default_configENS1_33run_length_encode_config_selectorIajNS0_4plusIjEEEEZZNS1_33reduce_by_key_impl_wrapped_configILNS1_25lookback_scan_determinismE0ES3_S7_PKaNS0_17constant_iteratorIjlEEPaPlSF_S6_NS0_8equal_toIaEEEE10hipError_tPvRmT2_T3_mT4_T5_T6_T7_T8_P12ihipStream_tbENKUlT_T0_E_clISt17integral_constantIbLb0EESZ_EEDaSU_SV_EUlSU_E_NS1_11comp_targetILNS1_3genE5ELNS1_11target_archE942ELNS1_3gpuE9ELNS1_3repE0EEENS1_30default_config_static_selectorELNS0_4arch9wavefront6targetE1EEEvT1_
                                        ; -- End function
	.section	.AMDGPU.csdata,"",@progbits
; Kernel info:
; codeLenInByte = 0
; NumSgprs: 4
; NumVgprs: 0
; NumAgprs: 0
; TotalNumVgprs: 0
; ScratchSize: 0
; MemoryBound: 0
; FloatMode: 240
; IeeeMode: 1
; LDSByteSize: 0 bytes/workgroup (compile time only)
; SGPRBlocks: 0
; VGPRBlocks: 0
; NumSGPRsForWavesPerEU: 4
; NumVGPRsForWavesPerEU: 1
; AccumOffset: 4
; Occupancy: 8
; WaveLimiterHint : 0
; COMPUTE_PGM_RSRC2:SCRATCH_EN: 0
; COMPUTE_PGM_RSRC2:USER_SGPR: 6
; COMPUTE_PGM_RSRC2:TRAP_HANDLER: 0
; COMPUTE_PGM_RSRC2:TGID_X_EN: 1
; COMPUTE_PGM_RSRC2:TGID_Y_EN: 0
; COMPUTE_PGM_RSRC2:TGID_Z_EN: 0
; COMPUTE_PGM_RSRC2:TIDIG_COMP_CNT: 0
; COMPUTE_PGM_RSRC3_GFX90A:ACCUM_OFFSET: 0
; COMPUTE_PGM_RSRC3_GFX90A:TG_SPLIT: 0
	.section	.text._ZN7rocprim17ROCPRIM_400000_NS6detail17trampoline_kernelINS0_14default_configENS1_33run_length_encode_config_selectorIajNS0_4plusIjEEEEZZNS1_33reduce_by_key_impl_wrapped_configILNS1_25lookback_scan_determinismE0ES3_S7_PKaNS0_17constant_iteratorIjlEEPaPlSF_S6_NS0_8equal_toIaEEEE10hipError_tPvRmT2_T3_mT4_T5_T6_T7_T8_P12ihipStream_tbENKUlT_T0_E_clISt17integral_constantIbLb0EESZ_EEDaSU_SV_EUlSU_E_NS1_11comp_targetILNS1_3genE4ELNS1_11target_archE910ELNS1_3gpuE8ELNS1_3repE0EEENS1_30default_config_static_selectorELNS0_4arch9wavefront6targetE1EEEvT1_,"axG",@progbits,_ZN7rocprim17ROCPRIM_400000_NS6detail17trampoline_kernelINS0_14default_configENS1_33run_length_encode_config_selectorIajNS0_4plusIjEEEEZZNS1_33reduce_by_key_impl_wrapped_configILNS1_25lookback_scan_determinismE0ES3_S7_PKaNS0_17constant_iteratorIjlEEPaPlSF_S6_NS0_8equal_toIaEEEE10hipError_tPvRmT2_T3_mT4_T5_T6_T7_T8_P12ihipStream_tbENKUlT_T0_E_clISt17integral_constantIbLb0EESZ_EEDaSU_SV_EUlSU_E_NS1_11comp_targetILNS1_3genE4ELNS1_11target_archE910ELNS1_3gpuE8ELNS1_3repE0EEENS1_30default_config_static_selectorELNS0_4arch9wavefront6targetE1EEEvT1_,comdat
	.protected	_ZN7rocprim17ROCPRIM_400000_NS6detail17trampoline_kernelINS0_14default_configENS1_33run_length_encode_config_selectorIajNS0_4plusIjEEEEZZNS1_33reduce_by_key_impl_wrapped_configILNS1_25lookback_scan_determinismE0ES3_S7_PKaNS0_17constant_iteratorIjlEEPaPlSF_S6_NS0_8equal_toIaEEEE10hipError_tPvRmT2_T3_mT4_T5_T6_T7_T8_P12ihipStream_tbENKUlT_T0_E_clISt17integral_constantIbLb0EESZ_EEDaSU_SV_EUlSU_E_NS1_11comp_targetILNS1_3genE4ELNS1_11target_archE910ELNS1_3gpuE8ELNS1_3repE0EEENS1_30default_config_static_selectorELNS0_4arch9wavefront6targetE1EEEvT1_ ; -- Begin function _ZN7rocprim17ROCPRIM_400000_NS6detail17trampoline_kernelINS0_14default_configENS1_33run_length_encode_config_selectorIajNS0_4plusIjEEEEZZNS1_33reduce_by_key_impl_wrapped_configILNS1_25lookback_scan_determinismE0ES3_S7_PKaNS0_17constant_iteratorIjlEEPaPlSF_S6_NS0_8equal_toIaEEEE10hipError_tPvRmT2_T3_mT4_T5_T6_T7_T8_P12ihipStream_tbENKUlT_T0_E_clISt17integral_constantIbLb0EESZ_EEDaSU_SV_EUlSU_E_NS1_11comp_targetILNS1_3genE4ELNS1_11target_archE910ELNS1_3gpuE8ELNS1_3repE0EEENS1_30default_config_static_selectorELNS0_4arch9wavefront6targetE1EEEvT1_
	.globl	_ZN7rocprim17ROCPRIM_400000_NS6detail17trampoline_kernelINS0_14default_configENS1_33run_length_encode_config_selectorIajNS0_4plusIjEEEEZZNS1_33reduce_by_key_impl_wrapped_configILNS1_25lookback_scan_determinismE0ES3_S7_PKaNS0_17constant_iteratorIjlEEPaPlSF_S6_NS0_8equal_toIaEEEE10hipError_tPvRmT2_T3_mT4_T5_T6_T7_T8_P12ihipStream_tbENKUlT_T0_E_clISt17integral_constantIbLb0EESZ_EEDaSU_SV_EUlSU_E_NS1_11comp_targetILNS1_3genE4ELNS1_11target_archE910ELNS1_3gpuE8ELNS1_3repE0EEENS1_30default_config_static_selectorELNS0_4arch9wavefront6targetE1EEEvT1_
	.p2align	8
	.type	_ZN7rocprim17ROCPRIM_400000_NS6detail17trampoline_kernelINS0_14default_configENS1_33run_length_encode_config_selectorIajNS0_4plusIjEEEEZZNS1_33reduce_by_key_impl_wrapped_configILNS1_25lookback_scan_determinismE0ES3_S7_PKaNS0_17constant_iteratorIjlEEPaPlSF_S6_NS0_8equal_toIaEEEE10hipError_tPvRmT2_T3_mT4_T5_T6_T7_T8_P12ihipStream_tbENKUlT_T0_E_clISt17integral_constantIbLb0EESZ_EEDaSU_SV_EUlSU_E_NS1_11comp_targetILNS1_3genE4ELNS1_11target_archE910ELNS1_3gpuE8ELNS1_3repE0EEENS1_30default_config_static_selectorELNS0_4arch9wavefront6targetE1EEEvT1_,@function
_ZN7rocprim17ROCPRIM_400000_NS6detail17trampoline_kernelINS0_14default_configENS1_33run_length_encode_config_selectorIajNS0_4plusIjEEEEZZNS1_33reduce_by_key_impl_wrapped_configILNS1_25lookback_scan_determinismE0ES3_S7_PKaNS0_17constant_iteratorIjlEEPaPlSF_S6_NS0_8equal_toIaEEEE10hipError_tPvRmT2_T3_mT4_T5_T6_T7_T8_P12ihipStream_tbENKUlT_T0_E_clISt17integral_constantIbLb0EESZ_EEDaSU_SV_EUlSU_E_NS1_11comp_targetILNS1_3genE4ELNS1_11target_archE910ELNS1_3gpuE8ELNS1_3repE0EEENS1_30default_config_static_selectorELNS0_4arch9wavefront6targetE1EEEvT1_: ; @_ZN7rocprim17ROCPRIM_400000_NS6detail17trampoline_kernelINS0_14default_configENS1_33run_length_encode_config_selectorIajNS0_4plusIjEEEEZZNS1_33reduce_by_key_impl_wrapped_configILNS1_25lookback_scan_determinismE0ES3_S7_PKaNS0_17constant_iteratorIjlEEPaPlSF_S6_NS0_8equal_toIaEEEE10hipError_tPvRmT2_T3_mT4_T5_T6_T7_T8_P12ihipStream_tbENKUlT_T0_E_clISt17integral_constantIbLb0EESZ_EEDaSU_SV_EUlSU_E_NS1_11comp_targetILNS1_3genE4ELNS1_11target_archE910ELNS1_3gpuE8ELNS1_3repE0EEENS1_30default_config_static_selectorELNS0_4arch9wavefront6targetE1EEEvT1_
; %bb.0:
	s_load_dwordx8 s[36:43], s[4:5], 0x40
	s_load_dwordx4 s[0:3], s[4:5], 0x0
	s_load_dword s7, s[4:5], 0x10
	s_load_dwordx4 s[44:47], s[4:5], 0x60
	s_mov_b64 s[12:13], -1
	s_waitcnt lgkmcnt(0)
	s_mul_i32 s8, s40, s39
	s_mul_hi_u32 s9, s40, s38
	s_add_i32 s8, s9, s8
	s_mul_i32 s9, s41, s38
	s_add_i32 s8, s8, s9
	s_add_u32 s0, s0, s2
	s_addc_u32 s1, s1, s3
	s_mul_i32 s2, s6, 0xf00
	s_add_u32 s2, s0, s2
	s_mul_i32 s9, s40, s38
	s_addc_u32 s3, s1, 0
	s_add_u32 s0, s9, s6
	s_addc_u32 s1, s8, 0
	s_add_u32 s8, s42, -1
	s_addc_u32 s9, s43, -1
	s_cmp_eq_u64 s[0:1], s[8:9]
	s_cselect_b64 s[34:35], -1, 0
	s_cmp_lg_u64 s[0:1], s[8:9]
	s_cselect_b64 s[10:11], -1, 0
	s_mul_i32 s33, s8, 0xfffff100
	s_and_b64 vcc, exec, s[34:35]
	v_mad_u32_u24 v2, v0, 14, v0
	s_cbranch_vccnz .LBB237_2
; %bb.1:
	global_load_ubyte v1, v0, s[2:3]
	global_load_ubyte v3, v0, s[2:3] offset:256
	global_load_ubyte v4, v0, s[2:3] offset:512
	;; [unrolled: 1-line block ×14, first 2 shown]
	s_mov_b64 s[8:9], -1
	s_waitcnt vmcnt(14)
	ds_write_b8 v0, v1
	s_waitcnt vmcnt(13)
	ds_write_b8 v0, v3 offset:256
	s_waitcnt vmcnt(12)
	ds_write_b8 v0, v4 offset:512
	;; [unrolled: 2-line block ×14, first 2 shown]
	s_waitcnt lgkmcnt(0)
	s_barrier
	ds_read_b96 v[8:10], v2
	ds_read_u8 v55, v2 offset:12
	ds_read_u8 v11, v2 offset:13
	;; [unrolled: 1-line block ×3, first 2 shown]
	s_waitcnt lgkmcnt(3)
	v_lshrrev_b32_e32 v67, 8, v8
	v_lshrrev_b32_e32 v65, 16, v8
	;; [unrolled: 1-line block ×9, first 2 shown]
	s_add_i32 s33, s33, s44
	s_cbranch_execz .LBB237_3
	s_branch .LBB237_34
.LBB237_2:
	s_mov_b64 s[8:9], 0
                                        ; implicit-def: $vgpr8
                                        ; implicit-def: $vgpr67
                                        ; implicit-def: $vgpr65
                                        ; implicit-def: $vgpr63
                                        ; implicit-def: $vgpr61
                                        ; implicit-def: $vgpr60
                                        ; implicit-def: $vgpr59
                                        ; implicit-def: $vgpr58
                                        ; implicit-def: $vgpr57
                                        ; implicit-def: $vgpr56
                                        ; implicit-def: $vgpr55
                                        ; implicit-def: $vgpr11
                                        ; implicit-def: $vgpr1
	s_add_i32 s33, s33, s44
	s_andn2_b64 vcc, exec, s[12:13]
	s_cbranch_vccnz .LBB237_34
.LBB237_3:
	v_cmp_gt_u32_e32 vcc, s33, v0
                                        ; implicit-def: $vgpr1
	s_and_saveexec_b64 s[8:9], vcc
	s_cbranch_execz .LBB237_5
; %bb.4:
	s_waitcnt lgkmcnt(0)
	global_load_ubyte v1, v0, s[2:3]
.LBB237_5:
	s_or_b64 exec, exec, s[8:9]
	v_or_b32_e32 v3, 0x100, v0
	v_cmp_gt_u32_e32 vcc, s33, v3
                                        ; implicit-def: $vgpr3
	s_and_saveexec_b64 s[8:9], vcc
	s_cbranch_execz .LBB237_7
; %bb.6:
	global_load_ubyte v3, v0, s[2:3] offset:256
.LBB237_7:
	s_or_b64 exec, exec, s[8:9]
	v_or_b32_e32 v4, 0x200, v0
	v_cmp_gt_u32_e32 vcc, s33, v4
                                        ; implicit-def: $vgpr4
	s_and_saveexec_b64 s[8:9], vcc
	s_cbranch_execz .LBB237_9
; %bb.8:
	global_load_ubyte v4, v0, s[2:3] offset:512
.LBB237_9:
	s_or_b64 exec, exec, s[8:9]
	v_or_b32_e32 v5, 0x300, v0
	v_cmp_gt_u32_e32 vcc, s33, v5
                                        ; implicit-def: $vgpr5
	s_and_saveexec_b64 s[8:9], vcc
	s_cbranch_execz .LBB237_11
; %bb.10:
	global_load_ubyte v5, v0, s[2:3] offset:768
.LBB237_11:
	s_or_b64 exec, exec, s[8:9]
	v_or_b32_e32 v6, 0x400, v0
	v_cmp_gt_u32_e32 vcc, s33, v6
                                        ; implicit-def: $vgpr6
	s_and_saveexec_b64 s[8:9], vcc
	s_cbranch_execz .LBB237_13
; %bb.12:
	global_load_ubyte v6, v0, s[2:3] offset:1024
.LBB237_13:
	s_or_b64 exec, exec, s[8:9]
	v_or_b32_e32 v7, 0x500, v0
	v_cmp_gt_u32_e32 vcc, s33, v7
                                        ; implicit-def: $vgpr7
	s_and_saveexec_b64 s[8:9], vcc
	s_cbranch_execz .LBB237_15
; %bb.14:
	global_load_ubyte v7, v0, s[2:3] offset:1280
.LBB237_15:
	s_or_b64 exec, exec, s[8:9]
	v_or_b32_e32 v8, 0x600, v0
	v_cmp_gt_u32_e32 vcc, s33, v8
                                        ; implicit-def: $vgpr8
	s_and_saveexec_b64 s[8:9], vcc
	s_cbranch_execz .LBB237_17
; %bb.16:
	global_load_ubyte v8, v0, s[2:3] offset:1536
.LBB237_17:
	s_or_b64 exec, exec, s[8:9]
	v_or_b32_e32 v9, 0x700, v0
	v_cmp_gt_u32_e32 vcc, s33, v9
                                        ; implicit-def: $vgpr9
	s_and_saveexec_b64 s[8:9], vcc
	s_cbranch_execz .LBB237_19
; %bb.18:
	global_load_ubyte v9, v0, s[2:3] offset:1792
.LBB237_19:
	s_or_b64 exec, exec, s[8:9]
	v_or_b32_e32 v10, 0x800, v0
	v_cmp_gt_u32_e32 vcc, s33, v10
                                        ; implicit-def: $vgpr10
	s_and_saveexec_b64 s[8:9], vcc
	s_cbranch_execz .LBB237_21
; %bb.20:
	global_load_ubyte v10, v0, s[2:3] offset:2048
.LBB237_21:
	s_or_b64 exec, exec, s[8:9]
	s_waitcnt lgkmcnt(1)
	v_or_b32_e32 v11, 0x900, v0
	v_cmp_gt_u32_e32 vcc, s33, v11
                                        ; implicit-def: $vgpr11
	s_and_saveexec_b64 s[8:9], vcc
	s_cbranch_execz .LBB237_23
; %bb.22:
	global_load_ubyte v11, v0, s[2:3] offset:2304
.LBB237_23:
	s_or_b64 exec, exec, s[8:9]
	v_or_b32_e32 v12, 0xa00, v0
	v_cmp_gt_u32_e32 vcc, s33, v12
                                        ; implicit-def: $vgpr12
	s_and_saveexec_b64 s[8:9], vcc
	s_cbranch_execz .LBB237_25
; %bb.24:
	global_load_ubyte v12, v0, s[2:3] offset:2560
.LBB237_25:
	s_or_b64 exec, exec, s[8:9]
	v_or_b32_e32 v13, 0xb00, v0
	v_cmp_gt_u32_e32 vcc, s33, v13
                                        ; implicit-def: $vgpr13
	s_and_saveexec_b64 s[8:9], vcc
	s_cbranch_execz .LBB237_27
; %bb.26:
	global_load_ubyte v13, v0, s[2:3] offset:2816
.LBB237_27:
	s_or_b64 exec, exec, s[8:9]
	v_or_b32_e32 v14, 0xc00, v0
	v_cmp_gt_u32_e32 vcc, s33, v14
                                        ; implicit-def: $vgpr14
	s_and_saveexec_b64 s[8:9], vcc
	s_cbranch_execz .LBB237_29
; %bb.28:
	global_load_ubyte v14, v0, s[2:3] offset:3072
.LBB237_29:
	s_or_b64 exec, exec, s[8:9]
	v_or_b32_e32 v15, 0xd00, v0
	v_cmp_gt_u32_e32 vcc, s33, v15
                                        ; implicit-def: $vgpr15
	s_and_saveexec_b64 s[8:9], vcc
	s_cbranch_execz .LBB237_31
; %bb.30:
	global_load_ubyte v15, v0, s[2:3] offset:3328
.LBB237_31:
	s_or_b64 exec, exec, s[8:9]
	v_or_b32_e32 v16, 0xe00, v0
	v_cmp_gt_u32_e32 vcc, s33, v16
                                        ; implicit-def: $vgpr16
	s_and_saveexec_b64 s[8:9], vcc
	s_cbranch_execz .LBB237_33
; %bb.32:
	global_load_ubyte v16, v0, s[2:3] offset:3584
.LBB237_33:
	s_or_b64 exec, exec, s[8:9]
	s_waitcnt vmcnt(0) lgkmcnt(0)
	ds_write_b8 v0, v1
	ds_write_b8 v0, v3 offset:256
	ds_write_b8 v0, v4 offset:512
	;; [unrolled: 1-line block ×14, first 2 shown]
	s_waitcnt lgkmcnt(0)
	s_barrier
	ds_read_b96 v[8:10], v2
	ds_read_u8 v55, v2 offset:12
	ds_read_u8 v11, v2 offset:13
	;; [unrolled: 1-line block ×3, first 2 shown]
	v_mad_u32_u24 v2, v0, 15, 14
	s_waitcnt lgkmcnt(3)
	v_lshrrev_b32_e32 v67, 8, v8
	v_lshrrev_b32_e32 v65, 16, v8
	v_lshrrev_b32_e32 v63, 24, v8
	v_lshrrev_b32_e32 v61, 8, v9
	v_lshrrev_b32_e32 v60, 16, v9
	v_lshrrev_b32_e32 v59, 24, v9
	v_lshrrev_b32_e32 v58, 8, v10
	v_lshrrev_b32_e32 v57, 16, v10
	v_lshrrev_b32_e32 v56, 24, v10
	v_cmp_gt_u32_e64 s[8:9], s33, v2
.LBB237_34:
	v_mov_b32_e32 v52, s7
                                        ; implicit-def: $vgpr53
	s_and_saveexec_b64 s[12:13], s[8:9]
; %bb.35:
	v_mov_b32_e32 v53, s7
; %bb.36:
	s_or_b64 exec, exec, s[12:13]
	s_load_dwordx2 s[50:51], s[4:5], 0x70
	s_cmp_eq_u64 s[0:1], 0
	s_cselect_b64 s[48:49], -1, 0
	s_cmp_lg_u64 s[0:1], 0
	s_mov_b64 s[8:9], 0
	s_cselect_b64 s[12:13], -1, 0
	s_and_b64 vcc, exec, s[10:11]
	s_waitcnt lgkmcnt(0)
	s_barrier
	s_cbranch_vccz .LBB237_42
; %bb.37:
	s_and_b64 vcc, exec, s[12:13]
	s_cbranch_vccz .LBB237_43
; %bb.38:
	v_mov_b32_e32 v2, 0
	global_load_ubyte v2, v2, s[2:3] offset:-1
	v_cmp_ne_u16_sdwa s[8:9], v11, v1 src0_sel:BYTE_0 src1_sel:BYTE_0
	v_cmp_ne_u16_sdwa s[10:11], v55, v11 src0_sel:BYTE_0 src1_sel:BYTE_0
	v_cmp_ne_u16_sdwa s[14:15], v56, v55 src0_sel:BYTE_0 src1_sel:BYTE_0
	v_cmp_ne_u16_sdwa s[16:17], v57, v56 src0_sel:BYTE_0 src1_sel:BYTE_0
	v_cmp_ne_u16_sdwa s[18:19], v58, v57 src0_sel:BYTE_0 src1_sel:BYTE_0
	v_cmp_ne_u16_sdwa s[20:21], v10, v58 src0_sel:BYTE_0 src1_sel:BYTE_0
	v_cmp_ne_u16_sdwa s[22:23], v59, v10 src0_sel:BYTE_0 src1_sel:BYTE_0
	v_cmp_ne_u16_sdwa s[24:25], v60, v59 src0_sel:BYTE_0 src1_sel:BYTE_0
	v_cmp_ne_u16_sdwa s[26:27], v61, v60 src0_sel:BYTE_0 src1_sel:BYTE_0
	v_cmp_ne_u16_sdwa s[28:29], v9, v61 src0_sel:BYTE_0 src1_sel:BYTE_0
	v_cmp_ne_u16_sdwa s[30:31], v63, v9 src0_sel:BYTE_0 src1_sel:BYTE_0
	v_cmp_ne_u16_sdwa s[40:41], v65, v63 src0_sel:BYTE_0 src1_sel:BYTE_0
	v_cmp_ne_u16_sdwa s[42:43], v67, v65 src0_sel:BYTE_0 src1_sel:BYTE_0
	v_cmp_ne_u16_sdwa s[52:53], v8, v67 src0_sel:BYTE_0 src1_sel:BYTE_0
	v_cmp_ne_u32_e32 vcc, 0, v0
	ds_write_b8 v0, v1
	s_waitcnt lgkmcnt(0)
	s_barrier
	s_and_saveexec_b64 s[54:55], vcc
	s_cbranch_execz .LBB237_40
; %bb.39:
	s_waitcnt vmcnt(0)
	v_add_u32_e32 v2, -1, v0
	ds_read_u8 v2, v2
.LBB237_40:
	s_or_b64 exec, exec, s[54:55]
	s_waitcnt vmcnt(0) lgkmcnt(0)
	v_and_b32_e32 v2, 0xff, v2
	v_cndmask_b32_e64 v62, 0, 1, s[8:9]
	v_cndmask_b32_e64 v64, 0, 1, s[10:11]
	;; [unrolled: 1-line block ×14, first 2 shown]
	v_cmp_ne_u16_sdwa s[10:11], v2, v8 src0_sel:DWORD src1_sel:BYTE_0
	s_mov_b64 s[8:9], -1
.LBB237_41:
                                        ; implicit-def: $sgpr7
	s_branch .LBB237_55
.LBB237_42:
                                        ; implicit-def: $sgpr10_sgpr11
                                        ; implicit-def: $vgpr62
                                        ; implicit-def: $vgpr64
                                        ; implicit-def: $vgpr66
                                        ; implicit-def: $vgpr68
                                        ; implicit-def: $vgpr69
                                        ; implicit-def: $vgpr70
                                        ; implicit-def: $vgpr71
                                        ; implicit-def: $vgpr21
                                        ; implicit-def: $vgpr72
                                        ; implicit-def: $vgpr73
                                        ; implicit-def: $vgpr74
                                        ; implicit-def: $vgpr75
                                        ; implicit-def: $vgpr76
                                        ; implicit-def: $vgpr77
                                        ; implicit-def: $sgpr7
	s_cbranch_execnz .LBB237_47
	s_branch .LBB237_55
.LBB237_43:
                                        ; implicit-def: $sgpr10_sgpr11
                                        ; implicit-def: $vgpr62
                                        ; implicit-def: $vgpr64
                                        ; implicit-def: $vgpr66
                                        ; implicit-def: $vgpr68
                                        ; implicit-def: $vgpr69
                                        ; implicit-def: $vgpr70
                                        ; implicit-def: $vgpr71
                                        ; implicit-def: $vgpr21
                                        ; implicit-def: $vgpr72
                                        ; implicit-def: $vgpr73
                                        ; implicit-def: $vgpr74
                                        ; implicit-def: $vgpr75
                                        ; implicit-def: $vgpr76
                                        ; implicit-def: $vgpr77
	s_cbranch_execz .LBB237_41
; %bb.44:
	v_cmp_ne_u16_sdwa s[10:11], v11, v1 src0_sel:BYTE_0 src1_sel:BYTE_0
	v_cndmask_b32_e64 v62, 0, 1, s[10:11]
	v_cmp_ne_u16_sdwa s[10:11], v55, v11 src0_sel:BYTE_0 src1_sel:BYTE_0
	v_cndmask_b32_e64 v64, 0, 1, s[10:11]
	;; [unrolled: 2-line block ×14, first 2 shown]
	v_cmp_ne_u32_e32 vcc, 0, v0
	ds_write_b8 v0, v1
	s_waitcnt lgkmcnt(0)
	s_barrier
	s_waitcnt lgkmcnt(0)
                                        ; implicit-def: $sgpr10_sgpr11
	s_and_saveexec_b64 s[14:15], vcc
	s_xor_b64 s[14:15], exec, s[14:15]
	s_cbranch_execz .LBB237_46
; %bb.45:
	v_add_u32_e32 v2, -1, v0
	ds_read_u8 v2, v2
	s_or_b64 s[8:9], s[8:9], exec
	s_waitcnt lgkmcnt(0)
	v_cmp_ne_u16_sdwa s[10:11], v2, v8 src0_sel:DWORD src1_sel:BYTE_0
	s_and_b64 s[10:11], s[10:11], exec
.LBB237_46:
	s_or_b64 exec, exec, s[14:15]
	s_mov_b32 s7, 1
	s_branch .LBB237_55
.LBB237_47:
	s_mul_hi_u32 s7, s0, 0xfffff100
	s_mulk_i32 s1, 0xf100
	s_sub_i32 s7, s7, s0
	s_add_i32 s7, s7, s1
	s_mulk_i32 s0, 0xf100
	s_add_u32 s14, s0, s44
	s_addc_u32 s15, s7, s45
	s_and_b64 vcc, exec, s[12:13]
	v_mad_u32_u24 v2, v0, 15, 14
	v_cmp_ne_u16_sdwa s[52:53], v11, v1 src0_sel:BYTE_0 src1_sel:BYTE_0
	v_mad_u32_u24 v32, v0, 15, 13
	v_cmp_ne_u16_sdwa s[44:45], v55, v11 src0_sel:BYTE_0 src1_sel:BYTE_0
	;; [unrolled: 2-line block ×14, first 2 shown]
	v_cmp_ne_u32_e64 s[0:1], 0, v0
	s_cbranch_vccz .LBB237_52
; %bb.48:
	v_mov_b32_e32 v3, 0
	global_load_ubyte v36, v3, s[2:3] offset:-1
	v_cmp_gt_u64_e32 vcc, s[14:15], v[2:3]
	v_mov_b32_e32 v33, v3
	s_and_b64 s[2:3], vcc, s[52:53]
	v_cmp_gt_u64_e32 vcc, s[14:15], v[32:33]
	v_mov_b32_e32 v31, v3
	s_and_b64 s[8:9], vcc, s[44:45]
	;; [unrolled: 3-line block ×13, first 2 shown]
	v_cmp_gt_u64_e32 vcc, s[14:15], v[4:5]
	v_mul_u32_u24_e32 v34, 15, v0
	s_and_b64 s[12:13], vcc, s[12:13]
	ds_write_b8 v0, v1
	s_waitcnt lgkmcnt(0)
	s_barrier
	s_and_saveexec_b64 s[44:45], s[0:1]
	s_cbranch_execz .LBB237_50
; %bb.49:
	v_add_u32_e32 v5, -1, v0
	s_waitcnt vmcnt(0)
	ds_read_u8 v36, v5
.LBB237_50:
	s_or_b64 exec, exec, s[44:45]
	v_mov_b32_e32 v35, v3
	s_waitcnt vmcnt(0) lgkmcnt(0)
	v_and_b32_e32 v3, 0xff, v36
	v_cmp_gt_u64_e32 vcc, s[14:15], v[34:35]
	v_cmp_ne_u16_sdwa s[0:1], v3, v8 src0_sel:DWORD src1_sel:BYTE_0
	v_cndmask_b32_e64 v62, 0, 1, s[2:3]
	v_cndmask_b32_e64 v64, 0, 1, s[8:9]
	;; [unrolled: 1-line block ×14, first 2 shown]
	s_and_b64 s[10:11], vcc, s[0:1]
	s_mov_b64 s[8:9], -1
.LBB237_51:
                                        ; implicit-def: $sgpr7
	v_mov_b32_e32 v78, s7
	s_and_saveexec_b64 s[0:1], s[8:9]
	s_cbranch_execnz .LBB237_56
	s_branch .LBB237_57
.LBB237_52:
                                        ; implicit-def: $sgpr10_sgpr11
                                        ; implicit-def: $vgpr62
                                        ; implicit-def: $vgpr64
                                        ; implicit-def: $vgpr66
                                        ; implicit-def: $vgpr68
                                        ; implicit-def: $vgpr69
                                        ; implicit-def: $vgpr70
                                        ; implicit-def: $vgpr71
                                        ; implicit-def: $vgpr21
                                        ; implicit-def: $vgpr72
                                        ; implicit-def: $vgpr73
                                        ; implicit-def: $vgpr74
                                        ; implicit-def: $vgpr75
                                        ; implicit-def: $vgpr76
                                        ; implicit-def: $vgpr77
	s_cbranch_execz .LBB237_51
; %bb.53:
	v_mov_b32_e32 v3, 0
	v_cmp_gt_u64_e32 vcc, s[14:15], v[2:3]
	v_cmp_ne_u16_sdwa s[0:1], v11, v1 src0_sel:BYTE_0 src1_sel:BYTE_0
	s_and_b64 s[0:1], vcc, s[0:1]
	v_mov_b32_e32 v33, v3
	v_cndmask_b32_e64 v62, 0, 1, s[0:1]
	v_cmp_gt_u64_e32 vcc, s[14:15], v[32:33]
	v_cmp_ne_u16_sdwa s[0:1], v55, v11 src0_sel:BYTE_0 src1_sel:BYTE_0
	s_and_b64 s[0:1], vcc, s[0:1]
	v_mov_b32_e32 v31, v3
	v_cndmask_b32_e64 v64, 0, 1, s[0:1]
	;; [unrolled: 5-line block ×13, first 2 shown]
	v_cmp_gt_u64_e32 vcc, s[14:15], v[4:5]
	v_cmp_ne_u16_sdwa s[0:1], v8, v67 src0_sel:BYTE_0 src1_sel:BYTE_0
	s_and_b64 s[0:1], vcc, s[0:1]
	s_mov_b32 s7, 1
	v_cndmask_b32_e64 v77, 0, 1, s[0:1]
	v_cmp_ne_u32_e32 vcc, 0, v0
	ds_write_b8 v0, v1
	s_waitcnt lgkmcnt(0)
	s_barrier
	s_waitcnt lgkmcnt(0)
                                        ; implicit-def: $sgpr10_sgpr11
	s_and_saveexec_b64 s[0:1], vcc
	s_cbranch_execz .LBB237_147
; %bb.54:
	v_add_u32_e32 v2, -1, v0
	ds_read_u8 v4, v2
	v_mul_u32_u24_e32 v2, 15, v0
	v_cmp_gt_u64_e32 vcc, s[14:15], v[2:3]
	s_or_b64 s[8:9], s[8:9], exec
	s_waitcnt lgkmcnt(0)
	v_and_b32_e32 v2, 0xff, v4
	v_cmp_ne_u16_sdwa s[2:3], v2, v8 src0_sel:DWORD src1_sel:BYTE_0
	s_and_b64 s[2:3], vcc, s[2:3]
	s_and_b64 s[10:11], s[2:3], exec
	s_or_b64 exec, exec, s[0:1]
.LBB237_55:
	v_mov_b32_e32 v78, s7
	s_and_saveexec_b64 s[0:1], s[8:9]
.LBB237_56:
	v_cndmask_b32_e64 v78, 0, 1, s[10:11]
.LBB237_57:
	s_or_b64 exec, exec, s[0:1]
	s_load_dwordx4 s[40:43], s[4:5], 0x20
	s_load_dwordx2 s[44:45], s[4:5], 0x30
	s_cmp_eq_u64 s[38:39], 0
	v_add3_u32 v2, v77, v78, v76
	s_cselect_b64 s[38:39], -1, 0
	s_cmp_lg_u32 s6, 0
	v_cmp_eq_u32_e64 s[24:25], 0, v77
	v_cmp_eq_u32_e64 s[22:23], 0, v76
	;; [unrolled: 1-line block ×3, first 2 shown]
	v_add3_u32 v81, v2, v75, v74
	v_cmp_eq_u32_e64 s[18:19], 0, v74
	v_cmp_eq_u32_e64 s[16:17], 0, v73
	;; [unrolled: 1-line block ×10, first 2 shown]
	v_cmp_eq_u32_e32 vcc, 0, v62
	v_mbcnt_lo_u32_b32 v80, -1, 0
	v_lshrrev_b32_e32 v54, 6, v0
	v_or_b32_e32 v79, 63, v0
	s_cbranch_scc0 .LBB237_84
; %bb.58:
	v_cndmask_b32_e64 v2, 0, v52, s[24:25]
	v_add_u32_e32 v2, v2, v52
	v_cndmask_b32_e64 v2, 0, v2, s[22:23]
	v_add_u32_e32 v2, v2, v52
	;; [unrolled: 2-line block ×11, first 2 shown]
	v_cndmask_b32_e64 v2, 0, v2, s[2:3]
	v_add3_u32 v3, v81, v73, v72
	v_add_u32_e32 v2, v2, v52
	v_add3_u32 v3, v3, v21, v71
	v_cndmask_b32_e64 v2, 0, v2, s[0:1]
	v_add3_u32 v3, v3, v70, v69
	v_add_u32_e32 v2, v2, v52
	v_add3_u32 v3, v3, v68, v66
	v_cndmask_b32_e32 v2, 0, v2, vcc
	v_add3_u32 v3, v3, v64, v62
	v_add_u32_e32 v2, v2, v53
	v_mbcnt_hi_u32_b32 v15, -1, v80
	v_and_b32_e32 v4, 15, v15
	v_mov_b32_dpp v6, v2 row_shr:1 row_mask:0xf bank_mask:0xf
	v_cmp_eq_u32_e32 vcc, 0, v3
	v_mov_b32_dpp v5, v3 row_shr:1 row_mask:0xf bank_mask:0xf
	v_cndmask_b32_e32 v6, 0, v6, vcc
	v_cmp_eq_u32_e32 vcc, 0, v4
	v_cndmask_b32_e64 v5, v5, 0, vcc
	v_add_u32_e32 v3, v5, v3
	v_cndmask_b32_e64 v5, v6, 0, vcc
	v_add_u32_e32 v2, v5, v2
	v_cmp_eq_u32_e32 vcc, 0, v3
	v_mov_b32_dpp v5, v3 row_shr:2 row_mask:0xf bank_mask:0xf
	v_cmp_lt_u32_e64 s[26:27], 1, v4
	v_mov_b32_dpp v6, v2 row_shr:2 row_mask:0xf bank_mask:0xf
	v_cndmask_b32_e64 v5, 0, v5, s[26:27]
	s_and_b64 vcc, s[26:27], vcc
	v_cndmask_b32_e32 v6, 0, v6, vcc
	v_add_u32_e32 v3, v3, v5
	v_add_u32_e32 v2, v6, v2
	v_cmp_eq_u32_e32 vcc, 0, v3
	v_mov_b32_dpp v5, v3 row_shr:4 row_mask:0xf bank_mask:0xf
	v_cmp_lt_u32_e64 s[26:27], 3, v4
	v_mov_b32_dpp v6, v2 row_shr:4 row_mask:0xf bank_mask:0xf
	v_cndmask_b32_e64 v5, 0, v5, s[26:27]
	s_and_b64 vcc, s[26:27], vcc
	v_cndmask_b32_e32 v6, 0, v6, vcc
	v_add_u32_e32 v3, v5, v3
	v_add_u32_e32 v2, v2, v6
	v_cmp_eq_u32_e32 vcc, 0, v3
	v_cmp_lt_u32_e64 s[26:27], 7, v4
	v_mov_b32_dpp v5, v3 row_shr:8 row_mask:0xf bank_mask:0xf
	v_mov_b32_dpp v6, v2 row_shr:8 row_mask:0xf bank_mask:0xf
	s_and_b64 vcc, s[26:27], vcc
	v_cndmask_b32_e64 v4, 0, v5, s[26:27]
	v_cndmask_b32_e32 v5, 0, v6, vcc
	v_add_u32_e32 v2, v5, v2
	v_add_u32_e32 v3, v4, v3
	v_bfe_i32 v6, v15, 4, 1
	v_mov_b32_dpp v5, v2 row_bcast:15 row_mask:0xf bank_mask:0xf
	v_mov_b32_dpp v4, v3 row_bcast:15 row_mask:0xf bank_mask:0xf
	v_cmp_eq_u32_e32 vcc, 0, v3
	v_cndmask_b32_e32 v5, 0, v5, vcc
	v_and_b32_e32 v4, v6, v4
	v_add_u32_e32 v3, v4, v3
	v_and_b32_e32 v4, v6, v5
	v_add_u32_e32 v4, v4, v2
	v_mov_b32_dpp v2, v3 row_bcast:31 row_mask:0xf bank_mask:0xf
	v_cmp_eq_u32_e32 vcc, 0, v3
	v_cmp_lt_u32_e64 s[26:27], 31, v15
	v_mov_b32_dpp v5, v4 row_bcast:31 row_mask:0xf bank_mask:0xf
	v_cndmask_b32_e64 v2, 0, v2, s[26:27]
	s_and_b64 vcc, s[26:27], vcc
	v_add_u32_e32 v2, v2, v3
	v_cndmask_b32_e32 v3, 0, v5, vcc
	v_add_u32_e32 v3, v3, v4
	v_cmp_eq_u32_e32 vcc, v79, v0
	v_lshlrev_b32_e32 v4, 3, v54
	s_and_saveexec_b64 s[26:27], vcc
	s_cbranch_execz .LBB237_60
; %bb.59:
	ds_write_b64 v4, v[2:3] offset:528
.LBB237_60:
	s_or_b64 exec, exec, s[26:27]
	v_cmp_gt_u32_e32 vcc, 4, v0
	s_waitcnt lgkmcnt(0)
	s_barrier
	s_and_saveexec_b64 s[30:31], vcc
	s_cbranch_execz .LBB237_62
; %bb.61:
	v_lshlrev_b32_e32 v5, 3, v0
	ds_read_b64 v[6:7], v5 offset:528
	v_and_b32_e32 v12, 3, v15
	v_cmp_lt_u32_e64 s[26:27], 1, v12
	s_waitcnt lgkmcnt(0)
	v_mov_b32_dpp v14, v7 row_shr:1 row_mask:0xf bank_mask:0xf
	v_cmp_eq_u32_e32 vcc, 0, v6
	v_mov_b32_dpp v13, v6 row_shr:1 row_mask:0xf bank_mask:0xf
	v_cndmask_b32_e32 v14, 0, v14, vcc
	v_cmp_eq_u32_e32 vcc, 0, v12
	v_cndmask_b32_e64 v13, v13, 0, vcc
	v_add_u32_e32 v6, v13, v6
	v_cndmask_b32_e64 v13, v14, 0, vcc
	v_add_u32_e32 v7, v13, v7
	v_cmp_eq_u32_e32 vcc, 0, v6
	v_mov_b32_dpp v13, v6 row_shr:2 row_mask:0xf bank_mask:0xf
	v_mov_b32_dpp v14, v7 row_shr:2 row_mask:0xf bank_mask:0xf
	v_cndmask_b32_e64 v12, 0, v13, s[26:27]
	s_and_b64 vcc, s[26:27], vcc
	v_add_u32_e32 v6, v12, v6
	v_cndmask_b32_e32 v12, 0, v14, vcc
	v_add_u32_e32 v7, v12, v7
	ds_write_b64 v5, v[6:7] offset:528
.LBB237_62:
	s_or_b64 exec, exec, s[30:31]
	v_cmp_gt_u32_e32 vcc, 64, v0
	v_cmp_lt_u32_e64 s[26:27], 63, v0
	v_mov_b32_e32 v12, 0
	v_mov_b32_e32 v13, 0
	s_waitcnt lgkmcnt(0)
	s_barrier
	s_and_saveexec_b64 s[30:31], s[26:27]
	s_cbranch_execz .LBB237_64
; %bb.63:
	ds_read_b64 v[12:13], v4 offset:520
	v_cmp_eq_u32_e64 s[26:27], 0, v2
	s_waitcnt lgkmcnt(0)
	v_add_u32_e32 v4, v12, v2
	v_cndmask_b32_e64 v2, 0, v13, s[26:27]
	v_add_u32_e32 v3, v2, v3
	v_mov_b32_e32 v2, v4
.LBB237_64:
	s_or_b64 exec, exec, s[30:31]
	v_add_u32_e32 v4, -1, v15
	v_and_b32_e32 v5, 64, v15
	v_cmp_lt_i32_e64 s[26:27], v4, v5
	v_cndmask_b32_e64 v4, v4, v15, s[26:27]
	v_lshlrev_b32_e32 v4, 2, v4
	ds_bpermute_b32 v20, v4, v2
	ds_bpermute_b32 v22, v4, v3
	v_cmp_eq_u32_e64 s[26:27], 0, v15
	s_and_saveexec_b64 s[52:53], vcc
	s_cbranch_execz .LBB237_83
; %bb.65:
	v_mov_b32_e32 v7, 0
	ds_read_b64 v[2:3], v7 offset:552
	s_waitcnt lgkmcnt(0)
	v_readfirstlane_b32 s7, v2
	v_readfirstlane_b32 s56, v3
	s_and_saveexec_b64 s[30:31], s[26:27]
	s_cbranch_execz .LBB237_67
; %bb.66:
	s_add_i32 s54, s6, 64
	s_mov_b32 s55, 0
	s_lshl_b64 s[58:59], s[54:55], 4
	s_add_u32 s58, s36, s58
	s_addc_u32 s59, s37, s59
	s_and_b32 s61, s56, 0xff000000
	s_mov_b32 s60, s55
	s_and_b32 s63, s56, 0xff0000
	s_mov_b32 s62, s55
	s_or_b64 s[60:61], s[62:63], s[60:61]
	s_and_b32 s63, s56, 0xff00
	s_or_b64 s[60:61], s[60:61], s[62:63]
	s_and_b32 s63, s56, 0xff
	s_or_b64 s[54:55], s[60:61], s[62:63]
	v_mov_b32_e32 v4, s7
	v_mov_b32_e32 v5, s55
	v_mov_b32_e32 v6, 1
	v_pk_mov_b32 v[2:3], s[58:59], s[58:59] op_sel:[0,1]
	;;#ASMSTART
	global_store_dwordx4 v[2:3], v[4:7] off	
s_waitcnt vmcnt(0)
	;;#ASMEND
.LBB237_67:
	s_or_b64 exec, exec, s[30:31]
	v_xad_u32 v14, v15, -1, s6
	v_add_u32_e32 v6, 64, v14
	v_lshlrev_b64 v[2:3], 4, v[6:7]
	v_mov_b32_e32 v4, s37
	v_add_co_u32_e32 v16, vcc, s36, v2
	v_addc_co_u32_e32 v17, vcc, v4, v3, vcc
	;;#ASMSTART
	global_load_dwordx4 v[2:5], v[16:17] off glc	
s_waitcnt vmcnt(0)
	;;#ASMEND
	v_and_b32_e32 v5, 0xff, v3
	v_and_b32_e32 v6, 0xff00, v3
	v_or3_b32 v5, 0, v5, v6
	v_or3_b32 v2, v2, 0, 0
	v_and_b32_e32 v6, 0xff000000, v3
	v_and_b32_e32 v3, 0xff0000, v3
	v_or3_b32 v3, v5, v3, v6
	v_or3_b32 v2, v2, 0, 0
	v_cmp_eq_u16_sdwa s[54:55], v4, v7 src0_sel:BYTE_0 src1_sel:DWORD
	s_and_saveexec_b64 s[30:31], s[54:55]
	s_cbranch_execz .LBB237_71
; %bb.68:
	s_mov_b64 s[54:55], 0
	v_mov_b32_e32 v6, 0
.LBB237_69:                             ; =>This Inner Loop Header: Depth=1
	;;#ASMSTART
	global_load_dwordx4 v[2:5], v[16:17] off glc	
s_waitcnt vmcnt(0)
	;;#ASMEND
	v_cmp_ne_u16_sdwa s[58:59], v4, v6 src0_sel:BYTE_0 src1_sel:DWORD
	s_or_b64 s[54:55], s[58:59], s[54:55]
	s_andn2_b64 exec, exec, s[54:55]
	s_cbranch_execnz .LBB237_69
; %bb.70:
	s_or_b64 exec, exec, s[54:55]
.LBB237_71:
	s_or_b64 exec, exec, s[30:31]
	v_mov_b32_e32 v23, 2
	v_cmp_eq_u16_sdwa s[30:31], v4, v23 src0_sel:BYTE_0 src1_sel:DWORD
	v_lshlrev_b64 v[16:17], v15, -1
	v_and_b32_e32 v5, s31, v17
	v_and_b32_e32 v24, 63, v15
	v_or_b32_e32 v5, 0x80000000, v5
	v_cmp_ne_u32_e32 vcc, 63, v24
	v_and_b32_e32 v6, s30, v16
	v_ffbl_b32_e32 v5, v5
	v_addc_co_u32_e32 v7, vcc, 0, v15, vcc
	v_add_u32_e32 v5, 32, v5
	v_ffbl_b32_e32 v6, v6
	v_lshlrev_b32_e32 v25, 2, v7
	v_min_u32_e32 v5, v6, v5
	ds_bpermute_b32 v6, v25, v3
	v_cmp_eq_u32_e32 vcc, 0, v2
	v_cmp_lt_u32_e64 s[30:31], v24, v5
	ds_bpermute_b32 v7, v25, v2
	s_and_b64 vcc, s[30:31], vcc
	s_waitcnt lgkmcnt(1)
	v_cndmask_b32_e32 v6, 0, v6, vcc
	v_cmp_gt_u32_e32 vcc, 62, v24
	v_add_u32_e32 v3, v6, v3
	v_cndmask_b32_e64 v6, 0, 1, vcc
	v_lshlrev_b32_e32 v6, 1, v6
	v_add_lshl_u32 v26, v6, v15, 2
	s_waitcnt lgkmcnt(0)
	v_cndmask_b32_e64 v7, 0, v7, s[30:31]
	ds_bpermute_b32 v6, v26, v3
	v_add_u32_e32 v2, v7, v2
	ds_bpermute_b32 v7, v26, v2
	v_add_u32_e32 v27, 2, v24
	v_cmp_eq_u32_e32 vcc, 0, v2
	s_waitcnt lgkmcnt(1)
	v_cndmask_b32_e32 v6, 0, v6, vcc
	v_cmp_gt_u32_e32 vcc, v27, v5
	v_cndmask_b32_e64 v6, v6, 0, vcc
	v_add_u32_e32 v3, v6, v3
	s_waitcnt lgkmcnt(0)
	v_cndmask_b32_e64 v6, v7, 0, vcc
	v_cmp_gt_u32_e32 vcc, 60, v24
	v_cndmask_b32_e64 v7, 0, 1, vcc
	v_lshlrev_b32_e32 v7, 2, v7
	v_add_lshl_u32 v28, v7, v15, 2
	ds_bpermute_b32 v7, v28, v3
	v_add_u32_e32 v2, v2, v6
	ds_bpermute_b32 v6, v28, v2
	v_add_u32_e32 v29, 4, v24
	v_cmp_eq_u32_e32 vcc, 0, v2
	s_waitcnt lgkmcnt(1)
	v_cndmask_b32_e32 v7, 0, v7, vcc
	v_cmp_gt_u32_e32 vcc, v29, v5
	v_cndmask_b32_e64 v7, v7, 0, vcc
	s_waitcnt lgkmcnt(0)
	v_cndmask_b32_e64 v6, v6, 0, vcc
	v_cmp_gt_u32_e32 vcc, 56, v24
	v_add_u32_e32 v3, v3, v7
	v_cndmask_b32_e64 v7, 0, 1, vcc
	v_lshlrev_b32_e32 v7, 3, v7
	v_add_lshl_u32 v30, v7, v15, 2
	ds_bpermute_b32 v7, v30, v3
	v_add_u32_e32 v2, v2, v6
	ds_bpermute_b32 v6, v30, v2
	v_add_u32_e32 v31, 8, v24
	v_cmp_eq_u32_e32 vcc, 0, v2
	s_waitcnt lgkmcnt(1)
	v_cndmask_b32_e32 v7, 0, v7, vcc
	v_cmp_gt_u32_e32 vcc, v31, v5
	v_cndmask_b32_e64 v7, v7, 0, vcc
	s_waitcnt lgkmcnt(0)
	v_cndmask_b32_e64 v6, v6, 0, vcc
	v_cmp_gt_u32_e32 vcc, 48, v24
	v_add_u32_e32 v3, v3, v7
	;; [unrolled: 16-line block ×3, first 2 shown]
	v_cndmask_b32_e64 v7, 0, 1, vcc
	v_lshlrev_b32_e32 v7, 5, v7
	v_add_lshl_u32 v34, v7, v15, 2
	ds_bpermute_b32 v7, v34, v3
	v_add_u32_e32 v2, v2, v6
	ds_bpermute_b32 v6, v34, v2
	v_add_u32_e32 v35, 32, v24
	v_cmp_eq_u32_e32 vcc, 0, v2
	s_waitcnt lgkmcnt(1)
	v_cndmask_b32_e32 v7, 0, v7, vcc
	v_cmp_gt_u32_e32 vcc, v35, v5
	v_cndmask_b32_e64 v5, v7, 0, vcc
	v_add_u32_e32 v3, v5, v3
	s_waitcnt lgkmcnt(0)
	v_cndmask_b32_e64 v5, v6, 0, vcc
	v_add_u32_e32 v2, v5, v2
	v_mov_b32_e32 v15, 0
	s_branch .LBB237_73
.LBB237_72:                             ;   in Loop: Header=BB237_73 Depth=1
	s_or_b64 exec, exec, s[30:31]
	v_cmp_eq_u16_sdwa s[30:31], v4, v23 src0_sel:BYTE_0 src1_sel:DWORD
	v_and_b32_e32 v5, s31, v17
	v_or_b32_e32 v5, 0x80000000, v5
	v_and_b32_e32 v18, s30, v16
	v_ffbl_b32_e32 v5, v5
	v_add_u32_e32 v5, 32, v5
	v_ffbl_b32_e32 v18, v18
	v_min_u32_e32 v5, v18, v5
	ds_bpermute_b32 v18, v25, v3
	v_cmp_eq_u32_e32 vcc, 0, v2
	v_cmp_lt_u32_e64 s[30:31], v24, v5
	ds_bpermute_b32 v19, v25, v2
	s_and_b64 vcc, s[30:31], vcc
	s_waitcnt lgkmcnt(1)
	v_cndmask_b32_e32 v18, 0, v18, vcc
	v_add_u32_e32 v3, v18, v3
	ds_bpermute_b32 v18, v26, v3
	s_waitcnt lgkmcnt(1)
	v_cndmask_b32_e64 v19, 0, v19, s[30:31]
	v_add_u32_e32 v2, v19, v2
	v_cmp_eq_u32_e32 vcc, 0, v2
	ds_bpermute_b32 v19, v26, v2
	s_waitcnt lgkmcnt(1)
	v_cndmask_b32_e32 v18, 0, v18, vcc
	v_cmp_gt_u32_e32 vcc, v27, v5
	v_cndmask_b32_e64 v18, v18, 0, vcc
	v_add_u32_e32 v3, v18, v3
	ds_bpermute_b32 v18, v28, v3
	s_waitcnt lgkmcnt(1)
	v_cndmask_b32_e64 v19, v19, 0, vcc
	v_add_u32_e32 v2, v2, v19
	v_cmp_eq_u32_e32 vcc, 0, v2
	ds_bpermute_b32 v19, v28, v2
	s_waitcnt lgkmcnt(1)
	v_cndmask_b32_e32 v18, 0, v18, vcc
	v_cmp_gt_u32_e32 vcc, v29, v5
	v_cndmask_b32_e64 v18, v18, 0, vcc
	v_add_u32_e32 v3, v3, v18
	ds_bpermute_b32 v18, v30, v3
	s_waitcnt lgkmcnt(1)
	v_cndmask_b32_e64 v19, v19, 0, vcc
	v_add_u32_e32 v2, v2, v19
	ds_bpermute_b32 v19, v30, v2
	v_cmp_eq_u32_e32 vcc, 0, v2
	s_waitcnt lgkmcnt(1)
	v_cndmask_b32_e32 v18, 0, v18, vcc
	v_cmp_gt_u32_e32 vcc, v31, v5
	v_cndmask_b32_e64 v18, v18, 0, vcc
	v_add_u32_e32 v3, v3, v18
	ds_bpermute_b32 v18, v32, v3
	s_waitcnt lgkmcnt(1)
	v_cndmask_b32_e64 v19, v19, 0, vcc
	v_add_u32_e32 v2, v2, v19
	ds_bpermute_b32 v19, v32, v2
	v_cmp_eq_u32_e32 vcc, 0, v2
	;; [unrolled: 11-line block ×3, first 2 shown]
	s_waitcnt lgkmcnt(1)
	v_cndmask_b32_e32 v18, 0, v18, vcc
	v_cmp_gt_u32_e32 vcc, v35, v5
	v_cndmask_b32_e64 v5, v18, 0, vcc
	v_add_u32_e32 v3, v5, v3
	s_waitcnt lgkmcnt(0)
	v_cndmask_b32_e64 v5, v19, 0, vcc
	v_cmp_eq_u32_e32 vcc, 0, v6
	v_cndmask_b32_e32 v3, 0, v3, vcc
	v_subrev_u32_e32 v14, 64, v14
	v_add3_u32 v2, v2, v6, v5
	v_add_u32_e32 v3, v3, v7
.LBB237_73:                             ; =>This Loop Header: Depth=1
                                        ;     Child Loop BB237_76 Depth 2
	v_cmp_ne_u16_sdwa s[30:31], v4, v23 src0_sel:BYTE_0 src1_sel:DWORD
	v_mov_b32_e32 v7, v3
	v_cndmask_b32_e64 v3, 0, 1, s[30:31]
	;;#ASMSTART
	;;#ASMEND
	v_cmp_ne_u32_e32 vcc, 0, v3
	s_cmp_lg_u64 vcc, exec
	v_mov_b32_e32 v6, v2
	s_cbranch_scc1 .LBB237_78
; %bb.74:                               ;   in Loop: Header=BB237_73 Depth=1
	v_lshlrev_b64 v[2:3], 4, v[14:15]
	v_mov_b32_e32 v4, s37
	v_add_co_u32_e32 v18, vcc, s36, v2
	v_addc_co_u32_e32 v19, vcc, v4, v3, vcc
	;;#ASMSTART
	global_load_dwordx4 v[2:5], v[18:19] off glc	
s_waitcnt vmcnt(0)
	;;#ASMEND
	v_and_b32_e32 v5, 0xff, v3
	v_and_b32_e32 v36, 0xff00, v3
	v_or3_b32 v5, 0, v5, v36
	v_or3_b32 v2, v2, 0, 0
	v_and_b32_e32 v36, 0xff000000, v3
	v_and_b32_e32 v3, 0xff0000, v3
	v_or3_b32 v3, v5, v3, v36
	v_or3_b32 v2, v2, 0, 0
	v_cmp_eq_u16_sdwa s[54:55], v4, v15 src0_sel:BYTE_0 src1_sel:DWORD
	s_and_saveexec_b64 s[30:31], s[54:55]
	s_cbranch_execz .LBB237_72
; %bb.75:                               ;   in Loop: Header=BB237_73 Depth=1
	s_mov_b64 s[54:55], 0
.LBB237_76:                             ;   Parent Loop BB237_73 Depth=1
                                        ; =>  This Inner Loop Header: Depth=2
	;;#ASMSTART
	global_load_dwordx4 v[2:5], v[18:19] off glc	
s_waitcnt vmcnt(0)
	;;#ASMEND
	v_cmp_ne_u16_sdwa s[58:59], v4, v15 src0_sel:BYTE_0 src1_sel:DWORD
	s_or_b64 s[54:55], s[58:59], s[54:55]
	s_andn2_b64 exec, exec, s[54:55]
	s_cbranch_execnz .LBB237_76
; %bb.77:                               ;   in Loop: Header=BB237_73 Depth=1
	s_or_b64 exec, exec, s[54:55]
	s_branch .LBB237_72
.LBB237_78:                             ;   in Loop: Header=BB237_73 Depth=1
                                        ; implicit-def: $vgpr3
                                        ; implicit-def: $vgpr2
                                        ; implicit-def: $vgpr4
	s_cbranch_execz .LBB237_73
; %bb.79:
	s_and_saveexec_b64 s[30:31], s[26:27]
	s_cbranch_execz .LBB237_81
; %bb.80:
	s_cmp_eq_u32 s7, 0
	s_cselect_b64 vcc, -1, 0
	s_mov_b32 s55, 0
	v_cndmask_b32_e32 v2, 0, v7, vcc
	s_add_i32 s54, s6, 64
	v_add_u32_e32 v2, s56, v2
	s_lshl_b64 s[54:55], s[54:55], 4
	s_add_u32 s54, s36, s54
	v_and_b32_e32 v3, 0xff000000, v2
	v_and_b32_e32 v4, 0xff0000, v2
	s_addc_u32 s55, s37, s55
	v_or_b32_e32 v3, v4, v3
	v_and_b32_e32 v4, 0xff00, v2
	v_and_b32_e32 v2, 0xff, v2
	v_add_u32_e32 v14, s7, v6
	v_mov_b32_e32 v17, 0
	v_or3_b32 v15, v3, v4, v2
	v_mov_b32_e32 v16, 2
	v_pk_mov_b32 v[2:3], s[54:55], s[54:55] op_sel:[0,1]
	;;#ASMSTART
	global_store_dwordx4 v[2:3], v[14:17] off	
s_waitcnt vmcnt(0)
	;;#ASMEND
	v_mov_b32_e32 v4, s7
	v_mov_b32_e32 v5, s56
	ds_write_b128 v17, v[4:7] offset:512
.LBB237_81:
	s_or_b64 exec, exec, s[30:31]
	v_cmp_eq_u32_e32 vcc, 0, v0
	s_and_b64 exec, exec, vcc
	s_cbranch_execz .LBB237_83
; %bb.82:
	v_mov_b32_e32 v2, 0
	ds_write_b64 v2, v[6:7] offset:552
.LBB237_83:
	s_or_b64 exec, exec, s[52:53]
	v_mov_b32_e32 v4, 0
	s_waitcnt lgkmcnt(0)
	s_barrier
	ds_read_b64 v[2:3], v4 offset:552
	v_cndmask_b32_e64 v6, v20, v12, s[26:27]
	v_cmp_eq_u32_e32 vcc, 0, v6
	v_cndmask_b32_e64 v5, v22, v13, s[26:27]
	s_waitcnt lgkmcnt(0)
	v_cndmask_b32_e32 v7, 0, v3, vcc
	v_add_u32_e32 v5, v7, v5
	v_cmp_eq_u32_e32 vcc, 0, v0
	v_cndmask_b32_e32 v51, v5, v3, vcc
	v_cndmask_b32_e64 v3, v6, 0, vcc
	v_cmp_eq_u32_e32 vcc, 0, v78
	v_add_u32_e32 v50, v2, v3
	v_cndmask_b32_e32 v2, 0, v51, vcc
	v_add_u32_e32 v49, v2, v52
	v_cndmask_b32_e64 v2, 0, v49, s[24:25]
	v_add_u32_e32 v47, v2, v52
	v_cndmask_b32_e64 v2, 0, v47, s[22:23]
	;; [unrolled: 2-line block ×7, first 2 shown]
	v_add_u32_e32 v48, v50, v78
	v_add_u32_e32 v35, v2, v52
	v_add_u32_e32 v46, v48, v77
	v_cndmask_b32_e64 v2, 0, v35, s[10:11]
	v_add_u32_e32 v44, v46, v76
	v_add_u32_e32 v33, v2, v52
	v_add_u32_e32 v42, v44, v75
	v_cndmask_b32_e64 v2, 0, v33, s[8:9]
	v_add_u32_e32 v40, v42, v74
	v_add_u32_e32 v31, v2, v52
	v_add_u32_e32 v38, v40, v73
	v_cndmask_b32_e64 v2, 0, v31, s[28:29]
	v_add_u32_e32 v36, v38, v72
	v_add_u32_e32 v29, v2, v52
	s_barrier
	ds_read_b128 v[16:19], v4 offset:512
	v_add_u32_e32 v34, v36, v21
	v_cndmask_b32_e64 v2, 0, v29, s[4:5]
	v_add_u32_e32 v32, v34, v71
	v_add_u32_e32 v27, v2, v52
	;; [unrolled: 1-line block ×3, first 2 shown]
	v_cndmask_b32_e64 v2, 0, v27, s[2:3]
	v_add_u32_e32 v28, v30, v69
	v_add_u32_e32 v23, v2, v52
	;; [unrolled: 1-line block ×3, first 2 shown]
	v_cndmask_b32_e64 v2, 0, v23, s[0:1]
	s_waitcnt lgkmcnt(0)
	v_cmp_eq_u32_e32 vcc, 0, v16
	v_add_u32_e32 v22, v26, v66
	v_add_u32_e32 v25, v2, v52
	v_cndmask_b32_e32 v2, 0, v19, vcc
	v_add_u32_e32 v24, v22, v64
	v_add_u32_e32 v20, v2, v17
	s_branch .LBB237_96
.LBB237_84:
                                        ; implicit-def: $vgpr16
                                        ; implicit-def: $vgpr20
                                        ; implicit-def: $vgpr24_vgpr25
                                        ; implicit-def: $vgpr22_vgpr23
                                        ; implicit-def: $vgpr26_vgpr27
                                        ; implicit-def: $vgpr28_vgpr29
                                        ; implicit-def: $vgpr50_vgpr51
                                        ; implicit-def: $vgpr48_vgpr49
                                        ; implicit-def: $vgpr46_vgpr47
                                        ; implicit-def: $vgpr44_vgpr45
                                        ; implicit-def: $vgpr42_vgpr43
                                        ; implicit-def: $vgpr40_vgpr41
                                        ; implicit-def: $vgpr38_vgpr39
                                        ; implicit-def: $vgpr36_vgpr37
                                        ; implicit-def: $vgpr34_vgpr35
                                        ; implicit-def: $vgpr32_vgpr33
                                        ; implicit-def: $vgpr30_vgpr31
	s_cbranch_execz .LBB237_96
; %bb.85:
	s_and_b64 s[0:1], s[38:39], exec
	s_cselect_b32 s1, 0, s51
	s_cselect_b32 s0, 0, s50
	s_cmp_eq_u64 s[0:1], 0
	v_mov_b32_e32 v6, v52
	s_cbranch_scc1 .LBB237_87
; %bb.86:
	v_mov_b32_e32 v2, 0
	global_load_dword v6, v2, s[0:1]
.LBB237_87:
	v_cmp_eq_u32_e64 s[0:1], 0, v77
	v_cndmask_b32_e64 v2, 0, v52, s[0:1]
	v_add_u32_e32 v2, v2, v52
	v_cmp_eq_u32_e64 s[2:3], 0, v76
	v_cndmask_b32_e64 v2, 0, v2, s[2:3]
	v_add_u32_e32 v2, v2, v52
	v_cmp_eq_u32_e64 s[4:5], 0, v75
	v_cndmask_b32_e64 v2, 0, v2, s[4:5]
	v_add_u32_e32 v2, v2, v52
	v_cmp_eq_u32_e64 s[6:7], 0, v74
	v_cndmask_b32_e64 v2, 0, v2, s[6:7]
	v_add_u32_e32 v2, v2, v52
	v_cmp_eq_u32_e64 s[8:9], 0, v73
	v_cndmask_b32_e64 v2, 0, v2, s[8:9]
	v_add_u32_e32 v2, v2, v52
	v_cmp_eq_u32_e64 s[10:11], 0, v72
	v_cndmask_b32_e64 v2, 0, v2, s[10:11]
	v_add_u32_e32 v2, v2, v52
	v_cmp_eq_u32_e64 s[12:13], 0, v21
	v_cndmask_b32_e64 v2, 0, v2, s[12:13]
	v_add_u32_e32 v2, v2, v52
	v_cmp_eq_u32_e64 s[14:15], 0, v71
	v_cndmask_b32_e64 v2, 0, v2, s[14:15]
	v_add_u32_e32 v2, v2, v52
	v_cmp_eq_u32_e64 s[16:17], 0, v70
	v_cndmask_b32_e64 v2, 0, v2, s[16:17]
	v_add_u32_e32 v2, v2, v52
	v_cmp_eq_u32_e64 s[18:19], 0, v69
	v_cndmask_b32_e64 v2, 0, v2, s[18:19]
	v_add_u32_e32 v2, v2, v52
	v_cmp_eq_u32_e64 s[20:21], 0, v68
	v_cndmask_b32_e64 v2, 0, v2, s[20:21]
	v_add_u32_e32 v2, v2, v52
	v_cmp_eq_u32_e64 s[22:23], 0, v66
	v_cndmask_b32_e64 v2, 0, v2, s[22:23]
	v_add3_u32 v3, v81, v73, v72
	v_add_u32_e32 v2, v2, v52
	v_cmp_eq_u32_e32 vcc, 0, v64
	v_add3_u32 v3, v3, v21, v71
	v_cndmask_b32_e32 v2, 0, v2, vcc
	v_add3_u32 v3, v3, v70, v69
	v_add_u32_e32 v2, v2, v52
	v_cmp_eq_u32_e64 s[24:25], 0, v62
	v_add3_u32 v3, v3, v68, v66
	v_cndmask_b32_e64 v2, 0, v2, s[24:25]
	v_add3_u32 v3, v3, v64, v62
	v_add_u32_e32 v2, v2, v53
	v_mbcnt_hi_u32_b32 v7, -1, v80
	v_and_b32_e32 v4, 15, v7
	v_mov_b32_dpp v12, v2 row_shr:1 row_mask:0xf bank_mask:0xf
	v_cmp_eq_u32_e64 s[24:25], 0, v3
	v_mov_b32_dpp v5, v3 row_shr:1 row_mask:0xf bank_mask:0xf
	v_cndmask_b32_e64 v12, 0, v12, s[24:25]
	v_cmp_eq_u32_e64 s[24:25], 0, v4
	v_cndmask_b32_e64 v5, v5, 0, s[24:25]
	v_add_u32_e32 v3, v5, v3
	v_cndmask_b32_e64 v5, v12, 0, s[24:25]
	v_add_u32_e32 v2, v5, v2
	v_cmp_eq_u32_e64 s[24:25], 0, v3
	v_mov_b32_dpp v5, v3 row_shr:2 row_mask:0xf bank_mask:0xf
	v_cmp_lt_u32_e64 s[26:27], 1, v4
	v_mov_b32_dpp v12, v2 row_shr:2 row_mask:0xf bank_mask:0xf
	v_cndmask_b32_e64 v5, 0, v5, s[26:27]
	s_and_b64 s[24:25], s[26:27], s[24:25]
	v_cndmask_b32_e64 v12, 0, v12, s[24:25]
	v_add_u32_e32 v3, v3, v5
	v_add_u32_e32 v2, v12, v2
	v_cmp_eq_u32_e64 s[24:25], 0, v3
	v_mov_b32_dpp v5, v3 row_shr:4 row_mask:0xf bank_mask:0xf
	v_cmp_lt_u32_e64 s[26:27], 3, v4
	v_mov_b32_dpp v12, v2 row_shr:4 row_mask:0xf bank_mask:0xf
	v_cndmask_b32_e64 v5, 0, v5, s[26:27]
	s_and_b64 s[24:25], s[26:27], s[24:25]
	v_cndmask_b32_e64 v12, 0, v12, s[24:25]
	v_add_u32_e32 v3, v5, v3
	v_add_u32_e32 v2, v2, v12
	v_cmp_eq_u32_e64 s[24:25], 0, v3
	v_cmp_lt_u32_e64 s[26:27], 7, v4
	v_mov_b32_dpp v5, v3 row_shr:8 row_mask:0xf bank_mask:0xf
	v_mov_b32_dpp v12, v2 row_shr:8 row_mask:0xf bank_mask:0xf
	s_and_b64 s[24:25], s[26:27], s[24:25]
	v_cndmask_b32_e64 v4, 0, v5, s[26:27]
	v_cndmask_b32_e64 v5, 0, v12, s[24:25]
	v_add_u32_e32 v2, v5, v2
	v_add_u32_e32 v3, v4, v3
	v_bfe_i32 v12, v7, 4, 1
	v_mov_b32_dpp v5, v2 row_bcast:15 row_mask:0xf bank_mask:0xf
	v_mov_b32_dpp v4, v3 row_bcast:15 row_mask:0xf bank_mask:0xf
	v_cmp_eq_u32_e64 s[24:25], 0, v3
	v_cndmask_b32_e64 v5, 0, v5, s[24:25]
	v_and_b32_e32 v4, v12, v4
	v_add_u32_e32 v3, v4, v3
	v_and_b32_e32 v4, v12, v5
	v_add_u32_e32 v4, v4, v2
	v_mov_b32_dpp v2, v3 row_bcast:31 row_mask:0xf bank_mask:0xf
	v_cmp_eq_u32_e64 s[24:25], 0, v3
	v_cmp_lt_u32_e64 s[26:27], 31, v7
	v_mov_b32_dpp v5, v4 row_bcast:31 row_mask:0xf bank_mask:0xf
	v_cndmask_b32_e64 v2, 0, v2, s[26:27]
	s_and_b64 s[24:25], s[26:27], s[24:25]
	v_add_u32_e32 v2, v2, v3
	v_cndmask_b32_e64 v3, 0, v5, s[24:25]
	v_add_u32_e32 v3, v3, v4
	v_cmp_eq_u32_e64 s[24:25], v79, v0
	v_lshlrev_b32_e32 v5, 3, v54
	s_and_saveexec_b64 s[26:27], s[24:25]
	s_cbranch_execz .LBB237_89
; %bb.88:
	ds_write_b64 v5, v[2:3] offset:528
.LBB237_89:
	s_or_b64 exec, exec, s[26:27]
	v_cmp_gt_u32_e64 s[24:25], 4, v0
	s_waitcnt lgkmcnt(0)
	s_barrier
	s_and_saveexec_b64 s[28:29], s[24:25]
	s_cbranch_execz .LBB237_91
; %bb.90:
	v_lshlrev_b32_e32 v4, 3, v0
	ds_read_b64 v[12:13], v4 offset:528
	v_and_b32_e32 v14, 3, v7
	v_cmp_lt_u32_e64 s[26:27], 1, v14
	s_waitcnt lgkmcnt(0)
	v_mov_b32_dpp v16, v13 row_shr:1 row_mask:0xf bank_mask:0xf
	v_cmp_eq_u32_e64 s[24:25], 0, v12
	v_mov_b32_dpp v15, v12 row_shr:1 row_mask:0xf bank_mask:0xf
	v_cndmask_b32_e64 v16, 0, v16, s[24:25]
	v_cmp_eq_u32_e64 s[24:25], 0, v14
	v_cndmask_b32_e64 v15, v15, 0, s[24:25]
	v_add_u32_e32 v12, v15, v12
	v_cndmask_b32_e64 v15, v16, 0, s[24:25]
	v_add_u32_e32 v13, v15, v13
	v_cmp_eq_u32_e64 s[24:25], 0, v12
	v_mov_b32_dpp v15, v12 row_shr:2 row_mask:0xf bank_mask:0xf
	v_mov_b32_dpp v16, v13 row_shr:2 row_mask:0xf bank_mask:0xf
	v_cndmask_b32_e64 v14, 0, v15, s[26:27]
	s_and_b64 s[24:25], s[26:27], s[24:25]
	v_add_u32_e32 v12, v14, v12
	v_cndmask_b32_e64 v14, 0, v16, s[24:25]
	v_add_u32_e32 v13, v14, v13
	ds_write_b64 v4, v[12:13] offset:528
.LBB237_91:
	s_or_b64 exec, exec, s[28:29]
	v_cmp_lt_u32_e64 s[24:25], 63, v0
	v_mov_b32_e32 v12, 0
	v_mov_b32_e32 v4, 0
	s_waitcnt vmcnt(0)
	v_mov_b32_e32 v13, v6
	s_waitcnt lgkmcnt(0)
	s_barrier
	s_and_saveexec_b64 s[26:27], s[24:25]
	s_cbranch_execz .LBB237_93
; %bb.92:
	ds_read_b64 v[4:5], v5 offset:520
	s_waitcnt lgkmcnt(0)
	v_cmp_eq_u32_e64 s[24:25], 0, v4
	v_cndmask_b32_e64 v13, 0, v6, s[24:25]
	v_add_u32_e32 v13, v13, v5
.LBB237_93:
	s_or_b64 exec, exec, s[26:27]
	v_cmp_eq_u32_e64 s[24:25], 0, v2
	v_add_u32_e32 v5, v4, v2
	v_cndmask_b32_e64 v2, 0, v13, s[24:25]
	v_add_u32_e32 v2, v2, v3
	v_add_u32_e32 v3, -1, v7
	v_and_b32_e32 v14, 64, v7
	v_cmp_lt_i32_e64 s[24:25], v3, v14
	v_cndmask_b32_e64 v3, v3, v7, s[24:25]
	v_lshlrev_b32_e32 v3, 2, v3
	ds_bpermute_b32 v5, v3, v5
	ds_bpermute_b32 v2, v3, v2
	v_cmp_eq_u32_e64 s[24:25], 0, v7
	v_cmp_eq_u32_e64 s[26:27], 0, v78
	ds_read_b64 v[16:17], v12 offset:552
	s_waitcnt lgkmcnt(2)
	v_cndmask_b32_e64 v3, v5, v4, s[24:25]
	s_waitcnt lgkmcnt(1)
	v_cndmask_b32_e64 v2, v2, v13, s[24:25]
	v_cmp_eq_u32_e64 s[24:25], 0, v0
	v_cndmask_b32_e64 v51, v2, v6, s[24:25]
	v_cndmask_b32_e64 v2, 0, v51, s[26:27]
	v_add_u32_e32 v49, v2, v52
	v_cndmask_b32_e64 v2, 0, v49, s[0:1]
	v_add_u32_e32 v47, v2, v52
	;; [unrolled: 2-line block ×7, first 2 shown]
	v_cndmask_b32_e64 v50, v3, 0, s[24:25]
	v_cndmask_b32_e64 v2, 0, v37, s[12:13]
	v_add_u32_e32 v48, v50, v78
	v_add_u32_e32 v35, v2, v52
	v_add_u32_e32 v46, v48, v77
	v_cndmask_b32_e64 v2, 0, v35, s[14:15]
	v_add_u32_e32 v44, v46, v76
	v_add_u32_e32 v33, v2, v52
	v_add_u32_e32 v42, v44, v75
	;; [unrolled: 4-line block ×6, first 2 shown]
	v_cndmask_b32_e32 v2, 0, v23, vcc
	s_waitcnt lgkmcnt(0)
	v_cmp_eq_u32_e32 vcc, 0, v16
	v_add_u32_e32 v22, v26, v66
	v_add_u32_e32 v25, v2, v52
	v_cndmask_b32_e32 v2, 0, v6, vcc
	v_add_u32_e32 v24, v22, v64
	v_add_u32_e32 v20, v2, v17
	s_and_saveexec_b64 s[0:1], s[24:25]
	s_cbranch_execz .LBB237_95
; %bb.94:
	s_add_u32 s2, s36, 0x400
	v_and_b32_e32 v2, 0xff000000, v20
	v_and_b32_e32 v3, 0xff0000, v20
	s_addc_u32 s3, s37, 0
	v_or_b32_e32 v2, v3, v2
	v_and_b32_e32 v3, 0xff00, v20
	v_and_b32_e32 v4, 0xff, v20
	v_mov_b32_e32 v19, 0
	v_or3_b32 v17, v2, v3, v4
	v_mov_b32_e32 v18, 2
	v_pk_mov_b32 v[2:3], s[2:3], s[2:3] op_sel:[0,1]
	;;#ASMSTART
	global_store_dwordx4 v[2:3], v[16:19] off	
s_waitcnt vmcnt(0)
	;;#ASMEND
.LBB237_95:
	s_or_b64 exec, exec, s[0:1]
	v_mov_b32_e32 v18, 0
.LBB237_96:
	s_and_b64 s[0:1], s[38:39], exec
	s_cselect_b32 s1, 0, s47
	s_cselect_b32 s0, 0, s46
	s_cmp_eq_u64 s[0:1], 0
	v_pk_mov_b32 v[52:53], 0, 0
	s_waitcnt lgkmcnt(0)
	s_barrier
	s_cbranch_scc1 .LBB237_98
; %bb.97:
	v_mov_b32_e32 v2, 0
	global_load_dwordx2 v[52:53], v2, s[0:1]
.LBB237_98:
	v_mov_b32_e32 v2, s41
	s_waitcnt vmcnt(0)
	v_add_co_u32_e32 v3, vcc, s40, v52
	v_addc_co_u32_e32 v2, vcc, v2, v53, vcc
	v_add_co_u32_e32 v54, vcc, v3, v18
	v_addc_co_u32_e32 v17, vcc, 0, v2, vcc
	v_cmp_eq_u32_e32 vcc, 0, v78
	v_cndmask_b32_e64 v2, 1, 2, vcc
	v_cmp_eq_u32_e32 vcc, 0, v77
	v_cndmask_b32_e64 v3, 1, 2, vcc
	v_cmp_eq_u32_e32 vcc, 0, v76
	v_and_b32_e32 v2, v3, v2
	v_cndmask_b32_e64 v3, 1, 2, vcc
	v_cmp_eq_u32_e32 vcc, 0, v75
	v_and_b32_e32 v2, v2, v3
	;; [unrolled: 3-line block ×13, first 2 shown]
	v_cndmask_b32_e64 v3, 1, 2, vcc
	s_movk_i32 s30, 0x100
	v_and_b32_e32 v2, v2, v3
	v_cmp_gt_u32_e32 vcc, s30, v16
	v_mov_b32_e32 v19, 0
	v_cmp_ne_u32_e64 s[28:29], 0, v78
	v_cmp_ne_u32_e64 s[26:27], 0, v77
	;; [unrolled: 1-line block ×15, first 2 shown]
	s_mov_b64 s[36:37], -1
	v_cmp_gt_i16_e64 s[30:31], 2, v2
	s_cbranch_vccz .LBB237_105
; %bb.99:
	s_and_saveexec_b64 s[36:37], s[30:31]
	s_cbranch_execz .LBB237_104
; %bb.100:
	v_cmp_ne_u16_e32 vcc, 1, v2
	s_mov_b64 s[38:39], 0
	s_and_saveexec_b64 s[30:31], vcc
	s_xor_b64 s[30:31], exec, s[30:31]
	s_cbranch_execnz .LBB237_148
; %bb.101:
	s_andn2_saveexec_b64 s[30:31], s[30:31]
	s_cbranch_execnz .LBB237_164
.LBB237_102:
	s_or_b64 exec, exec, s[30:31]
	s_and_b64 exec, exec, s[38:39]
	s_cbranch_execz .LBB237_104
.LBB237_103:
	v_sub_u32_e32 v3, v24, v18
	v_readfirstlane_b32 s30, v54
	v_readfirstlane_b32 s31, v17
	s_nop 4
	global_store_byte v3, v1, s[30:31]
.LBB237_104:
	s_or_b64 exec, exec, s[36:37]
	s_mov_b64 s[36:37], 0
.LBB237_105:
	s_and_b64 vcc, exec, s[36:37]
	s_cbranch_vccz .LBB237_126
; %bb.106:
	v_cmp_gt_i16_e32 vcc, 2, v2
	s_and_saveexec_b64 s[30:31], vcc
	s_cbranch_execz .LBB237_111
; %bb.107:
	v_cmp_ne_u16_e32 vcc, 1, v2
	s_mov_b64 s[38:39], 0
	s_and_saveexec_b64 s[36:37], vcc
	s_xor_b64 s[36:37], exec, s[36:37]
	s_cbranch_execnz .LBB237_165
; %bb.108:
	s_andn2_saveexec_b64 s[0:1], s[36:37]
	s_cbranch_execnz .LBB237_181
.LBB237_109:
	s_or_b64 exec, exec, s[0:1]
	s_and_b64 exec, exec, s[38:39]
	s_cbranch_execz .LBB237_111
.LBB237_110:
	v_sub_u32_e32 v2, v24, v18
	ds_write_b8 v2, v1
.LBB237_111:
	s_or_b64 exec, exec, s[30:31]
	v_cmp_lt_u32_e32 vcc, v0, v16
	s_waitcnt lgkmcnt(0)
	s_barrier
	s_and_saveexec_b64 s[0:1], vcc
	s_cbranch_execz .LBB237_125
; %bb.112:
	v_xad_u32 v2, v0, -1, v16
	s_movk_i32 s2, 0x1700
	s_movk_i32 s4, 0x16ff
	v_cmp_gt_u32_e64 s[2:3], s2, v2
	v_cmp_lt_u32_e32 vcc, s4, v2
	v_mov_b32_e32 v1, v0
	s_and_saveexec_b64 s[4:5], vcc
	s_cbranch_execz .LBB237_122
; %bb.113:
	v_sub_u32_e32 v1, v0, v16
	v_or_b32_e32 v1, 0xff, v1
	v_cmp_ge_u32_e32 vcc, v1, v0
	s_mov_b64 s[8:9], -1
	v_mov_b32_e32 v1, v0
	s_and_saveexec_b64 s[6:7], vcc
	s_cbranch_execz .LBB237_121
; %bb.114:
	v_lshrrev_b32_e32 v55, 8, v2
	v_or_b32_e32 v7, 0x700, v0
	v_or_b32_e32 v6, 0x600, v0
	;; [unrolled: 1-line block ×7, first 2 shown]
	v_add_u32_e32 v56, -7, v55
	v_pk_mov_b32 v[14:15], v[6:7], v[6:7] op_sel:[0,1]
	v_cmp_lt_u32_e32 vcc, 7, v56
	v_mov_b32_e32 v59, 0
	v_pk_mov_b32 v[12:13], v[4:5], v[4:5] op_sel:[0,1]
	v_pk_mov_b32 v[10:11], v[2:3], v[2:3] op_sel:[0,1]
	;; [unrolled: 1-line block ×3, first 2 shown]
	s_and_saveexec_b64 s[8:9], vcc
	s_cbranch_execz .LBB237_118
; %bb.115:
	v_lshrrev_b32_e32 v8, 3, v56
	v_add_u32_e32 v8, 1, v8
	v_and_b32_e32 v57, 0x3ffffffe, v8
	v_pk_mov_b32 v[14:15], v[6:7], v[6:7] op_sel:[0,1]
	s_mov_b32 s12, 0
	s_mov_b64 s[10:11], 0
	v_mov_b32_e32 v58, v0
	v_pk_mov_b32 v[12:13], v[4:5], v[4:5] op_sel:[0,1]
	v_pk_mov_b32 v[10:11], v[2:3], v[2:3] op_sel:[0,1]
	;; [unrolled: 1-line block ×3, first 2 shown]
.LBB237_116:                            ; =>This Inner Loop Header: Depth=1
	v_add_co_u32_e32 v2, vcc, v54, v8
	v_addc_co_u32_e32 v3, vcc, 0, v17, vcc
	v_add_co_u32_e32 v4, vcc, v54, v9
	v_addc_co_u32_e32 v5, vcc, 0, v17, vcc
	;; [unrolled: 2-line block ×8, first 2 shown]
	v_add_u32_e32 v88, 0x800, v8
	v_add_co_u32_e32 v88, vcc, v54, v88
	v_add_u32_e32 v90, 0x800, v9
	v_addc_co_u32_e32 v89, vcc, 0, v17, vcc
	v_add_co_u32_e32 v90, vcc, v54, v90
	v_add_u32_e32 v92, 0x800, v10
	v_addc_co_u32_e32 v91, vcc, 0, v17, vcc
	;; [unrolled: 3-line block ×6, first 2 shown]
	v_add_co_u32_e32 v100, vcc, v54, v100
	ds_read_u8 v1, v58
	ds_read_u8 v63, v58 offset:256
	ds_read_u8 v65, v58 offset:512
	;; [unrolled: 1-line block ×7, first 2 shown]
	v_add_u32_e32 v59, 0x800, v15
	ds_read_u8 v107, v58 offset:2048
	ds_read_u8 v108, v58 offset:2304
	;; [unrolled: 1-line block ×8, first 2 shown]
	v_addc_co_u32_e32 v101, vcc, 0, v17, vcc
	v_add_co_u32_e32 v102, vcc, v54, v59
	v_add_u32_e32 v57, -2, v57
	v_addc_co_u32_e32 v103, vcc, 0, v17, vcc
	s_add_i32 s12, s12, 16
	v_cmp_eq_u32_e32 vcc, 0, v57
	v_add_u32_e32 v15, 0x1000, v15
	v_add_u32_e32 v14, 0x1000, v14
	;; [unrolled: 1-line block ×9, first 2 shown]
	v_mov_b32_e32 v59, s12
	s_or_b64 s[10:11], vcc, s[10:11]
	s_waitcnt lgkmcnt(14)
	global_store_byte v[2:3], v1, off
	global_store_byte v[4:5], v63, off
	s_waitcnt lgkmcnt(13)
	global_store_byte v[6:7], v65, off
	s_waitcnt lgkmcnt(12)
	;; [unrolled: 2-line block ×14, first 2 shown]
	global_store_byte v[102:103], v114, off
	s_andn2_b64 exec, exec, s[10:11]
	s_cbranch_execnz .LBB237_116
; %bb.117:
	s_or_b64 exec, exec, s[10:11]
.LBB237_118:
	s_or_b64 exec, exec, s[8:9]
	v_and_b32_e32 v1, 8, v56
	v_cmp_eq_u32_e32 vcc, 0, v1
	s_and_saveexec_b64 s[8:9], vcc
	s_cbranch_execz .LBB237_120
; %bb.119:
	v_add_co_u32_e32 v2, vcc, v54, v8
	v_addc_co_u32_e32 v3, vcc, 0, v17, vcc
	v_add_co_u32_e32 v4, vcc, v54, v9
	v_addc_co_u32_e32 v5, vcc, 0, v17, vcc
	;; [unrolled: 2-line block ×4, first 2 shown]
	v_add_co_u32_e32 v10, vcc, v54, v12
	v_lshl_or_b32 v1, v59, 8, v0
	v_addc_co_u32_e32 v11, vcc, 0, v17, vcc
	ds_read_u8 v58, v1
	ds_read_u8 v59, v1 offset:256
	ds_read_u8 v60, v1 offset:512
	;; [unrolled: 1-line block ×7, first 2 shown]
	v_add_co_u32_e32 v12, vcc, v54, v13
	v_addc_co_u32_e32 v13, vcc, 0, v17, vcc
	v_add_co_u32_e32 v56, vcc, v54, v14
	v_addc_co_u32_e32 v57, vcc, 0, v17, vcc
	;; [unrolled: 2-line block ×3, first 2 shown]
	s_waitcnt lgkmcnt(7)
	global_store_byte v[2:3], v58, off
	s_waitcnt lgkmcnt(6)
	global_store_byte v[4:5], v59, off
	;; [unrolled: 2-line block ×8, first 2 shown]
.LBB237_120:
	s_or_b64 exec, exec, s[8:9]
	v_add_u32_e32 v2, 1, v55
	v_and_b32_e32 v3, 0x1fffff8, v2
	v_cmp_ne_u32_e32 vcc, v2, v3
	v_lshl_or_b32 v1, v3, 8, v0
	s_orn2_b64 s[8:9], vcc, exec
.LBB237_121:
	s_or_b64 exec, exec, s[6:7]
	s_andn2_b64 s[2:3], s[2:3], exec
	s_and_b64 s[6:7], s[8:9], exec
	s_or_b64 s[2:3], s[2:3], s[6:7]
.LBB237_122:
	s_or_b64 exec, exec, s[4:5]
	s_and_b64 exec, exec, s[2:3]
	s_cbranch_execz .LBB237_125
; %bb.123:
	s_mov_b64 s[2:3], 0
.LBB237_124:                            ; =>This Inner Loop Header: Depth=1
	ds_read_u8 v2, v1
	v_readfirstlane_b32 s4, v54
	v_readfirstlane_b32 s5, v17
	s_waitcnt lgkmcnt(0)
	s_nop 3
	global_store_byte v1, v2, s[4:5]
	v_add_u32_e32 v1, 0x100, v1
	v_cmp_ge_u32_e32 vcc, v1, v16
	s_or_b64 s[2:3], vcc, s[2:3]
	s_andn2_b64 exec, exec, s[2:3]
	s_cbranch_execnz .LBB237_124
.LBB237_125:
	s_or_b64 exec, exec, s[0:1]
.LBB237_126:
	s_cmpk_lg_i32 s33, 0xf00
	s_cselect_b64 s[0:1], -1, 0
	v_cndmask_b32_e64 v8, 0, 1, s[48:49]
	s_and_b64 s[0:1], s[34:35], s[0:1]
	v_cmp_eq_u32_e32 vcc, 0, v0
	v_sub_u32_e32 v1, v16, v8
	v_cndmask_b32_e64 v2, 0, 1, s[0:1]
	s_and_b64 s[0:1], vcc, s[48:49]
	v_add_u32_e32 v1, v1, v2
	v_cndmask_b32_e64 v2, v78, 0, s[0:1]
	s_mul_hi_u32 s0, s33, 0x88888889
	s_lshr_b32 s0, s0, 3
	v_mad_i32_i24 v3, v0, -15, s33
	v_cmp_eq_u32_e32 vcc, s0, v0
	v_cmp_ne_u32_e64 s[0:1], 0, v3
	v_cndmask_b32_e64 v4, 1, v2, s[0:1]
	v_cmp_ne_u32_e64 s[0:1], 1, v3
	v_cndmask_b32_e64 v5, 1, v77, s[0:1]
	;; [unrolled: 2-line block ×15, first 2 shown]
	s_and_b64 vcc, s[34:35], vcc
	v_cndmask_b32_e32 v56, v62, v3, vcc
	v_cndmask_b32_e32 v59, v2, v4, vcc
	v_lshlrev_b64 v[2:3], 3, v[52:53]
	v_cndmask_b32_e32 v55, v64, v55, vcc
	v_cndmask_b32_e32 v54, v66, v54, vcc
	;; [unrolled: 1-line block ×13, first 2 shown]
	v_mov_b32_e32 v4, s43
	v_add_co_u32_e32 v5, vcc, s42, v2
	v_addc_co_u32_e32 v6, vcc, v4, v3, vcc
	v_lshlrev_b64 v[2:3], 3, v[18:19]
	v_add_co_u32_e32 v4, vcc, v5, v2
	v_addc_co_u32_e32 v5, vcc, v6, v3, vcc
	v_lshlrev_b32_e32 v2, 3, v8
	v_add_co_u32_e32 v2, vcc, v2, v4
	v_addc_co_u32_e32 v3, vcc, 0, v5, vcc
	v_add_co_u32_e32 v6, vcc, -8, v2
	v_addc_co_u32_e32 v7, vcc, -1, v3, vcc
	v_cmp_eq_u32_e32 vcc, 0, v59
	v_cndmask_b32_e64 v3, 1, 2, vcc
	v_cmp_eq_u32_e32 vcc, 0, v58
	v_add_u32_e32 v2, v18, v8
	v_cndmask_b32_e64 v8, 1, 2, vcc
	v_cmp_eq_u32_e32 vcc, 0, v57
	v_and_b32_e32 v3, v8, v3
	v_cndmask_b32_e64 v8, 1, 2, vcc
	v_cmp_eq_u32_e32 vcc, 0, v21
	v_and_b32_e32 v3, v3, v8
	;; [unrolled: 3-line block ×13, first 2 shown]
	v_cndmask_b32_e64 v8, 1, 2, vcc
	s_movk_i32 s30, 0x100
	v_and_b32_e32 v3, v3, v8
	v_cmp_gt_u32_e32 vcc, s30, v1
	v_cmp_ne_u32_e64 s[28:29], 0, v59
	v_cmp_ne_u32_e64 s[26:27], 0, v58
	;; [unrolled: 1-line block ×15, first 2 shown]
	s_mov_b64 s[36:37], -1
	v_cmp_gt_i16_e64 s[30:31], 2, v3
	s_barrier
	s_cbranch_vccz .LBB237_133
; %bb.127:
	s_and_saveexec_b64 s[36:37], s[30:31]
	s_cbranch_execz .LBB237_132
; %bb.128:
	v_cmp_ne_u16_e32 vcc, 1, v3
	s_mov_b64 s[38:39], 0
	s_and_saveexec_b64 s[30:31], vcc
	s_xor_b64 s[30:31], exec, s[30:31]
	s_cbranch_execnz .LBB237_182
; %bb.129:
	s_andn2_saveexec_b64 s[30:31], s[30:31]
	s_cbranch_execnz .LBB237_198
.LBB237_130:
	s_or_b64 exec, exec, s[30:31]
	s_and_b64 exec, exec, s[38:39]
	s_cbranch_execz .LBB237_132
.LBB237_131:
	v_mov_b32_e32 v9, 0
	v_sub_u32_e32 v10, v24, v2
	v_mov_b32_e32 v11, v9
	v_lshlrev_b64 v[10:11], 3, v[10:11]
	v_add_co_u32_e32 v10, vcc, v6, v10
	v_mov_b32_e32 v8, v25
	v_addc_co_u32_e32 v11, vcc, v7, v11, vcc
	global_store_dwordx2 v[10:11], v[8:9], off
.LBB237_132:
	s_or_b64 exec, exec, s[36:37]
	s_mov_b64 s[36:37], 0
.LBB237_133:
	s_and_b64 vcc, exec, s[36:37]
	s_cbranch_vccz .LBB237_143
; %bb.134:
	v_cmp_gt_i16_e32 vcc, 2, v3
	s_and_saveexec_b64 s[30:31], vcc
	s_cbranch_execz .LBB237_139
; %bb.135:
	v_cmp_ne_u16_e32 vcc, 1, v3
	s_mov_b64 s[38:39], 0
	s_and_saveexec_b64 s[36:37], vcc
	s_xor_b64 s[36:37], exec, s[36:37]
	s_cbranch_execnz .LBB237_199
; %bb.136:
	s_andn2_saveexec_b64 s[0:1], s[36:37]
	s_cbranch_execnz .LBB237_215
.LBB237_137:
	s_or_b64 exec, exec, s[0:1]
	s_and_b64 exec, exec, s[38:39]
	s_cbranch_execz .LBB237_139
.LBB237_138:
	v_sub_u32_e32 v2, v24, v2
	v_lshlrev_b32_e32 v2, 2, v2
	ds_write_b32 v2, v25
.LBB237_139:
	s_or_b64 exec, exec, s[30:31]
	v_cmp_lt_u32_e32 vcc, v0, v1
	s_waitcnt lgkmcnt(0)
	s_barrier
	s_and_saveexec_b64 s[0:1], vcc
	s_cbranch_execz .LBB237_142
; %bb.140:
	v_lshlrev_b32_e32 v8, 2, v0
	s_mov_b64 s[2:3], 0
	v_mov_b32_e32 v3, 0
	v_mov_b32_e32 v2, v0
.LBB237_141:                            ; =>This Inner Loop Header: Depth=1
	ds_read_b32 v10, v8
	v_lshlrev_b64 v[12:13], 3, v[2:3]
	v_add_co_u32_e32 v12, vcc, v6, v12
	v_add_u32_e32 v2, 0x100, v2
	v_addc_co_u32_e32 v13, vcc, v7, v13, vcc
	v_cmp_ge_u32_e32 vcc, v2, v1
	v_mov_b32_e32 v11, v3
	v_add_u32_e32 v8, 0x400, v8
	s_or_b64 s[2:3], vcc, s[2:3]
	s_waitcnt lgkmcnt(0)
	global_store_dwordx2 v[12:13], v[10:11], off
	s_andn2_b64 exec, exec, s[2:3]
	s_cbranch_execnz .LBB237_141
.LBB237_142:
	s_or_b64 exec, exec, s[0:1]
.LBB237_143:
	s_movk_i32 s0, 0xff
	v_cmp_eq_u32_e32 vcc, s0, v0
	s_and_b64 s[0:1], vcc, s[34:35]
	s_and_saveexec_b64 s[2:3], s[0:1]
	s_cbranch_execz .LBB237_146
; %bb.144:
	v_add_co_u32_e32 v0, vcc, v16, v18
	v_addc_co_u32_e64 v1, s[0:1], 0, 0, vcc
	v_add_co_u32_e32 v0, vcc, v0, v52
	v_mov_b32_e32 v17, 0
	v_addc_co_u32_e32 v1, vcc, v1, v53, vcc
	s_cmpk_lg_i32 s33, 0xf00
	global_store_dwordx2 v17, v[0:1], s[44:45]
	s_cbranch_scc1 .LBB237_146
; %bb.145:
	v_lshlrev_b64 v[0:1], 3, v[16:17]
	v_add_co_u32_e32 v0, vcc, v4, v0
	v_mov_b32_e32 v21, v17
	v_addc_co_u32_e32 v1, vcc, v5, v1, vcc
	global_store_dwordx2 v[0:1], v[20:21], off offset:-8
.LBB237_146:
	s_endpgm
.LBB237_147:
	s_or_b64 exec, exec, s[0:1]
	v_mov_b32_e32 v78, s7
	s_and_saveexec_b64 s[0:1], s[8:9]
	s_cbranch_execnz .LBB237_56
	s_branch .LBB237_57
.LBB237_148:
	s_and_saveexec_b64 s[38:39], s[28:29]
	s_cbranch_execnz .LBB237_216
; %bb.149:
	s_or_b64 exec, exec, s[38:39]
	s_and_saveexec_b64 s[38:39], s[26:27]
	s_cbranch_execnz .LBB237_217
.LBB237_150:
	s_or_b64 exec, exec, s[38:39]
	s_and_saveexec_b64 s[38:39], s[24:25]
	s_cbranch_execnz .LBB237_218
.LBB237_151:
	s_or_b64 exec, exec, s[38:39]
	s_and_saveexec_b64 s[38:39], s[22:23]
	s_cbranch_execnz .LBB237_219
.LBB237_152:
	s_or_b64 exec, exec, s[38:39]
	s_and_saveexec_b64 s[38:39], s[20:21]
	s_cbranch_execnz .LBB237_220
.LBB237_153:
	s_or_b64 exec, exec, s[38:39]
	s_and_saveexec_b64 s[38:39], s[18:19]
	s_cbranch_execnz .LBB237_221
.LBB237_154:
	s_or_b64 exec, exec, s[38:39]
	s_and_saveexec_b64 s[38:39], s[16:17]
	s_cbranch_execnz .LBB237_222
.LBB237_155:
	s_or_b64 exec, exec, s[38:39]
	s_and_saveexec_b64 s[38:39], s[14:15]
	s_cbranch_execnz .LBB237_223
.LBB237_156:
	s_or_b64 exec, exec, s[38:39]
	s_and_saveexec_b64 s[38:39], s[12:13]
	s_cbranch_execnz .LBB237_224
.LBB237_157:
	s_or_b64 exec, exec, s[38:39]
	s_and_saveexec_b64 s[38:39], s[10:11]
	s_cbranch_execnz .LBB237_225
.LBB237_158:
	s_or_b64 exec, exec, s[38:39]
	s_and_saveexec_b64 s[38:39], s[8:9]
	s_cbranch_execnz .LBB237_226
.LBB237_159:
	s_or_b64 exec, exec, s[38:39]
	s_and_saveexec_b64 s[38:39], s[6:7]
	s_cbranch_execnz .LBB237_227
.LBB237_160:
	s_or_b64 exec, exec, s[38:39]
	s_and_saveexec_b64 s[38:39], s[4:5]
	s_cbranch_execnz .LBB237_228
.LBB237_161:
	s_or_b64 exec, exec, s[38:39]
	s_and_saveexec_b64 s[38:39], s[2:3]
	s_cbranch_execz .LBB237_163
.LBB237_162:
	v_sub_u32_e32 v3, v22, v18
	v_readfirstlane_b32 s40, v54
	v_readfirstlane_b32 s41, v17
	s_nop 4
	global_store_byte v3, v11, s[40:41]
.LBB237_163:
	s_or_b64 exec, exec, s[38:39]
	s_and_b64 s[38:39], s[0:1], exec
	s_andn2_saveexec_b64 s[30:31], s[30:31]
	s_cbranch_execz .LBB237_102
.LBB237_164:
	v_sub_u32_e32 v3, v50, v18
	v_readfirstlane_b32 s40, v54
	v_readfirstlane_b32 s41, v17
	s_or_b64 s[38:39], s[38:39], exec
	s_nop 3
	global_store_byte v3, v8, s[40:41]
	v_sub_u32_e32 v3, v48, v18
	global_store_byte v3, v67, s[40:41]
	v_sub_u32_e32 v3, v46, v18
	;; [unrolled: 2-line block ×13, first 2 shown]
	global_store_byte v3, v11, s[40:41]
	s_or_b64 exec, exec, s[30:31]
	s_and_b64 exec, exec, s[38:39]
	s_cbranch_execnz .LBB237_103
	s_branch .LBB237_104
.LBB237_165:
	s_and_saveexec_b64 s[38:39], s[28:29]
	s_cbranch_execnz .LBB237_229
; %bb.166:
	s_or_b64 exec, exec, s[38:39]
	s_and_saveexec_b64 s[28:29], s[26:27]
	s_cbranch_execnz .LBB237_230
.LBB237_167:
	s_or_b64 exec, exec, s[28:29]
	s_and_saveexec_b64 s[26:27], s[24:25]
	s_cbranch_execnz .LBB237_231
.LBB237_168:
	s_or_b64 exec, exec, s[26:27]
	s_and_saveexec_b64 s[24:25], s[22:23]
	s_cbranch_execnz .LBB237_232
.LBB237_169:
	s_or_b64 exec, exec, s[24:25]
	s_and_saveexec_b64 s[22:23], s[20:21]
	s_cbranch_execnz .LBB237_233
.LBB237_170:
	s_or_b64 exec, exec, s[22:23]
	s_and_saveexec_b64 s[20:21], s[18:19]
	s_cbranch_execnz .LBB237_234
.LBB237_171:
	s_or_b64 exec, exec, s[20:21]
	s_and_saveexec_b64 s[18:19], s[16:17]
	s_cbranch_execnz .LBB237_235
.LBB237_172:
	s_or_b64 exec, exec, s[18:19]
	s_and_saveexec_b64 s[16:17], s[14:15]
	s_cbranch_execnz .LBB237_236
.LBB237_173:
	s_or_b64 exec, exec, s[16:17]
	s_and_saveexec_b64 s[14:15], s[12:13]
	s_cbranch_execnz .LBB237_237
.LBB237_174:
	s_or_b64 exec, exec, s[14:15]
	s_and_saveexec_b64 s[12:13], s[10:11]
	s_cbranch_execnz .LBB237_238
.LBB237_175:
	s_or_b64 exec, exec, s[12:13]
	s_and_saveexec_b64 s[10:11], s[8:9]
	s_cbranch_execnz .LBB237_239
.LBB237_176:
	s_or_b64 exec, exec, s[10:11]
	s_and_saveexec_b64 s[8:9], s[6:7]
	s_cbranch_execnz .LBB237_240
.LBB237_177:
	s_or_b64 exec, exec, s[8:9]
	s_and_saveexec_b64 s[6:7], s[4:5]
	s_cbranch_execnz .LBB237_241
.LBB237_178:
	s_or_b64 exec, exec, s[6:7]
	s_and_saveexec_b64 s[4:5], s[2:3]
	s_cbranch_execz .LBB237_180
.LBB237_179:
	v_sub_u32_e32 v2, v22, v18
	ds_write_b8 v2, v11
.LBB237_180:
	s_or_b64 exec, exec, s[4:5]
	s_and_b64 s[38:39], s[0:1], exec
                                        ; implicit-def: $vgpr11
                                        ; implicit-def: $vgpr55
                                        ; implicit-def: $vgpr56
                                        ; implicit-def: $vgpr57
                                        ; implicit-def: $vgpr58
                                        ; implicit-def: $vgpr10
                                        ; implicit-def: $vgpr59
                                        ; implicit-def: $vgpr60
                                        ; implicit-def: $vgpr61
                                        ; implicit-def: $vgpr63
                                        ; implicit-def: $vgpr65
                                        ; implicit-def: $vgpr67
	s_andn2_saveexec_b64 s[0:1], s[36:37]
	s_cbranch_execz .LBB237_109
.LBB237_181:
	v_sub_u32_e32 v2, v50, v18
	ds_write_b8 v2, v8
	v_sub_u32_e32 v2, v48, v18
	ds_write_b8 v2, v67
	;; [unrolled: 2-line block ×13, first 2 shown]
	v_sub_u32_e32 v2, v22, v18
	s_or_b64 s[38:39], s[38:39], exec
	ds_write_b8 v2, v11
	s_or_b64 exec, exec, s[0:1]
	s_and_b64 exec, exec, s[38:39]
	s_cbranch_execnz .LBB237_110
	s_branch .LBB237_111
.LBB237_182:
	s_and_saveexec_b64 s[38:39], s[28:29]
	s_cbranch_execnz .LBB237_242
; %bb.183:
	s_or_b64 exec, exec, s[38:39]
	s_and_saveexec_b64 s[38:39], s[26:27]
	s_cbranch_execnz .LBB237_243
.LBB237_184:
	s_or_b64 exec, exec, s[38:39]
	s_and_saveexec_b64 s[38:39], s[24:25]
	s_cbranch_execnz .LBB237_244
.LBB237_185:
	s_or_b64 exec, exec, s[38:39]
	s_and_saveexec_b64 s[38:39], s[22:23]
	s_cbranch_execnz .LBB237_245
.LBB237_186:
	s_or_b64 exec, exec, s[38:39]
	s_and_saveexec_b64 s[38:39], s[20:21]
	s_cbranch_execnz .LBB237_246
.LBB237_187:
	s_or_b64 exec, exec, s[38:39]
	s_and_saveexec_b64 s[38:39], s[18:19]
	s_cbranch_execnz .LBB237_247
.LBB237_188:
	s_or_b64 exec, exec, s[38:39]
	s_and_saveexec_b64 s[38:39], s[16:17]
	s_cbranch_execnz .LBB237_248
.LBB237_189:
	s_or_b64 exec, exec, s[38:39]
	s_and_saveexec_b64 s[38:39], s[14:15]
	s_cbranch_execnz .LBB237_249
.LBB237_190:
	s_or_b64 exec, exec, s[38:39]
	s_and_saveexec_b64 s[38:39], s[12:13]
	s_cbranch_execnz .LBB237_250
.LBB237_191:
	s_or_b64 exec, exec, s[38:39]
	s_and_saveexec_b64 s[38:39], s[10:11]
	s_cbranch_execnz .LBB237_251
.LBB237_192:
	s_or_b64 exec, exec, s[38:39]
	s_and_saveexec_b64 s[38:39], s[8:9]
	s_cbranch_execnz .LBB237_252
.LBB237_193:
	s_or_b64 exec, exec, s[38:39]
	s_and_saveexec_b64 s[38:39], s[6:7]
	s_cbranch_execnz .LBB237_253
.LBB237_194:
	s_or_b64 exec, exec, s[38:39]
	s_and_saveexec_b64 s[38:39], s[4:5]
	s_cbranch_execnz .LBB237_254
.LBB237_195:
	s_or_b64 exec, exec, s[38:39]
	s_and_saveexec_b64 s[38:39], s[2:3]
	s_cbranch_execz .LBB237_197
.LBB237_196:
	v_sub_u32_e32 v8, v22, v2
	v_mov_b32_e32 v9, 0
	v_lshlrev_b64 v[10:11], 3, v[8:9]
	v_add_co_u32_e32 v10, vcc, v6, v10
	v_addc_co_u32_e32 v11, vcc, v7, v11, vcc
	v_mov_b32_e32 v8, v23
	global_store_dwordx2 v[10:11], v[8:9], off
.LBB237_197:
	s_or_b64 exec, exec, s[38:39]
	s_and_b64 s[38:39], s[0:1], exec
	s_andn2_saveexec_b64 s[30:31], s[30:31]
	s_cbranch_execz .LBB237_130
.LBB237_198:
	v_mov_b32_e32 v9, 0
	v_sub_u32_e32 v10, v50, v2
	v_mov_b32_e32 v11, v9
	v_lshlrev_b64 v[10:11], 3, v[10:11]
	v_add_co_u32_e32 v10, vcc, v6, v10
	v_mov_b32_e32 v8, v51
	v_addc_co_u32_e32 v11, vcc, v7, v11, vcc
	global_store_dwordx2 v[10:11], v[8:9], off
	v_sub_u32_e32 v10, v48, v2
	v_mov_b32_e32 v11, v9
	v_lshlrev_b64 v[10:11], 3, v[10:11]
	v_add_co_u32_e32 v10, vcc, v6, v10
	v_mov_b32_e32 v8, v49
	v_addc_co_u32_e32 v11, vcc, v7, v11, vcc
	global_store_dwordx2 v[10:11], v[8:9], off
	;; [unrolled: 7-line block ×13, first 2 shown]
	v_sub_u32_e32 v10, v22, v2
	v_mov_b32_e32 v11, v9
	v_lshlrev_b64 v[10:11], 3, v[10:11]
	v_add_co_u32_e32 v10, vcc, v6, v10
	v_mov_b32_e32 v8, v23
	v_addc_co_u32_e32 v11, vcc, v7, v11, vcc
	s_or_b64 s[38:39], s[38:39], exec
	global_store_dwordx2 v[10:11], v[8:9], off
	s_or_b64 exec, exec, s[30:31]
	s_and_b64 exec, exec, s[38:39]
	s_cbranch_execnz .LBB237_131
	s_branch .LBB237_132
.LBB237_199:
	s_and_saveexec_b64 s[38:39], s[28:29]
	s_cbranch_execnz .LBB237_255
; %bb.200:
	s_or_b64 exec, exec, s[38:39]
	s_and_saveexec_b64 s[28:29], s[26:27]
	s_cbranch_execnz .LBB237_256
.LBB237_201:
	s_or_b64 exec, exec, s[28:29]
	s_and_saveexec_b64 s[26:27], s[24:25]
	s_cbranch_execnz .LBB237_257
.LBB237_202:
	s_or_b64 exec, exec, s[26:27]
	s_and_saveexec_b64 s[24:25], s[22:23]
	s_cbranch_execnz .LBB237_258
.LBB237_203:
	s_or_b64 exec, exec, s[24:25]
	s_and_saveexec_b64 s[22:23], s[20:21]
	s_cbranch_execnz .LBB237_259
.LBB237_204:
	s_or_b64 exec, exec, s[22:23]
	s_and_saveexec_b64 s[20:21], s[18:19]
	s_cbranch_execnz .LBB237_260
.LBB237_205:
	s_or_b64 exec, exec, s[20:21]
	s_and_saveexec_b64 s[18:19], s[16:17]
	s_cbranch_execnz .LBB237_261
.LBB237_206:
	s_or_b64 exec, exec, s[18:19]
	s_and_saveexec_b64 s[16:17], s[14:15]
	s_cbranch_execnz .LBB237_262
.LBB237_207:
	s_or_b64 exec, exec, s[16:17]
	s_and_saveexec_b64 s[14:15], s[12:13]
	s_cbranch_execnz .LBB237_263
.LBB237_208:
	s_or_b64 exec, exec, s[14:15]
	s_and_saveexec_b64 s[12:13], s[10:11]
	s_cbranch_execnz .LBB237_264
.LBB237_209:
	s_or_b64 exec, exec, s[12:13]
	s_and_saveexec_b64 s[10:11], s[8:9]
	s_cbranch_execnz .LBB237_265
.LBB237_210:
	s_or_b64 exec, exec, s[10:11]
	s_and_saveexec_b64 s[8:9], s[6:7]
	s_cbranch_execnz .LBB237_266
.LBB237_211:
	s_or_b64 exec, exec, s[8:9]
	s_and_saveexec_b64 s[6:7], s[4:5]
	s_cbranch_execnz .LBB237_267
.LBB237_212:
	s_or_b64 exec, exec, s[6:7]
	s_and_saveexec_b64 s[4:5], s[2:3]
	s_cbranch_execz .LBB237_214
.LBB237_213:
	v_sub_u32_e32 v3, v22, v2
	v_lshlrev_b32_e32 v3, 2, v3
	ds_write_b32 v3, v23
.LBB237_214:
	s_or_b64 exec, exec, s[4:5]
	s_and_b64 s[38:39], s[0:1], exec
                                        ; implicit-def: $vgpr22_vgpr23
                                        ; implicit-def: $vgpr26_vgpr27
                                        ; implicit-def: $vgpr28_vgpr29
                                        ; implicit-def: $vgpr50_vgpr51
                                        ; implicit-def: $vgpr48_vgpr49
                                        ; implicit-def: $vgpr46_vgpr47
                                        ; implicit-def: $vgpr44_vgpr45
                                        ; implicit-def: $vgpr42_vgpr43
                                        ; implicit-def: $vgpr40_vgpr41
                                        ; implicit-def: $vgpr38_vgpr39
                                        ; implicit-def: $vgpr36_vgpr37
                                        ; implicit-def: $vgpr34_vgpr35
                                        ; implicit-def: $vgpr32_vgpr33
                                        ; implicit-def: $vgpr30_vgpr31
	s_andn2_saveexec_b64 s[0:1], s[36:37]
	s_cbranch_execz .LBB237_137
.LBB237_215:
	v_sub_u32_e32 v3, v50, v2
	v_lshlrev_b32_e32 v3, 2, v3
	ds_write_b32 v3, v51
	v_sub_u32_e32 v3, v48, v2
	v_lshlrev_b32_e32 v3, 2, v3
	ds_write_b32 v3, v49
	;; [unrolled: 3-line block ×13, first 2 shown]
	v_sub_u32_e32 v3, v22, v2
	v_lshlrev_b32_e32 v3, 2, v3
	s_or_b64 s[38:39], s[38:39], exec
	ds_write_b32 v3, v23
	s_or_b64 exec, exec, s[0:1]
	s_and_b64 exec, exec, s[38:39]
	s_cbranch_execnz .LBB237_138
	s_branch .LBB237_139
.LBB237_216:
	v_sub_u32_e32 v3, v50, v18
	v_readfirstlane_b32 s40, v54
	v_readfirstlane_b32 s41, v17
	s_nop 4
	global_store_byte v3, v8, s[40:41]
	s_or_b64 exec, exec, s[38:39]
	s_and_saveexec_b64 s[38:39], s[26:27]
	s_cbranch_execz .LBB237_150
.LBB237_217:
	v_sub_u32_e32 v3, v48, v18
	v_readfirstlane_b32 s40, v54
	v_readfirstlane_b32 s41, v17
	s_nop 4
	global_store_byte v3, v67, s[40:41]
	s_or_b64 exec, exec, s[38:39]
	s_and_saveexec_b64 s[38:39], s[24:25]
	s_cbranch_execz .LBB237_151
.LBB237_218:
	v_sub_u32_e32 v3, v46, v18
	v_readfirstlane_b32 s40, v54
	v_readfirstlane_b32 s41, v17
	s_nop 4
	global_store_byte v3, v65, s[40:41]
	s_or_b64 exec, exec, s[38:39]
	s_and_saveexec_b64 s[38:39], s[22:23]
	s_cbranch_execz .LBB237_152
.LBB237_219:
	v_sub_u32_e32 v3, v44, v18
	v_readfirstlane_b32 s40, v54
	v_readfirstlane_b32 s41, v17
	s_nop 4
	global_store_byte v3, v63, s[40:41]
	s_or_b64 exec, exec, s[38:39]
	s_and_saveexec_b64 s[38:39], s[20:21]
	s_cbranch_execz .LBB237_153
.LBB237_220:
	v_sub_u32_e32 v3, v42, v18
	v_readfirstlane_b32 s40, v54
	v_readfirstlane_b32 s41, v17
	s_nop 4
	global_store_byte v3, v9, s[40:41]
	s_or_b64 exec, exec, s[38:39]
	s_and_saveexec_b64 s[38:39], s[18:19]
	s_cbranch_execz .LBB237_154
.LBB237_221:
	v_sub_u32_e32 v3, v40, v18
	v_readfirstlane_b32 s40, v54
	v_readfirstlane_b32 s41, v17
	s_nop 4
	global_store_byte v3, v61, s[40:41]
	s_or_b64 exec, exec, s[38:39]
	s_and_saveexec_b64 s[38:39], s[16:17]
	s_cbranch_execz .LBB237_155
.LBB237_222:
	v_sub_u32_e32 v3, v38, v18
	v_readfirstlane_b32 s40, v54
	v_readfirstlane_b32 s41, v17
	s_nop 4
	global_store_byte v3, v60, s[40:41]
	s_or_b64 exec, exec, s[38:39]
	s_and_saveexec_b64 s[38:39], s[14:15]
	s_cbranch_execz .LBB237_156
.LBB237_223:
	v_sub_u32_e32 v3, v36, v18
	v_readfirstlane_b32 s40, v54
	v_readfirstlane_b32 s41, v17
	s_nop 4
	global_store_byte v3, v59, s[40:41]
	s_or_b64 exec, exec, s[38:39]
	s_and_saveexec_b64 s[38:39], s[12:13]
	s_cbranch_execz .LBB237_157
.LBB237_224:
	v_sub_u32_e32 v3, v34, v18
	v_readfirstlane_b32 s40, v54
	v_readfirstlane_b32 s41, v17
	s_nop 4
	global_store_byte v3, v10, s[40:41]
	s_or_b64 exec, exec, s[38:39]
	s_and_saveexec_b64 s[38:39], s[10:11]
	s_cbranch_execz .LBB237_158
.LBB237_225:
	v_sub_u32_e32 v3, v32, v18
	v_readfirstlane_b32 s40, v54
	v_readfirstlane_b32 s41, v17
	s_nop 4
	global_store_byte v3, v58, s[40:41]
	s_or_b64 exec, exec, s[38:39]
	s_and_saveexec_b64 s[38:39], s[8:9]
	s_cbranch_execz .LBB237_159
.LBB237_226:
	v_sub_u32_e32 v3, v30, v18
	v_readfirstlane_b32 s40, v54
	v_readfirstlane_b32 s41, v17
	s_nop 4
	global_store_byte v3, v57, s[40:41]
	s_or_b64 exec, exec, s[38:39]
	s_and_saveexec_b64 s[38:39], s[6:7]
	s_cbranch_execz .LBB237_160
.LBB237_227:
	v_sub_u32_e32 v3, v28, v18
	v_readfirstlane_b32 s40, v54
	v_readfirstlane_b32 s41, v17
	s_nop 4
	global_store_byte v3, v56, s[40:41]
	s_or_b64 exec, exec, s[38:39]
	s_and_saveexec_b64 s[38:39], s[4:5]
	s_cbranch_execz .LBB237_161
.LBB237_228:
	v_sub_u32_e32 v3, v26, v18
	v_readfirstlane_b32 s40, v54
	v_readfirstlane_b32 s41, v17
	s_nop 4
	global_store_byte v3, v55, s[40:41]
	s_or_b64 exec, exec, s[38:39]
	s_and_saveexec_b64 s[38:39], s[2:3]
	s_cbranch_execnz .LBB237_162
	s_branch .LBB237_163
.LBB237_229:
	v_sub_u32_e32 v2, v50, v18
	ds_write_b8 v2, v8
	s_or_b64 exec, exec, s[38:39]
	s_and_saveexec_b64 s[28:29], s[26:27]
	s_cbranch_execz .LBB237_167
.LBB237_230:
	v_sub_u32_e32 v2, v48, v18
	ds_write_b8 v2, v67
	s_or_b64 exec, exec, s[28:29]
	s_and_saveexec_b64 s[26:27], s[24:25]
	s_cbranch_execz .LBB237_168
.LBB237_231:
	v_sub_u32_e32 v2, v46, v18
	ds_write_b8 v2, v65
	s_or_b64 exec, exec, s[26:27]
	s_and_saveexec_b64 s[24:25], s[22:23]
	s_cbranch_execz .LBB237_169
.LBB237_232:
	v_sub_u32_e32 v2, v44, v18
	ds_write_b8 v2, v63
	s_or_b64 exec, exec, s[24:25]
	s_and_saveexec_b64 s[22:23], s[20:21]
	s_cbranch_execz .LBB237_170
.LBB237_233:
	v_sub_u32_e32 v2, v42, v18
	ds_write_b8 v2, v9
	s_or_b64 exec, exec, s[22:23]
	s_and_saveexec_b64 s[20:21], s[18:19]
	s_cbranch_execz .LBB237_171
.LBB237_234:
	v_sub_u32_e32 v2, v40, v18
	ds_write_b8 v2, v61
	s_or_b64 exec, exec, s[20:21]
	s_and_saveexec_b64 s[18:19], s[16:17]
	s_cbranch_execz .LBB237_172
.LBB237_235:
	v_sub_u32_e32 v2, v38, v18
	ds_write_b8 v2, v60
	s_or_b64 exec, exec, s[18:19]
	s_and_saveexec_b64 s[16:17], s[14:15]
	s_cbranch_execz .LBB237_173
.LBB237_236:
	v_sub_u32_e32 v2, v36, v18
	ds_write_b8 v2, v59
	s_or_b64 exec, exec, s[16:17]
	s_and_saveexec_b64 s[14:15], s[12:13]
	s_cbranch_execz .LBB237_174
.LBB237_237:
	v_sub_u32_e32 v2, v34, v18
	ds_write_b8 v2, v10
	s_or_b64 exec, exec, s[14:15]
	s_and_saveexec_b64 s[12:13], s[10:11]
	s_cbranch_execz .LBB237_175
.LBB237_238:
	v_sub_u32_e32 v2, v32, v18
	ds_write_b8 v2, v58
	s_or_b64 exec, exec, s[12:13]
	s_and_saveexec_b64 s[10:11], s[8:9]
	s_cbranch_execz .LBB237_176
.LBB237_239:
	v_sub_u32_e32 v2, v30, v18
	ds_write_b8 v2, v57
	s_or_b64 exec, exec, s[10:11]
	s_and_saveexec_b64 s[8:9], s[6:7]
	s_cbranch_execz .LBB237_177
.LBB237_240:
	v_sub_u32_e32 v2, v28, v18
	ds_write_b8 v2, v56
	s_or_b64 exec, exec, s[8:9]
	s_and_saveexec_b64 s[6:7], s[4:5]
	s_cbranch_execz .LBB237_178
.LBB237_241:
	v_sub_u32_e32 v2, v26, v18
	ds_write_b8 v2, v55
	s_or_b64 exec, exec, s[6:7]
	s_and_saveexec_b64 s[4:5], s[2:3]
	s_cbranch_execnz .LBB237_179
	s_branch .LBB237_180
.LBB237_242:
	v_sub_u32_e32 v8, v50, v2
	v_mov_b32_e32 v9, 0
	v_lshlrev_b64 v[10:11], 3, v[8:9]
	v_add_co_u32_e32 v10, vcc, v6, v10
	v_addc_co_u32_e32 v11, vcc, v7, v11, vcc
	v_mov_b32_e32 v8, v51
	global_store_dwordx2 v[10:11], v[8:9], off
	s_or_b64 exec, exec, s[38:39]
	s_and_saveexec_b64 s[38:39], s[26:27]
	s_cbranch_execz .LBB237_184
.LBB237_243:
	v_sub_u32_e32 v8, v48, v2
	v_mov_b32_e32 v9, 0
	v_lshlrev_b64 v[10:11], 3, v[8:9]
	v_add_co_u32_e32 v10, vcc, v6, v10
	v_addc_co_u32_e32 v11, vcc, v7, v11, vcc
	v_mov_b32_e32 v8, v49
	global_store_dwordx2 v[10:11], v[8:9], off
	s_or_b64 exec, exec, s[38:39]
	s_and_saveexec_b64 s[38:39], s[24:25]
	s_cbranch_execz .LBB237_185
.LBB237_244:
	v_sub_u32_e32 v8, v46, v2
	v_mov_b32_e32 v9, 0
	v_lshlrev_b64 v[10:11], 3, v[8:9]
	v_add_co_u32_e32 v10, vcc, v6, v10
	v_addc_co_u32_e32 v11, vcc, v7, v11, vcc
	v_mov_b32_e32 v8, v47
	global_store_dwordx2 v[10:11], v[8:9], off
	s_or_b64 exec, exec, s[38:39]
	s_and_saveexec_b64 s[38:39], s[22:23]
	s_cbranch_execz .LBB237_186
.LBB237_245:
	v_sub_u32_e32 v8, v44, v2
	v_mov_b32_e32 v9, 0
	v_lshlrev_b64 v[10:11], 3, v[8:9]
	v_add_co_u32_e32 v10, vcc, v6, v10
	v_addc_co_u32_e32 v11, vcc, v7, v11, vcc
	v_mov_b32_e32 v8, v45
	global_store_dwordx2 v[10:11], v[8:9], off
	s_or_b64 exec, exec, s[38:39]
	s_and_saveexec_b64 s[38:39], s[20:21]
	s_cbranch_execz .LBB237_187
.LBB237_246:
	v_sub_u32_e32 v8, v42, v2
	v_mov_b32_e32 v9, 0
	v_lshlrev_b64 v[10:11], 3, v[8:9]
	v_add_co_u32_e32 v10, vcc, v6, v10
	v_addc_co_u32_e32 v11, vcc, v7, v11, vcc
	v_mov_b32_e32 v8, v43
	global_store_dwordx2 v[10:11], v[8:9], off
	s_or_b64 exec, exec, s[38:39]
	s_and_saveexec_b64 s[38:39], s[18:19]
	s_cbranch_execz .LBB237_188
.LBB237_247:
	v_sub_u32_e32 v8, v40, v2
	v_mov_b32_e32 v9, 0
	v_lshlrev_b64 v[10:11], 3, v[8:9]
	v_add_co_u32_e32 v10, vcc, v6, v10
	v_addc_co_u32_e32 v11, vcc, v7, v11, vcc
	v_mov_b32_e32 v8, v41
	global_store_dwordx2 v[10:11], v[8:9], off
	s_or_b64 exec, exec, s[38:39]
	s_and_saveexec_b64 s[38:39], s[16:17]
	s_cbranch_execz .LBB237_189
.LBB237_248:
	v_sub_u32_e32 v8, v38, v2
	v_mov_b32_e32 v9, 0
	v_lshlrev_b64 v[10:11], 3, v[8:9]
	v_add_co_u32_e32 v10, vcc, v6, v10
	v_addc_co_u32_e32 v11, vcc, v7, v11, vcc
	v_mov_b32_e32 v8, v39
	global_store_dwordx2 v[10:11], v[8:9], off
	s_or_b64 exec, exec, s[38:39]
	s_and_saveexec_b64 s[38:39], s[14:15]
	s_cbranch_execz .LBB237_190
.LBB237_249:
	v_sub_u32_e32 v8, v36, v2
	v_mov_b32_e32 v9, 0
	v_lshlrev_b64 v[10:11], 3, v[8:9]
	v_add_co_u32_e32 v10, vcc, v6, v10
	v_addc_co_u32_e32 v11, vcc, v7, v11, vcc
	v_mov_b32_e32 v8, v37
	global_store_dwordx2 v[10:11], v[8:9], off
	s_or_b64 exec, exec, s[38:39]
	s_and_saveexec_b64 s[38:39], s[12:13]
	s_cbranch_execz .LBB237_191
.LBB237_250:
	v_sub_u32_e32 v8, v34, v2
	v_mov_b32_e32 v9, 0
	v_lshlrev_b64 v[10:11], 3, v[8:9]
	v_add_co_u32_e32 v10, vcc, v6, v10
	v_addc_co_u32_e32 v11, vcc, v7, v11, vcc
	v_mov_b32_e32 v8, v35
	global_store_dwordx2 v[10:11], v[8:9], off
	s_or_b64 exec, exec, s[38:39]
	s_and_saveexec_b64 s[38:39], s[10:11]
	s_cbranch_execz .LBB237_192
.LBB237_251:
	v_sub_u32_e32 v8, v32, v2
	v_mov_b32_e32 v9, 0
	v_lshlrev_b64 v[10:11], 3, v[8:9]
	v_add_co_u32_e32 v10, vcc, v6, v10
	v_addc_co_u32_e32 v11, vcc, v7, v11, vcc
	v_mov_b32_e32 v8, v33
	global_store_dwordx2 v[10:11], v[8:9], off
	s_or_b64 exec, exec, s[38:39]
	s_and_saveexec_b64 s[38:39], s[8:9]
	s_cbranch_execz .LBB237_193
.LBB237_252:
	v_sub_u32_e32 v8, v30, v2
	v_mov_b32_e32 v9, 0
	v_lshlrev_b64 v[10:11], 3, v[8:9]
	v_add_co_u32_e32 v10, vcc, v6, v10
	v_addc_co_u32_e32 v11, vcc, v7, v11, vcc
	v_mov_b32_e32 v8, v31
	global_store_dwordx2 v[10:11], v[8:9], off
	s_or_b64 exec, exec, s[38:39]
	s_and_saveexec_b64 s[38:39], s[6:7]
	s_cbranch_execz .LBB237_194
.LBB237_253:
	v_sub_u32_e32 v8, v28, v2
	v_mov_b32_e32 v9, 0
	v_lshlrev_b64 v[10:11], 3, v[8:9]
	v_add_co_u32_e32 v10, vcc, v6, v10
	v_addc_co_u32_e32 v11, vcc, v7, v11, vcc
	v_mov_b32_e32 v8, v29
	global_store_dwordx2 v[10:11], v[8:9], off
	s_or_b64 exec, exec, s[38:39]
	s_and_saveexec_b64 s[38:39], s[4:5]
	s_cbranch_execz .LBB237_195
.LBB237_254:
	v_sub_u32_e32 v8, v26, v2
	v_mov_b32_e32 v9, 0
	v_lshlrev_b64 v[10:11], 3, v[8:9]
	v_add_co_u32_e32 v10, vcc, v6, v10
	v_addc_co_u32_e32 v11, vcc, v7, v11, vcc
	v_mov_b32_e32 v8, v27
	global_store_dwordx2 v[10:11], v[8:9], off
	s_or_b64 exec, exec, s[38:39]
	s_and_saveexec_b64 s[38:39], s[2:3]
	s_cbranch_execnz .LBB237_196
	s_branch .LBB237_197
.LBB237_255:
	v_sub_u32_e32 v3, v50, v2
	v_lshlrev_b32_e32 v3, 2, v3
	ds_write_b32 v3, v51
	s_or_b64 exec, exec, s[38:39]
	s_and_saveexec_b64 s[28:29], s[26:27]
	s_cbranch_execz .LBB237_201
.LBB237_256:
	v_sub_u32_e32 v3, v48, v2
	v_lshlrev_b32_e32 v3, 2, v3
	ds_write_b32 v3, v49
	s_or_b64 exec, exec, s[28:29]
	s_and_saveexec_b64 s[26:27], s[24:25]
	s_cbranch_execz .LBB237_202
.LBB237_257:
	v_sub_u32_e32 v3, v46, v2
	v_lshlrev_b32_e32 v3, 2, v3
	ds_write_b32 v3, v47
	s_or_b64 exec, exec, s[26:27]
	s_and_saveexec_b64 s[24:25], s[22:23]
	s_cbranch_execz .LBB237_203
.LBB237_258:
	v_sub_u32_e32 v3, v44, v2
	v_lshlrev_b32_e32 v3, 2, v3
	ds_write_b32 v3, v45
	s_or_b64 exec, exec, s[24:25]
	s_and_saveexec_b64 s[22:23], s[20:21]
	s_cbranch_execz .LBB237_204
.LBB237_259:
	v_sub_u32_e32 v3, v42, v2
	v_lshlrev_b32_e32 v3, 2, v3
	ds_write_b32 v3, v43
	s_or_b64 exec, exec, s[22:23]
	s_and_saveexec_b64 s[20:21], s[18:19]
	s_cbranch_execz .LBB237_205
.LBB237_260:
	v_sub_u32_e32 v3, v40, v2
	v_lshlrev_b32_e32 v3, 2, v3
	ds_write_b32 v3, v41
	s_or_b64 exec, exec, s[20:21]
	s_and_saveexec_b64 s[18:19], s[16:17]
	s_cbranch_execz .LBB237_206
.LBB237_261:
	v_sub_u32_e32 v3, v38, v2
	v_lshlrev_b32_e32 v3, 2, v3
	ds_write_b32 v3, v39
	s_or_b64 exec, exec, s[18:19]
	s_and_saveexec_b64 s[16:17], s[14:15]
	s_cbranch_execz .LBB237_207
.LBB237_262:
	v_sub_u32_e32 v3, v36, v2
	v_lshlrev_b32_e32 v3, 2, v3
	ds_write_b32 v3, v37
	s_or_b64 exec, exec, s[16:17]
	s_and_saveexec_b64 s[14:15], s[12:13]
	s_cbranch_execz .LBB237_208
.LBB237_263:
	v_sub_u32_e32 v3, v34, v2
	v_lshlrev_b32_e32 v3, 2, v3
	ds_write_b32 v3, v35
	s_or_b64 exec, exec, s[14:15]
	s_and_saveexec_b64 s[12:13], s[10:11]
	s_cbranch_execz .LBB237_209
.LBB237_264:
	v_sub_u32_e32 v3, v32, v2
	v_lshlrev_b32_e32 v3, 2, v3
	ds_write_b32 v3, v33
	s_or_b64 exec, exec, s[12:13]
	s_and_saveexec_b64 s[10:11], s[8:9]
	s_cbranch_execz .LBB237_210
.LBB237_265:
	v_sub_u32_e32 v3, v30, v2
	v_lshlrev_b32_e32 v3, 2, v3
	ds_write_b32 v3, v31
	s_or_b64 exec, exec, s[10:11]
	s_and_saveexec_b64 s[8:9], s[6:7]
	s_cbranch_execz .LBB237_211
.LBB237_266:
	v_sub_u32_e32 v3, v28, v2
	v_lshlrev_b32_e32 v3, 2, v3
	ds_write_b32 v3, v29
	s_or_b64 exec, exec, s[8:9]
	s_and_saveexec_b64 s[6:7], s[4:5]
	s_cbranch_execz .LBB237_212
.LBB237_267:
	v_sub_u32_e32 v3, v26, v2
	v_lshlrev_b32_e32 v3, 2, v3
	ds_write_b32 v3, v27
	s_or_b64 exec, exec, s[6:7]
	s_and_saveexec_b64 s[4:5], s[2:3]
	s_cbranch_execnz .LBB237_213
	s_branch .LBB237_214
	.section	.rodata,"a",@progbits
	.p2align	6, 0x0
	.amdhsa_kernel _ZN7rocprim17ROCPRIM_400000_NS6detail17trampoline_kernelINS0_14default_configENS1_33run_length_encode_config_selectorIajNS0_4plusIjEEEEZZNS1_33reduce_by_key_impl_wrapped_configILNS1_25lookback_scan_determinismE0ES3_S7_PKaNS0_17constant_iteratorIjlEEPaPlSF_S6_NS0_8equal_toIaEEEE10hipError_tPvRmT2_T3_mT4_T5_T6_T7_T8_P12ihipStream_tbENKUlT_T0_E_clISt17integral_constantIbLb0EESZ_EEDaSU_SV_EUlSU_E_NS1_11comp_targetILNS1_3genE4ELNS1_11target_archE910ELNS1_3gpuE8ELNS1_3repE0EEENS1_30default_config_static_selectorELNS0_4arch9wavefront6targetE1EEEvT1_
		.amdhsa_group_segment_fixed_size 15360
		.amdhsa_private_segment_fixed_size 0
		.amdhsa_kernarg_size 128
		.amdhsa_user_sgpr_count 6
		.amdhsa_user_sgpr_private_segment_buffer 1
		.amdhsa_user_sgpr_dispatch_ptr 0
		.amdhsa_user_sgpr_queue_ptr 0
		.amdhsa_user_sgpr_kernarg_segment_ptr 1
		.amdhsa_user_sgpr_dispatch_id 0
		.amdhsa_user_sgpr_flat_scratch_init 0
		.amdhsa_user_sgpr_kernarg_preload_length 0
		.amdhsa_user_sgpr_kernarg_preload_offset 0
		.amdhsa_user_sgpr_private_segment_size 0
		.amdhsa_uses_dynamic_stack 0
		.amdhsa_system_sgpr_private_segment_wavefront_offset 0
		.amdhsa_system_sgpr_workgroup_id_x 1
		.amdhsa_system_sgpr_workgroup_id_y 0
		.amdhsa_system_sgpr_workgroup_id_z 0
		.amdhsa_system_sgpr_workgroup_info 0
		.amdhsa_system_vgpr_workitem_id 0
		.amdhsa_next_free_vgpr 115
		.amdhsa_next_free_sgpr 64
		.amdhsa_accum_offset 116
		.amdhsa_reserve_vcc 1
		.amdhsa_reserve_flat_scratch 0
		.amdhsa_float_round_mode_32 0
		.amdhsa_float_round_mode_16_64 0
		.amdhsa_float_denorm_mode_32 3
		.amdhsa_float_denorm_mode_16_64 3
		.amdhsa_dx10_clamp 1
		.amdhsa_ieee_mode 1
		.amdhsa_fp16_overflow 0
		.amdhsa_tg_split 0
		.amdhsa_exception_fp_ieee_invalid_op 0
		.amdhsa_exception_fp_denorm_src 0
		.amdhsa_exception_fp_ieee_div_zero 0
		.amdhsa_exception_fp_ieee_overflow 0
		.amdhsa_exception_fp_ieee_underflow 0
		.amdhsa_exception_fp_ieee_inexact 0
		.amdhsa_exception_int_div_zero 0
	.end_amdhsa_kernel
	.section	.text._ZN7rocprim17ROCPRIM_400000_NS6detail17trampoline_kernelINS0_14default_configENS1_33run_length_encode_config_selectorIajNS0_4plusIjEEEEZZNS1_33reduce_by_key_impl_wrapped_configILNS1_25lookback_scan_determinismE0ES3_S7_PKaNS0_17constant_iteratorIjlEEPaPlSF_S6_NS0_8equal_toIaEEEE10hipError_tPvRmT2_T3_mT4_T5_T6_T7_T8_P12ihipStream_tbENKUlT_T0_E_clISt17integral_constantIbLb0EESZ_EEDaSU_SV_EUlSU_E_NS1_11comp_targetILNS1_3genE4ELNS1_11target_archE910ELNS1_3gpuE8ELNS1_3repE0EEENS1_30default_config_static_selectorELNS0_4arch9wavefront6targetE1EEEvT1_,"axG",@progbits,_ZN7rocprim17ROCPRIM_400000_NS6detail17trampoline_kernelINS0_14default_configENS1_33run_length_encode_config_selectorIajNS0_4plusIjEEEEZZNS1_33reduce_by_key_impl_wrapped_configILNS1_25lookback_scan_determinismE0ES3_S7_PKaNS0_17constant_iteratorIjlEEPaPlSF_S6_NS0_8equal_toIaEEEE10hipError_tPvRmT2_T3_mT4_T5_T6_T7_T8_P12ihipStream_tbENKUlT_T0_E_clISt17integral_constantIbLb0EESZ_EEDaSU_SV_EUlSU_E_NS1_11comp_targetILNS1_3genE4ELNS1_11target_archE910ELNS1_3gpuE8ELNS1_3repE0EEENS1_30default_config_static_selectorELNS0_4arch9wavefront6targetE1EEEvT1_,comdat
.Lfunc_end237:
	.size	_ZN7rocprim17ROCPRIM_400000_NS6detail17trampoline_kernelINS0_14default_configENS1_33run_length_encode_config_selectorIajNS0_4plusIjEEEEZZNS1_33reduce_by_key_impl_wrapped_configILNS1_25lookback_scan_determinismE0ES3_S7_PKaNS0_17constant_iteratorIjlEEPaPlSF_S6_NS0_8equal_toIaEEEE10hipError_tPvRmT2_T3_mT4_T5_T6_T7_T8_P12ihipStream_tbENKUlT_T0_E_clISt17integral_constantIbLb0EESZ_EEDaSU_SV_EUlSU_E_NS1_11comp_targetILNS1_3genE4ELNS1_11target_archE910ELNS1_3gpuE8ELNS1_3repE0EEENS1_30default_config_static_selectorELNS0_4arch9wavefront6targetE1EEEvT1_, .Lfunc_end237-_ZN7rocprim17ROCPRIM_400000_NS6detail17trampoline_kernelINS0_14default_configENS1_33run_length_encode_config_selectorIajNS0_4plusIjEEEEZZNS1_33reduce_by_key_impl_wrapped_configILNS1_25lookback_scan_determinismE0ES3_S7_PKaNS0_17constant_iteratorIjlEEPaPlSF_S6_NS0_8equal_toIaEEEE10hipError_tPvRmT2_T3_mT4_T5_T6_T7_T8_P12ihipStream_tbENKUlT_T0_E_clISt17integral_constantIbLb0EESZ_EEDaSU_SV_EUlSU_E_NS1_11comp_targetILNS1_3genE4ELNS1_11target_archE910ELNS1_3gpuE8ELNS1_3repE0EEENS1_30default_config_static_selectorELNS0_4arch9wavefront6targetE1EEEvT1_
                                        ; -- End function
	.section	.AMDGPU.csdata,"",@progbits
; Kernel info:
; codeLenInByte = 14500
; NumSgprs: 68
; NumVgprs: 115
; NumAgprs: 0
; TotalNumVgprs: 115
; ScratchSize: 0
; MemoryBound: 0
; FloatMode: 240
; IeeeMode: 1
; LDSByteSize: 15360 bytes/workgroup (compile time only)
; SGPRBlocks: 8
; VGPRBlocks: 14
; NumSGPRsForWavesPerEU: 68
; NumVGPRsForWavesPerEU: 115
; AccumOffset: 116
; Occupancy: 4
; WaveLimiterHint : 1
; COMPUTE_PGM_RSRC2:SCRATCH_EN: 0
; COMPUTE_PGM_RSRC2:USER_SGPR: 6
; COMPUTE_PGM_RSRC2:TRAP_HANDLER: 0
; COMPUTE_PGM_RSRC2:TGID_X_EN: 1
; COMPUTE_PGM_RSRC2:TGID_Y_EN: 0
; COMPUTE_PGM_RSRC2:TGID_Z_EN: 0
; COMPUTE_PGM_RSRC2:TIDIG_COMP_CNT: 0
; COMPUTE_PGM_RSRC3_GFX90A:ACCUM_OFFSET: 28
; COMPUTE_PGM_RSRC3_GFX90A:TG_SPLIT: 0
	.section	.text._ZN7rocprim17ROCPRIM_400000_NS6detail17trampoline_kernelINS0_14default_configENS1_33run_length_encode_config_selectorIajNS0_4plusIjEEEEZZNS1_33reduce_by_key_impl_wrapped_configILNS1_25lookback_scan_determinismE0ES3_S7_PKaNS0_17constant_iteratorIjlEEPaPlSF_S6_NS0_8equal_toIaEEEE10hipError_tPvRmT2_T3_mT4_T5_T6_T7_T8_P12ihipStream_tbENKUlT_T0_E_clISt17integral_constantIbLb0EESZ_EEDaSU_SV_EUlSU_E_NS1_11comp_targetILNS1_3genE3ELNS1_11target_archE908ELNS1_3gpuE7ELNS1_3repE0EEENS1_30default_config_static_selectorELNS0_4arch9wavefront6targetE1EEEvT1_,"axG",@progbits,_ZN7rocprim17ROCPRIM_400000_NS6detail17trampoline_kernelINS0_14default_configENS1_33run_length_encode_config_selectorIajNS0_4plusIjEEEEZZNS1_33reduce_by_key_impl_wrapped_configILNS1_25lookback_scan_determinismE0ES3_S7_PKaNS0_17constant_iteratorIjlEEPaPlSF_S6_NS0_8equal_toIaEEEE10hipError_tPvRmT2_T3_mT4_T5_T6_T7_T8_P12ihipStream_tbENKUlT_T0_E_clISt17integral_constantIbLb0EESZ_EEDaSU_SV_EUlSU_E_NS1_11comp_targetILNS1_3genE3ELNS1_11target_archE908ELNS1_3gpuE7ELNS1_3repE0EEENS1_30default_config_static_selectorELNS0_4arch9wavefront6targetE1EEEvT1_,comdat
	.protected	_ZN7rocprim17ROCPRIM_400000_NS6detail17trampoline_kernelINS0_14default_configENS1_33run_length_encode_config_selectorIajNS0_4plusIjEEEEZZNS1_33reduce_by_key_impl_wrapped_configILNS1_25lookback_scan_determinismE0ES3_S7_PKaNS0_17constant_iteratorIjlEEPaPlSF_S6_NS0_8equal_toIaEEEE10hipError_tPvRmT2_T3_mT4_T5_T6_T7_T8_P12ihipStream_tbENKUlT_T0_E_clISt17integral_constantIbLb0EESZ_EEDaSU_SV_EUlSU_E_NS1_11comp_targetILNS1_3genE3ELNS1_11target_archE908ELNS1_3gpuE7ELNS1_3repE0EEENS1_30default_config_static_selectorELNS0_4arch9wavefront6targetE1EEEvT1_ ; -- Begin function _ZN7rocprim17ROCPRIM_400000_NS6detail17trampoline_kernelINS0_14default_configENS1_33run_length_encode_config_selectorIajNS0_4plusIjEEEEZZNS1_33reduce_by_key_impl_wrapped_configILNS1_25lookback_scan_determinismE0ES3_S7_PKaNS0_17constant_iteratorIjlEEPaPlSF_S6_NS0_8equal_toIaEEEE10hipError_tPvRmT2_T3_mT4_T5_T6_T7_T8_P12ihipStream_tbENKUlT_T0_E_clISt17integral_constantIbLb0EESZ_EEDaSU_SV_EUlSU_E_NS1_11comp_targetILNS1_3genE3ELNS1_11target_archE908ELNS1_3gpuE7ELNS1_3repE0EEENS1_30default_config_static_selectorELNS0_4arch9wavefront6targetE1EEEvT1_
	.globl	_ZN7rocprim17ROCPRIM_400000_NS6detail17trampoline_kernelINS0_14default_configENS1_33run_length_encode_config_selectorIajNS0_4plusIjEEEEZZNS1_33reduce_by_key_impl_wrapped_configILNS1_25lookback_scan_determinismE0ES3_S7_PKaNS0_17constant_iteratorIjlEEPaPlSF_S6_NS0_8equal_toIaEEEE10hipError_tPvRmT2_T3_mT4_T5_T6_T7_T8_P12ihipStream_tbENKUlT_T0_E_clISt17integral_constantIbLb0EESZ_EEDaSU_SV_EUlSU_E_NS1_11comp_targetILNS1_3genE3ELNS1_11target_archE908ELNS1_3gpuE7ELNS1_3repE0EEENS1_30default_config_static_selectorELNS0_4arch9wavefront6targetE1EEEvT1_
	.p2align	8
	.type	_ZN7rocprim17ROCPRIM_400000_NS6detail17trampoline_kernelINS0_14default_configENS1_33run_length_encode_config_selectorIajNS0_4plusIjEEEEZZNS1_33reduce_by_key_impl_wrapped_configILNS1_25lookback_scan_determinismE0ES3_S7_PKaNS0_17constant_iteratorIjlEEPaPlSF_S6_NS0_8equal_toIaEEEE10hipError_tPvRmT2_T3_mT4_T5_T6_T7_T8_P12ihipStream_tbENKUlT_T0_E_clISt17integral_constantIbLb0EESZ_EEDaSU_SV_EUlSU_E_NS1_11comp_targetILNS1_3genE3ELNS1_11target_archE908ELNS1_3gpuE7ELNS1_3repE0EEENS1_30default_config_static_selectorELNS0_4arch9wavefront6targetE1EEEvT1_,@function
_ZN7rocprim17ROCPRIM_400000_NS6detail17trampoline_kernelINS0_14default_configENS1_33run_length_encode_config_selectorIajNS0_4plusIjEEEEZZNS1_33reduce_by_key_impl_wrapped_configILNS1_25lookback_scan_determinismE0ES3_S7_PKaNS0_17constant_iteratorIjlEEPaPlSF_S6_NS0_8equal_toIaEEEE10hipError_tPvRmT2_T3_mT4_T5_T6_T7_T8_P12ihipStream_tbENKUlT_T0_E_clISt17integral_constantIbLb0EESZ_EEDaSU_SV_EUlSU_E_NS1_11comp_targetILNS1_3genE3ELNS1_11target_archE908ELNS1_3gpuE7ELNS1_3repE0EEENS1_30default_config_static_selectorELNS0_4arch9wavefront6targetE1EEEvT1_: ; @_ZN7rocprim17ROCPRIM_400000_NS6detail17trampoline_kernelINS0_14default_configENS1_33run_length_encode_config_selectorIajNS0_4plusIjEEEEZZNS1_33reduce_by_key_impl_wrapped_configILNS1_25lookback_scan_determinismE0ES3_S7_PKaNS0_17constant_iteratorIjlEEPaPlSF_S6_NS0_8equal_toIaEEEE10hipError_tPvRmT2_T3_mT4_T5_T6_T7_T8_P12ihipStream_tbENKUlT_T0_E_clISt17integral_constantIbLb0EESZ_EEDaSU_SV_EUlSU_E_NS1_11comp_targetILNS1_3genE3ELNS1_11target_archE908ELNS1_3gpuE7ELNS1_3repE0EEENS1_30default_config_static_selectorELNS0_4arch9wavefront6targetE1EEEvT1_
; %bb.0:
	.section	.rodata,"a",@progbits
	.p2align	6, 0x0
	.amdhsa_kernel _ZN7rocprim17ROCPRIM_400000_NS6detail17trampoline_kernelINS0_14default_configENS1_33run_length_encode_config_selectorIajNS0_4plusIjEEEEZZNS1_33reduce_by_key_impl_wrapped_configILNS1_25lookback_scan_determinismE0ES3_S7_PKaNS0_17constant_iteratorIjlEEPaPlSF_S6_NS0_8equal_toIaEEEE10hipError_tPvRmT2_T3_mT4_T5_T6_T7_T8_P12ihipStream_tbENKUlT_T0_E_clISt17integral_constantIbLb0EESZ_EEDaSU_SV_EUlSU_E_NS1_11comp_targetILNS1_3genE3ELNS1_11target_archE908ELNS1_3gpuE7ELNS1_3repE0EEENS1_30default_config_static_selectorELNS0_4arch9wavefront6targetE1EEEvT1_
		.amdhsa_group_segment_fixed_size 0
		.amdhsa_private_segment_fixed_size 0
		.amdhsa_kernarg_size 128
		.amdhsa_user_sgpr_count 6
		.amdhsa_user_sgpr_private_segment_buffer 1
		.amdhsa_user_sgpr_dispatch_ptr 0
		.amdhsa_user_sgpr_queue_ptr 0
		.amdhsa_user_sgpr_kernarg_segment_ptr 1
		.amdhsa_user_sgpr_dispatch_id 0
		.amdhsa_user_sgpr_flat_scratch_init 0
		.amdhsa_user_sgpr_kernarg_preload_length 0
		.amdhsa_user_sgpr_kernarg_preload_offset 0
		.amdhsa_user_sgpr_private_segment_size 0
		.amdhsa_uses_dynamic_stack 0
		.amdhsa_system_sgpr_private_segment_wavefront_offset 0
		.amdhsa_system_sgpr_workgroup_id_x 1
		.amdhsa_system_sgpr_workgroup_id_y 0
		.amdhsa_system_sgpr_workgroup_id_z 0
		.amdhsa_system_sgpr_workgroup_info 0
		.amdhsa_system_vgpr_workitem_id 0
		.amdhsa_next_free_vgpr 1
		.amdhsa_next_free_sgpr 0
		.amdhsa_accum_offset 4
		.amdhsa_reserve_vcc 0
		.amdhsa_reserve_flat_scratch 0
		.amdhsa_float_round_mode_32 0
		.amdhsa_float_round_mode_16_64 0
		.amdhsa_float_denorm_mode_32 3
		.amdhsa_float_denorm_mode_16_64 3
		.amdhsa_dx10_clamp 1
		.amdhsa_ieee_mode 1
		.amdhsa_fp16_overflow 0
		.amdhsa_tg_split 0
		.amdhsa_exception_fp_ieee_invalid_op 0
		.amdhsa_exception_fp_denorm_src 0
		.amdhsa_exception_fp_ieee_div_zero 0
		.amdhsa_exception_fp_ieee_overflow 0
		.amdhsa_exception_fp_ieee_underflow 0
		.amdhsa_exception_fp_ieee_inexact 0
		.amdhsa_exception_int_div_zero 0
	.end_amdhsa_kernel
	.section	.text._ZN7rocprim17ROCPRIM_400000_NS6detail17trampoline_kernelINS0_14default_configENS1_33run_length_encode_config_selectorIajNS0_4plusIjEEEEZZNS1_33reduce_by_key_impl_wrapped_configILNS1_25lookback_scan_determinismE0ES3_S7_PKaNS0_17constant_iteratorIjlEEPaPlSF_S6_NS0_8equal_toIaEEEE10hipError_tPvRmT2_T3_mT4_T5_T6_T7_T8_P12ihipStream_tbENKUlT_T0_E_clISt17integral_constantIbLb0EESZ_EEDaSU_SV_EUlSU_E_NS1_11comp_targetILNS1_3genE3ELNS1_11target_archE908ELNS1_3gpuE7ELNS1_3repE0EEENS1_30default_config_static_selectorELNS0_4arch9wavefront6targetE1EEEvT1_,"axG",@progbits,_ZN7rocprim17ROCPRIM_400000_NS6detail17trampoline_kernelINS0_14default_configENS1_33run_length_encode_config_selectorIajNS0_4plusIjEEEEZZNS1_33reduce_by_key_impl_wrapped_configILNS1_25lookback_scan_determinismE0ES3_S7_PKaNS0_17constant_iteratorIjlEEPaPlSF_S6_NS0_8equal_toIaEEEE10hipError_tPvRmT2_T3_mT4_T5_T6_T7_T8_P12ihipStream_tbENKUlT_T0_E_clISt17integral_constantIbLb0EESZ_EEDaSU_SV_EUlSU_E_NS1_11comp_targetILNS1_3genE3ELNS1_11target_archE908ELNS1_3gpuE7ELNS1_3repE0EEENS1_30default_config_static_selectorELNS0_4arch9wavefront6targetE1EEEvT1_,comdat
.Lfunc_end238:
	.size	_ZN7rocprim17ROCPRIM_400000_NS6detail17trampoline_kernelINS0_14default_configENS1_33run_length_encode_config_selectorIajNS0_4plusIjEEEEZZNS1_33reduce_by_key_impl_wrapped_configILNS1_25lookback_scan_determinismE0ES3_S7_PKaNS0_17constant_iteratorIjlEEPaPlSF_S6_NS0_8equal_toIaEEEE10hipError_tPvRmT2_T3_mT4_T5_T6_T7_T8_P12ihipStream_tbENKUlT_T0_E_clISt17integral_constantIbLb0EESZ_EEDaSU_SV_EUlSU_E_NS1_11comp_targetILNS1_3genE3ELNS1_11target_archE908ELNS1_3gpuE7ELNS1_3repE0EEENS1_30default_config_static_selectorELNS0_4arch9wavefront6targetE1EEEvT1_, .Lfunc_end238-_ZN7rocprim17ROCPRIM_400000_NS6detail17trampoline_kernelINS0_14default_configENS1_33run_length_encode_config_selectorIajNS0_4plusIjEEEEZZNS1_33reduce_by_key_impl_wrapped_configILNS1_25lookback_scan_determinismE0ES3_S7_PKaNS0_17constant_iteratorIjlEEPaPlSF_S6_NS0_8equal_toIaEEEE10hipError_tPvRmT2_T3_mT4_T5_T6_T7_T8_P12ihipStream_tbENKUlT_T0_E_clISt17integral_constantIbLb0EESZ_EEDaSU_SV_EUlSU_E_NS1_11comp_targetILNS1_3genE3ELNS1_11target_archE908ELNS1_3gpuE7ELNS1_3repE0EEENS1_30default_config_static_selectorELNS0_4arch9wavefront6targetE1EEEvT1_
                                        ; -- End function
	.section	.AMDGPU.csdata,"",@progbits
; Kernel info:
; codeLenInByte = 0
; NumSgprs: 4
; NumVgprs: 0
; NumAgprs: 0
; TotalNumVgprs: 0
; ScratchSize: 0
; MemoryBound: 0
; FloatMode: 240
; IeeeMode: 1
; LDSByteSize: 0 bytes/workgroup (compile time only)
; SGPRBlocks: 0
; VGPRBlocks: 0
; NumSGPRsForWavesPerEU: 4
; NumVGPRsForWavesPerEU: 1
; AccumOffset: 4
; Occupancy: 8
; WaveLimiterHint : 0
; COMPUTE_PGM_RSRC2:SCRATCH_EN: 0
; COMPUTE_PGM_RSRC2:USER_SGPR: 6
; COMPUTE_PGM_RSRC2:TRAP_HANDLER: 0
; COMPUTE_PGM_RSRC2:TGID_X_EN: 1
; COMPUTE_PGM_RSRC2:TGID_Y_EN: 0
; COMPUTE_PGM_RSRC2:TGID_Z_EN: 0
; COMPUTE_PGM_RSRC2:TIDIG_COMP_CNT: 0
; COMPUTE_PGM_RSRC3_GFX90A:ACCUM_OFFSET: 0
; COMPUTE_PGM_RSRC3_GFX90A:TG_SPLIT: 0
	.section	.text._ZN7rocprim17ROCPRIM_400000_NS6detail17trampoline_kernelINS0_14default_configENS1_33run_length_encode_config_selectorIajNS0_4plusIjEEEEZZNS1_33reduce_by_key_impl_wrapped_configILNS1_25lookback_scan_determinismE0ES3_S7_PKaNS0_17constant_iteratorIjlEEPaPlSF_S6_NS0_8equal_toIaEEEE10hipError_tPvRmT2_T3_mT4_T5_T6_T7_T8_P12ihipStream_tbENKUlT_T0_E_clISt17integral_constantIbLb0EESZ_EEDaSU_SV_EUlSU_E_NS1_11comp_targetILNS1_3genE2ELNS1_11target_archE906ELNS1_3gpuE6ELNS1_3repE0EEENS1_30default_config_static_selectorELNS0_4arch9wavefront6targetE1EEEvT1_,"axG",@progbits,_ZN7rocprim17ROCPRIM_400000_NS6detail17trampoline_kernelINS0_14default_configENS1_33run_length_encode_config_selectorIajNS0_4plusIjEEEEZZNS1_33reduce_by_key_impl_wrapped_configILNS1_25lookback_scan_determinismE0ES3_S7_PKaNS0_17constant_iteratorIjlEEPaPlSF_S6_NS0_8equal_toIaEEEE10hipError_tPvRmT2_T3_mT4_T5_T6_T7_T8_P12ihipStream_tbENKUlT_T0_E_clISt17integral_constantIbLb0EESZ_EEDaSU_SV_EUlSU_E_NS1_11comp_targetILNS1_3genE2ELNS1_11target_archE906ELNS1_3gpuE6ELNS1_3repE0EEENS1_30default_config_static_selectorELNS0_4arch9wavefront6targetE1EEEvT1_,comdat
	.protected	_ZN7rocprim17ROCPRIM_400000_NS6detail17trampoline_kernelINS0_14default_configENS1_33run_length_encode_config_selectorIajNS0_4plusIjEEEEZZNS1_33reduce_by_key_impl_wrapped_configILNS1_25lookback_scan_determinismE0ES3_S7_PKaNS0_17constant_iteratorIjlEEPaPlSF_S6_NS0_8equal_toIaEEEE10hipError_tPvRmT2_T3_mT4_T5_T6_T7_T8_P12ihipStream_tbENKUlT_T0_E_clISt17integral_constantIbLb0EESZ_EEDaSU_SV_EUlSU_E_NS1_11comp_targetILNS1_3genE2ELNS1_11target_archE906ELNS1_3gpuE6ELNS1_3repE0EEENS1_30default_config_static_selectorELNS0_4arch9wavefront6targetE1EEEvT1_ ; -- Begin function _ZN7rocprim17ROCPRIM_400000_NS6detail17trampoline_kernelINS0_14default_configENS1_33run_length_encode_config_selectorIajNS0_4plusIjEEEEZZNS1_33reduce_by_key_impl_wrapped_configILNS1_25lookback_scan_determinismE0ES3_S7_PKaNS0_17constant_iteratorIjlEEPaPlSF_S6_NS0_8equal_toIaEEEE10hipError_tPvRmT2_T3_mT4_T5_T6_T7_T8_P12ihipStream_tbENKUlT_T0_E_clISt17integral_constantIbLb0EESZ_EEDaSU_SV_EUlSU_E_NS1_11comp_targetILNS1_3genE2ELNS1_11target_archE906ELNS1_3gpuE6ELNS1_3repE0EEENS1_30default_config_static_selectorELNS0_4arch9wavefront6targetE1EEEvT1_
	.globl	_ZN7rocprim17ROCPRIM_400000_NS6detail17trampoline_kernelINS0_14default_configENS1_33run_length_encode_config_selectorIajNS0_4plusIjEEEEZZNS1_33reduce_by_key_impl_wrapped_configILNS1_25lookback_scan_determinismE0ES3_S7_PKaNS0_17constant_iteratorIjlEEPaPlSF_S6_NS0_8equal_toIaEEEE10hipError_tPvRmT2_T3_mT4_T5_T6_T7_T8_P12ihipStream_tbENKUlT_T0_E_clISt17integral_constantIbLb0EESZ_EEDaSU_SV_EUlSU_E_NS1_11comp_targetILNS1_3genE2ELNS1_11target_archE906ELNS1_3gpuE6ELNS1_3repE0EEENS1_30default_config_static_selectorELNS0_4arch9wavefront6targetE1EEEvT1_
	.p2align	8
	.type	_ZN7rocprim17ROCPRIM_400000_NS6detail17trampoline_kernelINS0_14default_configENS1_33run_length_encode_config_selectorIajNS0_4plusIjEEEEZZNS1_33reduce_by_key_impl_wrapped_configILNS1_25lookback_scan_determinismE0ES3_S7_PKaNS0_17constant_iteratorIjlEEPaPlSF_S6_NS0_8equal_toIaEEEE10hipError_tPvRmT2_T3_mT4_T5_T6_T7_T8_P12ihipStream_tbENKUlT_T0_E_clISt17integral_constantIbLb0EESZ_EEDaSU_SV_EUlSU_E_NS1_11comp_targetILNS1_3genE2ELNS1_11target_archE906ELNS1_3gpuE6ELNS1_3repE0EEENS1_30default_config_static_selectorELNS0_4arch9wavefront6targetE1EEEvT1_,@function
_ZN7rocprim17ROCPRIM_400000_NS6detail17trampoline_kernelINS0_14default_configENS1_33run_length_encode_config_selectorIajNS0_4plusIjEEEEZZNS1_33reduce_by_key_impl_wrapped_configILNS1_25lookback_scan_determinismE0ES3_S7_PKaNS0_17constant_iteratorIjlEEPaPlSF_S6_NS0_8equal_toIaEEEE10hipError_tPvRmT2_T3_mT4_T5_T6_T7_T8_P12ihipStream_tbENKUlT_T0_E_clISt17integral_constantIbLb0EESZ_EEDaSU_SV_EUlSU_E_NS1_11comp_targetILNS1_3genE2ELNS1_11target_archE906ELNS1_3gpuE6ELNS1_3repE0EEENS1_30default_config_static_selectorELNS0_4arch9wavefront6targetE1EEEvT1_: ; @_ZN7rocprim17ROCPRIM_400000_NS6detail17trampoline_kernelINS0_14default_configENS1_33run_length_encode_config_selectorIajNS0_4plusIjEEEEZZNS1_33reduce_by_key_impl_wrapped_configILNS1_25lookback_scan_determinismE0ES3_S7_PKaNS0_17constant_iteratorIjlEEPaPlSF_S6_NS0_8equal_toIaEEEE10hipError_tPvRmT2_T3_mT4_T5_T6_T7_T8_P12ihipStream_tbENKUlT_T0_E_clISt17integral_constantIbLb0EESZ_EEDaSU_SV_EUlSU_E_NS1_11comp_targetILNS1_3genE2ELNS1_11target_archE906ELNS1_3gpuE6ELNS1_3repE0EEENS1_30default_config_static_selectorELNS0_4arch9wavefront6targetE1EEEvT1_
; %bb.0:
	.section	.rodata,"a",@progbits
	.p2align	6, 0x0
	.amdhsa_kernel _ZN7rocprim17ROCPRIM_400000_NS6detail17trampoline_kernelINS0_14default_configENS1_33run_length_encode_config_selectorIajNS0_4plusIjEEEEZZNS1_33reduce_by_key_impl_wrapped_configILNS1_25lookback_scan_determinismE0ES3_S7_PKaNS0_17constant_iteratorIjlEEPaPlSF_S6_NS0_8equal_toIaEEEE10hipError_tPvRmT2_T3_mT4_T5_T6_T7_T8_P12ihipStream_tbENKUlT_T0_E_clISt17integral_constantIbLb0EESZ_EEDaSU_SV_EUlSU_E_NS1_11comp_targetILNS1_3genE2ELNS1_11target_archE906ELNS1_3gpuE6ELNS1_3repE0EEENS1_30default_config_static_selectorELNS0_4arch9wavefront6targetE1EEEvT1_
		.amdhsa_group_segment_fixed_size 0
		.amdhsa_private_segment_fixed_size 0
		.amdhsa_kernarg_size 128
		.amdhsa_user_sgpr_count 6
		.amdhsa_user_sgpr_private_segment_buffer 1
		.amdhsa_user_sgpr_dispatch_ptr 0
		.amdhsa_user_sgpr_queue_ptr 0
		.amdhsa_user_sgpr_kernarg_segment_ptr 1
		.amdhsa_user_sgpr_dispatch_id 0
		.amdhsa_user_sgpr_flat_scratch_init 0
		.amdhsa_user_sgpr_kernarg_preload_length 0
		.amdhsa_user_sgpr_kernarg_preload_offset 0
		.amdhsa_user_sgpr_private_segment_size 0
		.amdhsa_uses_dynamic_stack 0
		.amdhsa_system_sgpr_private_segment_wavefront_offset 0
		.amdhsa_system_sgpr_workgroup_id_x 1
		.amdhsa_system_sgpr_workgroup_id_y 0
		.amdhsa_system_sgpr_workgroup_id_z 0
		.amdhsa_system_sgpr_workgroup_info 0
		.amdhsa_system_vgpr_workitem_id 0
		.amdhsa_next_free_vgpr 1
		.amdhsa_next_free_sgpr 0
		.amdhsa_accum_offset 4
		.amdhsa_reserve_vcc 0
		.amdhsa_reserve_flat_scratch 0
		.amdhsa_float_round_mode_32 0
		.amdhsa_float_round_mode_16_64 0
		.amdhsa_float_denorm_mode_32 3
		.amdhsa_float_denorm_mode_16_64 3
		.amdhsa_dx10_clamp 1
		.amdhsa_ieee_mode 1
		.amdhsa_fp16_overflow 0
		.amdhsa_tg_split 0
		.amdhsa_exception_fp_ieee_invalid_op 0
		.amdhsa_exception_fp_denorm_src 0
		.amdhsa_exception_fp_ieee_div_zero 0
		.amdhsa_exception_fp_ieee_overflow 0
		.amdhsa_exception_fp_ieee_underflow 0
		.amdhsa_exception_fp_ieee_inexact 0
		.amdhsa_exception_int_div_zero 0
	.end_amdhsa_kernel
	.section	.text._ZN7rocprim17ROCPRIM_400000_NS6detail17trampoline_kernelINS0_14default_configENS1_33run_length_encode_config_selectorIajNS0_4plusIjEEEEZZNS1_33reduce_by_key_impl_wrapped_configILNS1_25lookback_scan_determinismE0ES3_S7_PKaNS0_17constant_iteratorIjlEEPaPlSF_S6_NS0_8equal_toIaEEEE10hipError_tPvRmT2_T3_mT4_T5_T6_T7_T8_P12ihipStream_tbENKUlT_T0_E_clISt17integral_constantIbLb0EESZ_EEDaSU_SV_EUlSU_E_NS1_11comp_targetILNS1_3genE2ELNS1_11target_archE906ELNS1_3gpuE6ELNS1_3repE0EEENS1_30default_config_static_selectorELNS0_4arch9wavefront6targetE1EEEvT1_,"axG",@progbits,_ZN7rocprim17ROCPRIM_400000_NS6detail17trampoline_kernelINS0_14default_configENS1_33run_length_encode_config_selectorIajNS0_4plusIjEEEEZZNS1_33reduce_by_key_impl_wrapped_configILNS1_25lookback_scan_determinismE0ES3_S7_PKaNS0_17constant_iteratorIjlEEPaPlSF_S6_NS0_8equal_toIaEEEE10hipError_tPvRmT2_T3_mT4_T5_T6_T7_T8_P12ihipStream_tbENKUlT_T0_E_clISt17integral_constantIbLb0EESZ_EEDaSU_SV_EUlSU_E_NS1_11comp_targetILNS1_3genE2ELNS1_11target_archE906ELNS1_3gpuE6ELNS1_3repE0EEENS1_30default_config_static_selectorELNS0_4arch9wavefront6targetE1EEEvT1_,comdat
.Lfunc_end239:
	.size	_ZN7rocprim17ROCPRIM_400000_NS6detail17trampoline_kernelINS0_14default_configENS1_33run_length_encode_config_selectorIajNS0_4plusIjEEEEZZNS1_33reduce_by_key_impl_wrapped_configILNS1_25lookback_scan_determinismE0ES3_S7_PKaNS0_17constant_iteratorIjlEEPaPlSF_S6_NS0_8equal_toIaEEEE10hipError_tPvRmT2_T3_mT4_T5_T6_T7_T8_P12ihipStream_tbENKUlT_T0_E_clISt17integral_constantIbLb0EESZ_EEDaSU_SV_EUlSU_E_NS1_11comp_targetILNS1_3genE2ELNS1_11target_archE906ELNS1_3gpuE6ELNS1_3repE0EEENS1_30default_config_static_selectorELNS0_4arch9wavefront6targetE1EEEvT1_, .Lfunc_end239-_ZN7rocprim17ROCPRIM_400000_NS6detail17trampoline_kernelINS0_14default_configENS1_33run_length_encode_config_selectorIajNS0_4plusIjEEEEZZNS1_33reduce_by_key_impl_wrapped_configILNS1_25lookback_scan_determinismE0ES3_S7_PKaNS0_17constant_iteratorIjlEEPaPlSF_S6_NS0_8equal_toIaEEEE10hipError_tPvRmT2_T3_mT4_T5_T6_T7_T8_P12ihipStream_tbENKUlT_T0_E_clISt17integral_constantIbLb0EESZ_EEDaSU_SV_EUlSU_E_NS1_11comp_targetILNS1_3genE2ELNS1_11target_archE906ELNS1_3gpuE6ELNS1_3repE0EEENS1_30default_config_static_selectorELNS0_4arch9wavefront6targetE1EEEvT1_
                                        ; -- End function
	.section	.AMDGPU.csdata,"",@progbits
; Kernel info:
; codeLenInByte = 0
; NumSgprs: 4
; NumVgprs: 0
; NumAgprs: 0
; TotalNumVgprs: 0
; ScratchSize: 0
; MemoryBound: 0
; FloatMode: 240
; IeeeMode: 1
; LDSByteSize: 0 bytes/workgroup (compile time only)
; SGPRBlocks: 0
; VGPRBlocks: 0
; NumSGPRsForWavesPerEU: 4
; NumVGPRsForWavesPerEU: 1
; AccumOffset: 4
; Occupancy: 8
; WaveLimiterHint : 0
; COMPUTE_PGM_RSRC2:SCRATCH_EN: 0
; COMPUTE_PGM_RSRC2:USER_SGPR: 6
; COMPUTE_PGM_RSRC2:TRAP_HANDLER: 0
; COMPUTE_PGM_RSRC2:TGID_X_EN: 1
; COMPUTE_PGM_RSRC2:TGID_Y_EN: 0
; COMPUTE_PGM_RSRC2:TGID_Z_EN: 0
; COMPUTE_PGM_RSRC2:TIDIG_COMP_CNT: 0
; COMPUTE_PGM_RSRC3_GFX90A:ACCUM_OFFSET: 0
; COMPUTE_PGM_RSRC3_GFX90A:TG_SPLIT: 0
	.section	.text._ZN7rocprim17ROCPRIM_400000_NS6detail17trampoline_kernelINS0_14default_configENS1_33run_length_encode_config_selectorIajNS0_4plusIjEEEEZZNS1_33reduce_by_key_impl_wrapped_configILNS1_25lookback_scan_determinismE0ES3_S7_PKaNS0_17constant_iteratorIjlEEPaPlSF_S6_NS0_8equal_toIaEEEE10hipError_tPvRmT2_T3_mT4_T5_T6_T7_T8_P12ihipStream_tbENKUlT_T0_E_clISt17integral_constantIbLb0EESZ_EEDaSU_SV_EUlSU_E_NS1_11comp_targetILNS1_3genE10ELNS1_11target_archE1201ELNS1_3gpuE5ELNS1_3repE0EEENS1_30default_config_static_selectorELNS0_4arch9wavefront6targetE1EEEvT1_,"axG",@progbits,_ZN7rocprim17ROCPRIM_400000_NS6detail17trampoline_kernelINS0_14default_configENS1_33run_length_encode_config_selectorIajNS0_4plusIjEEEEZZNS1_33reduce_by_key_impl_wrapped_configILNS1_25lookback_scan_determinismE0ES3_S7_PKaNS0_17constant_iteratorIjlEEPaPlSF_S6_NS0_8equal_toIaEEEE10hipError_tPvRmT2_T3_mT4_T5_T6_T7_T8_P12ihipStream_tbENKUlT_T0_E_clISt17integral_constantIbLb0EESZ_EEDaSU_SV_EUlSU_E_NS1_11comp_targetILNS1_3genE10ELNS1_11target_archE1201ELNS1_3gpuE5ELNS1_3repE0EEENS1_30default_config_static_selectorELNS0_4arch9wavefront6targetE1EEEvT1_,comdat
	.protected	_ZN7rocprim17ROCPRIM_400000_NS6detail17trampoline_kernelINS0_14default_configENS1_33run_length_encode_config_selectorIajNS0_4plusIjEEEEZZNS1_33reduce_by_key_impl_wrapped_configILNS1_25lookback_scan_determinismE0ES3_S7_PKaNS0_17constant_iteratorIjlEEPaPlSF_S6_NS0_8equal_toIaEEEE10hipError_tPvRmT2_T3_mT4_T5_T6_T7_T8_P12ihipStream_tbENKUlT_T0_E_clISt17integral_constantIbLb0EESZ_EEDaSU_SV_EUlSU_E_NS1_11comp_targetILNS1_3genE10ELNS1_11target_archE1201ELNS1_3gpuE5ELNS1_3repE0EEENS1_30default_config_static_selectorELNS0_4arch9wavefront6targetE1EEEvT1_ ; -- Begin function _ZN7rocprim17ROCPRIM_400000_NS6detail17trampoline_kernelINS0_14default_configENS1_33run_length_encode_config_selectorIajNS0_4plusIjEEEEZZNS1_33reduce_by_key_impl_wrapped_configILNS1_25lookback_scan_determinismE0ES3_S7_PKaNS0_17constant_iteratorIjlEEPaPlSF_S6_NS0_8equal_toIaEEEE10hipError_tPvRmT2_T3_mT4_T5_T6_T7_T8_P12ihipStream_tbENKUlT_T0_E_clISt17integral_constantIbLb0EESZ_EEDaSU_SV_EUlSU_E_NS1_11comp_targetILNS1_3genE10ELNS1_11target_archE1201ELNS1_3gpuE5ELNS1_3repE0EEENS1_30default_config_static_selectorELNS0_4arch9wavefront6targetE1EEEvT1_
	.globl	_ZN7rocprim17ROCPRIM_400000_NS6detail17trampoline_kernelINS0_14default_configENS1_33run_length_encode_config_selectorIajNS0_4plusIjEEEEZZNS1_33reduce_by_key_impl_wrapped_configILNS1_25lookback_scan_determinismE0ES3_S7_PKaNS0_17constant_iteratorIjlEEPaPlSF_S6_NS0_8equal_toIaEEEE10hipError_tPvRmT2_T3_mT4_T5_T6_T7_T8_P12ihipStream_tbENKUlT_T0_E_clISt17integral_constantIbLb0EESZ_EEDaSU_SV_EUlSU_E_NS1_11comp_targetILNS1_3genE10ELNS1_11target_archE1201ELNS1_3gpuE5ELNS1_3repE0EEENS1_30default_config_static_selectorELNS0_4arch9wavefront6targetE1EEEvT1_
	.p2align	8
	.type	_ZN7rocprim17ROCPRIM_400000_NS6detail17trampoline_kernelINS0_14default_configENS1_33run_length_encode_config_selectorIajNS0_4plusIjEEEEZZNS1_33reduce_by_key_impl_wrapped_configILNS1_25lookback_scan_determinismE0ES3_S7_PKaNS0_17constant_iteratorIjlEEPaPlSF_S6_NS0_8equal_toIaEEEE10hipError_tPvRmT2_T3_mT4_T5_T6_T7_T8_P12ihipStream_tbENKUlT_T0_E_clISt17integral_constantIbLb0EESZ_EEDaSU_SV_EUlSU_E_NS1_11comp_targetILNS1_3genE10ELNS1_11target_archE1201ELNS1_3gpuE5ELNS1_3repE0EEENS1_30default_config_static_selectorELNS0_4arch9wavefront6targetE1EEEvT1_,@function
_ZN7rocprim17ROCPRIM_400000_NS6detail17trampoline_kernelINS0_14default_configENS1_33run_length_encode_config_selectorIajNS0_4plusIjEEEEZZNS1_33reduce_by_key_impl_wrapped_configILNS1_25lookback_scan_determinismE0ES3_S7_PKaNS0_17constant_iteratorIjlEEPaPlSF_S6_NS0_8equal_toIaEEEE10hipError_tPvRmT2_T3_mT4_T5_T6_T7_T8_P12ihipStream_tbENKUlT_T0_E_clISt17integral_constantIbLb0EESZ_EEDaSU_SV_EUlSU_E_NS1_11comp_targetILNS1_3genE10ELNS1_11target_archE1201ELNS1_3gpuE5ELNS1_3repE0EEENS1_30default_config_static_selectorELNS0_4arch9wavefront6targetE1EEEvT1_: ; @_ZN7rocprim17ROCPRIM_400000_NS6detail17trampoline_kernelINS0_14default_configENS1_33run_length_encode_config_selectorIajNS0_4plusIjEEEEZZNS1_33reduce_by_key_impl_wrapped_configILNS1_25lookback_scan_determinismE0ES3_S7_PKaNS0_17constant_iteratorIjlEEPaPlSF_S6_NS0_8equal_toIaEEEE10hipError_tPvRmT2_T3_mT4_T5_T6_T7_T8_P12ihipStream_tbENKUlT_T0_E_clISt17integral_constantIbLb0EESZ_EEDaSU_SV_EUlSU_E_NS1_11comp_targetILNS1_3genE10ELNS1_11target_archE1201ELNS1_3gpuE5ELNS1_3repE0EEENS1_30default_config_static_selectorELNS0_4arch9wavefront6targetE1EEEvT1_
; %bb.0:
	.section	.rodata,"a",@progbits
	.p2align	6, 0x0
	.amdhsa_kernel _ZN7rocprim17ROCPRIM_400000_NS6detail17trampoline_kernelINS0_14default_configENS1_33run_length_encode_config_selectorIajNS0_4plusIjEEEEZZNS1_33reduce_by_key_impl_wrapped_configILNS1_25lookback_scan_determinismE0ES3_S7_PKaNS0_17constant_iteratorIjlEEPaPlSF_S6_NS0_8equal_toIaEEEE10hipError_tPvRmT2_T3_mT4_T5_T6_T7_T8_P12ihipStream_tbENKUlT_T0_E_clISt17integral_constantIbLb0EESZ_EEDaSU_SV_EUlSU_E_NS1_11comp_targetILNS1_3genE10ELNS1_11target_archE1201ELNS1_3gpuE5ELNS1_3repE0EEENS1_30default_config_static_selectorELNS0_4arch9wavefront6targetE1EEEvT1_
		.amdhsa_group_segment_fixed_size 0
		.amdhsa_private_segment_fixed_size 0
		.amdhsa_kernarg_size 128
		.amdhsa_user_sgpr_count 6
		.amdhsa_user_sgpr_private_segment_buffer 1
		.amdhsa_user_sgpr_dispatch_ptr 0
		.amdhsa_user_sgpr_queue_ptr 0
		.amdhsa_user_sgpr_kernarg_segment_ptr 1
		.amdhsa_user_sgpr_dispatch_id 0
		.amdhsa_user_sgpr_flat_scratch_init 0
		.amdhsa_user_sgpr_kernarg_preload_length 0
		.amdhsa_user_sgpr_kernarg_preload_offset 0
		.amdhsa_user_sgpr_private_segment_size 0
		.amdhsa_uses_dynamic_stack 0
		.amdhsa_system_sgpr_private_segment_wavefront_offset 0
		.amdhsa_system_sgpr_workgroup_id_x 1
		.amdhsa_system_sgpr_workgroup_id_y 0
		.amdhsa_system_sgpr_workgroup_id_z 0
		.amdhsa_system_sgpr_workgroup_info 0
		.amdhsa_system_vgpr_workitem_id 0
		.amdhsa_next_free_vgpr 1
		.amdhsa_next_free_sgpr 0
		.amdhsa_accum_offset 4
		.amdhsa_reserve_vcc 0
		.amdhsa_reserve_flat_scratch 0
		.amdhsa_float_round_mode_32 0
		.amdhsa_float_round_mode_16_64 0
		.amdhsa_float_denorm_mode_32 3
		.amdhsa_float_denorm_mode_16_64 3
		.amdhsa_dx10_clamp 1
		.amdhsa_ieee_mode 1
		.amdhsa_fp16_overflow 0
		.amdhsa_tg_split 0
		.amdhsa_exception_fp_ieee_invalid_op 0
		.amdhsa_exception_fp_denorm_src 0
		.amdhsa_exception_fp_ieee_div_zero 0
		.amdhsa_exception_fp_ieee_overflow 0
		.amdhsa_exception_fp_ieee_underflow 0
		.amdhsa_exception_fp_ieee_inexact 0
		.amdhsa_exception_int_div_zero 0
	.end_amdhsa_kernel
	.section	.text._ZN7rocprim17ROCPRIM_400000_NS6detail17trampoline_kernelINS0_14default_configENS1_33run_length_encode_config_selectorIajNS0_4plusIjEEEEZZNS1_33reduce_by_key_impl_wrapped_configILNS1_25lookback_scan_determinismE0ES3_S7_PKaNS0_17constant_iteratorIjlEEPaPlSF_S6_NS0_8equal_toIaEEEE10hipError_tPvRmT2_T3_mT4_T5_T6_T7_T8_P12ihipStream_tbENKUlT_T0_E_clISt17integral_constantIbLb0EESZ_EEDaSU_SV_EUlSU_E_NS1_11comp_targetILNS1_3genE10ELNS1_11target_archE1201ELNS1_3gpuE5ELNS1_3repE0EEENS1_30default_config_static_selectorELNS0_4arch9wavefront6targetE1EEEvT1_,"axG",@progbits,_ZN7rocprim17ROCPRIM_400000_NS6detail17trampoline_kernelINS0_14default_configENS1_33run_length_encode_config_selectorIajNS0_4plusIjEEEEZZNS1_33reduce_by_key_impl_wrapped_configILNS1_25lookback_scan_determinismE0ES3_S7_PKaNS0_17constant_iteratorIjlEEPaPlSF_S6_NS0_8equal_toIaEEEE10hipError_tPvRmT2_T3_mT4_T5_T6_T7_T8_P12ihipStream_tbENKUlT_T0_E_clISt17integral_constantIbLb0EESZ_EEDaSU_SV_EUlSU_E_NS1_11comp_targetILNS1_3genE10ELNS1_11target_archE1201ELNS1_3gpuE5ELNS1_3repE0EEENS1_30default_config_static_selectorELNS0_4arch9wavefront6targetE1EEEvT1_,comdat
.Lfunc_end240:
	.size	_ZN7rocprim17ROCPRIM_400000_NS6detail17trampoline_kernelINS0_14default_configENS1_33run_length_encode_config_selectorIajNS0_4plusIjEEEEZZNS1_33reduce_by_key_impl_wrapped_configILNS1_25lookback_scan_determinismE0ES3_S7_PKaNS0_17constant_iteratorIjlEEPaPlSF_S6_NS0_8equal_toIaEEEE10hipError_tPvRmT2_T3_mT4_T5_T6_T7_T8_P12ihipStream_tbENKUlT_T0_E_clISt17integral_constantIbLb0EESZ_EEDaSU_SV_EUlSU_E_NS1_11comp_targetILNS1_3genE10ELNS1_11target_archE1201ELNS1_3gpuE5ELNS1_3repE0EEENS1_30default_config_static_selectorELNS0_4arch9wavefront6targetE1EEEvT1_, .Lfunc_end240-_ZN7rocprim17ROCPRIM_400000_NS6detail17trampoline_kernelINS0_14default_configENS1_33run_length_encode_config_selectorIajNS0_4plusIjEEEEZZNS1_33reduce_by_key_impl_wrapped_configILNS1_25lookback_scan_determinismE0ES3_S7_PKaNS0_17constant_iteratorIjlEEPaPlSF_S6_NS0_8equal_toIaEEEE10hipError_tPvRmT2_T3_mT4_T5_T6_T7_T8_P12ihipStream_tbENKUlT_T0_E_clISt17integral_constantIbLb0EESZ_EEDaSU_SV_EUlSU_E_NS1_11comp_targetILNS1_3genE10ELNS1_11target_archE1201ELNS1_3gpuE5ELNS1_3repE0EEENS1_30default_config_static_selectorELNS0_4arch9wavefront6targetE1EEEvT1_
                                        ; -- End function
	.section	.AMDGPU.csdata,"",@progbits
; Kernel info:
; codeLenInByte = 0
; NumSgprs: 4
; NumVgprs: 0
; NumAgprs: 0
; TotalNumVgprs: 0
; ScratchSize: 0
; MemoryBound: 0
; FloatMode: 240
; IeeeMode: 1
; LDSByteSize: 0 bytes/workgroup (compile time only)
; SGPRBlocks: 0
; VGPRBlocks: 0
; NumSGPRsForWavesPerEU: 4
; NumVGPRsForWavesPerEU: 1
; AccumOffset: 4
; Occupancy: 8
; WaveLimiterHint : 0
; COMPUTE_PGM_RSRC2:SCRATCH_EN: 0
; COMPUTE_PGM_RSRC2:USER_SGPR: 6
; COMPUTE_PGM_RSRC2:TRAP_HANDLER: 0
; COMPUTE_PGM_RSRC2:TGID_X_EN: 1
; COMPUTE_PGM_RSRC2:TGID_Y_EN: 0
; COMPUTE_PGM_RSRC2:TGID_Z_EN: 0
; COMPUTE_PGM_RSRC2:TIDIG_COMP_CNT: 0
; COMPUTE_PGM_RSRC3_GFX90A:ACCUM_OFFSET: 0
; COMPUTE_PGM_RSRC3_GFX90A:TG_SPLIT: 0
	.section	.text._ZN7rocprim17ROCPRIM_400000_NS6detail17trampoline_kernelINS0_14default_configENS1_33run_length_encode_config_selectorIajNS0_4plusIjEEEEZZNS1_33reduce_by_key_impl_wrapped_configILNS1_25lookback_scan_determinismE0ES3_S7_PKaNS0_17constant_iteratorIjlEEPaPlSF_S6_NS0_8equal_toIaEEEE10hipError_tPvRmT2_T3_mT4_T5_T6_T7_T8_P12ihipStream_tbENKUlT_T0_E_clISt17integral_constantIbLb0EESZ_EEDaSU_SV_EUlSU_E_NS1_11comp_targetILNS1_3genE10ELNS1_11target_archE1200ELNS1_3gpuE4ELNS1_3repE0EEENS1_30default_config_static_selectorELNS0_4arch9wavefront6targetE1EEEvT1_,"axG",@progbits,_ZN7rocprim17ROCPRIM_400000_NS6detail17trampoline_kernelINS0_14default_configENS1_33run_length_encode_config_selectorIajNS0_4plusIjEEEEZZNS1_33reduce_by_key_impl_wrapped_configILNS1_25lookback_scan_determinismE0ES3_S7_PKaNS0_17constant_iteratorIjlEEPaPlSF_S6_NS0_8equal_toIaEEEE10hipError_tPvRmT2_T3_mT4_T5_T6_T7_T8_P12ihipStream_tbENKUlT_T0_E_clISt17integral_constantIbLb0EESZ_EEDaSU_SV_EUlSU_E_NS1_11comp_targetILNS1_3genE10ELNS1_11target_archE1200ELNS1_3gpuE4ELNS1_3repE0EEENS1_30default_config_static_selectorELNS0_4arch9wavefront6targetE1EEEvT1_,comdat
	.protected	_ZN7rocprim17ROCPRIM_400000_NS6detail17trampoline_kernelINS0_14default_configENS1_33run_length_encode_config_selectorIajNS0_4plusIjEEEEZZNS1_33reduce_by_key_impl_wrapped_configILNS1_25lookback_scan_determinismE0ES3_S7_PKaNS0_17constant_iteratorIjlEEPaPlSF_S6_NS0_8equal_toIaEEEE10hipError_tPvRmT2_T3_mT4_T5_T6_T7_T8_P12ihipStream_tbENKUlT_T0_E_clISt17integral_constantIbLb0EESZ_EEDaSU_SV_EUlSU_E_NS1_11comp_targetILNS1_3genE10ELNS1_11target_archE1200ELNS1_3gpuE4ELNS1_3repE0EEENS1_30default_config_static_selectorELNS0_4arch9wavefront6targetE1EEEvT1_ ; -- Begin function _ZN7rocprim17ROCPRIM_400000_NS6detail17trampoline_kernelINS0_14default_configENS1_33run_length_encode_config_selectorIajNS0_4plusIjEEEEZZNS1_33reduce_by_key_impl_wrapped_configILNS1_25lookback_scan_determinismE0ES3_S7_PKaNS0_17constant_iteratorIjlEEPaPlSF_S6_NS0_8equal_toIaEEEE10hipError_tPvRmT2_T3_mT4_T5_T6_T7_T8_P12ihipStream_tbENKUlT_T0_E_clISt17integral_constantIbLb0EESZ_EEDaSU_SV_EUlSU_E_NS1_11comp_targetILNS1_3genE10ELNS1_11target_archE1200ELNS1_3gpuE4ELNS1_3repE0EEENS1_30default_config_static_selectorELNS0_4arch9wavefront6targetE1EEEvT1_
	.globl	_ZN7rocprim17ROCPRIM_400000_NS6detail17trampoline_kernelINS0_14default_configENS1_33run_length_encode_config_selectorIajNS0_4plusIjEEEEZZNS1_33reduce_by_key_impl_wrapped_configILNS1_25lookback_scan_determinismE0ES3_S7_PKaNS0_17constant_iteratorIjlEEPaPlSF_S6_NS0_8equal_toIaEEEE10hipError_tPvRmT2_T3_mT4_T5_T6_T7_T8_P12ihipStream_tbENKUlT_T0_E_clISt17integral_constantIbLb0EESZ_EEDaSU_SV_EUlSU_E_NS1_11comp_targetILNS1_3genE10ELNS1_11target_archE1200ELNS1_3gpuE4ELNS1_3repE0EEENS1_30default_config_static_selectorELNS0_4arch9wavefront6targetE1EEEvT1_
	.p2align	8
	.type	_ZN7rocprim17ROCPRIM_400000_NS6detail17trampoline_kernelINS0_14default_configENS1_33run_length_encode_config_selectorIajNS0_4plusIjEEEEZZNS1_33reduce_by_key_impl_wrapped_configILNS1_25lookback_scan_determinismE0ES3_S7_PKaNS0_17constant_iteratorIjlEEPaPlSF_S6_NS0_8equal_toIaEEEE10hipError_tPvRmT2_T3_mT4_T5_T6_T7_T8_P12ihipStream_tbENKUlT_T0_E_clISt17integral_constantIbLb0EESZ_EEDaSU_SV_EUlSU_E_NS1_11comp_targetILNS1_3genE10ELNS1_11target_archE1200ELNS1_3gpuE4ELNS1_3repE0EEENS1_30default_config_static_selectorELNS0_4arch9wavefront6targetE1EEEvT1_,@function
_ZN7rocprim17ROCPRIM_400000_NS6detail17trampoline_kernelINS0_14default_configENS1_33run_length_encode_config_selectorIajNS0_4plusIjEEEEZZNS1_33reduce_by_key_impl_wrapped_configILNS1_25lookback_scan_determinismE0ES3_S7_PKaNS0_17constant_iteratorIjlEEPaPlSF_S6_NS0_8equal_toIaEEEE10hipError_tPvRmT2_T3_mT4_T5_T6_T7_T8_P12ihipStream_tbENKUlT_T0_E_clISt17integral_constantIbLb0EESZ_EEDaSU_SV_EUlSU_E_NS1_11comp_targetILNS1_3genE10ELNS1_11target_archE1200ELNS1_3gpuE4ELNS1_3repE0EEENS1_30default_config_static_selectorELNS0_4arch9wavefront6targetE1EEEvT1_: ; @_ZN7rocprim17ROCPRIM_400000_NS6detail17trampoline_kernelINS0_14default_configENS1_33run_length_encode_config_selectorIajNS0_4plusIjEEEEZZNS1_33reduce_by_key_impl_wrapped_configILNS1_25lookback_scan_determinismE0ES3_S7_PKaNS0_17constant_iteratorIjlEEPaPlSF_S6_NS0_8equal_toIaEEEE10hipError_tPvRmT2_T3_mT4_T5_T6_T7_T8_P12ihipStream_tbENKUlT_T0_E_clISt17integral_constantIbLb0EESZ_EEDaSU_SV_EUlSU_E_NS1_11comp_targetILNS1_3genE10ELNS1_11target_archE1200ELNS1_3gpuE4ELNS1_3repE0EEENS1_30default_config_static_selectorELNS0_4arch9wavefront6targetE1EEEvT1_
; %bb.0:
	.section	.rodata,"a",@progbits
	.p2align	6, 0x0
	.amdhsa_kernel _ZN7rocprim17ROCPRIM_400000_NS6detail17trampoline_kernelINS0_14default_configENS1_33run_length_encode_config_selectorIajNS0_4plusIjEEEEZZNS1_33reduce_by_key_impl_wrapped_configILNS1_25lookback_scan_determinismE0ES3_S7_PKaNS0_17constant_iteratorIjlEEPaPlSF_S6_NS0_8equal_toIaEEEE10hipError_tPvRmT2_T3_mT4_T5_T6_T7_T8_P12ihipStream_tbENKUlT_T0_E_clISt17integral_constantIbLb0EESZ_EEDaSU_SV_EUlSU_E_NS1_11comp_targetILNS1_3genE10ELNS1_11target_archE1200ELNS1_3gpuE4ELNS1_3repE0EEENS1_30default_config_static_selectorELNS0_4arch9wavefront6targetE1EEEvT1_
		.amdhsa_group_segment_fixed_size 0
		.amdhsa_private_segment_fixed_size 0
		.amdhsa_kernarg_size 128
		.amdhsa_user_sgpr_count 6
		.amdhsa_user_sgpr_private_segment_buffer 1
		.amdhsa_user_sgpr_dispatch_ptr 0
		.amdhsa_user_sgpr_queue_ptr 0
		.amdhsa_user_sgpr_kernarg_segment_ptr 1
		.amdhsa_user_sgpr_dispatch_id 0
		.amdhsa_user_sgpr_flat_scratch_init 0
		.amdhsa_user_sgpr_kernarg_preload_length 0
		.amdhsa_user_sgpr_kernarg_preload_offset 0
		.amdhsa_user_sgpr_private_segment_size 0
		.amdhsa_uses_dynamic_stack 0
		.amdhsa_system_sgpr_private_segment_wavefront_offset 0
		.amdhsa_system_sgpr_workgroup_id_x 1
		.amdhsa_system_sgpr_workgroup_id_y 0
		.amdhsa_system_sgpr_workgroup_id_z 0
		.amdhsa_system_sgpr_workgroup_info 0
		.amdhsa_system_vgpr_workitem_id 0
		.amdhsa_next_free_vgpr 1
		.amdhsa_next_free_sgpr 0
		.amdhsa_accum_offset 4
		.amdhsa_reserve_vcc 0
		.amdhsa_reserve_flat_scratch 0
		.amdhsa_float_round_mode_32 0
		.amdhsa_float_round_mode_16_64 0
		.amdhsa_float_denorm_mode_32 3
		.amdhsa_float_denorm_mode_16_64 3
		.amdhsa_dx10_clamp 1
		.amdhsa_ieee_mode 1
		.amdhsa_fp16_overflow 0
		.amdhsa_tg_split 0
		.amdhsa_exception_fp_ieee_invalid_op 0
		.amdhsa_exception_fp_denorm_src 0
		.amdhsa_exception_fp_ieee_div_zero 0
		.amdhsa_exception_fp_ieee_overflow 0
		.amdhsa_exception_fp_ieee_underflow 0
		.amdhsa_exception_fp_ieee_inexact 0
		.amdhsa_exception_int_div_zero 0
	.end_amdhsa_kernel
	.section	.text._ZN7rocprim17ROCPRIM_400000_NS6detail17trampoline_kernelINS0_14default_configENS1_33run_length_encode_config_selectorIajNS0_4plusIjEEEEZZNS1_33reduce_by_key_impl_wrapped_configILNS1_25lookback_scan_determinismE0ES3_S7_PKaNS0_17constant_iteratorIjlEEPaPlSF_S6_NS0_8equal_toIaEEEE10hipError_tPvRmT2_T3_mT4_T5_T6_T7_T8_P12ihipStream_tbENKUlT_T0_E_clISt17integral_constantIbLb0EESZ_EEDaSU_SV_EUlSU_E_NS1_11comp_targetILNS1_3genE10ELNS1_11target_archE1200ELNS1_3gpuE4ELNS1_3repE0EEENS1_30default_config_static_selectorELNS0_4arch9wavefront6targetE1EEEvT1_,"axG",@progbits,_ZN7rocprim17ROCPRIM_400000_NS6detail17trampoline_kernelINS0_14default_configENS1_33run_length_encode_config_selectorIajNS0_4plusIjEEEEZZNS1_33reduce_by_key_impl_wrapped_configILNS1_25lookback_scan_determinismE0ES3_S7_PKaNS0_17constant_iteratorIjlEEPaPlSF_S6_NS0_8equal_toIaEEEE10hipError_tPvRmT2_T3_mT4_T5_T6_T7_T8_P12ihipStream_tbENKUlT_T0_E_clISt17integral_constantIbLb0EESZ_EEDaSU_SV_EUlSU_E_NS1_11comp_targetILNS1_3genE10ELNS1_11target_archE1200ELNS1_3gpuE4ELNS1_3repE0EEENS1_30default_config_static_selectorELNS0_4arch9wavefront6targetE1EEEvT1_,comdat
.Lfunc_end241:
	.size	_ZN7rocprim17ROCPRIM_400000_NS6detail17trampoline_kernelINS0_14default_configENS1_33run_length_encode_config_selectorIajNS0_4plusIjEEEEZZNS1_33reduce_by_key_impl_wrapped_configILNS1_25lookback_scan_determinismE0ES3_S7_PKaNS0_17constant_iteratorIjlEEPaPlSF_S6_NS0_8equal_toIaEEEE10hipError_tPvRmT2_T3_mT4_T5_T6_T7_T8_P12ihipStream_tbENKUlT_T0_E_clISt17integral_constantIbLb0EESZ_EEDaSU_SV_EUlSU_E_NS1_11comp_targetILNS1_3genE10ELNS1_11target_archE1200ELNS1_3gpuE4ELNS1_3repE0EEENS1_30default_config_static_selectorELNS0_4arch9wavefront6targetE1EEEvT1_, .Lfunc_end241-_ZN7rocprim17ROCPRIM_400000_NS6detail17trampoline_kernelINS0_14default_configENS1_33run_length_encode_config_selectorIajNS0_4plusIjEEEEZZNS1_33reduce_by_key_impl_wrapped_configILNS1_25lookback_scan_determinismE0ES3_S7_PKaNS0_17constant_iteratorIjlEEPaPlSF_S6_NS0_8equal_toIaEEEE10hipError_tPvRmT2_T3_mT4_T5_T6_T7_T8_P12ihipStream_tbENKUlT_T0_E_clISt17integral_constantIbLb0EESZ_EEDaSU_SV_EUlSU_E_NS1_11comp_targetILNS1_3genE10ELNS1_11target_archE1200ELNS1_3gpuE4ELNS1_3repE0EEENS1_30default_config_static_selectorELNS0_4arch9wavefront6targetE1EEEvT1_
                                        ; -- End function
	.section	.AMDGPU.csdata,"",@progbits
; Kernel info:
; codeLenInByte = 0
; NumSgprs: 4
; NumVgprs: 0
; NumAgprs: 0
; TotalNumVgprs: 0
; ScratchSize: 0
; MemoryBound: 0
; FloatMode: 240
; IeeeMode: 1
; LDSByteSize: 0 bytes/workgroup (compile time only)
; SGPRBlocks: 0
; VGPRBlocks: 0
; NumSGPRsForWavesPerEU: 4
; NumVGPRsForWavesPerEU: 1
; AccumOffset: 4
; Occupancy: 8
; WaveLimiterHint : 0
; COMPUTE_PGM_RSRC2:SCRATCH_EN: 0
; COMPUTE_PGM_RSRC2:USER_SGPR: 6
; COMPUTE_PGM_RSRC2:TRAP_HANDLER: 0
; COMPUTE_PGM_RSRC2:TGID_X_EN: 1
; COMPUTE_PGM_RSRC2:TGID_Y_EN: 0
; COMPUTE_PGM_RSRC2:TGID_Z_EN: 0
; COMPUTE_PGM_RSRC2:TIDIG_COMP_CNT: 0
; COMPUTE_PGM_RSRC3_GFX90A:ACCUM_OFFSET: 0
; COMPUTE_PGM_RSRC3_GFX90A:TG_SPLIT: 0
	.section	.text._ZN7rocprim17ROCPRIM_400000_NS6detail17trampoline_kernelINS0_14default_configENS1_33run_length_encode_config_selectorIajNS0_4plusIjEEEEZZNS1_33reduce_by_key_impl_wrapped_configILNS1_25lookback_scan_determinismE0ES3_S7_PKaNS0_17constant_iteratorIjlEEPaPlSF_S6_NS0_8equal_toIaEEEE10hipError_tPvRmT2_T3_mT4_T5_T6_T7_T8_P12ihipStream_tbENKUlT_T0_E_clISt17integral_constantIbLb0EESZ_EEDaSU_SV_EUlSU_E_NS1_11comp_targetILNS1_3genE9ELNS1_11target_archE1100ELNS1_3gpuE3ELNS1_3repE0EEENS1_30default_config_static_selectorELNS0_4arch9wavefront6targetE1EEEvT1_,"axG",@progbits,_ZN7rocprim17ROCPRIM_400000_NS6detail17trampoline_kernelINS0_14default_configENS1_33run_length_encode_config_selectorIajNS0_4plusIjEEEEZZNS1_33reduce_by_key_impl_wrapped_configILNS1_25lookback_scan_determinismE0ES3_S7_PKaNS0_17constant_iteratorIjlEEPaPlSF_S6_NS0_8equal_toIaEEEE10hipError_tPvRmT2_T3_mT4_T5_T6_T7_T8_P12ihipStream_tbENKUlT_T0_E_clISt17integral_constantIbLb0EESZ_EEDaSU_SV_EUlSU_E_NS1_11comp_targetILNS1_3genE9ELNS1_11target_archE1100ELNS1_3gpuE3ELNS1_3repE0EEENS1_30default_config_static_selectorELNS0_4arch9wavefront6targetE1EEEvT1_,comdat
	.protected	_ZN7rocprim17ROCPRIM_400000_NS6detail17trampoline_kernelINS0_14default_configENS1_33run_length_encode_config_selectorIajNS0_4plusIjEEEEZZNS1_33reduce_by_key_impl_wrapped_configILNS1_25lookback_scan_determinismE0ES3_S7_PKaNS0_17constant_iteratorIjlEEPaPlSF_S6_NS0_8equal_toIaEEEE10hipError_tPvRmT2_T3_mT4_T5_T6_T7_T8_P12ihipStream_tbENKUlT_T0_E_clISt17integral_constantIbLb0EESZ_EEDaSU_SV_EUlSU_E_NS1_11comp_targetILNS1_3genE9ELNS1_11target_archE1100ELNS1_3gpuE3ELNS1_3repE0EEENS1_30default_config_static_selectorELNS0_4arch9wavefront6targetE1EEEvT1_ ; -- Begin function _ZN7rocprim17ROCPRIM_400000_NS6detail17trampoline_kernelINS0_14default_configENS1_33run_length_encode_config_selectorIajNS0_4plusIjEEEEZZNS1_33reduce_by_key_impl_wrapped_configILNS1_25lookback_scan_determinismE0ES3_S7_PKaNS0_17constant_iteratorIjlEEPaPlSF_S6_NS0_8equal_toIaEEEE10hipError_tPvRmT2_T3_mT4_T5_T6_T7_T8_P12ihipStream_tbENKUlT_T0_E_clISt17integral_constantIbLb0EESZ_EEDaSU_SV_EUlSU_E_NS1_11comp_targetILNS1_3genE9ELNS1_11target_archE1100ELNS1_3gpuE3ELNS1_3repE0EEENS1_30default_config_static_selectorELNS0_4arch9wavefront6targetE1EEEvT1_
	.globl	_ZN7rocprim17ROCPRIM_400000_NS6detail17trampoline_kernelINS0_14default_configENS1_33run_length_encode_config_selectorIajNS0_4plusIjEEEEZZNS1_33reduce_by_key_impl_wrapped_configILNS1_25lookback_scan_determinismE0ES3_S7_PKaNS0_17constant_iteratorIjlEEPaPlSF_S6_NS0_8equal_toIaEEEE10hipError_tPvRmT2_T3_mT4_T5_T6_T7_T8_P12ihipStream_tbENKUlT_T0_E_clISt17integral_constantIbLb0EESZ_EEDaSU_SV_EUlSU_E_NS1_11comp_targetILNS1_3genE9ELNS1_11target_archE1100ELNS1_3gpuE3ELNS1_3repE0EEENS1_30default_config_static_selectorELNS0_4arch9wavefront6targetE1EEEvT1_
	.p2align	8
	.type	_ZN7rocprim17ROCPRIM_400000_NS6detail17trampoline_kernelINS0_14default_configENS1_33run_length_encode_config_selectorIajNS0_4plusIjEEEEZZNS1_33reduce_by_key_impl_wrapped_configILNS1_25lookback_scan_determinismE0ES3_S7_PKaNS0_17constant_iteratorIjlEEPaPlSF_S6_NS0_8equal_toIaEEEE10hipError_tPvRmT2_T3_mT4_T5_T6_T7_T8_P12ihipStream_tbENKUlT_T0_E_clISt17integral_constantIbLb0EESZ_EEDaSU_SV_EUlSU_E_NS1_11comp_targetILNS1_3genE9ELNS1_11target_archE1100ELNS1_3gpuE3ELNS1_3repE0EEENS1_30default_config_static_selectorELNS0_4arch9wavefront6targetE1EEEvT1_,@function
_ZN7rocprim17ROCPRIM_400000_NS6detail17trampoline_kernelINS0_14default_configENS1_33run_length_encode_config_selectorIajNS0_4plusIjEEEEZZNS1_33reduce_by_key_impl_wrapped_configILNS1_25lookback_scan_determinismE0ES3_S7_PKaNS0_17constant_iteratorIjlEEPaPlSF_S6_NS0_8equal_toIaEEEE10hipError_tPvRmT2_T3_mT4_T5_T6_T7_T8_P12ihipStream_tbENKUlT_T0_E_clISt17integral_constantIbLb0EESZ_EEDaSU_SV_EUlSU_E_NS1_11comp_targetILNS1_3genE9ELNS1_11target_archE1100ELNS1_3gpuE3ELNS1_3repE0EEENS1_30default_config_static_selectorELNS0_4arch9wavefront6targetE1EEEvT1_: ; @_ZN7rocprim17ROCPRIM_400000_NS6detail17trampoline_kernelINS0_14default_configENS1_33run_length_encode_config_selectorIajNS0_4plusIjEEEEZZNS1_33reduce_by_key_impl_wrapped_configILNS1_25lookback_scan_determinismE0ES3_S7_PKaNS0_17constant_iteratorIjlEEPaPlSF_S6_NS0_8equal_toIaEEEE10hipError_tPvRmT2_T3_mT4_T5_T6_T7_T8_P12ihipStream_tbENKUlT_T0_E_clISt17integral_constantIbLb0EESZ_EEDaSU_SV_EUlSU_E_NS1_11comp_targetILNS1_3genE9ELNS1_11target_archE1100ELNS1_3gpuE3ELNS1_3repE0EEENS1_30default_config_static_selectorELNS0_4arch9wavefront6targetE1EEEvT1_
; %bb.0:
	.section	.rodata,"a",@progbits
	.p2align	6, 0x0
	.amdhsa_kernel _ZN7rocprim17ROCPRIM_400000_NS6detail17trampoline_kernelINS0_14default_configENS1_33run_length_encode_config_selectorIajNS0_4plusIjEEEEZZNS1_33reduce_by_key_impl_wrapped_configILNS1_25lookback_scan_determinismE0ES3_S7_PKaNS0_17constant_iteratorIjlEEPaPlSF_S6_NS0_8equal_toIaEEEE10hipError_tPvRmT2_T3_mT4_T5_T6_T7_T8_P12ihipStream_tbENKUlT_T0_E_clISt17integral_constantIbLb0EESZ_EEDaSU_SV_EUlSU_E_NS1_11comp_targetILNS1_3genE9ELNS1_11target_archE1100ELNS1_3gpuE3ELNS1_3repE0EEENS1_30default_config_static_selectorELNS0_4arch9wavefront6targetE1EEEvT1_
		.amdhsa_group_segment_fixed_size 0
		.amdhsa_private_segment_fixed_size 0
		.amdhsa_kernarg_size 128
		.amdhsa_user_sgpr_count 6
		.amdhsa_user_sgpr_private_segment_buffer 1
		.amdhsa_user_sgpr_dispatch_ptr 0
		.amdhsa_user_sgpr_queue_ptr 0
		.amdhsa_user_sgpr_kernarg_segment_ptr 1
		.amdhsa_user_sgpr_dispatch_id 0
		.amdhsa_user_sgpr_flat_scratch_init 0
		.amdhsa_user_sgpr_kernarg_preload_length 0
		.amdhsa_user_sgpr_kernarg_preload_offset 0
		.amdhsa_user_sgpr_private_segment_size 0
		.amdhsa_uses_dynamic_stack 0
		.amdhsa_system_sgpr_private_segment_wavefront_offset 0
		.amdhsa_system_sgpr_workgroup_id_x 1
		.amdhsa_system_sgpr_workgroup_id_y 0
		.amdhsa_system_sgpr_workgroup_id_z 0
		.amdhsa_system_sgpr_workgroup_info 0
		.amdhsa_system_vgpr_workitem_id 0
		.amdhsa_next_free_vgpr 1
		.amdhsa_next_free_sgpr 0
		.amdhsa_accum_offset 4
		.amdhsa_reserve_vcc 0
		.amdhsa_reserve_flat_scratch 0
		.amdhsa_float_round_mode_32 0
		.amdhsa_float_round_mode_16_64 0
		.amdhsa_float_denorm_mode_32 3
		.amdhsa_float_denorm_mode_16_64 3
		.amdhsa_dx10_clamp 1
		.amdhsa_ieee_mode 1
		.amdhsa_fp16_overflow 0
		.amdhsa_tg_split 0
		.amdhsa_exception_fp_ieee_invalid_op 0
		.amdhsa_exception_fp_denorm_src 0
		.amdhsa_exception_fp_ieee_div_zero 0
		.amdhsa_exception_fp_ieee_overflow 0
		.amdhsa_exception_fp_ieee_underflow 0
		.amdhsa_exception_fp_ieee_inexact 0
		.amdhsa_exception_int_div_zero 0
	.end_amdhsa_kernel
	.section	.text._ZN7rocprim17ROCPRIM_400000_NS6detail17trampoline_kernelINS0_14default_configENS1_33run_length_encode_config_selectorIajNS0_4plusIjEEEEZZNS1_33reduce_by_key_impl_wrapped_configILNS1_25lookback_scan_determinismE0ES3_S7_PKaNS0_17constant_iteratorIjlEEPaPlSF_S6_NS0_8equal_toIaEEEE10hipError_tPvRmT2_T3_mT4_T5_T6_T7_T8_P12ihipStream_tbENKUlT_T0_E_clISt17integral_constantIbLb0EESZ_EEDaSU_SV_EUlSU_E_NS1_11comp_targetILNS1_3genE9ELNS1_11target_archE1100ELNS1_3gpuE3ELNS1_3repE0EEENS1_30default_config_static_selectorELNS0_4arch9wavefront6targetE1EEEvT1_,"axG",@progbits,_ZN7rocprim17ROCPRIM_400000_NS6detail17trampoline_kernelINS0_14default_configENS1_33run_length_encode_config_selectorIajNS0_4plusIjEEEEZZNS1_33reduce_by_key_impl_wrapped_configILNS1_25lookback_scan_determinismE0ES3_S7_PKaNS0_17constant_iteratorIjlEEPaPlSF_S6_NS0_8equal_toIaEEEE10hipError_tPvRmT2_T3_mT4_T5_T6_T7_T8_P12ihipStream_tbENKUlT_T0_E_clISt17integral_constantIbLb0EESZ_EEDaSU_SV_EUlSU_E_NS1_11comp_targetILNS1_3genE9ELNS1_11target_archE1100ELNS1_3gpuE3ELNS1_3repE0EEENS1_30default_config_static_selectorELNS0_4arch9wavefront6targetE1EEEvT1_,comdat
.Lfunc_end242:
	.size	_ZN7rocprim17ROCPRIM_400000_NS6detail17trampoline_kernelINS0_14default_configENS1_33run_length_encode_config_selectorIajNS0_4plusIjEEEEZZNS1_33reduce_by_key_impl_wrapped_configILNS1_25lookback_scan_determinismE0ES3_S7_PKaNS0_17constant_iteratorIjlEEPaPlSF_S6_NS0_8equal_toIaEEEE10hipError_tPvRmT2_T3_mT4_T5_T6_T7_T8_P12ihipStream_tbENKUlT_T0_E_clISt17integral_constantIbLb0EESZ_EEDaSU_SV_EUlSU_E_NS1_11comp_targetILNS1_3genE9ELNS1_11target_archE1100ELNS1_3gpuE3ELNS1_3repE0EEENS1_30default_config_static_selectorELNS0_4arch9wavefront6targetE1EEEvT1_, .Lfunc_end242-_ZN7rocprim17ROCPRIM_400000_NS6detail17trampoline_kernelINS0_14default_configENS1_33run_length_encode_config_selectorIajNS0_4plusIjEEEEZZNS1_33reduce_by_key_impl_wrapped_configILNS1_25lookback_scan_determinismE0ES3_S7_PKaNS0_17constant_iteratorIjlEEPaPlSF_S6_NS0_8equal_toIaEEEE10hipError_tPvRmT2_T3_mT4_T5_T6_T7_T8_P12ihipStream_tbENKUlT_T0_E_clISt17integral_constantIbLb0EESZ_EEDaSU_SV_EUlSU_E_NS1_11comp_targetILNS1_3genE9ELNS1_11target_archE1100ELNS1_3gpuE3ELNS1_3repE0EEENS1_30default_config_static_selectorELNS0_4arch9wavefront6targetE1EEEvT1_
                                        ; -- End function
	.section	.AMDGPU.csdata,"",@progbits
; Kernel info:
; codeLenInByte = 0
; NumSgprs: 4
; NumVgprs: 0
; NumAgprs: 0
; TotalNumVgprs: 0
; ScratchSize: 0
; MemoryBound: 0
; FloatMode: 240
; IeeeMode: 1
; LDSByteSize: 0 bytes/workgroup (compile time only)
; SGPRBlocks: 0
; VGPRBlocks: 0
; NumSGPRsForWavesPerEU: 4
; NumVGPRsForWavesPerEU: 1
; AccumOffset: 4
; Occupancy: 8
; WaveLimiterHint : 0
; COMPUTE_PGM_RSRC2:SCRATCH_EN: 0
; COMPUTE_PGM_RSRC2:USER_SGPR: 6
; COMPUTE_PGM_RSRC2:TRAP_HANDLER: 0
; COMPUTE_PGM_RSRC2:TGID_X_EN: 1
; COMPUTE_PGM_RSRC2:TGID_Y_EN: 0
; COMPUTE_PGM_RSRC2:TGID_Z_EN: 0
; COMPUTE_PGM_RSRC2:TIDIG_COMP_CNT: 0
; COMPUTE_PGM_RSRC3_GFX90A:ACCUM_OFFSET: 0
; COMPUTE_PGM_RSRC3_GFX90A:TG_SPLIT: 0
	.section	.text._ZN7rocprim17ROCPRIM_400000_NS6detail17trampoline_kernelINS0_14default_configENS1_33run_length_encode_config_selectorIajNS0_4plusIjEEEEZZNS1_33reduce_by_key_impl_wrapped_configILNS1_25lookback_scan_determinismE0ES3_S7_PKaNS0_17constant_iteratorIjlEEPaPlSF_S6_NS0_8equal_toIaEEEE10hipError_tPvRmT2_T3_mT4_T5_T6_T7_T8_P12ihipStream_tbENKUlT_T0_E_clISt17integral_constantIbLb0EESZ_EEDaSU_SV_EUlSU_E_NS1_11comp_targetILNS1_3genE8ELNS1_11target_archE1030ELNS1_3gpuE2ELNS1_3repE0EEENS1_30default_config_static_selectorELNS0_4arch9wavefront6targetE1EEEvT1_,"axG",@progbits,_ZN7rocprim17ROCPRIM_400000_NS6detail17trampoline_kernelINS0_14default_configENS1_33run_length_encode_config_selectorIajNS0_4plusIjEEEEZZNS1_33reduce_by_key_impl_wrapped_configILNS1_25lookback_scan_determinismE0ES3_S7_PKaNS0_17constant_iteratorIjlEEPaPlSF_S6_NS0_8equal_toIaEEEE10hipError_tPvRmT2_T3_mT4_T5_T6_T7_T8_P12ihipStream_tbENKUlT_T0_E_clISt17integral_constantIbLb0EESZ_EEDaSU_SV_EUlSU_E_NS1_11comp_targetILNS1_3genE8ELNS1_11target_archE1030ELNS1_3gpuE2ELNS1_3repE0EEENS1_30default_config_static_selectorELNS0_4arch9wavefront6targetE1EEEvT1_,comdat
	.protected	_ZN7rocprim17ROCPRIM_400000_NS6detail17trampoline_kernelINS0_14default_configENS1_33run_length_encode_config_selectorIajNS0_4plusIjEEEEZZNS1_33reduce_by_key_impl_wrapped_configILNS1_25lookback_scan_determinismE0ES3_S7_PKaNS0_17constant_iteratorIjlEEPaPlSF_S6_NS0_8equal_toIaEEEE10hipError_tPvRmT2_T3_mT4_T5_T6_T7_T8_P12ihipStream_tbENKUlT_T0_E_clISt17integral_constantIbLb0EESZ_EEDaSU_SV_EUlSU_E_NS1_11comp_targetILNS1_3genE8ELNS1_11target_archE1030ELNS1_3gpuE2ELNS1_3repE0EEENS1_30default_config_static_selectorELNS0_4arch9wavefront6targetE1EEEvT1_ ; -- Begin function _ZN7rocprim17ROCPRIM_400000_NS6detail17trampoline_kernelINS0_14default_configENS1_33run_length_encode_config_selectorIajNS0_4plusIjEEEEZZNS1_33reduce_by_key_impl_wrapped_configILNS1_25lookback_scan_determinismE0ES3_S7_PKaNS0_17constant_iteratorIjlEEPaPlSF_S6_NS0_8equal_toIaEEEE10hipError_tPvRmT2_T3_mT4_T5_T6_T7_T8_P12ihipStream_tbENKUlT_T0_E_clISt17integral_constantIbLb0EESZ_EEDaSU_SV_EUlSU_E_NS1_11comp_targetILNS1_3genE8ELNS1_11target_archE1030ELNS1_3gpuE2ELNS1_3repE0EEENS1_30default_config_static_selectorELNS0_4arch9wavefront6targetE1EEEvT1_
	.globl	_ZN7rocprim17ROCPRIM_400000_NS6detail17trampoline_kernelINS0_14default_configENS1_33run_length_encode_config_selectorIajNS0_4plusIjEEEEZZNS1_33reduce_by_key_impl_wrapped_configILNS1_25lookback_scan_determinismE0ES3_S7_PKaNS0_17constant_iteratorIjlEEPaPlSF_S6_NS0_8equal_toIaEEEE10hipError_tPvRmT2_T3_mT4_T5_T6_T7_T8_P12ihipStream_tbENKUlT_T0_E_clISt17integral_constantIbLb0EESZ_EEDaSU_SV_EUlSU_E_NS1_11comp_targetILNS1_3genE8ELNS1_11target_archE1030ELNS1_3gpuE2ELNS1_3repE0EEENS1_30default_config_static_selectorELNS0_4arch9wavefront6targetE1EEEvT1_
	.p2align	8
	.type	_ZN7rocprim17ROCPRIM_400000_NS6detail17trampoline_kernelINS0_14default_configENS1_33run_length_encode_config_selectorIajNS0_4plusIjEEEEZZNS1_33reduce_by_key_impl_wrapped_configILNS1_25lookback_scan_determinismE0ES3_S7_PKaNS0_17constant_iteratorIjlEEPaPlSF_S6_NS0_8equal_toIaEEEE10hipError_tPvRmT2_T3_mT4_T5_T6_T7_T8_P12ihipStream_tbENKUlT_T0_E_clISt17integral_constantIbLb0EESZ_EEDaSU_SV_EUlSU_E_NS1_11comp_targetILNS1_3genE8ELNS1_11target_archE1030ELNS1_3gpuE2ELNS1_3repE0EEENS1_30default_config_static_selectorELNS0_4arch9wavefront6targetE1EEEvT1_,@function
_ZN7rocprim17ROCPRIM_400000_NS6detail17trampoline_kernelINS0_14default_configENS1_33run_length_encode_config_selectorIajNS0_4plusIjEEEEZZNS1_33reduce_by_key_impl_wrapped_configILNS1_25lookback_scan_determinismE0ES3_S7_PKaNS0_17constant_iteratorIjlEEPaPlSF_S6_NS0_8equal_toIaEEEE10hipError_tPvRmT2_T3_mT4_T5_T6_T7_T8_P12ihipStream_tbENKUlT_T0_E_clISt17integral_constantIbLb0EESZ_EEDaSU_SV_EUlSU_E_NS1_11comp_targetILNS1_3genE8ELNS1_11target_archE1030ELNS1_3gpuE2ELNS1_3repE0EEENS1_30default_config_static_selectorELNS0_4arch9wavefront6targetE1EEEvT1_: ; @_ZN7rocprim17ROCPRIM_400000_NS6detail17trampoline_kernelINS0_14default_configENS1_33run_length_encode_config_selectorIajNS0_4plusIjEEEEZZNS1_33reduce_by_key_impl_wrapped_configILNS1_25lookback_scan_determinismE0ES3_S7_PKaNS0_17constant_iteratorIjlEEPaPlSF_S6_NS0_8equal_toIaEEEE10hipError_tPvRmT2_T3_mT4_T5_T6_T7_T8_P12ihipStream_tbENKUlT_T0_E_clISt17integral_constantIbLb0EESZ_EEDaSU_SV_EUlSU_E_NS1_11comp_targetILNS1_3genE8ELNS1_11target_archE1030ELNS1_3gpuE2ELNS1_3repE0EEENS1_30default_config_static_selectorELNS0_4arch9wavefront6targetE1EEEvT1_
; %bb.0:
	.section	.rodata,"a",@progbits
	.p2align	6, 0x0
	.amdhsa_kernel _ZN7rocprim17ROCPRIM_400000_NS6detail17trampoline_kernelINS0_14default_configENS1_33run_length_encode_config_selectorIajNS0_4plusIjEEEEZZNS1_33reduce_by_key_impl_wrapped_configILNS1_25lookback_scan_determinismE0ES3_S7_PKaNS0_17constant_iteratorIjlEEPaPlSF_S6_NS0_8equal_toIaEEEE10hipError_tPvRmT2_T3_mT4_T5_T6_T7_T8_P12ihipStream_tbENKUlT_T0_E_clISt17integral_constantIbLb0EESZ_EEDaSU_SV_EUlSU_E_NS1_11comp_targetILNS1_3genE8ELNS1_11target_archE1030ELNS1_3gpuE2ELNS1_3repE0EEENS1_30default_config_static_selectorELNS0_4arch9wavefront6targetE1EEEvT1_
		.amdhsa_group_segment_fixed_size 0
		.amdhsa_private_segment_fixed_size 0
		.amdhsa_kernarg_size 128
		.amdhsa_user_sgpr_count 6
		.amdhsa_user_sgpr_private_segment_buffer 1
		.amdhsa_user_sgpr_dispatch_ptr 0
		.amdhsa_user_sgpr_queue_ptr 0
		.amdhsa_user_sgpr_kernarg_segment_ptr 1
		.amdhsa_user_sgpr_dispatch_id 0
		.amdhsa_user_sgpr_flat_scratch_init 0
		.amdhsa_user_sgpr_kernarg_preload_length 0
		.amdhsa_user_sgpr_kernarg_preload_offset 0
		.amdhsa_user_sgpr_private_segment_size 0
		.amdhsa_uses_dynamic_stack 0
		.amdhsa_system_sgpr_private_segment_wavefront_offset 0
		.amdhsa_system_sgpr_workgroup_id_x 1
		.amdhsa_system_sgpr_workgroup_id_y 0
		.amdhsa_system_sgpr_workgroup_id_z 0
		.amdhsa_system_sgpr_workgroup_info 0
		.amdhsa_system_vgpr_workitem_id 0
		.amdhsa_next_free_vgpr 1
		.amdhsa_next_free_sgpr 0
		.amdhsa_accum_offset 4
		.amdhsa_reserve_vcc 0
		.amdhsa_reserve_flat_scratch 0
		.amdhsa_float_round_mode_32 0
		.amdhsa_float_round_mode_16_64 0
		.amdhsa_float_denorm_mode_32 3
		.amdhsa_float_denorm_mode_16_64 3
		.amdhsa_dx10_clamp 1
		.amdhsa_ieee_mode 1
		.amdhsa_fp16_overflow 0
		.amdhsa_tg_split 0
		.amdhsa_exception_fp_ieee_invalid_op 0
		.amdhsa_exception_fp_denorm_src 0
		.amdhsa_exception_fp_ieee_div_zero 0
		.amdhsa_exception_fp_ieee_overflow 0
		.amdhsa_exception_fp_ieee_underflow 0
		.amdhsa_exception_fp_ieee_inexact 0
		.amdhsa_exception_int_div_zero 0
	.end_amdhsa_kernel
	.section	.text._ZN7rocprim17ROCPRIM_400000_NS6detail17trampoline_kernelINS0_14default_configENS1_33run_length_encode_config_selectorIajNS0_4plusIjEEEEZZNS1_33reduce_by_key_impl_wrapped_configILNS1_25lookback_scan_determinismE0ES3_S7_PKaNS0_17constant_iteratorIjlEEPaPlSF_S6_NS0_8equal_toIaEEEE10hipError_tPvRmT2_T3_mT4_T5_T6_T7_T8_P12ihipStream_tbENKUlT_T0_E_clISt17integral_constantIbLb0EESZ_EEDaSU_SV_EUlSU_E_NS1_11comp_targetILNS1_3genE8ELNS1_11target_archE1030ELNS1_3gpuE2ELNS1_3repE0EEENS1_30default_config_static_selectorELNS0_4arch9wavefront6targetE1EEEvT1_,"axG",@progbits,_ZN7rocprim17ROCPRIM_400000_NS6detail17trampoline_kernelINS0_14default_configENS1_33run_length_encode_config_selectorIajNS0_4plusIjEEEEZZNS1_33reduce_by_key_impl_wrapped_configILNS1_25lookback_scan_determinismE0ES3_S7_PKaNS0_17constant_iteratorIjlEEPaPlSF_S6_NS0_8equal_toIaEEEE10hipError_tPvRmT2_T3_mT4_T5_T6_T7_T8_P12ihipStream_tbENKUlT_T0_E_clISt17integral_constantIbLb0EESZ_EEDaSU_SV_EUlSU_E_NS1_11comp_targetILNS1_3genE8ELNS1_11target_archE1030ELNS1_3gpuE2ELNS1_3repE0EEENS1_30default_config_static_selectorELNS0_4arch9wavefront6targetE1EEEvT1_,comdat
.Lfunc_end243:
	.size	_ZN7rocprim17ROCPRIM_400000_NS6detail17trampoline_kernelINS0_14default_configENS1_33run_length_encode_config_selectorIajNS0_4plusIjEEEEZZNS1_33reduce_by_key_impl_wrapped_configILNS1_25lookback_scan_determinismE0ES3_S7_PKaNS0_17constant_iteratorIjlEEPaPlSF_S6_NS0_8equal_toIaEEEE10hipError_tPvRmT2_T3_mT4_T5_T6_T7_T8_P12ihipStream_tbENKUlT_T0_E_clISt17integral_constantIbLb0EESZ_EEDaSU_SV_EUlSU_E_NS1_11comp_targetILNS1_3genE8ELNS1_11target_archE1030ELNS1_3gpuE2ELNS1_3repE0EEENS1_30default_config_static_selectorELNS0_4arch9wavefront6targetE1EEEvT1_, .Lfunc_end243-_ZN7rocprim17ROCPRIM_400000_NS6detail17trampoline_kernelINS0_14default_configENS1_33run_length_encode_config_selectorIajNS0_4plusIjEEEEZZNS1_33reduce_by_key_impl_wrapped_configILNS1_25lookback_scan_determinismE0ES3_S7_PKaNS0_17constant_iteratorIjlEEPaPlSF_S6_NS0_8equal_toIaEEEE10hipError_tPvRmT2_T3_mT4_T5_T6_T7_T8_P12ihipStream_tbENKUlT_T0_E_clISt17integral_constantIbLb0EESZ_EEDaSU_SV_EUlSU_E_NS1_11comp_targetILNS1_3genE8ELNS1_11target_archE1030ELNS1_3gpuE2ELNS1_3repE0EEENS1_30default_config_static_selectorELNS0_4arch9wavefront6targetE1EEEvT1_
                                        ; -- End function
	.section	.AMDGPU.csdata,"",@progbits
; Kernel info:
; codeLenInByte = 0
; NumSgprs: 4
; NumVgprs: 0
; NumAgprs: 0
; TotalNumVgprs: 0
; ScratchSize: 0
; MemoryBound: 0
; FloatMode: 240
; IeeeMode: 1
; LDSByteSize: 0 bytes/workgroup (compile time only)
; SGPRBlocks: 0
; VGPRBlocks: 0
; NumSGPRsForWavesPerEU: 4
; NumVGPRsForWavesPerEU: 1
; AccumOffset: 4
; Occupancy: 8
; WaveLimiterHint : 0
; COMPUTE_PGM_RSRC2:SCRATCH_EN: 0
; COMPUTE_PGM_RSRC2:USER_SGPR: 6
; COMPUTE_PGM_RSRC2:TRAP_HANDLER: 0
; COMPUTE_PGM_RSRC2:TGID_X_EN: 1
; COMPUTE_PGM_RSRC2:TGID_Y_EN: 0
; COMPUTE_PGM_RSRC2:TGID_Z_EN: 0
; COMPUTE_PGM_RSRC2:TIDIG_COMP_CNT: 0
; COMPUTE_PGM_RSRC3_GFX90A:ACCUM_OFFSET: 0
; COMPUTE_PGM_RSRC3_GFX90A:TG_SPLIT: 0
	.section	.text._ZN7rocprim17ROCPRIM_400000_NS6detail17trampoline_kernelINS0_14default_configENS1_33run_length_encode_config_selectorIajNS0_4plusIjEEEEZZNS1_33reduce_by_key_impl_wrapped_configILNS1_25lookback_scan_determinismE0ES3_S7_PKaNS0_17constant_iteratorIjlEEPaPlSF_S6_NS0_8equal_toIaEEEE10hipError_tPvRmT2_T3_mT4_T5_T6_T7_T8_P12ihipStream_tbENKUlT_T0_E_clISt17integral_constantIbLb1EESZ_EEDaSU_SV_EUlSU_E_NS1_11comp_targetILNS1_3genE0ELNS1_11target_archE4294967295ELNS1_3gpuE0ELNS1_3repE0EEENS1_30default_config_static_selectorELNS0_4arch9wavefront6targetE1EEEvT1_,"axG",@progbits,_ZN7rocprim17ROCPRIM_400000_NS6detail17trampoline_kernelINS0_14default_configENS1_33run_length_encode_config_selectorIajNS0_4plusIjEEEEZZNS1_33reduce_by_key_impl_wrapped_configILNS1_25lookback_scan_determinismE0ES3_S7_PKaNS0_17constant_iteratorIjlEEPaPlSF_S6_NS0_8equal_toIaEEEE10hipError_tPvRmT2_T3_mT4_T5_T6_T7_T8_P12ihipStream_tbENKUlT_T0_E_clISt17integral_constantIbLb1EESZ_EEDaSU_SV_EUlSU_E_NS1_11comp_targetILNS1_3genE0ELNS1_11target_archE4294967295ELNS1_3gpuE0ELNS1_3repE0EEENS1_30default_config_static_selectorELNS0_4arch9wavefront6targetE1EEEvT1_,comdat
	.protected	_ZN7rocprim17ROCPRIM_400000_NS6detail17trampoline_kernelINS0_14default_configENS1_33run_length_encode_config_selectorIajNS0_4plusIjEEEEZZNS1_33reduce_by_key_impl_wrapped_configILNS1_25lookback_scan_determinismE0ES3_S7_PKaNS0_17constant_iteratorIjlEEPaPlSF_S6_NS0_8equal_toIaEEEE10hipError_tPvRmT2_T3_mT4_T5_T6_T7_T8_P12ihipStream_tbENKUlT_T0_E_clISt17integral_constantIbLb1EESZ_EEDaSU_SV_EUlSU_E_NS1_11comp_targetILNS1_3genE0ELNS1_11target_archE4294967295ELNS1_3gpuE0ELNS1_3repE0EEENS1_30default_config_static_selectorELNS0_4arch9wavefront6targetE1EEEvT1_ ; -- Begin function _ZN7rocprim17ROCPRIM_400000_NS6detail17trampoline_kernelINS0_14default_configENS1_33run_length_encode_config_selectorIajNS0_4plusIjEEEEZZNS1_33reduce_by_key_impl_wrapped_configILNS1_25lookback_scan_determinismE0ES3_S7_PKaNS0_17constant_iteratorIjlEEPaPlSF_S6_NS0_8equal_toIaEEEE10hipError_tPvRmT2_T3_mT4_T5_T6_T7_T8_P12ihipStream_tbENKUlT_T0_E_clISt17integral_constantIbLb1EESZ_EEDaSU_SV_EUlSU_E_NS1_11comp_targetILNS1_3genE0ELNS1_11target_archE4294967295ELNS1_3gpuE0ELNS1_3repE0EEENS1_30default_config_static_selectorELNS0_4arch9wavefront6targetE1EEEvT1_
	.globl	_ZN7rocprim17ROCPRIM_400000_NS6detail17trampoline_kernelINS0_14default_configENS1_33run_length_encode_config_selectorIajNS0_4plusIjEEEEZZNS1_33reduce_by_key_impl_wrapped_configILNS1_25lookback_scan_determinismE0ES3_S7_PKaNS0_17constant_iteratorIjlEEPaPlSF_S6_NS0_8equal_toIaEEEE10hipError_tPvRmT2_T3_mT4_T5_T6_T7_T8_P12ihipStream_tbENKUlT_T0_E_clISt17integral_constantIbLb1EESZ_EEDaSU_SV_EUlSU_E_NS1_11comp_targetILNS1_3genE0ELNS1_11target_archE4294967295ELNS1_3gpuE0ELNS1_3repE0EEENS1_30default_config_static_selectorELNS0_4arch9wavefront6targetE1EEEvT1_
	.p2align	8
	.type	_ZN7rocprim17ROCPRIM_400000_NS6detail17trampoline_kernelINS0_14default_configENS1_33run_length_encode_config_selectorIajNS0_4plusIjEEEEZZNS1_33reduce_by_key_impl_wrapped_configILNS1_25lookback_scan_determinismE0ES3_S7_PKaNS0_17constant_iteratorIjlEEPaPlSF_S6_NS0_8equal_toIaEEEE10hipError_tPvRmT2_T3_mT4_T5_T6_T7_T8_P12ihipStream_tbENKUlT_T0_E_clISt17integral_constantIbLb1EESZ_EEDaSU_SV_EUlSU_E_NS1_11comp_targetILNS1_3genE0ELNS1_11target_archE4294967295ELNS1_3gpuE0ELNS1_3repE0EEENS1_30default_config_static_selectorELNS0_4arch9wavefront6targetE1EEEvT1_,@function
_ZN7rocprim17ROCPRIM_400000_NS6detail17trampoline_kernelINS0_14default_configENS1_33run_length_encode_config_selectorIajNS0_4plusIjEEEEZZNS1_33reduce_by_key_impl_wrapped_configILNS1_25lookback_scan_determinismE0ES3_S7_PKaNS0_17constant_iteratorIjlEEPaPlSF_S6_NS0_8equal_toIaEEEE10hipError_tPvRmT2_T3_mT4_T5_T6_T7_T8_P12ihipStream_tbENKUlT_T0_E_clISt17integral_constantIbLb1EESZ_EEDaSU_SV_EUlSU_E_NS1_11comp_targetILNS1_3genE0ELNS1_11target_archE4294967295ELNS1_3gpuE0ELNS1_3repE0EEENS1_30default_config_static_selectorELNS0_4arch9wavefront6targetE1EEEvT1_: ; @_ZN7rocprim17ROCPRIM_400000_NS6detail17trampoline_kernelINS0_14default_configENS1_33run_length_encode_config_selectorIajNS0_4plusIjEEEEZZNS1_33reduce_by_key_impl_wrapped_configILNS1_25lookback_scan_determinismE0ES3_S7_PKaNS0_17constant_iteratorIjlEEPaPlSF_S6_NS0_8equal_toIaEEEE10hipError_tPvRmT2_T3_mT4_T5_T6_T7_T8_P12ihipStream_tbENKUlT_T0_E_clISt17integral_constantIbLb1EESZ_EEDaSU_SV_EUlSU_E_NS1_11comp_targetILNS1_3genE0ELNS1_11target_archE4294967295ELNS1_3gpuE0ELNS1_3repE0EEENS1_30default_config_static_selectorELNS0_4arch9wavefront6targetE1EEEvT1_
; %bb.0:
	.section	.rodata,"a",@progbits
	.p2align	6, 0x0
	.amdhsa_kernel _ZN7rocprim17ROCPRIM_400000_NS6detail17trampoline_kernelINS0_14default_configENS1_33run_length_encode_config_selectorIajNS0_4plusIjEEEEZZNS1_33reduce_by_key_impl_wrapped_configILNS1_25lookback_scan_determinismE0ES3_S7_PKaNS0_17constant_iteratorIjlEEPaPlSF_S6_NS0_8equal_toIaEEEE10hipError_tPvRmT2_T3_mT4_T5_T6_T7_T8_P12ihipStream_tbENKUlT_T0_E_clISt17integral_constantIbLb1EESZ_EEDaSU_SV_EUlSU_E_NS1_11comp_targetILNS1_3genE0ELNS1_11target_archE4294967295ELNS1_3gpuE0ELNS1_3repE0EEENS1_30default_config_static_selectorELNS0_4arch9wavefront6targetE1EEEvT1_
		.amdhsa_group_segment_fixed_size 0
		.amdhsa_private_segment_fixed_size 0
		.amdhsa_kernarg_size 128
		.amdhsa_user_sgpr_count 6
		.amdhsa_user_sgpr_private_segment_buffer 1
		.amdhsa_user_sgpr_dispatch_ptr 0
		.amdhsa_user_sgpr_queue_ptr 0
		.amdhsa_user_sgpr_kernarg_segment_ptr 1
		.amdhsa_user_sgpr_dispatch_id 0
		.amdhsa_user_sgpr_flat_scratch_init 0
		.amdhsa_user_sgpr_kernarg_preload_length 0
		.amdhsa_user_sgpr_kernarg_preload_offset 0
		.amdhsa_user_sgpr_private_segment_size 0
		.amdhsa_uses_dynamic_stack 0
		.amdhsa_system_sgpr_private_segment_wavefront_offset 0
		.amdhsa_system_sgpr_workgroup_id_x 1
		.amdhsa_system_sgpr_workgroup_id_y 0
		.amdhsa_system_sgpr_workgroup_id_z 0
		.amdhsa_system_sgpr_workgroup_info 0
		.amdhsa_system_vgpr_workitem_id 0
		.amdhsa_next_free_vgpr 1
		.amdhsa_next_free_sgpr 0
		.amdhsa_accum_offset 4
		.amdhsa_reserve_vcc 0
		.amdhsa_reserve_flat_scratch 0
		.amdhsa_float_round_mode_32 0
		.amdhsa_float_round_mode_16_64 0
		.amdhsa_float_denorm_mode_32 3
		.amdhsa_float_denorm_mode_16_64 3
		.amdhsa_dx10_clamp 1
		.amdhsa_ieee_mode 1
		.amdhsa_fp16_overflow 0
		.amdhsa_tg_split 0
		.amdhsa_exception_fp_ieee_invalid_op 0
		.amdhsa_exception_fp_denorm_src 0
		.amdhsa_exception_fp_ieee_div_zero 0
		.amdhsa_exception_fp_ieee_overflow 0
		.amdhsa_exception_fp_ieee_underflow 0
		.amdhsa_exception_fp_ieee_inexact 0
		.amdhsa_exception_int_div_zero 0
	.end_amdhsa_kernel
	.section	.text._ZN7rocprim17ROCPRIM_400000_NS6detail17trampoline_kernelINS0_14default_configENS1_33run_length_encode_config_selectorIajNS0_4plusIjEEEEZZNS1_33reduce_by_key_impl_wrapped_configILNS1_25lookback_scan_determinismE0ES3_S7_PKaNS0_17constant_iteratorIjlEEPaPlSF_S6_NS0_8equal_toIaEEEE10hipError_tPvRmT2_T3_mT4_T5_T6_T7_T8_P12ihipStream_tbENKUlT_T0_E_clISt17integral_constantIbLb1EESZ_EEDaSU_SV_EUlSU_E_NS1_11comp_targetILNS1_3genE0ELNS1_11target_archE4294967295ELNS1_3gpuE0ELNS1_3repE0EEENS1_30default_config_static_selectorELNS0_4arch9wavefront6targetE1EEEvT1_,"axG",@progbits,_ZN7rocprim17ROCPRIM_400000_NS6detail17trampoline_kernelINS0_14default_configENS1_33run_length_encode_config_selectorIajNS0_4plusIjEEEEZZNS1_33reduce_by_key_impl_wrapped_configILNS1_25lookback_scan_determinismE0ES3_S7_PKaNS0_17constant_iteratorIjlEEPaPlSF_S6_NS0_8equal_toIaEEEE10hipError_tPvRmT2_T3_mT4_T5_T6_T7_T8_P12ihipStream_tbENKUlT_T0_E_clISt17integral_constantIbLb1EESZ_EEDaSU_SV_EUlSU_E_NS1_11comp_targetILNS1_3genE0ELNS1_11target_archE4294967295ELNS1_3gpuE0ELNS1_3repE0EEENS1_30default_config_static_selectorELNS0_4arch9wavefront6targetE1EEEvT1_,comdat
.Lfunc_end244:
	.size	_ZN7rocprim17ROCPRIM_400000_NS6detail17trampoline_kernelINS0_14default_configENS1_33run_length_encode_config_selectorIajNS0_4plusIjEEEEZZNS1_33reduce_by_key_impl_wrapped_configILNS1_25lookback_scan_determinismE0ES3_S7_PKaNS0_17constant_iteratorIjlEEPaPlSF_S6_NS0_8equal_toIaEEEE10hipError_tPvRmT2_T3_mT4_T5_T6_T7_T8_P12ihipStream_tbENKUlT_T0_E_clISt17integral_constantIbLb1EESZ_EEDaSU_SV_EUlSU_E_NS1_11comp_targetILNS1_3genE0ELNS1_11target_archE4294967295ELNS1_3gpuE0ELNS1_3repE0EEENS1_30default_config_static_selectorELNS0_4arch9wavefront6targetE1EEEvT1_, .Lfunc_end244-_ZN7rocprim17ROCPRIM_400000_NS6detail17trampoline_kernelINS0_14default_configENS1_33run_length_encode_config_selectorIajNS0_4plusIjEEEEZZNS1_33reduce_by_key_impl_wrapped_configILNS1_25lookback_scan_determinismE0ES3_S7_PKaNS0_17constant_iteratorIjlEEPaPlSF_S6_NS0_8equal_toIaEEEE10hipError_tPvRmT2_T3_mT4_T5_T6_T7_T8_P12ihipStream_tbENKUlT_T0_E_clISt17integral_constantIbLb1EESZ_EEDaSU_SV_EUlSU_E_NS1_11comp_targetILNS1_3genE0ELNS1_11target_archE4294967295ELNS1_3gpuE0ELNS1_3repE0EEENS1_30default_config_static_selectorELNS0_4arch9wavefront6targetE1EEEvT1_
                                        ; -- End function
	.section	.AMDGPU.csdata,"",@progbits
; Kernel info:
; codeLenInByte = 0
; NumSgprs: 4
; NumVgprs: 0
; NumAgprs: 0
; TotalNumVgprs: 0
; ScratchSize: 0
; MemoryBound: 0
; FloatMode: 240
; IeeeMode: 1
; LDSByteSize: 0 bytes/workgroup (compile time only)
; SGPRBlocks: 0
; VGPRBlocks: 0
; NumSGPRsForWavesPerEU: 4
; NumVGPRsForWavesPerEU: 1
; AccumOffset: 4
; Occupancy: 8
; WaveLimiterHint : 0
; COMPUTE_PGM_RSRC2:SCRATCH_EN: 0
; COMPUTE_PGM_RSRC2:USER_SGPR: 6
; COMPUTE_PGM_RSRC2:TRAP_HANDLER: 0
; COMPUTE_PGM_RSRC2:TGID_X_EN: 1
; COMPUTE_PGM_RSRC2:TGID_Y_EN: 0
; COMPUTE_PGM_RSRC2:TGID_Z_EN: 0
; COMPUTE_PGM_RSRC2:TIDIG_COMP_CNT: 0
; COMPUTE_PGM_RSRC3_GFX90A:ACCUM_OFFSET: 0
; COMPUTE_PGM_RSRC3_GFX90A:TG_SPLIT: 0
	.section	.text._ZN7rocprim17ROCPRIM_400000_NS6detail17trampoline_kernelINS0_14default_configENS1_33run_length_encode_config_selectorIajNS0_4plusIjEEEEZZNS1_33reduce_by_key_impl_wrapped_configILNS1_25lookback_scan_determinismE0ES3_S7_PKaNS0_17constant_iteratorIjlEEPaPlSF_S6_NS0_8equal_toIaEEEE10hipError_tPvRmT2_T3_mT4_T5_T6_T7_T8_P12ihipStream_tbENKUlT_T0_E_clISt17integral_constantIbLb1EESZ_EEDaSU_SV_EUlSU_E_NS1_11comp_targetILNS1_3genE5ELNS1_11target_archE942ELNS1_3gpuE9ELNS1_3repE0EEENS1_30default_config_static_selectorELNS0_4arch9wavefront6targetE1EEEvT1_,"axG",@progbits,_ZN7rocprim17ROCPRIM_400000_NS6detail17trampoline_kernelINS0_14default_configENS1_33run_length_encode_config_selectorIajNS0_4plusIjEEEEZZNS1_33reduce_by_key_impl_wrapped_configILNS1_25lookback_scan_determinismE0ES3_S7_PKaNS0_17constant_iteratorIjlEEPaPlSF_S6_NS0_8equal_toIaEEEE10hipError_tPvRmT2_T3_mT4_T5_T6_T7_T8_P12ihipStream_tbENKUlT_T0_E_clISt17integral_constantIbLb1EESZ_EEDaSU_SV_EUlSU_E_NS1_11comp_targetILNS1_3genE5ELNS1_11target_archE942ELNS1_3gpuE9ELNS1_3repE0EEENS1_30default_config_static_selectorELNS0_4arch9wavefront6targetE1EEEvT1_,comdat
	.protected	_ZN7rocprim17ROCPRIM_400000_NS6detail17trampoline_kernelINS0_14default_configENS1_33run_length_encode_config_selectorIajNS0_4plusIjEEEEZZNS1_33reduce_by_key_impl_wrapped_configILNS1_25lookback_scan_determinismE0ES3_S7_PKaNS0_17constant_iteratorIjlEEPaPlSF_S6_NS0_8equal_toIaEEEE10hipError_tPvRmT2_T3_mT4_T5_T6_T7_T8_P12ihipStream_tbENKUlT_T0_E_clISt17integral_constantIbLb1EESZ_EEDaSU_SV_EUlSU_E_NS1_11comp_targetILNS1_3genE5ELNS1_11target_archE942ELNS1_3gpuE9ELNS1_3repE0EEENS1_30default_config_static_selectorELNS0_4arch9wavefront6targetE1EEEvT1_ ; -- Begin function _ZN7rocprim17ROCPRIM_400000_NS6detail17trampoline_kernelINS0_14default_configENS1_33run_length_encode_config_selectorIajNS0_4plusIjEEEEZZNS1_33reduce_by_key_impl_wrapped_configILNS1_25lookback_scan_determinismE0ES3_S7_PKaNS0_17constant_iteratorIjlEEPaPlSF_S6_NS0_8equal_toIaEEEE10hipError_tPvRmT2_T3_mT4_T5_T6_T7_T8_P12ihipStream_tbENKUlT_T0_E_clISt17integral_constantIbLb1EESZ_EEDaSU_SV_EUlSU_E_NS1_11comp_targetILNS1_3genE5ELNS1_11target_archE942ELNS1_3gpuE9ELNS1_3repE0EEENS1_30default_config_static_selectorELNS0_4arch9wavefront6targetE1EEEvT1_
	.globl	_ZN7rocprim17ROCPRIM_400000_NS6detail17trampoline_kernelINS0_14default_configENS1_33run_length_encode_config_selectorIajNS0_4plusIjEEEEZZNS1_33reduce_by_key_impl_wrapped_configILNS1_25lookback_scan_determinismE0ES3_S7_PKaNS0_17constant_iteratorIjlEEPaPlSF_S6_NS0_8equal_toIaEEEE10hipError_tPvRmT2_T3_mT4_T5_T6_T7_T8_P12ihipStream_tbENKUlT_T0_E_clISt17integral_constantIbLb1EESZ_EEDaSU_SV_EUlSU_E_NS1_11comp_targetILNS1_3genE5ELNS1_11target_archE942ELNS1_3gpuE9ELNS1_3repE0EEENS1_30default_config_static_selectorELNS0_4arch9wavefront6targetE1EEEvT1_
	.p2align	8
	.type	_ZN7rocprim17ROCPRIM_400000_NS6detail17trampoline_kernelINS0_14default_configENS1_33run_length_encode_config_selectorIajNS0_4plusIjEEEEZZNS1_33reduce_by_key_impl_wrapped_configILNS1_25lookback_scan_determinismE0ES3_S7_PKaNS0_17constant_iteratorIjlEEPaPlSF_S6_NS0_8equal_toIaEEEE10hipError_tPvRmT2_T3_mT4_T5_T6_T7_T8_P12ihipStream_tbENKUlT_T0_E_clISt17integral_constantIbLb1EESZ_EEDaSU_SV_EUlSU_E_NS1_11comp_targetILNS1_3genE5ELNS1_11target_archE942ELNS1_3gpuE9ELNS1_3repE0EEENS1_30default_config_static_selectorELNS0_4arch9wavefront6targetE1EEEvT1_,@function
_ZN7rocprim17ROCPRIM_400000_NS6detail17trampoline_kernelINS0_14default_configENS1_33run_length_encode_config_selectorIajNS0_4plusIjEEEEZZNS1_33reduce_by_key_impl_wrapped_configILNS1_25lookback_scan_determinismE0ES3_S7_PKaNS0_17constant_iteratorIjlEEPaPlSF_S6_NS0_8equal_toIaEEEE10hipError_tPvRmT2_T3_mT4_T5_T6_T7_T8_P12ihipStream_tbENKUlT_T0_E_clISt17integral_constantIbLb1EESZ_EEDaSU_SV_EUlSU_E_NS1_11comp_targetILNS1_3genE5ELNS1_11target_archE942ELNS1_3gpuE9ELNS1_3repE0EEENS1_30default_config_static_selectorELNS0_4arch9wavefront6targetE1EEEvT1_: ; @_ZN7rocprim17ROCPRIM_400000_NS6detail17trampoline_kernelINS0_14default_configENS1_33run_length_encode_config_selectorIajNS0_4plusIjEEEEZZNS1_33reduce_by_key_impl_wrapped_configILNS1_25lookback_scan_determinismE0ES3_S7_PKaNS0_17constant_iteratorIjlEEPaPlSF_S6_NS0_8equal_toIaEEEE10hipError_tPvRmT2_T3_mT4_T5_T6_T7_T8_P12ihipStream_tbENKUlT_T0_E_clISt17integral_constantIbLb1EESZ_EEDaSU_SV_EUlSU_E_NS1_11comp_targetILNS1_3genE5ELNS1_11target_archE942ELNS1_3gpuE9ELNS1_3repE0EEENS1_30default_config_static_selectorELNS0_4arch9wavefront6targetE1EEEvT1_
; %bb.0:
	.section	.rodata,"a",@progbits
	.p2align	6, 0x0
	.amdhsa_kernel _ZN7rocprim17ROCPRIM_400000_NS6detail17trampoline_kernelINS0_14default_configENS1_33run_length_encode_config_selectorIajNS0_4plusIjEEEEZZNS1_33reduce_by_key_impl_wrapped_configILNS1_25lookback_scan_determinismE0ES3_S7_PKaNS0_17constant_iteratorIjlEEPaPlSF_S6_NS0_8equal_toIaEEEE10hipError_tPvRmT2_T3_mT4_T5_T6_T7_T8_P12ihipStream_tbENKUlT_T0_E_clISt17integral_constantIbLb1EESZ_EEDaSU_SV_EUlSU_E_NS1_11comp_targetILNS1_3genE5ELNS1_11target_archE942ELNS1_3gpuE9ELNS1_3repE0EEENS1_30default_config_static_selectorELNS0_4arch9wavefront6targetE1EEEvT1_
		.amdhsa_group_segment_fixed_size 0
		.amdhsa_private_segment_fixed_size 0
		.amdhsa_kernarg_size 128
		.amdhsa_user_sgpr_count 6
		.amdhsa_user_sgpr_private_segment_buffer 1
		.amdhsa_user_sgpr_dispatch_ptr 0
		.amdhsa_user_sgpr_queue_ptr 0
		.amdhsa_user_sgpr_kernarg_segment_ptr 1
		.amdhsa_user_sgpr_dispatch_id 0
		.amdhsa_user_sgpr_flat_scratch_init 0
		.amdhsa_user_sgpr_kernarg_preload_length 0
		.amdhsa_user_sgpr_kernarg_preload_offset 0
		.amdhsa_user_sgpr_private_segment_size 0
		.amdhsa_uses_dynamic_stack 0
		.amdhsa_system_sgpr_private_segment_wavefront_offset 0
		.amdhsa_system_sgpr_workgroup_id_x 1
		.amdhsa_system_sgpr_workgroup_id_y 0
		.amdhsa_system_sgpr_workgroup_id_z 0
		.amdhsa_system_sgpr_workgroup_info 0
		.amdhsa_system_vgpr_workitem_id 0
		.amdhsa_next_free_vgpr 1
		.amdhsa_next_free_sgpr 0
		.amdhsa_accum_offset 4
		.amdhsa_reserve_vcc 0
		.amdhsa_reserve_flat_scratch 0
		.amdhsa_float_round_mode_32 0
		.amdhsa_float_round_mode_16_64 0
		.amdhsa_float_denorm_mode_32 3
		.amdhsa_float_denorm_mode_16_64 3
		.amdhsa_dx10_clamp 1
		.amdhsa_ieee_mode 1
		.amdhsa_fp16_overflow 0
		.amdhsa_tg_split 0
		.amdhsa_exception_fp_ieee_invalid_op 0
		.amdhsa_exception_fp_denorm_src 0
		.amdhsa_exception_fp_ieee_div_zero 0
		.amdhsa_exception_fp_ieee_overflow 0
		.amdhsa_exception_fp_ieee_underflow 0
		.amdhsa_exception_fp_ieee_inexact 0
		.amdhsa_exception_int_div_zero 0
	.end_amdhsa_kernel
	.section	.text._ZN7rocprim17ROCPRIM_400000_NS6detail17trampoline_kernelINS0_14default_configENS1_33run_length_encode_config_selectorIajNS0_4plusIjEEEEZZNS1_33reduce_by_key_impl_wrapped_configILNS1_25lookback_scan_determinismE0ES3_S7_PKaNS0_17constant_iteratorIjlEEPaPlSF_S6_NS0_8equal_toIaEEEE10hipError_tPvRmT2_T3_mT4_T5_T6_T7_T8_P12ihipStream_tbENKUlT_T0_E_clISt17integral_constantIbLb1EESZ_EEDaSU_SV_EUlSU_E_NS1_11comp_targetILNS1_3genE5ELNS1_11target_archE942ELNS1_3gpuE9ELNS1_3repE0EEENS1_30default_config_static_selectorELNS0_4arch9wavefront6targetE1EEEvT1_,"axG",@progbits,_ZN7rocprim17ROCPRIM_400000_NS6detail17trampoline_kernelINS0_14default_configENS1_33run_length_encode_config_selectorIajNS0_4plusIjEEEEZZNS1_33reduce_by_key_impl_wrapped_configILNS1_25lookback_scan_determinismE0ES3_S7_PKaNS0_17constant_iteratorIjlEEPaPlSF_S6_NS0_8equal_toIaEEEE10hipError_tPvRmT2_T3_mT4_T5_T6_T7_T8_P12ihipStream_tbENKUlT_T0_E_clISt17integral_constantIbLb1EESZ_EEDaSU_SV_EUlSU_E_NS1_11comp_targetILNS1_3genE5ELNS1_11target_archE942ELNS1_3gpuE9ELNS1_3repE0EEENS1_30default_config_static_selectorELNS0_4arch9wavefront6targetE1EEEvT1_,comdat
.Lfunc_end245:
	.size	_ZN7rocprim17ROCPRIM_400000_NS6detail17trampoline_kernelINS0_14default_configENS1_33run_length_encode_config_selectorIajNS0_4plusIjEEEEZZNS1_33reduce_by_key_impl_wrapped_configILNS1_25lookback_scan_determinismE0ES3_S7_PKaNS0_17constant_iteratorIjlEEPaPlSF_S6_NS0_8equal_toIaEEEE10hipError_tPvRmT2_T3_mT4_T5_T6_T7_T8_P12ihipStream_tbENKUlT_T0_E_clISt17integral_constantIbLb1EESZ_EEDaSU_SV_EUlSU_E_NS1_11comp_targetILNS1_3genE5ELNS1_11target_archE942ELNS1_3gpuE9ELNS1_3repE0EEENS1_30default_config_static_selectorELNS0_4arch9wavefront6targetE1EEEvT1_, .Lfunc_end245-_ZN7rocprim17ROCPRIM_400000_NS6detail17trampoline_kernelINS0_14default_configENS1_33run_length_encode_config_selectorIajNS0_4plusIjEEEEZZNS1_33reduce_by_key_impl_wrapped_configILNS1_25lookback_scan_determinismE0ES3_S7_PKaNS0_17constant_iteratorIjlEEPaPlSF_S6_NS0_8equal_toIaEEEE10hipError_tPvRmT2_T3_mT4_T5_T6_T7_T8_P12ihipStream_tbENKUlT_T0_E_clISt17integral_constantIbLb1EESZ_EEDaSU_SV_EUlSU_E_NS1_11comp_targetILNS1_3genE5ELNS1_11target_archE942ELNS1_3gpuE9ELNS1_3repE0EEENS1_30default_config_static_selectorELNS0_4arch9wavefront6targetE1EEEvT1_
                                        ; -- End function
	.section	.AMDGPU.csdata,"",@progbits
; Kernel info:
; codeLenInByte = 0
; NumSgprs: 4
; NumVgprs: 0
; NumAgprs: 0
; TotalNumVgprs: 0
; ScratchSize: 0
; MemoryBound: 0
; FloatMode: 240
; IeeeMode: 1
; LDSByteSize: 0 bytes/workgroup (compile time only)
; SGPRBlocks: 0
; VGPRBlocks: 0
; NumSGPRsForWavesPerEU: 4
; NumVGPRsForWavesPerEU: 1
; AccumOffset: 4
; Occupancy: 8
; WaveLimiterHint : 0
; COMPUTE_PGM_RSRC2:SCRATCH_EN: 0
; COMPUTE_PGM_RSRC2:USER_SGPR: 6
; COMPUTE_PGM_RSRC2:TRAP_HANDLER: 0
; COMPUTE_PGM_RSRC2:TGID_X_EN: 1
; COMPUTE_PGM_RSRC2:TGID_Y_EN: 0
; COMPUTE_PGM_RSRC2:TGID_Z_EN: 0
; COMPUTE_PGM_RSRC2:TIDIG_COMP_CNT: 0
; COMPUTE_PGM_RSRC3_GFX90A:ACCUM_OFFSET: 0
; COMPUTE_PGM_RSRC3_GFX90A:TG_SPLIT: 0
	.section	.text._ZN7rocprim17ROCPRIM_400000_NS6detail17trampoline_kernelINS0_14default_configENS1_33run_length_encode_config_selectorIajNS0_4plusIjEEEEZZNS1_33reduce_by_key_impl_wrapped_configILNS1_25lookback_scan_determinismE0ES3_S7_PKaNS0_17constant_iteratorIjlEEPaPlSF_S6_NS0_8equal_toIaEEEE10hipError_tPvRmT2_T3_mT4_T5_T6_T7_T8_P12ihipStream_tbENKUlT_T0_E_clISt17integral_constantIbLb1EESZ_EEDaSU_SV_EUlSU_E_NS1_11comp_targetILNS1_3genE4ELNS1_11target_archE910ELNS1_3gpuE8ELNS1_3repE0EEENS1_30default_config_static_selectorELNS0_4arch9wavefront6targetE1EEEvT1_,"axG",@progbits,_ZN7rocprim17ROCPRIM_400000_NS6detail17trampoline_kernelINS0_14default_configENS1_33run_length_encode_config_selectorIajNS0_4plusIjEEEEZZNS1_33reduce_by_key_impl_wrapped_configILNS1_25lookback_scan_determinismE0ES3_S7_PKaNS0_17constant_iteratorIjlEEPaPlSF_S6_NS0_8equal_toIaEEEE10hipError_tPvRmT2_T3_mT4_T5_T6_T7_T8_P12ihipStream_tbENKUlT_T0_E_clISt17integral_constantIbLb1EESZ_EEDaSU_SV_EUlSU_E_NS1_11comp_targetILNS1_3genE4ELNS1_11target_archE910ELNS1_3gpuE8ELNS1_3repE0EEENS1_30default_config_static_selectorELNS0_4arch9wavefront6targetE1EEEvT1_,comdat
	.protected	_ZN7rocprim17ROCPRIM_400000_NS6detail17trampoline_kernelINS0_14default_configENS1_33run_length_encode_config_selectorIajNS0_4plusIjEEEEZZNS1_33reduce_by_key_impl_wrapped_configILNS1_25lookback_scan_determinismE0ES3_S7_PKaNS0_17constant_iteratorIjlEEPaPlSF_S6_NS0_8equal_toIaEEEE10hipError_tPvRmT2_T3_mT4_T5_T6_T7_T8_P12ihipStream_tbENKUlT_T0_E_clISt17integral_constantIbLb1EESZ_EEDaSU_SV_EUlSU_E_NS1_11comp_targetILNS1_3genE4ELNS1_11target_archE910ELNS1_3gpuE8ELNS1_3repE0EEENS1_30default_config_static_selectorELNS0_4arch9wavefront6targetE1EEEvT1_ ; -- Begin function _ZN7rocprim17ROCPRIM_400000_NS6detail17trampoline_kernelINS0_14default_configENS1_33run_length_encode_config_selectorIajNS0_4plusIjEEEEZZNS1_33reduce_by_key_impl_wrapped_configILNS1_25lookback_scan_determinismE0ES3_S7_PKaNS0_17constant_iteratorIjlEEPaPlSF_S6_NS0_8equal_toIaEEEE10hipError_tPvRmT2_T3_mT4_T5_T6_T7_T8_P12ihipStream_tbENKUlT_T0_E_clISt17integral_constantIbLb1EESZ_EEDaSU_SV_EUlSU_E_NS1_11comp_targetILNS1_3genE4ELNS1_11target_archE910ELNS1_3gpuE8ELNS1_3repE0EEENS1_30default_config_static_selectorELNS0_4arch9wavefront6targetE1EEEvT1_
	.globl	_ZN7rocprim17ROCPRIM_400000_NS6detail17trampoline_kernelINS0_14default_configENS1_33run_length_encode_config_selectorIajNS0_4plusIjEEEEZZNS1_33reduce_by_key_impl_wrapped_configILNS1_25lookback_scan_determinismE0ES3_S7_PKaNS0_17constant_iteratorIjlEEPaPlSF_S6_NS0_8equal_toIaEEEE10hipError_tPvRmT2_T3_mT4_T5_T6_T7_T8_P12ihipStream_tbENKUlT_T0_E_clISt17integral_constantIbLb1EESZ_EEDaSU_SV_EUlSU_E_NS1_11comp_targetILNS1_3genE4ELNS1_11target_archE910ELNS1_3gpuE8ELNS1_3repE0EEENS1_30default_config_static_selectorELNS0_4arch9wavefront6targetE1EEEvT1_
	.p2align	8
	.type	_ZN7rocprim17ROCPRIM_400000_NS6detail17trampoline_kernelINS0_14default_configENS1_33run_length_encode_config_selectorIajNS0_4plusIjEEEEZZNS1_33reduce_by_key_impl_wrapped_configILNS1_25lookback_scan_determinismE0ES3_S7_PKaNS0_17constant_iteratorIjlEEPaPlSF_S6_NS0_8equal_toIaEEEE10hipError_tPvRmT2_T3_mT4_T5_T6_T7_T8_P12ihipStream_tbENKUlT_T0_E_clISt17integral_constantIbLb1EESZ_EEDaSU_SV_EUlSU_E_NS1_11comp_targetILNS1_3genE4ELNS1_11target_archE910ELNS1_3gpuE8ELNS1_3repE0EEENS1_30default_config_static_selectorELNS0_4arch9wavefront6targetE1EEEvT1_,@function
_ZN7rocprim17ROCPRIM_400000_NS6detail17trampoline_kernelINS0_14default_configENS1_33run_length_encode_config_selectorIajNS0_4plusIjEEEEZZNS1_33reduce_by_key_impl_wrapped_configILNS1_25lookback_scan_determinismE0ES3_S7_PKaNS0_17constant_iteratorIjlEEPaPlSF_S6_NS0_8equal_toIaEEEE10hipError_tPvRmT2_T3_mT4_T5_T6_T7_T8_P12ihipStream_tbENKUlT_T0_E_clISt17integral_constantIbLb1EESZ_EEDaSU_SV_EUlSU_E_NS1_11comp_targetILNS1_3genE4ELNS1_11target_archE910ELNS1_3gpuE8ELNS1_3repE0EEENS1_30default_config_static_selectorELNS0_4arch9wavefront6targetE1EEEvT1_: ; @_ZN7rocprim17ROCPRIM_400000_NS6detail17trampoline_kernelINS0_14default_configENS1_33run_length_encode_config_selectorIajNS0_4plusIjEEEEZZNS1_33reduce_by_key_impl_wrapped_configILNS1_25lookback_scan_determinismE0ES3_S7_PKaNS0_17constant_iteratorIjlEEPaPlSF_S6_NS0_8equal_toIaEEEE10hipError_tPvRmT2_T3_mT4_T5_T6_T7_T8_P12ihipStream_tbENKUlT_T0_E_clISt17integral_constantIbLb1EESZ_EEDaSU_SV_EUlSU_E_NS1_11comp_targetILNS1_3genE4ELNS1_11target_archE910ELNS1_3gpuE8ELNS1_3repE0EEENS1_30default_config_static_selectorELNS0_4arch9wavefront6targetE1EEEvT1_
; %bb.0:
	s_load_dword s12, s[4:5], 0x10
	s_load_dwordx4 s[44:47], s[4:5], 0x20
	s_load_dwordx2 s[52:53], s[4:5], 0x30
	s_load_dwordx2 s[34:35], s[4:5], 0x70
	s_load_dwordx4 s[48:51], s[4:5], 0x60
	s_load_dwordx8 s[36:43], s[4:5], 0x40
	v_cmp_ne_u32_e64 s[2:3], 0, v0
	v_cmp_eq_u32_e64 s[0:1], 0, v0
	s_and_saveexec_b64 s[6:7], s[0:1]
	s_cbranch_execz .LBB246_4
; %bb.1:
	s_mov_b64 s[10:11], exec
	v_mbcnt_lo_u32_b32 v1, s10, 0
	v_mbcnt_hi_u32_b32 v1, s11, v1
	v_cmp_eq_u32_e32 vcc, 0, v1
                                        ; implicit-def: $vgpr2
	s_and_saveexec_b64 s[8:9], vcc
	s_cbranch_execz .LBB246_3
; %bb.2:
	s_load_dwordx2 s[14:15], s[4:5], 0x78
	s_bcnt1_i32_b64 s10, s[10:11]
	v_mov_b32_e32 v2, 0
	v_mov_b32_e32 v3, s10
	s_waitcnt lgkmcnt(0)
	global_atomic_add v2, v2, v3, s[14:15] glc
.LBB246_3:
	s_or_b64 exec, exec, s[8:9]
	s_waitcnt vmcnt(0)
	v_readfirstlane_b32 s8, v2
	v_add_u32_e32 v1, s8, v1
	v_mov_b32_e32 v2, 0
	ds_write_b32 v2, v1
.LBB246_4:
	s_or_b64 exec, exec, s[6:7]
	s_load_dwordx4 s[4:7], s[4:5], 0x0
	v_mov_b32_e32 v1, 0
	s_waitcnt lgkmcnt(0)
	s_barrier
	ds_read_b32 v1, v1
	s_mul_i32 s8, s40, s39
	s_mul_hi_u32 s9, s40, s38
	s_add_i32 s8, s9, s8
	s_mul_i32 s9, s41, s38
	s_add_i32 s8, s8, s9
	s_add_u32 s4, s4, s6
	s_movk_i32 s6, 0xf00
	s_mul_i32 s9, s40, s38
	s_addc_u32 s5, s5, s7
	s_waitcnt lgkmcnt(0)
	v_readfirstlane_b32 s60, v1
	v_mul_lo_u32 v1, v1, s6
	v_add_co_u32_e32 v2, vcc, s4, v1
	s_add_u32 s4, s9, s60
	v_mov_b32_e32 v3, s5
	s_addc_u32 s5, s8, 0
	s_add_u32 s6, s42, -1
	s_addc_u32 s7, s43, -1
	s_cmp_eq_u64 s[4:5], s[6:7]
	v_addc_co_u32_e32 v3, vcc, 0, v3, vcc
	s_cselect_b64 s[40:41], -1, 0
	s_cmp_lg_u64 s[4:5], s[6:7]
	s_mov_b64 s[10:11], -1
	s_cselect_b64 s[8:9], -1, 0
	s_mul_i32 s33, s6, 0xfffff100
	s_and_b64 vcc, exec, s[40:41]
	v_mad_u32_u24 v4, v0, 14, v0
	s_barrier
	s_cbranch_vccnz .LBB246_6
; %bb.5:
	v_readfirstlane_b32 s6, v2
	v_readfirstlane_b32 s7, v3
	s_nop 4
	global_load_ubyte v1, v0, s[6:7]
	global_load_ubyte v5, v0, s[6:7] offset:256
	global_load_ubyte v6, v0, s[6:7] offset:512
	;; [unrolled: 1-line block ×14, first 2 shown]
	s_mov_b64 s[6:7], -1
	s_waitcnt vmcnt(14)
	ds_write_b8 v0, v1
	s_waitcnt vmcnt(13)
	ds_write_b8 v0, v5 offset:256
	s_waitcnt vmcnt(12)
	ds_write_b8 v0, v6 offset:512
	;; [unrolled: 2-line block ×14, first 2 shown]
	s_waitcnt lgkmcnt(0)
	s_barrier
	ds_read_b96 v[8:10], v4
	ds_read_u8 v21, v4 offset:12
	ds_read_u8 v11, v4 offset:13
	;; [unrolled: 1-line block ×3, first 2 shown]
	s_waitcnt lgkmcnt(3)
	v_lshrrev_b32_e32 v66, 8, v8
	v_lshrrev_b32_e32 v64, 16, v8
	;; [unrolled: 1-line block ×9, first 2 shown]
	s_add_i32 s33, s33, s48
	s_cbranch_execz .LBB246_7
	s_branch .LBB246_38
.LBB246_6:
	s_mov_b64 s[6:7], 0
                                        ; implicit-def: $vgpr8
                                        ; implicit-def: $vgpr66
                                        ; implicit-def: $vgpr64
                                        ; implicit-def: $vgpr63
                                        ; implicit-def: $vgpr60
                                        ; implicit-def: $vgpr59
                                        ; implicit-def: $vgpr58
                                        ; implicit-def: $vgpr57
                                        ; implicit-def: $vgpr56
                                        ; implicit-def: $vgpr55
                                        ; implicit-def: $vgpr21
                                        ; implicit-def: $vgpr11
                                        ; implicit-def: $vgpr1
	s_add_i32 s33, s33, s48
	s_andn2_b64 vcc, exec, s[10:11]
	s_cbranch_vccnz .LBB246_38
.LBB246_7:
	v_cmp_gt_u32_e32 vcc, s33, v0
                                        ; implicit-def: $vgpr1
	s_and_saveexec_b64 s[6:7], vcc
	s_cbranch_execz .LBB246_9
; %bb.8:
	v_readfirstlane_b32 s10, v2
	v_readfirstlane_b32 s11, v3
	s_waitcnt lgkmcnt(0)
	s_nop 3
	global_load_ubyte v1, v0, s[10:11]
.LBB246_9:
	s_or_b64 exec, exec, s[6:7]
	v_or_b32_e32 v5, 0x100, v0
	v_cmp_gt_u32_e32 vcc, s33, v5
                                        ; implicit-def: $vgpr5
	s_and_saveexec_b64 s[6:7], vcc
	s_cbranch_execz .LBB246_11
; %bb.10:
	v_readfirstlane_b32 s10, v2
	v_readfirstlane_b32 s11, v3
	s_nop 4
	global_load_ubyte v5, v0, s[10:11] offset:256
.LBB246_11:
	s_or_b64 exec, exec, s[6:7]
	v_or_b32_e32 v6, 0x200, v0
	v_cmp_gt_u32_e32 vcc, s33, v6
                                        ; implicit-def: $vgpr6
	s_and_saveexec_b64 s[6:7], vcc
	s_cbranch_execz .LBB246_13
; %bb.12:
	v_readfirstlane_b32 s10, v2
	v_readfirstlane_b32 s11, v3
	s_nop 4
	global_load_ubyte v6, v0, s[10:11] offset:512
.LBB246_13:
	s_or_b64 exec, exec, s[6:7]
	v_or_b32_e32 v7, 0x300, v0
	v_cmp_gt_u32_e32 vcc, s33, v7
                                        ; implicit-def: $vgpr7
	s_and_saveexec_b64 s[6:7], vcc
	s_cbranch_execz .LBB246_15
; %bb.14:
	v_readfirstlane_b32 s10, v2
	v_readfirstlane_b32 s11, v3
	s_nop 4
	global_load_ubyte v7, v0, s[10:11] offset:768
.LBB246_15:
	s_or_b64 exec, exec, s[6:7]
	v_or_b32_e32 v8, 0x400, v0
	v_cmp_gt_u32_e32 vcc, s33, v8
                                        ; implicit-def: $vgpr8
	s_and_saveexec_b64 s[6:7], vcc
	s_cbranch_execz .LBB246_17
; %bb.16:
	v_readfirstlane_b32 s10, v2
	v_readfirstlane_b32 s11, v3
	s_nop 4
	global_load_ubyte v8, v0, s[10:11] offset:1024
.LBB246_17:
	s_or_b64 exec, exec, s[6:7]
	v_or_b32_e32 v9, 0x500, v0
	v_cmp_gt_u32_e32 vcc, s33, v9
                                        ; implicit-def: $vgpr9
	s_and_saveexec_b64 s[6:7], vcc
	s_cbranch_execz .LBB246_19
; %bb.18:
	v_readfirstlane_b32 s10, v2
	v_readfirstlane_b32 s11, v3
	s_nop 4
	global_load_ubyte v9, v0, s[10:11] offset:1280
.LBB246_19:
	s_or_b64 exec, exec, s[6:7]
	v_or_b32_e32 v10, 0x600, v0
	v_cmp_gt_u32_e32 vcc, s33, v10
                                        ; implicit-def: $vgpr10
	s_and_saveexec_b64 s[6:7], vcc
	s_cbranch_execz .LBB246_21
; %bb.20:
	v_readfirstlane_b32 s10, v2
	v_readfirstlane_b32 s11, v3
	s_nop 4
	global_load_ubyte v10, v0, s[10:11] offset:1536
.LBB246_21:
	s_or_b64 exec, exec, s[6:7]
	s_waitcnt lgkmcnt(1)
	v_or_b32_e32 v11, 0x700, v0
	v_cmp_gt_u32_e32 vcc, s33, v11
                                        ; implicit-def: $vgpr11
	s_and_saveexec_b64 s[6:7], vcc
	s_cbranch_execz .LBB246_23
; %bb.22:
	v_readfirstlane_b32 s10, v2
	v_readfirstlane_b32 s11, v3
	s_nop 4
	global_load_ubyte v11, v0, s[10:11] offset:1792
.LBB246_23:
	s_or_b64 exec, exec, s[6:7]
	v_or_b32_e32 v12, 0x800, v0
	v_cmp_gt_u32_e32 vcc, s33, v12
                                        ; implicit-def: $vgpr12
	s_and_saveexec_b64 s[6:7], vcc
	s_cbranch_execz .LBB246_25
; %bb.24:
	v_readfirstlane_b32 s10, v2
	v_readfirstlane_b32 s11, v3
	s_nop 4
	global_load_ubyte v12, v0, s[10:11] offset:2048
.LBB246_25:
	s_or_b64 exec, exec, s[6:7]
	v_or_b32_e32 v13, 0x900, v0
	v_cmp_gt_u32_e32 vcc, s33, v13
                                        ; implicit-def: $vgpr13
	s_and_saveexec_b64 s[6:7], vcc
	s_cbranch_execz .LBB246_27
; %bb.26:
	v_readfirstlane_b32 s10, v2
	v_readfirstlane_b32 s11, v3
	s_nop 4
	global_load_ubyte v13, v0, s[10:11] offset:2304
.LBB246_27:
	s_or_b64 exec, exec, s[6:7]
	v_or_b32_e32 v14, 0xa00, v0
	v_cmp_gt_u32_e32 vcc, s33, v14
                                        ; implicit-def: $vgpr14
	s_and_saveexec_b64 s[6:7], vcc
	s_cbranch_execz .LBB246_29
; %bb.28:
	v_readfirstlane_b32 s10, v2
	v_readfirstlane_b32 s11, v3
	s_nop 4
	global_load_ubyte v14, v0, s[10:11] offset:2560
.LBB246_29:
	s_or_b64 exec, exec, s[6:7]
	v_or_b32_e32 v15, 0xb00, v0
	v_cmp_gt_u32_e32 vcc, s33, v15
                                        ; implicit-def: $vgpr15
	s_and_saveexec_b64 s[6:7], vcc
	s_cbranch_execz .LBB246_31
; %bb.30:
	v_readfirstlane_b32 s10, v2
	v_readfirstlane_b32 s11, v3
	s_nop 4
	global_load_ubyte v15, v0, s[10:11] offset:2816
.LBB246_31:
	s_or_b64 exec, exec, s[6:7]
	v_or_b32_e32 v16, 0xc00, v0
	v_cmp_gt_u32_e32 vcc, s33, v16
                                        ; implicit-def: $vgpr16
	s_and_saveexec_b64 s[6:7], vcc
	s_cbranch_execz .LBB246_33
; %bb.32:
	v_readfirstlane_b32 s10, v2
	v_readfirstlane_b32 s11, v3
	s_nop 4
	global_load_ubyte v16, v0, s[10:11] offset:3072
.LBB246_33:
	s_or_b64 exec, exec, s[6:7]
	v_or_b32_e32 v17, 0xd00, v0
	v_cmp_gt_u32_e32 vcc, s33, v17
                                        ; implicit-def: $vgpr17
	s_and_saveexec_b64 s[6:7], vcc
	s_cbranch_execz .LBB246_35
; %bb.34:
	v_readfirstlane_b32 s10, v2
	v_readfirstlane_b32 s11, v3
	s_nop 4
	global_load_ubyte v17, v0, s[10:11] offset:3328
.LBB246_35:
	s_or_b64 exec, exec, s[6:7]
	v_or_b32_e32 v18, 0xe00, v0
	v_cmp_gt_u32_e32 vcc, s33, v18
                                        ; implicit-def: $vgpr18
	s_and_saveexec_b64 s[6:7], vcc
	s_cbranch_execz .LBB246_37
; %bb.36:
	v_readfirstlane_b32 s10, v2
	v_readfirstlane_b32 s11, v3
	s_nop 4
	global_load_ubyte v18, v0, s[10:11] offset:3584
.LBB246_37:
	s_or_b64 exec, exec, s[6:7]
	s_waitcnt vmcnt(0) lgkmcnt(0)
	ds_write_b8 v0, v1
	ds_write_b8 v0, v5 offset:256
	ds_write_b8 v0, v6 offset:512
	;; [unrolled: 1-line block ×14, first 2 shown]
	s_waitcnt lgkmcnt(0)
	s_barrier
	ds_read_b96 v[8:10], v4
	ds_read_u8 v21, v4 offset:12
	ds_read_u8 v11, v4 offset:13
	ds_read_u8 v1, v4 offset:14
	v_mad_u32_u24 v4, v0, 15, 14
	s_waitcnt lgkmcnt(3)
	v_lshrrev_b32_e32 v66, 8, v8
	v_lshrrev_b32_e32 v64, 16, v8
	;; [unrolled: 1-line block ×9, first 2 shown]
	v_cmp_gt_u32_e64 s[6:7], s33, v4
.LBB246_38:
	v_mov_b32_e32 v52, s12
                                        ; implicit-def: $vgpr53
	s_and_saveexec_b64 s[10:11], s[6:7]
; %bb.39:
	v_mov_b32_e32 v53, s12
; %bb.40:
	s_or_b64 exec, exec, s[10:11]
	s_cmp_eq_u64 s[4:5], 0
	s_cselect_b64 s[42:43], -1, 0
	s_cmp_lg_u64 s[4:5], 0
	s_mov_b64 s[6:7], 0
	s_cselect_b64 s[10:11], -1, 0
	s_and_b64 vcc, exec, s[8:9]
	s_waitcnt lgkmcnt(0)
	s_barrier
	s_cbranch_vccz .LBB246_46
; %bb.41:
	s_and_b64 vcc, exec, s[10:11]
	s_cbranch_vccz .LBB246_47
; %bb.42:
	global_load_ubyte v4, v[2:3], off offset:-1
	v_cmp_ne_u16_sdwa s[6:7], v11, v1 src0_sel:BYTE_0 src1_sel:BYTE_0
	v_cmp_ne_u16_sdwa s[8:9], v21, v11 src0_sel:BYTE_0 src1_sel:BYTE_0
	;; [unrolled: 1-line block ×14, first 2 shown]
	ds_write_b8 v0, v1
	s_waitcnt lgkmcnt(0)
	s_barrier
	s_and_saveexec_b64 s[58:59], s[2:3]
	s_cbranch_execz .LBB246_44
; %bb.43:
	s_waitcnt vmcnt(0)
	v_add_u32_e32 v4, -1, v0
	ds_read_u8 v4, v4
.LBB246_44:
	s_or_b64 exec, exec, s[58:59]
	s_waitcnt vmcnt(0) lgkmcnt(0)
	v_and_b32_e32 v4, 0xff, v4
	v_cndmask_b32_e64 v61, 0, 1, s[6:7]
	v_cndmask_b32_e64 v62, 0, 1, s[8:9]
	;; [unrolled: 1-line block ×14, first 2 shown]
	v_cmp_ne_u16_sdwa s[8:9], v4, v8 src0_sel:DWORD src1_sel:BYTE_0
	s_mov_b64 s[6:7], -1
.LBB246_45:
                                        ; implicit-def: $sgpr14
	s_branch .LBB246_59
.LBB246_46:
                                        ; implicit-def: $sgpr8_sgpr9
                                        ; implicit-def: $vgpr61
                                        ; implicit-def: $vgpr62
                                        ; implicit-def: $vgpr65
                                        ; implicit-def: $vgpr67
                                        ; implicit-def: $vgpr68
                                        ; implicit-def: $vgpr69
                                        ; implicit-def: $vgpr70
                                        ; implicit-def: $vgpr71
                                        ; implicit-def: $vgpr72
                                        ; implicit-def: $vgpr73
                                        ; implicit-def: $vgpr74
                                        ; implicit-def: $vgpr75
                                        ; implicit-def: $vgpr76
                                        ; implicit-def: $vgpr77
                                        ; implicit-def: $sgpr14
	s_cbranch_execnz .LBB246_51
	s_branch .LBB246_59
.LBB246_47:
                                        ; implicit-def: $sgpr8_sgpr9
                                        ; implicit-def: $vgpr61
                                        ; implicit-def: $vgpr62
                                        ; implicit-def: $vgpr65
                                        ; implicit-def: $vgpr67
                                        ; implicit-def: $vgpr68
                                        ; implicit-def: $vgpr69
                                        ; implicit-def: $vgpr70
                                        ; implicit-def: $vgpr71
                                        ; implicit-def: $vgpr72
                                        ; implicit-def: $vgpr73
                                        ; implicit-def: $vgpr74
                                        ; implicit-def: $vgpr75
                                        ; implicit-def: $vgpr76
                                        ; implicit-def: $vgpr77
	s_cbranch_execz .LBB246_45
; %bb.48:
	v_cmp_ne_u16_sdwa s[8:9], v11, v1 src0_sel:BYTE_0 src1_sel:BYTE_0
	v_cndmask_b32_e64 v61, 0, 1, s[8:9]
	v_cmp_ne_u16_sdwa s[8:9], v21, v11 src0_sel:BYTE_0 src1_sel:BYTE_0
	v_cndmask_b32_e64 v62, 0, 1, s[8:9]
	;; [unrolled: 2-line block ×14, first 2 shown]
	ds_write_b8 v0, v1
	s_waitcnt lgkmcnt(0)
	s_barrier
	s_waitcnt lgkmcnt(0)
                                        ; implicit-def: $sgpr8_sgpr9
	s_and_saveexec_b64 s[12:13], s[2:3]
	s_xor_b64 s[12:13], exec, s[12:13]
	s_cbranch_execz .LBB246_50
; %bb.49:
	v_add_u32_e32 v4, -1, v0
	ds_read_u8 v4, v4
	s_or_b64 s[6:7], s[6:7], exec
	s_waitcnt lgkmcnt(0)
	v_cmp_ne_u16_sdwa s[8:9], v4, v8 src0_sel:DWORD src1_sel:BYTE_0
	s_and_b64 s[8:9], s[8:9], exec
.LBB246_50:
	s_or_b64 exec, exec, s[12:13]
	s_mov_b32 s14, 1
	s_branch .LBB246_59
.LBB246_51:
	s_mul_hi_u32 s8, s4, 0xfffff100
	s_mulk_i32 s5, 0xf100
	s_sub_i32 s8, s8, s4
	s_add_i32 s8, s8, s5
	s_mulk_i32 s4, 0xf100
	s_add_u32 s4, s4, s48
	s_addc_u32 s5, s8, s49
	s_and_b64 vcc, exec, s[10:11]
	s_cbranch_vccz .LBB246_56
; %bb.52:
	global_load_ubyte v6, v[2:3], off offset:-1
	v_mad_u32_u24 v4, v0, 15, 14
	v_mov_b32_e32 v5, 0
	v_cmp_gt_u64_e32 vcc, s[4:5], v[4:5]
	v_cmp_ne_u16_sdwa s[6:7], v11, v1 src0_sel:BYTE_0 src1_sel:BYTE_0
	v_mad_u32_u24 v4, v0, 15, 13
	s_and_b64 s[6:7], vcc, s[6:7]
	v_cmp_gt_u64_e32 vcc, s[4:5], v[4:5]
	v_cmp_ne_u16_sdwa s[8:9], v21, v11 src0_sel:BYTE_0 src1_sel:BYTE_0
	v_mad_u32_u24 v4, v0, 15, 12
	s_and_b64 s[8:9], vcc, s[8:9]
	;; [unrolled: 4-line block ×13, first 2 shown]
	v_cmp_gt_u64_e32 vcc, s[4:5], v[4:5]
	v_cmp_ne_u16_sdwa s[48:49], v8, v66 src0_sel:BYTE_0 src1_sel:BYTE_0
	v_mul_u32_u24_e32 v2, 15, v0
	s_and_b64 s[48:49], vcc, s[48:49]
	ds_write_b8 v0, v1
	s_waitcnt lgkmcnt(0)
	s_barrier
	s_and_saveexec_b64 s[54:55], s[2:3]
	s_cbranch_execz .LBB246_54
; %bb.53:
	v_add_u32_e32 v3, -1, v0
	s_waitcnt vmcnt(0)
	ds_read_u8 v6, v3
.LBB246_54:
	s_or_b64 exec, exec, s[54:55]
	v_mov_b32_e32 v3, v5
	v_cmp_gt_u64_e32 vcc, s[4:5], v[2:3]
	s_waitcnt vmcnt(0) lgkmcnt(0)
	v_and_b32_e32 v2, 0xff, v6
	v_cndmask_b32_e64 v61, 0, 1, s[6:7]
	v_cmp_ne_u16_sdwa s[6:7], v2, v8 src0_sel:DWORD src1_sel:BYTE_0
	v_cndmask_b32_e64 v62, 0, 1, s[8:9]
	v_cndmask_b32_e64 v65, 0, 1, s[10:11]
	;; [unrolled: 1-line block ×13, first 2 shown]
	s_and_b64 s[8:9], vcc, s[6:7]
	s_mov_b64 s[6:7], -1
.LBB246_55:
                                        ; implicit-def: $sgpr14
	v_mov_b32_e32 v78, s14
	s_and_saveexec_b64 s[2:3], s[6:7]
	s_cbranch_execnz .LBB246_60
	s_branch .LBB246_61
.LBB246_56:
                                        ; implicit-def: $sgpr8_sgpr9
                                        ; implicit-def: $vgpr61
                                        ; implicit-def: $vgpr62
                                        ; implicit-def: $vgpr65
                                        ; implicit-def: $vgpr67
                                        ; implicit-def: $vgpr68
                                        ; implicit-def: $vgpr69
                                        ; implicit-def: $vgpr70
                                        ; implicit-def: $vgpr71
                                        ; implicit-def: $vgpr72
                                        ; implicit-def: $vgpr73
                                        ; implicit-def: $vgpr74
                                        ; implicit-def: $vgpr75
                                        ; implicit-def: $vgpr76
                                        ; implicit-def: $vgpr77
	s_cbranch_execz .LBB246_55
; %bb.57:
	v_mad_u32_u24 v2, v0, 15, 14
	v_mov_b32_e32 v3, 0
	v_cmp_gt_u64_e32 vcc, s[4:5], v[2:3]
	v_cmp_ne_u16_sdwa s[8:9], v11, v1 src0_sel:BYTE_0 src1_sel:BYTE_0
	s_and_b64 s[8:9], vcc, s[8:9]
	v_mad_u32_u24 v2, v0, 15, 13
	v_cndmask_b32_e64 v61, 0, 1, s[8:9]
	v_cmp_gt_u64_e32 vcc, s[4:5], v[2:3]
	v_cmp_ne_u16_sdwa s[8:9], v21, v11 src0_sel:BYTE_0 src1_sel:BYTE_0
	s_and_b64 s[8:9], vcc, s[8:9]
	v_mad_u32_u24 v2, v0, 15, 12
	v_cndmask_b32_e64 v62, 0, 1, s[8:9]
	;; [unrolled: 5-line block ×13, first 2 shown]
	v_cmp_gt_u64_e32 vcc, s[4:5], v[2:3]
	v_cmp_ne_u16_sdwa s[8:9], v8, v66 src0_sel:BYTE_0 src1_sel:BYTE_0
	s_and_b64 s[8:9], vcc, s[8:9]
	s_mov_b32 s14, 1
	v_cndmask_b32_e64 v77, 0, 1, s[8:9]
	ds_write_b8 v0, v1
	s_waitcnt lgkmcnt(0)
	s_barrier
	s_waitcnt lgkmcnt(0)
                                        ; implicit-def: $sgpr8_sgpr9
	s_and_saveexec_b64 s[10:11], s[2:3]
	s_cbranch_execz .LBB246_155
; %bb.58:
	v_add_u32_e32 v2, -1, v0
	ds_read_u8 v4, v2
	v_mul_u32_u24_e32 v2, 15, v0
	v_cmp_gt_u64_e32 vcc, s[4:5], v[2:3]
	s_or_b64 s[6:7], s[6:7], exec
	s_waitcnt lgkmcnt(0)
	v_and_b32_e32 v2, 0xff, v4
	v_cmp_ne_u16_sdwa s[2:3], v2, v8 src0_sel:DWORD src1_sel:BYTE_0
	s_and_b64 s[2:3], vcc, s[2:3]
	s_and_b64 s[8:9], s[2:3], exec
	s_or_b64 exec, exec, s[10:11]
.LBB246_59:
	v_mov_b32_e32 v78, s14
	s_and_saveexec_b64 s[2:3], s[6:7]
.LBB246_60:
	v_cndmask_b32_e64 v78, 0, 1, s[8:9]
.LBB246_61:
	s_or_b64 exec, exec, s[2:3]
	s_cmp_eq_u64 s[38:39], 0
	v_add3_u32 v2, v77, v78, v76
	s_cselect_b64 s[38:39], -1, 0
	s_cmp_lg_u32 s60, 0
	v_cmp_eq_u32_e64 s[26:27], 0, v77
	v_cmp_eq_u32_e64 s[24:25], 0, v76
	v_cmp_eq_u32_e64 s[22:23], 0, v75
	v_add3_u32 v81, v2, v75, v74
	v_cmp_eq_u32_e64 s[20:21], 0, v74
	v_cmp_eq_u32_e64 s[18:19], 0, v73
	;; [unrolled: 1-line block ×10, first 2 shown]
	v_cmp_eq_u32_e32 vcc, 0, v61
	v_mbcnt_lo_u32_b32 v80, -1, 0
	v_lshrrev_b32_e32 v54, 6, v0
	v_or_b32_e32 v79, 63, v0
	s_cbranch_scc0 .LBB246_92
; %bb.62:
	v_cndmask_b32_e64 v2, 0, v52, s[26:27]
	v_add_u32_e32 v2, v2, v52
	v_cndmask_b32_e64 v2, 0, v2, s[24:25]
	v_add_u32_e32 v2, v2, v52
	;; [unrolled: 2-line block ×11, first 2 shown]
	v_cndmask_b32_e64 v2, 0, v2, s[4:5]
	v_add3_u32 v3, v81, v73, v72
	v_add_u32_e32 v2, v2, v52
	v_add3_u32 v3, v3, v71, v70
	v_cndmask_b32_e64 v2, 0, v2, s[2:3]
	v_add3_u32 v3, v3, v69, v68
	v_add_u32_e32 v2, v2, v52
	v_add3_u32 v3, v3, v67, v65
	v_cndmask_b32_e32 v2, 0, v2, vcc
	v_add3_u32 v3, v3, v62, v61
	v_add_u32_e32 v2, v2, v53
	v_mbcnt_hi_u32_b32 v15, -1, v80
	v_and_b32_e32 v4, 15, v15
	v_mov_b32_dpp v6, v2 row_shr:1 row_mask:0xf bank_mask:0xf
	v_cmp_eq_u32_e32 vcc, 0, v3
	v_mov_b32_dpp v5, v3 row_shr:1 row_mask:0xf bank_mask:0xf
	v_cndmask_b32_e32 v6, 0, v6, vcc
	v_cmp_eq_u32_e32 vcc, 0, v4
	v_cndmask_b32_e64 v5, v5, 0, vcc
	v_add_u32_e32 v3, v5, v3
	v_cndmask_b32_e64 v5, v6, 0, vcc
	v_add_u32_e32 v2, v5, v2
	v_cmp_eq_u32_e32 vcc, 0, v3
	v_mov_b32_dpp v5, v3 row_shr:2 row_mask:0xf bank_mask:0xf
	v_cmp_lt_u32_e64 s[28:29], 1, v4
	v_mov_b32_dpp v6, v2 row_shr:2 row_mask:0xf bank_mask:0xf
	v_cndmask_b32_e64 v5, 0, v5, s[28:29]
	s_and_b64 vcc, s[28:29], vcc
	v_cndmask_b32_e32 v6, 0, v6, vcc
	v_add_u32_e32 v3, v3, v5
	v_add_u32_e32 v2, v6, v2
	v_cmp_eq_u32_e32 vcc, 0, v3
	v_mov_b32_dpp v5, v3 row_shr:4 row_mask:0xf bank_mask:0xf
	v_cmp_lt_u32_e64 s[28:29], 3, v4
	v_mov_b32_dpp v6, v2 row_shr:4 row_mask:0xf bank_mask:0xf
	v_cndmask_b32_e64 v5, 0, v5, s[28:29]
	s_and_b64 vcc, s[28:29], vcc
	v_cndmask_b32_e32 v6, 0, v6, vcc
	v_add_u32_e32 v3, v5, v3
	v_add_u32_e32 v2, v2, v6
	v_cmp_eq_u32_e32 vcc, 0, v3
	v_cmp_lt_u32_e64 s[28:29], 7, v4
	v_mov_b32_dpp v5, v3 row_shr:8 row_mask:0xf bank_mask:0xf
	v_mov_b32_dpp v6, v2 row_shr:8 row_mask:0xf bank_mask:0xf
	s_and_b64 vcc, s[28:29], vcc
	v_cndmask_b32_e64 v4, 0, v5, s[28:29]
	v_cndmask_b32_e32 v5, 0, v6, vcc
	v_add_u32_e32 v2, v5, v2
	v_add_u32_e32 v3, v4, v3
	v_bfe_i32 v6, v15, 4, 1
	v_mov_b32_dpp v5, v2 row_bcast:15 row_mask:0xf bank_mask:0xf
	v_mov_b32_dpp v4, v3 row_bcast:15 row_mask:0xf bank_mask:0xf
	v_cmp_eq_u32_e32 vcc, 0, v3
	v_cndmask_b32_e32 v5, 0, v5, vcc
	v_and_b32_e32 v4, v6, v4
	v_add_u32_e32 v3, v4, v3
	v_and_b32_e32 v4, v6, v5
	v_add_u32_e32 v4, v4, v2
	v_mov_b32_dpp v2, v3 row_bcast:31 row_mask:0xf bank_mask:0xf
	v_cmp_eq_u32_e32 vcc, 0, v3
	v_cmp_lt_u32_e64 s[28:29], 31, v15
	v_mov_b32_dpp v5, v4 row_bcast:31 row_mask:0xf bank_mask:0xf
	v_cndmask_b32_e64 v2, 0, v2, s[28:29]
	s_and_b64 vcc, s[28:29], vcc
	v_add_u32_e32 v2, v2, v3
	v_cndmask_b32_e32 v3, 0, v5, vcc
	v_add_u32_e32 v3, v3, v4
	v_cmp_eq_u32_e32 vcc, v79, v0
	v_lshlrev_b32_e32 v4, 3, v54
	s_and_saveexec_b64 s[28:29], vcc
	s_cbranch_execz .LBB246_64
; %bb.63:
	ds_write_b64 v4, v[2:3] offset:528
.LBB246_64:
	s_or_b64 exec, exec, s[28:29]
	v_cmp_gt_u32_e32 vcc, 4, v0
	s_waitcnt lgkmcnt(0)
	s_barrier
	s_and_saveexec_b64 s[30:31], vcc
	s_cbranch_execz .LBB246_66
; %bb.65:
	v_lshlrev_b32_e32 v5, 3, v0
	ds_read_b64 v[6:7], v5 offset:528
	v_and_b32_e32 v12, 3, v15
	v_cmp_lt_u32_e64 s[28:29], 1, v12
	s_waitcnt lgkmcnt(0)
	v_mov_b32_dpp v14, v7 row_shr:1 row_mask:0xf bank_mask:0xf
	v_cmp_eq_u32_e32 vcc, 0, v6
	v_mov_b32_dpp v13, v6 row_shr:1 row_mask:0xf bank_mask:0xf
	v_cndmask_b32_e32 v14, 0, v14, vcc
	v_cmp_eq_u32_e32 vcc, 0, v12
	v_cndmask_b32_e64 v13, v13, 0, vcc
	v_add_u32_e32 v6, v13, v6
	v_cndmask_b32_e64 v13, v14, 0, vcc
	v_add_u32_e32 v7, v13, v7
	v_cmp_eq_u32_e32 vcc, 0, v6
	v_mov_b32_dpp v13, v6 row_shr:2 row_mask:0xf bank_mask:0xf
	v_mov_b32_dpp v14, v7 row_shr:2 row_mask:0xf bank_mask:0xf
	v_cndmask_b32_e64 v12, 0, v13, s[28:29]
	s_and_b64 vcc, s[28:29], vcc
	v_add_u32_e32 v6, v12, v6
	v_cndmask_b32_e32 v12, 0, v14, vcc
	v_add_u32_e32 v7, v12, v7
	ds_write_b64 v5, v[6:7] offset:528
.LBB246_66:
	s_or_b64 exec, exec, s[30:31]
	v_cmp_gt_u32_e32 vcc, 64, v0
	v_cmp_lt_u32_e64 s[28:29], 63, v0
	v_mov_b32_e32 v12, 0
	v_mov_b32_e32 v13, 0
	s_waitcnt lgkmcnt(0)
	s_barrier
	s_and_saveexec_b64 s[30:31], s[28:29]
	s_cbranch_execz .LBB246_68
; %bb.67:
	ds_read_b64 v[12:13], v4 offset:520
	v_cmp_eq_u32_e64 s[28:29], 0, v2
	s_waitcnt lgkmcnt(0)
	v_add_u32_e32 v4, v12, v2
	v_cndmask_b32_e64 v2, 0, v13, s[28:29]
	v_add_u32_e32 v3, v2, v3
	v_mov_b32_e32 v2, v4
.LBB246_68:
	s_or_b64 exec, exec, s[30:31]
	v_add_u32_e32 v4, -1, v15
	v_and_b32_e32 v5, 64, v15
	v_cmp_lt_i32_e64 s[28:29], v4, v5
	v_cndmask_b32_e64 v4, v4, v15, s[28:29]
	v_lshlrev_b32_e32 v4, 2, v4
	ds_bpermute_b32 v20, v4, v2
	ds_bpermute_b32 v22, v4, v3
	v_cmp_eq_u32_e64 s[28:29], 0, v15
	s_and_saveexec_b64 s[48:49], vcc
	s_cbranch_execz .LBB246_91
; %bb.69:
	v_mov_b32_e32 v7, 0
	ds_read_b64 v[2:3], v7 offset:552
	s_waitcnt lgkmcnt(0)
	v_readfirstlane_b32 s56, v2
	v_readfirstlane_b32 s57, v3
	s_and_saveexec_b64 s[30:31], s[28:29]
	s_cbranch_execz .LBB246_71
; %bb.70:
	s_add_i32 s54, s60, 64
	s_mov_b32 s55, 0
	s_lshl_b64 s[58:59], s[54:55], 4
	s_add_u32 s58, s36, s58
	s_addc_u32 s59, s37, s59
	s_and_b32 s63, s57, 0xff000000
	s_mov_b32 s62, s55
	s_and_b32 s65, s57, 0xff0000
	s_mov_b32 s64, s55
	s_or_b64 s[62:63], s[64:65], s[62:63]
	s_and_b32 s65, s57, 0xff00
	s_or_b64 s[62:63], s[62:63], s[64:65]
	s_and_b32 s65, s57, 0xff
	s_or_b64 s[54:55], s[62:63], s[64:65]
	v_mov_b32_e32 v4, s56
	v_mov_b32_e32 v5, s55
	v_mov_b32_e32 v6, 1
	v_pk_mov_b32 v[2:3], s[58:59], s[58:59] op_sel:[0,1]
	;;#ASMSTART
	global_store_dwordx4 v[2:3], v[4:7] off	
s_waitcnt vmcnt(0)
	;;#ASMEND
.LBB246_71:
	s_or_b64 exec, exec, s[30:31]
	v_xad_u32 v14, v15, -1, s60
	v_add_u32_e32 v6, 64, v14
	v_lshlrev_b64 v[2:3], 4, v[6:7]
	v_mov_b32_e32 v4, s37
	v_add_co_u32_e32 v16, vcc, s36, v2
	v_addc_co_u32_e32 v17, vcc, v4, v3, vcc
	;;#ASMSTART
	global_load_dwordx4 v[2:5], v[16:17] off glc	
s_waitcnt vmcnt(0)
	;;#ASMEND
	v_and_b32_e32 v5, 0xff, v3
	v_and_b32_e32 v6, 0xff00, v3
	v_or3_b32 v5, 0, v5, v6
	v_or3_b32 v2, v2, 0, 0
	v_and_b32_e32 v6, 0xff000000, v3
	v_and_b32_e32 v3, 0xff0000, v3
	v_or3_b32 v3, v5, v3, v6
	v_or3_b32 v2, v2, 0, 0
	v_cmp_eq_u16_sdwa s[54:55], v4, v7 src0_sel:BYTE_0 src1_sel:DWORD
	s_and_saveexec_b64 s[30:31], s[54:55]
	s_cbranch_execz .LBB246_77
; %bb.72:
	s_mov_b32 s58, 1
	s_mov_b64 s[54:55], 0
	v_mov_b32_e32 v6, 0
.LBB246_73:                             ; =>This Loop Header: Depth=1
                                        ;     Child Loop BB246_74 Depth 2
	s_max_u32 s59, s58, 1
.LBB246_74:                             ;   Parent Loop BB246_73 Depth=1
                                        ; =>  This Inner Loop Header: Depth=2
	s_add_i32 s59, s59, -1
	s_cmp_eq_u32 s59, 0
	s_sleep 1
	s_cbranch_scc0 .LBB246_74
; %bb.75:                               ;   in Loop: Header=BB246_73 Depth=1
	s_cmp_lt_u32 s58, 32
	s_cselect_b64 s[62:63], -1, 0
	s_cmp_lg_u64 s[62:63], 0
	s_addc_u32 s58, s58, 0
	;;#ASMSTART
	global_load_dwordx4 v[2:5], v[16:17] off glc	
s_waitcnt vmcnt(0)
	;;#ASMEND
	v_cmp_ne_u16_sdwa s[62:63], v4, v6 src0_sel:BYTE_0 src1_sel:DWORD
	s_or_b64 s[54:55], s[62:63], s[54:55]
	s_andn2_b64 exec, exec, s[54:55]
	s_cbranch_execnz .LBB246_73
; %bb.76:
	s_or_b64 exec, exec, s[54:55]
.LBB246_77:
	s_or_b64 exec, exec, s[30:31]
	v_mov_b32_e32 v23, 2
	v_cmp_eq_u16_sdwa s[30:31], v4, v23 src0_sel:BYTE_0 src1_sel:DWORD
	v_lshlrev_b64 v[16:17], v15, -1
	v_and_b32_e32 v5, s31, v17
	v_and_b32_e32 v24, 63, v15
	v_or_b32_e32 v5, 0x80000000, v5
	v_cmp_ne_u32_e32 vcc, 63, v24
	v_and_b32_e32 v6, s30, v16
	v_ffbl_b32_e32 v5, v5
	v_addc_co_u32_e32 v7, vcc, 0, v15, vcc
	v_add_u32_e32 v5, 32, v5
	v_ffbl_b32_e32 v6, v6
	v_lshlrev_b32_e32 v25, 2, v7
	v_min_u32_e32 v5, v6, v5
	ds_bpermute_b32 v6, v25, v3
	v_cmp_eq_u32_e32 vcc, 0, v2
	v_cmp_lt_u32_e64 s[30:31], v24, v5
	ds_bpermute_b32 v7, v25, v2
	s_and_b64 vcc, s[30:31], vcc
	s_waitcnt lgkmcnt(1)
	v_cndmask_b32_e32 v6, 0, v6, vcc
	v_cmp_gt_u32_e32 vcc, 62, v24
	v_add_u32_e32 v3, v6, v3
	v_cndmask_b32_e64 v6, 0, 1, vcc
	v_lshlrev_b32_e32 v6, 1, v6
	v_add_lshl_u32 v26, v6, v15, 2
	s_waitcnt lgkmcnt(0)
	v_cndmask_b32_e64 v7, 0, v7, s[30:31]
	ds_bpermute_b32 v6, v26, v3
	v_add_u32_e32 v2, v7, v2
	ds_bpermute_b32 v7, v26, v2
	v_add_u32_e32 v27, 2, v24
	v_cmp_eq_u32_e32 vcc, 0, v2
	s_waitcnt lgkmcnt(1)
	v_cndmask_b32_e32 v6, 0, v6, vcc
	v_cmp_gt_u32_e32 vcc, v27, v5
	v_cndmask_b32_e64 v6, v6, 0, vcc
	v_add_u32_e32 v3, v6, v3
	s_waitcnt lgkmcnt(0)
	v_cndmask_b32_e64 v6, v7, 0, vcc
	v_cmp_gt_u32_e32 vcc, 60, v24
	v_cndmask_b32_e64 v7, 0, 1, vcc
	v_lshlrev_b32_e32 v7, 2, v7
	v_add_lshl_u32 v28, v7, v15, 2
	ds_bpermute_b32 v7, v28, v3
	v_add_u32_e32 v2, v2, v6
	ds_bpermute_b32 v6, v28, v2
	v_add_u32_e32 v29, 4, v24
	v_cmp_eq_u32_e32 vcc, 0, v2
	s_waitcnt lgkmcnt(1)
	v_cndmask_b32_e32 v7, 0, v7, vcc
	v_cmp_gt_u32_e32 vcc, v29, v5
	v_cndmask_b32_e64 v7, v7, 0, vcc
	s_waitcnt lgkmcnt(0)
	v_cndmask_b32_e64 v6, v6, 0, vcc
	v_cmp_gt_u32_e32 vcc, 56, v24
	v_add_u32_e32 v3, v3, v7
	v_cndmask_b32_e64 v7, 0, 1, vcc
	v_lshlrev_b32_e32 v7, 3, v7
	v_add_lshl_u32 v30, v7, v15, 2
	ds_bpermute_b32 v7, v30, v3
	v_add_u32_e32 v2, v2, v6
	ds_bpermute_b32 v6, v30, v2
	v_add_u32_e32 v31, 8, v24
	v_cmp_eq_u32_e32 vcc, 0, v2
	s_waitcnt lgkmcnt(1)
	v_cndmask_b32_e32 v7, 0, v7, vcc
	v_cmp_gt_u32_e32 vcc, v31, v5
	v_cndmask_b32_e64 v7, v7, 0, vcc
	s_waitcnt lgkmcnt(0)
	v_cndmask_b32_e64 v6, v6, 0, vcc
	v_cmp_gt_u32_e32 vcc, 48, v24
	v_add_u32_e32 v3, v3, v7
	;; [unrolled: 16-line block ×3, first 2 shown]
	v_cndmask_b32_e64 v7, 0, 1, vcc
	v_lshlrev_b32_e32 v7, 5, v7
	v_add_lshl_u32 v34, v7, v15, 2
	ds_bpermute_b32 v7, v34, v3
	v_add_u32_e32 v2, v2, v6
	ds_bpermute_b32 v6, v34, v2
	v_add_u32_e32 v35, 32, v24
	v_cmp_eq_u32_e32 vcc, 0, v2
	s_waitcnt lgkmcnt(1)
	v_cndmask_b32_e32 v7, 0, v7, vcc
	v_cmp_gt_u32_e32 vcc, v35, v5
	v_cndmask_b32_e64 v5, v7, 0, vcc
	v_add_u32_e32 v3, v5, v3
	s_waitcnt lgkmcnt(0)
	v_cndmask_b32_e64 v5, v6, 0, vcc
	v_add_u32_e32 v2, v5, v2
	v_mov_b32_e32 v15, 0
	s_branch .LBB246_79
.LBB246_78:                             ;   in Loop: Header=BB246_79 Depth=1
	s_or_b64 exec, exec, s[30:31]
	v_cmp_eq_u16_sdwa s[30:31], v4, v23 src0_sel:BYTE_0 src1_sel:DWORD
	v_and_b32_e32 v5, s31, v17
	v_or_b32_e32 v5, 0x80000000, v5
	v_and_b32_e32 v18, s30, v16
	v_ffbl_b32_e32 v5, v5
	v_add_u32_e32 v5, 32, v5
	v_ffbl_b32_e32 v18, v18
	v_min_u32_e32 v5, v18, v5
	ds_bpermute_b32 v18, v25, v3
	v_cmp_eq_u32_e32 vcc, 0, v2
	v_cmp_lt_u32_e64 s[30:31], v24, v5
	ds_bpermute_b32 v19, v25, v2
	s_and_b64 vcc, s[30:31], vcc
	s_waitcnt lgkmcnt(1)
	v_cndmask_b32_e32 v18, 0, v18, vcc
	v_add_u32_e32 v3, v18, v3
	ds_bpermute_b32 v18, v26, v3
	s_waitcnt lgkmcnt(1)
	v_cndmask_b32_e64 v19, 0, v19, s[30:31]
	v_add_u32_e32 v2, v19, v2
	v_cmp_eq_u32_e32 vcc, 0, v2
	ds_bpermute_b32 v19, v26, v2
	s_waitcnt lgkmcnt(1)
	v_cndmask_b32_e32 v18, 0, v18, vcc
	v_cmp_gt_u32_e32 vcc, v27, v5
	v_cndmask_b32_e64 v18, v18, 0, vcc
	v_add_u32_e32 v3, v18, v3
	ds_bpermute_b32 v18, v28, v3
	s_waitcnt lgkmcnt(1)
	v_cndmask_b32_e64 v19, v19, 0, vcc
	v_add_u32_e32 v2, v2, v19
	v_cmp_eq_u32_e32 vcc, 0, v2
	ds_bpermute_b32 v19, v28, v2
	s_waitcnt lgkmcnt(1)
	v_cndmask_b32_e32 v18, 0, v18, vcc
	v_cmp_gt_u32_e32 vcc, v29, v5
	v_cndmask_b32_e64 v18, v18, 0, vcc
	v_add_u32_e32 v3, v3, v18
	ds_bpermute_b32 v18, v30, v3
	s_waitcnt lgkmcnt(1)
	v_cndmask_b32_e64 v19, v19, 0, vcc
	v_add_u32_e32 v2, v2, v19
	ds_bpermute_b32 v19, v30, v2
	v_cmp_eq_u32_e32 vcc, 0, v2
	s_waitcnt lgkmcnt(1)
	v_cndmask_b32_e32 v18, 0, v18, vcc
	v_cmp_gt_u32_e32 vcc, v31, v5
	v_cndmask_b32_e64 v18, v18, 0, vcc
	v_add_u32_e32 v3, v3, v18
	ds_bpermute_b32 v18, v32, v3
	s_waitcnt lgkmcnt(1)
	v_cndmask_b32_e64 v19, v19, 0, vcc
	v_add_u32_e32 v2, v2, v19
	ds_bpermute_b32 v19, v32, v2
	v_cmp_eq_u32_e32 vcc, 0, v2
	;; [unrolled: 11-line block ×3, first 2 shown]
	s_waitcnt lgkmcnt(1)
	v_cndmask_b32_e32 v18, 0, v18, vcc
	v_cmp_gt_u32_e32 vcc, v35, v5
	v_cndmask_b32_e64 v5, v18, 0, vcc
	v_add_u32_e32 v3, v5, v3
	s_waitcnt lgkmcnt(0)
	v_cndmask_b32_e64 v5, v19, 0, vcc
	v_cmp_eq_u32_e32 vcc, 0, v6
	v_cndmask_b32_e32 v3, 0, v3, vcc
	v_subrev_u32_e32 v14, 64, v14
	v_add3_u32 v2, v2, v6, v5
	v_add_u32_e32 v3, v3, v7
.LBB246_79:                             ; =>This Loop Header: Depth=1
                                        ;     Child Loop BB246_82 Depth 2
                                        ;       Child Loop BB246_83 Depth 3
	v_cmp_ne_u16_sdwa s[30:31], v4, v23 src0_sel:BYTE_0 src1_sel:DWORD
	v_mov_b32_e32 v7, v3
	v_cndmask_b32_e64 v3, 0, 1, s[30:31]
	;;#ASMSTART
	;;#ASMEND
	v_cmp_ne_u32_e32 vcc, 0, v3
	s_cmp_lg_u64 vcc, exec
	v_mov_b32_e32 v6, v2
	s_cbranch_scc1 .LBB246_86
; %bb.80:                               ;   in Loop: Header=BB246_79 Depth=1
	v_lshlrev_b64 v[2:3], 4, v[14:15]
	v_mov_b32_e32 v4, s37
	v_add_co_u32_e32 v18, vcc, s36, v2
	v_addc_co_u32_e32 v19, vcc, v4, v3, vcc
	;;#ASMSTART
	global_load_dwordx4 v[2:5], v[18:19] off glc	
s_waitcnt vmcnt(0)
	;;#ASMEND
	v_and_b32_e32 v5, 0xff, v3
	v_and_b32_e32 v36, 0xff00, v3
	v_or3_b32 v5, 0, v5, v36
	v_or3_b32 v2, v2, 0, 0
	v_and_b32_e32 v36, 0xff000000, v3
	v_and_b32_e32 v3, 0xff0000, v3
	v_or3_b32 v3, v5, v3, v36
	v_or3_b32 v2, v2, 0, 0
	v_cmp_eq_u16_sdwa s[54:55], v4, v15 src0_sel:BYTE_0 src1_sel:DWORD
	s_and_saveexec_b64 s[30:31], s[54:55]
	s_cbranch_execz .LBB246_78
; %bb.81:                               ;   in Loop: Header=BB246_79 Depth=1
	s_mov_b32 s58, 1
	s_mov_b64 s[54:55], 0
.LBB246_82:                             ;   Parent Loop BB246_79 Depth=1
                                        ; =>  This Loop Header: Depth=2
                                        ;       Child Loop BB246_83 Depth 3
	s_max_u32 s59, s58, 1
.LBB246_83:                             ;   Parent Loop BB246_79 Depth=1
                                        ;     Parent Loop BB246_82 Depth=2
                                        ; =>    This Inner Loop Header: Depth=3
	s_add_i32 s59, s59, -1
	s_cmp_eq_u32 s59, 0
	s_sleep 1
	s_cbranch_scc0 .LBB246_83
; %bb.84:                               ;   in Loop: Header=BB246_82 Depth=2
	s_cmp_lt_u32 s58, 32
	s_cselect_b64 s[62:63], -1, 0
	s_cmp_lg_u64 s[62:63], 0
	s_addc_u32 s58, s58, 0
	;;#ASMSTART
	global_load_dwordx4 v[2:5], v[18:19] off glc	
s_waitcnt vmcnt(0)
	;;#ASMEND
	v_cmp_ne_u16_sdwa s[62:63], v4, v15 src0_sel:BYTE_0 src1_sel:DWORD
	s_or_b64 s[54:55], s[62:63], s[54:55]
	s_andn2_b64 exec, exec, s[54:55]
	s_cbranch_execnz .LBB246_82
; %bb.85:                               ;   in Loop: Header=BB246_79 Depth=1
	s_or_b64 exec, exec, s[54:55]
	s_branch .LBB246_78
.LBB246_86:                             ;   in Loop: Header=BB246_79 Depth=1
                                        ; implicit-def: $vgpr3
                                        ; implicit-def: $vgpr2
                                        ; implicit-def: $vgpr4
	s_cbranch_execz .LBB246_79
; %bb.87:
	s_and_saveexec_b64 s[30:31], s[28:29]
	s_cbranch_execz .LBB246_89
; %bb.88:
	s_cmp_eq_u32 s56, 0
	s_cselect_b64 vcc, -1, 0
	s_mov_b32 s55, 0
	v_cndmask_b32_e32 v2, 0, v7, vcc
	s_add_i32 s54, s60, 64
	v_add_u32_e32 v2, s57, v2
	s_lshl_b64 s[54:55], s[54:55], 4
	s_add_u32 s54, s36, s54
	v_and_b32_e32 v3, 0xff000000, v2
	v_and_b32_e32 v4, 0xff0000, v2
	s_addc_u32 s55, s37, s55
	v_or_b32_e32 v3, v4, v3
	v_and_b32_e32 v4, 0xff00, v2
	v_and_b32_e32 v2, 0xff, v2
	v_add_u32_e32 v14, s56, v6
	v_mov_b32_e32 v17, 0
	v_or3_b32 v15, v3, v4, v2
	v_mov_b32_e32 v16, 2
	v_pk_mov_b32 v[2:3], s[54:55], s[54:55] op_sel:[0,1]
	;;#ASMSTART
	global_store_dwordx4 v[2:3], v[14:17] off	
s_waitcnt vmcnt(0)
	;;#ASMEND
	v_mov_b32_e32 v4, s56
	v_mov_b32_e32 v5, s57
	ds_write_b128 v17, v[4:7] offset:512
.LBB246_89:
	s_or_b64 exec, exec, s[30:31]
	s_and_b64 exec, exec, s[0:1]
	s_cbranch_execz .LBB246_91
; %bb.90:
	v_mov_b32_e32 v2, 0
	ds_write_b64 v2, v[6:7] offset:552
.LBB246_91:
	s_or_b64 exec, exec, s[48:49]
	v_mov_b32_e32 v4, 0
	s_waitcnt lgkmcnt(0)
	s_barrier
	ds_read_b64 v[2:3], v4 offset:552
	v_cndmask_b32_e64 v6, v20, v12, s[28:29]
	v_cmp_eq_u32_e32 vcc, 0, v6
	v_cndmask_b32_e64 v5, v22, v13, s[28:29]
	s_waitcnt lgkmcnt(0)
	v_cndmask_b32_e32 v7, 0, v3, vcc
	v_add_u32_e32 v5, v7, v5
	v_cndmask_b32_e64 v51, v5, v3, s[0:1]
	v_cndmask_b32_e64 v3, v6, 0, s[0:1]
	v_cmp_eq_u32_e32 vcc, 0, v78
	v_add_u32_e32 v50, v2, v3
	v_cndmask_b32_e32 v2, 0, v51, vcc
	v_add_u32_e32 v49, v2, v52
	v_cndmask_b32_e64 v2, 0, v49, s[26:27]
	v_add_u32_e32 v47, v2, v52
	v_cndmask_b32_e64 v2, 0, v47, s[24:25]
	;; [unrolled: 2-line block ×7, first 2 shown]
	v_add_u32_e32 v48, v50, v78
	v_add_u32_e32 v35, v2, v52
	v_add_u32_e32 v46, v48, v77
	v_cndmask_b32_e64 v2, 0, v35, s[12:13]
	v_add_u32_e32 v44, v46, v76
	v_add_u32_e32 v33, v2, v52
	v_add_u32_e32 v42, v44, v75
	v_cndmask_b32_e64 v2, 0, v33, s[10:11]
	;; [unrolled: 4-line block ×3, first 2 shown]
	v_add_u32_e32 v36, v38, v72
	v_add_u32_e32 v29, v2, v52
	s_barrier
	ds_read_b128 v[16:19], v4 offset:512
	v_add_u32_e32 v34, v36, v71
	v_cndmask_b32_e64 v2, 0, v29, s[6:7]
	v_add_u32_e32 v32, v34, v70
	v_add_u32_e32 v27, v2, v52
	v_add_u32_e32 v30, v32, v69
	v_cndmask_b32_e64 v2, 0, v27, s[4:5]
	v_add_u32_e32 v28, v30, v68
	v_add_u32_e32 v23, v2, v52
	;; [unrolled: 1-line block ×3, first 2 shown]
	v_cndmask_b32_e64 v2, 0, v23, s[2:3]
	s_waitcnt lgkmcnt(0)
	v_cmp_eq_u32_e32 vcc, 0, v16
	v_add_u32_e32 v22, v26, v65
	v_add_u32_e32 v25, v2, v52
	v_cndmask_b32_e32 v2, 0, v19, vcc
	v_add_u32_e32 v24, v22, v62
	v_add_u32_e32 v20, v2, v17
	s_branch .LBB246_104
.LBB246_92:
                                        ; implicit-def: $vgpr16
                                        ; implicit-def: $vgpr20
                                        ; implicit-def: $vgpr24_vgpr25
                                        ; implicit-def: $vgpr22_vgpr23
                                        ; implicit-def: $vgpr26_vgpr27
                                        ; implicit-def: $vgpr28_vgpr29
                                        ; implicit-def: $vgpr50_vgpr51
                                        ; implicit-def: $vgpr48_vgpr49
                                        ; implicit-def: $vgpr46_vgpr47
                                        ; implicit-def: $vgpr44_vgpr45
                                        ; implicit-def: $vgpr42_vgpr43
                                        ; implicit-def: $vgpr40_vgpr41
                                        ; implicit-def: $vgpr38_vgpr39
                                        ; implicit-def: $vgpr36_vgpr37
                                        ; implicit-def: $vgpr34_vgpr35
                                        ; implicit-def: $vgpr32_vgpr33
                                        ; implicit-def: $vgpr30_vgpr31
	s_cbranch_execz .LBB246_104
; %bb.93:
	s_and_b64 s[2:3], s[38:39], exec
	s_cselect_b32 s3, 0, s35
	s_cselect_b32 s2, 0, s34
	s_cmp_eq_u64 s[2:3], 0
	v_mov_b32_e32 v6, v52
	s_cbranch_scc1 .LBB246_95
; %bb.94:
	v_mov_b32_e32 v2, 0
	global_load_dword v6, v2, s[2:3]
.LBB246_95:
	v_cmp_eq_u32_e64 s[2:3], 0, v77
	v_cndmask_b32_e64 v2, 0, v52, s[2:3]
	v_add_u32_e32 v2, v2, v52
	v_cmp_eq_u32_e64 s[4:5], 0, v76
	v_cndmask_b32_e64 v2, 0, v2, s[4:5]
	v_add_u32_e32 v2, v2, v52
	;; [unrolled: 3-line block ×11, first 2 shown]
	v_cmp_eq_u32_e64 s[24:25], 0, v65
	v_cndmask_b32_e64 v2, 0, v2, s[24:25]
	v_add3_u32 v3, v81, v73, v72
	v_add_u32_e32 v2, v2, v52
	v_cmp_eq_u32_e32 vcc, 0, v62
	v_add3_u32 v3, v3, v71, v70
	v_cndmask_b32_e32 v2, 0, v2, vcc
	v_add3_u32 v3, v3, v69, v68
	v_add_u32_e32 v2, v2, v52
	v_cmp_eq_u32_e64 s[26:27], 0, v61
	v_add3_u32 v3, v3, v67, v65
	v_cndmask_b32_e64 v2, 0, v2, s[26:27]
	v_add3_u32 v3, v3, v62, v61
	v_add_u32_e32 v2, v2, v53
	v_mbcnt_hi_u32_b32 v7, -1, v80
	v_and_b32_e32 v4, 15, v7
	v_mov_b32_dpp v12, v2 row_shr:1 row_mask:0xf bank_mask:0xf
	v_cmp_eq_u32_e64 s[26:27], 0, v3
	v_mov_b32_dpp v5, v3 row_shr:1 row_mask:0xf bank_mask:0xf
	v_cndmask_b32_e64 v12, 0, v12, s[26:27]
	v_cmp_eq_u32_e64 s[26:27], 0, v4
	v_cndmask_b32_e64 v5, v5, 0, s[26:27]
	v_add_u32_e32 v3, v5, v3
	v_cndmask_b32_e64 v5, v12, 0, s[26:27]
	v_add_u32_e32 v2, v5, v2
	v_cmp_eq_u32_e64 s[26:27], 0, v3
	v_mov_b32_dpp v5, v3 row_shr:2 row_mask:0xf bank_mask:0xf
	v_cmp_lt_u32_e64 s[28:29], 1, v4
	v_mov_b32_dpp v12, v2 row_shr:2 row_mask:0xf bank_mask:0xf
	v_cndmask_b32_e64 v5, 0, v5, s[28:29]
	s_and_b64 s[26:27], s[28:29], s[26:27]
	v_cndmask_b32_e64 v12, 0, v12, s[26:27]
	v_add_u32_e32 v3, v3, v5
	v_add_u32_e32 v2, v12, v2
	v_cmp_eq_u32_e64 s[26:27], 0, v3
	v_mov_b32_dpp v5, v3 row_shr:4 row_mask:0xf bank_mask:0xf
	v_cmp_lt_u32_e64 s[28:29], 3, v4
	v_mov_b32_dpp v12, v2 row_shr:4 row_mask:0xf bank_mask:0xf
	v_cndmask_b32_e64 v5, 0, v5, s[28:29]
	s_and_b64 s[26:27], s[28:29], s[26:27]
	v_cndmask_b32_e64 v12, 0, v12, s[26:27]
	v_add_u32_e32 v3, v5, v3
	v_add_u32_e32 v2, v2, v12
	v_cmp_eq_u32_e64 s[26:27], 0, v3
	v_cmp_lt_u32_e64 s[28:29], 7, v4
	v_mov_b32_dpp v5, v3 row_shr:8 row_mask:0xf bank_mask:0xf
	v_mov_b32_dpp v12, v2 row_shr:8 row_mask:0xf bank_mask:0xf
	s_and_b64 s[26:27], s[28:29], s[26:27]
	v_cndmask_b32_e64 v4, 0, v5, s[28:29]
	v_cndmask_b32_e64 v5, 0, v12, s[26:27]
	v_add_u32_e32 v2, v5, v2
	v_add_u32_e32 v3, v4, v3
	v_bfe_i32 v12, v7, 4, 1
	v_mov_b32_dpp v5, v2 row_bcast:15 row_mask:0xf bank_mask:0xf
	v_mov_b32_dpp v4, v3 row_bcast:15 row_mask:0xf bank_mask:0xf
	v_cmp_eq_u32_e64 s[26:27], 0, v3
	v_cndmask_b32_e64 v5, 0, v5, s[26:27]
	v_and_b32_e32 v4, v12, v4
	v_add_u32_e32 v3, v4, v3
	v_and_b32_e32 v4, v12, v5
	v_add_u32_e32 v4, v4, v2
	v_mov_b32_dpp v2, v3 row_bcast:31 row_mask:0xf bank_mask:0xf
	v_cmp_eq_u32_e64 s[26:27], 0, v3
	v_cmp_lt_u32_e64 s[28:29], 31, v7
	v_mov_b32_dpp v5, v4 row_bcast:31 row_mask:0xf bank_mask:0xf
	v_cndmask_b32_e64 v2, 0, v2, s[28:29]
	s_and_b64 s[26:27], s[28:29], s[26:27]
	v_add_u32_e32 v2, v2, v3
	v_cndmask_b32_e64 v3, 0, v5, s[26:27]
	v_add_u32_e32 v3, v3, v4
	v_cmp_eq_u32_e64 s[26:27], v79, v0
	s_and_saveexec_b64 s[28:29], s[26:27]
	s_cbranch_execz .LBB246_97
; %bb.96:
	v_lshlrev_b32_e32 v4, 3, v54
	ds_write_b64 v4, v[2:3] offset:528
.LBB246_97:
	s_or_b64 exec, exec, s[28:29]
	v_cmp_gt_u32_e64 s[26:27], 4, v0
	s_waitcnt lgkmcnt(0)
	s_barrier
	s_and_saveexec_b64 s[30:31], s[26:27]
	s_cbranch_execz .LBB246_99
; %bb.98:
	v_lshlrev_b32_e32 v12, 3, v0
	ds_read_b64 v[4:5], v12 offset:528
	v_and_b32_e32 v13, 3, v7
	v_cmp_lt_u32_e64 s[28:29], 1, v13
	s_waitcnt lgkmcnt(0)
	v_mov_b32_dpp v15, v5 row_shr:1 row_mask:0xf bank_mask:0xf
	v_cmp_eq_u32_e64 s[26:27], 0, v4
	v_mov_b32_dpp v14, v4 row_shr:1 row_mask:0xf bank_mask:0xf
	v_cndmask_b32_e64 v15, 0, v15, s[26:27]
	v_cmp_eq_u32_e64 s[26:27], 0, v13
	v_cndmask_b32_e64 v14, v14, 0, s[26:27]
	v_add_u32_e32 v4, v14, v4
	v_cndmask_b32_e64 v14, v15, 0, s[26:27]
	v_add_u32_e32 v5, v14, v5
	v_cmp_eq_u32_e64 s[26:27], 0, v4
	v_mov_b32_dpp v14, v4 row_shr:2 row_mask:0xf bank_mask:0xf
	v_mov_b32_dpp v15, v5 row_shr:2 row_mask:0xf bank_mask:0xf
	v_cndmask_b32_e64 v13, 0, v14, s[28:29]
	s_and_b64 s[26:27], s[28:29], s[26:27]
	v_add_u32_e32 v4, v13, v4
	v_cndmask_b32_e64 v13, 0, v15, s[26:27]
	v_add_u32_e32 v5, v13, v5
	ds_write_b64 v12, v[4:5] offset:528
.LBB246_99:
	s_or_b64 exec, exec, s[30:31]
	v_cmp_lt_u32_e64 s[26:27], 63, v0
	v_mov_b32_e32 v12, 0
	v_mov_b32_e32 v4, 0
	s_waitcnt vmcnt(0)
	v_mov_b32_e32 v5, v6
	s_waitcnt lgkmcnt(0)
	s_barrier
	s_and_saveexec_b64 s[28:29], s[26:27]
	s_cbranch_execz .LBB246_101
; %bb.100:
	v_lshlrev_b32_e32 v4, 3, v54
	ds_read_b64 v[4:5], v4 offset:520
	s_waitcnt lgkmcnt(0)
	v_cmp_eq_u32_e64 s[26:27], 0, v4
	v_cndmask_b32_e64 v13, 0, v6, s[26:27]
	v_add_u32_e32 v5, v13, v5
.LBB246_101:
	s_or_b64 exec, exec, s[28:29]
	v_cmp_eq_u32_e64 s[26:27], 0, v2
	v_add_u32_e32 v13, v4, v2
	v_cndmask_b32_e64 v2, 0, v5, s[26:27]
	v_add_u32_e32 v2, v2, v3
	v_add_u32_e32 v3, -1, v7
	v_and_b32_e32 v14, 64, v7
	v_cmp_lt_i32_e64 s[26:27], v3, v14
	v_cndmask_b32_e64 v3, v3, v7, s[26:27]
	v_lshlrev_b32_e32 v3, 2, v3
	ds_bpermute_b32 v2, v3, v2
	ds_bpermute_b32 v13, v3, v13
	v_cmp_eq_u32_e64 s[26:27], 0, v7
	ds_read_b64 v[16:17], v12 offset:552
	s_waitcnt lgkmcnt(2)
	v_cndmask_b32_e64 v2, v2, v5, s[26:27]
	s_waitcnt lgkmcnt(1)
	v_cndmask_b32_e64 v3, v13, v4, s[26:27]
	v_cndmask_b32_e64 v51, v2, v6, s[0:1]
	v_cmp_eq_u32_e64 s[26:27], 0, v78
	v_cndmask_b32_e64 v2, 0, v51, s[26:27]
	v_add_u32_e32 v49, v2, v52
	v_cndmask_b32_e64 v2, 0, v49, s[2:3]
	v_add_u32_e32 v47, v2, v52
	;; [unrolled: 2-line block ×7, first 2 shown]
	v_cndmask_b32_e64 v50, v3, 0, s[0:1]
	v_cndmask_b32_e64 v2, 0, v37, s[14:15]
	v_add_u32_e32 v48, v50, v78
	v_add_u32_e32 v35, v2, v52
	v_add_u32_e32 v46, v48, v77
	v_cndmask_b32_e64 v2, 0, v35, s[16:17]
	v_add_u32_e32 v44, v46, v76
	v_add_u32_e32 v33, v2, v52
	v_add_u32_e32 v42, v44, v75
	;; [unrolled: 4-line block ×6, first 2 shown]
	v_cndmask_b32_e32 v2, 0, v23, vcc
	s_waitcnt lgkmcnt(0)
	v_cmp_eq_u32_e32 vcc, 0, v16
	v_add_u32_e32 v22, v26, v65
	v_add_u32_e32 v25, v2, v52
	v_cndmask_b32_e32 v2, 0, v6, vcc
	v_add_u32_e32 v24, v22, v62
	v_add_u32_e32 v20, v2, v17
	s_and_saveexec_b64 s[2:3], s[0:1]
	s_cbranch_execz .LBB246_103
; %bb.102:
	s_add_u32 s4, s36, 0x400
	v_and_b32_e32 v2, 0xff000000, v20
	v_and_b32_e32 v3, 0xff0000, v20
	s_addc_u32 s5, s37, 0
	v_or_b32_e32 v2, v3, v2
	v_and_b32_e32 v3, 0xff00, v20
	v_and_b32_e32 v4, 0xff, v20
	v_mov_b32_e32 v19, 0
	v_or3_b32 v17, v2, v3, v4
	v_mov_b32_e32 v18, 2
	v_pk_mov_b32 v[2:3], s[4:5], s[4:5] op_sel:[0,1]
	;;#ASMSTART
	global_store_dwordx4 v[2:3], v[16:19] off	
s_waitcnt vmcnt(0)
	;;#ASMEND
.LBB246_103:
	s_or_b64 exec, exec, s[2:3]
	v_mov_b32_e32 v18, 0
.LBB246_104:
	s_and_b64 s[2:3], s[38:39], exec
	s_cselect_b32 s3, 0, s51
	s_cselect_b32 s2, 0, s50
	s_cmp_eq_u64 s[2:3], 0
	v_pk_mov_b32 v[52:53], 0, 0
	s_barrier
	s_cbranch_scc1 .LBB246_106
; %bb.105:
	v_mov_b32_e32 v2, 0
	global_load_dwordx2 v[52:53], v2, s[2:3]
.LBB246_106:
	v_mov_b32_e32 v2, s45
	s_waitcnt vmcnt(0)
	v_add_co_u32_e32 v3, vcc, s44, v52
	v_addc_co_u32_e32 v2, vcc, v2, v53, vcc
	v_add_co_u32_e32 v54, vcc, v3, v18
	v_addc_co_u32_e32 v17, vcc, 0, v2, vcc
	v_cmp_eq_u32_e32 vcc, 0, v78
	v_cndmask_b32_e64 v2, 1, 2, vcc
	v_cmp_eq_u32_e32 vcc, 0, v77
	v_cndmask_b32_e64 v3, 1, 2, vcc
	v_cmp_eq_u32_e32 vcc, 0, v76
	v_and_b32_e32 v2, v3, v2
	v_cndmask_b32_e64 v3, 1, 2, vcc
	v_cmp_eq_u32_e32 vcc, 0, v75
	v_and_b32_e32 v2, v2, v3
	;; [unrolled: 3-line block ×13, first 2 shown]
	v_cndmask_b32_e64 v3, 1, 2, vcc
	s_movk_i32 s34, 0x100
	v_and_b32_e32 v2, v2, v3
	v_cmp_gt_u32_e32 vcc, s34, v16
	v_mov_b32_e32 v19, 0
	v_cmp_ne_u32_e64 s[30:31], 0, v78
	v_cmp_ne_u32_e64 s[28:29], 0, v77
	;; [unrolled: 1-line block ×15, first 2 shown]
	s_mov_b64 s[36:37], -1
	v_cmp_gt_i16_e64 s[34:35], 2, v2
	s_cbranch_vccz .LBB246_113
; %bb.107:
	s_and_saveexec_b64 s[36:37], s[34:35]
	s_cbranch_execz .LBB246_112
; %bb.108:
	v_cmp_ne_u16_e32 vcc, 1, v2
	s_mov_b64 s[38:39], 0
	s_and_saveexec_b64 s[34:35], vcc
	s_xor_b64 s[34:35], exec, s[34:35]
	s_cbranch_execnz .LBB246_156
; %bb.109:
	s_andn2_saveexec_b64 s[34:35], s[34:35]
	s_cbranch_execnz .LBB246_172
.LBB246_110:
	s_or_b64 exec, exec, s[34:35]
	s_and_b64 exec, exec, s[38:39]
	s_cbranch_execz .LBB246_112
.LBB246_111:
	v_sub_u32_e32 v3, v24, v18
	v_readfirstlane_b32 s34, v54
	v_readfirstlane_b32 s35, v17
	s_nop 4
	global_store_byte v3, v1, s[34:35]
.LBB246_112:
	s_or_b64 exec, exec, s[36:37]
	s_mov_b64 s[36:37], 0
.LBB246_113:
	s_and_b64 vcc, exec, s[36:37]
	s_cbranch_vccz .LBB246_134
; %bb.114:
	v_cmp_gt_i16_e32 vcc, 2, v2
	s_and_saveexec_b64 s[34:35], vcc
	s_cbranch_execz .LBB246_119
; %bb.115:
	v_cmp_ne_u16_e32 vcc, 1, v2
	s_mov_b64 s[38:39], 0
	s_and_saveexec_b64 s[36:37], vcc
	s_xor_b64 s[36:37], exec, s[36:37]
	s_cbranch_execnz .LBB246_173
; %bb.116:
	s_andn2_saveexec_b64 s[2:3], s[36:37]
	s_cbranch_execnz .LBB246_189
.LBB246_117:
	s_or_b64 exec, exec, s[2:3]
	s_and_b64 exec, exec, s[38:39]
	s_cbranch_execz .LBB246_119
.LBB246_118:
	v_sub_u32_e32 v2, v24, v18
	ds_write_b8 v2, v1
.LBB246_119:
	s_or_b64 exec, exec, s[34:35]
	v_cmp_lt_u32_e32 vcc, v0, v16
	s_waitcnt lgkmcnt(0)
	s_barrier
	s_and_saveexec_b64 s[2:3], vcc
	s_cbranch_execz .LBB246_133
; %bb.120:
	v_xad_u32 v2, v0, -1, v16
	s_movk_i32 s4, 0x1700
	s_movk_i32 s6, 0x16ff
	v_cmp_gt_u32_e64 s[4:5], s4, v2
	v_cmp_lt_u32_e32 vcc, s6, v2
	v_mov_b32_e32 v1, v0
	s_and_saveexec_b64 s[6:7], vcc
	s_cbranch_execz .LBB246_130
; %bb.121:
	v_sub_u32_e32 v1, v0, v16
	v_or_b32_e32 v1, 0xff, v1
	v_cmp_ge_u32_e32 vcc, v1, v0
	s_mov_b64 s[10:11], -1
	v_mov_b32_e32 v1, v0
	s_and_saveexec_b64 s[8:9], vcc
	s_cbranch_execz .LBB246_129
; %bb.122:
	v_lshrrev_b32_e32 v21, 8, v2
	v_or_b32_e32 v7, 0x700, v0
	v_or_b32_e32 v6, 0x600, v0
	;; [unrolled: 1-line block ×7, first 2 shown]
	v_add_u32_e32 v55, -7, v21
	v_pk_mov_b32 v[14:15], v[6:7], v[6:7] op_sel:[0,1]
	v_cmp_lt_u32_e32 vcc, 7, v55
	v_mov_b32_e32 v58, 0
	v_pk_mov_b32 v[12:13], v[4:5], v[4:5] op_sel:[0,1]
	v_pk_mov_b32 v[10:11], v[2:3], v[2:3] op_sel:[0,1]
	;; [unrolled: 1-line block ×3, first 2 shown]
	s_and_saveexec_b64 s[10:11], vcc
	s_cbranch_execz .LBB246_126
; %bb.123:
	v_lshrrev_b32_e32 v8, 3, v55
	v_add_u32_e32 v8, 1, v8
	v_and_b32_e32 v56, 0x3ffffffe, v8
	v_pk_mov_b32 v[14:15], v[6:7], v[6:7] op_sel:[0,1]
	s_mov_b32 s14, 0
	s_mov_b64 s[12:13], 0
	v_mov_b32_e32 v57, v0
	v_pk_mov_b32 v[12:13], v[4:5], v[4:5] op_sel:[0,1]
	v_pk_mov_b32 v[10:11], v[2:3], v[2:3] op_sel:[0,1]
	;; [unrolled: 1-line block ×3, first 2 shown]
.LBB246_124:                            ; =>This Inner Loop Header: Depth=1
	v_add_co_u32_e32 v2, vcc, v54, v8
	v_addc_co_u32_e32 v3, vcc, 0, v17, vcc
	v_add_co_u32_e32 v4, vcc, v54, v9
	v_addc_co_u32_e32 v5, vcc, 0, v17, vcc
	;; [unrolled: 2-line block ×8, first 2 shown]
	v_add_u32_e32 v90, 0x800, v8
	v_add_co_u32_e32 v90, vcc, v54, v90
	v_add_u32_e32 v92, 0x800, v9
	v_addc_co_u32_e32 v91, vcc, 0, v17, vcc
	v_add_co_u32_e32 v92, vcc, v54, v92
	v_add_u32_e32 v94, 0x800, v10
	v_addc_co_u32_e32 v93, vcc, 0, v17, vcc
	;; [unrolled: 3-line block ×6, first 2 shown]
	v_add_co_u32_e32 v102, vcc, v54, v102
	ds_read_u8 v1, v57
	ds_read_u8 v59, v57 offset:256
	ds_read_u8 v60, v57 offset:512
	ds_read_u8 v63, v57 offset:768
	ds_read_u8 v64, v57 offset:1024
	ds_read_u8 v66, v57 offset:1280
	ds_read_u8 v79, v57 offset:1536
	ds_read_u8 v106, v57 offset:1792
	v_add_u32_e32 v58, 0x800, v15
	ds_read_u8 v107, v57 offset:2048
	ds_read_u8 v108, v57 offset:2304
	;; [unrolled: 1-line block ×8, first 2 shown]
	v_addc_co_u32_e32 v103, vcc, 0, v17, vcc
	v_add_co_u32_e32 v104, vcc, v54, v58
	v_add_u32_e32 v56, -2, v56
	v_addc_co_u32_e32 v105, vcc, 0, v17, vcc
	s_add_i32 s14, s14, 16
	v_cmp_eq_u32_e32 vcc, 0, v56
	v_add_u32_e32 v15, 0x1000, v15
	v_add_u32_e32 v14, 0x1000, v14
	;; [unrolled: 1-line block ×9, first 2 shown]
	v_mov_b32_e32 v58, s14
	s_or_b64 s[12:13], vcc, s[12:13]
	s_waitcnt lgkmcnt(14)
	global_store_byte v[2:3], v1, off
	global_store_byte v[4:5], v59, off
	s_waitcnt lgkmcnt(13)
	global_store_byte v[6:7], v60, off
	s_waitcnt lgkmcnt(12)
	;; [unrolled: 2-line block ×14, first 2 shown]
	global_store_byte v[104:105], v114, off
	s_andn2_b64 exec, exec, s[12:13]
	s_cbranch_execnz .LBB246_124
; %bb.125:
	s_or_b64 exec, exec, s[12:13]
.LBB246_126:
	s_or_b64 exec, exec, s[10:11]
	v_and_b32_e32 v1, 8, v55
	v_cmp_eq_u32_e32 vcc, 0, v1
	s_and_saveexec_b64 s[10:11], vcc
	s_cbranch_execz .LBB246_128
; %bb.127:
	v_add_co_u32_e32 v2, vcc, v54, v8
	v_addc_co_u32_e32 v3, vcc, 0, v17, vcc
	v_add_co_u32_e32 v4, vcc, v54, v9
	v_addc_co_u32_e32 v5, vcc, 0, v17, vcc
	;; [unrolled: 2-line block ×4, first 2 shown]
	v_add_co_u32_e32 v10, vcc, v54, v12
	v_lshl_or_b32 v1, v58, 8, v0
	v_addc_co_u32_e32 v11, vcc, 0, v17, vcc
	ds_read_u8 v55, v1
	ds_read_u8 v58, v1 offset:256
	ds_read_u8 v59, v1 offset:512
	;; [unrolled: 1-line block ×7, first 2 shown]
	v_add_co_u32_e32 v12, vcc, v54, v13
	v_addc_co_u32_e32 v13, vcc, 0, v17, vcc
	v_add_co_u32_e32 v56, vcc, v54, v14
	v_addc_co_u32_e32 v57, vcc, 0, v17, vcc
	;; [unrolled: 2-line block ×3, first 2 shown]
	s_waitcnt lgkmcnt(7)
	global_store_byte v[2:3], v55, off
	s_waitcnt lgkmcnt(6)
	global_store_byte v[4:5], v58, off
	;; [unrolled: 2-line block ×8, first 2 shown]
.LBB246_128:
	s_or_b64 exec, exec, s[10:11]
	v_add_u32_e32 v2, 1, v21
	v_and_b32_e32 v3, 0x1fffff8, v2
	v_cmp_ne_u32_e32 vcc, v2, v3
	v_lshl_or_b32 v1, v3, 8, v0
	s_orn2_b64 s[10:11], vcc, exec
.LBB246_129:
	s_or_b64 exec, exec, s[8:9]
	s_andn2_b64 s[4:5], s[4:5], exec
	s_and_b64 s[8:9], s[10:11], exec
	s_or_b64 s[4:5], s[4:5], s[8:9]
.LBB246_130:
	s_or_b64 exec, exec, s[6:7]
	s_and_b64 exec, exec, s[4:5]
	s_cbranch_execz .LBB246_133
; %bb.131:
	s_mov_b64 s[4:5], 0
.LBB246_132:                            ; =>This Inner Loop Header: Depth=1
	ds_read_u8 v2, v1
	v_readfirstlane_b32 s6, v54
	v_readfirstlane_b32 s7, v17
	s_waitcnt lgkmcnt(0)
	s_nop 3
	global_store_byte v1, v2, s[6:7]
	v_add_u32_e32 v1, 0x100, v1
	v_cmp_ge_u32_e32 vcc, v1, v16
	s_or_b64 s[4:5], vcc, s[4:5]
	s_andn2_b64 exec, exec, s[4:5]
	s_cbranch_execnz .LBB246_132
.LBB246_133:
	s_or_b64 exec, exec, s[2:3]
.LBB246_134:
	s_cmpk_lg_i32 s33, 0xf00
	s_cselect_b64 s[2:3], -1, 0
	v_cndmask_b32_e64 v8, 0, 1, s[42:43]
	s_and_b64 s[2:3], s[2:3], s[40:41]
	v_sub_u32_e32 v1, v16, v8
	v_cndmask_b32_e64 v2, 0, 1, s[2:3]
	s_and_b64 s[0:1], s[0:1], s[42:43]
	v_add_u32_e32 v1, v1, v2
	v_cndmask_b32_e64 v2, v78, 0, s[0:1]
	s_mul_hi_u32 s0, s33, 0x88888889
	s_lshr_b32 s0, s0, 3
	v_mad_i32_i24 v3, v0, -15, s33
	v_cmp_eq_u32_e32 vcc, s0, v0
	v_cmp_ne_u32_e64 s[0:1], 0, v3
	v_cndmask_b32_e64 v4, 1, v2, s[0:1]
	v_cmp_ne_u32_e64 s[0:1], 1, v3
	v_cndmask_b32_e64 v5, 1, v77, s[0:1]
	;; [unrolled: 2-line block ×15, first 2 shown]
	s_and_b64 vcc, vcc, s[40:41]
	v_cndmask_b32_e32 v55, v61, v3, vcc
	v_cndmask_b32_e32 v59, v2, v4, vcc
	v_lshlrev_b64 v[2:3], 3, v[52:53]
	v_cndmask_b32_e32 v54, v62, v54, vcc
	v_cndmask_b32_e32 v21, v65, v21, vcc
	;; [unrolled: 1-line block ×13, first 2 shown]
	v_mov_b32_e32 v4, s47
	v_add_co_u32_e32 v5, vcc, s46, v2
	v_addc_co_u32_e32 v6, vcc, v4, v3, vcc
	v_lshlrev_b64 v[2:3], 3, v[18:19]
	v_add_co_u32_e32 v4, vcc, v5, v2
	v_addc_co_u32_e32 v5, vcc, v6, v3, vcc
	v_lshlrev_b32_e32 v2, 3, v8
	v_add_co_u32_e32 v2, vcc, v2, v4
	v_addc_co_u32_e32 v3, vcc, 0, v5, vcc
	v_add_co_u32_e32 v6, vcc, -8, v2
	v_addc_co_u32_e32 v7, vcc, -1, v3, vcc
	v_cmp_eq_u32_e32 vcc, 0, v59
	v_cndmask_b32_e64 v3, 1, 2, vcc
	v_cmp_eq_u32_e32 vcc, 0, v58
	v_add_u32_e32 v2, v18, v8
	v_cndmask_b32_e64 v8, 1, 2, vcc
	v_cmp_eq_u32_e32 vcc, 0, v57
	v_and_b32_e32 v3, v8, v3
	v_cndmask_b32_e64 v8, 1, 2, vcc
	v_cmp_eq_u32_e32 vcc, 0, v56
	v_and_b32_e32 v3, v3, v8
	;; [unrolled: 3-line block ×13, first 2 shown]
	v_cndmask_b32_e64 v8, 1, 2, vcc
	s_movk_i32 s30, 0x100
	v_and_b32_e32 v3, v3, v8
	v_cmp_gt_u32_e32 vcc, s30, v1
	v_cmp_ne_u32_e64 s[28:29], 0, v59
	v_cmp_ne_u32_e64 s[26:27], 0, v58
	;; [unrolled: 1-line block ×15, first 2 shown]
	s_mov_b64 s[34:35], -1
	v_cmp_gt_i16_e64 s[30:31], 2, v3
	s_barrier
	s_cbranch_vccz .LBB246_141
; %bb.135:
	s_and_saveexec_b64 s[34:35], s[30:31]
	s_cbranch_execz .LBB246_140
; %bb.136:
	v_cmp_ne_u16_e32 vcc, 1, v3
	s_mov_b64 s[36:37], 0
	s_and_saveexec_b64 s[30:31], vcc
	s_xor_b64 s[30:31], exec, s[30:31]
	s_cbranch_execnz .LBB246_190
; %bb.137:
	s_andn2_saveexec_b64 s[30:31], s[30:31]
	s_cbranch_execnz .LBB246_206
.LBB246_138:
	s_or_b64 exec, exec, s[30:31]
	s_and_b64 exec, exec, s[36:37]
	s_cbranch_execz .LBB246_140
.LBB246_139:
	v_mov_b32_e32 v9, 0
	v_sub_u32_e32 v10, v24, v2
	v_mov_b32_e32 v11, v9
	v_lshlrev_b64 v[10:11], 3, v[10:11]
	v_add_co_u32_e32 v10, vcc, v6, v10
	v_mov_b32_e32 v8, v25
	v_addc_co_u32_e32 v11, vcc, v7, v11, vcc
	global_store_dwordx2 v[10:11], v[8:9], off
.LBB246_140:
	s_or_b64 exec, exec, s[34:35]
	s_mov_b64 s[34:35], 0
.LBB246_141:
	s_and_b64 vcc, exec, s[34:35]
	s_cbranch_vccz .LBB246_151
; %bb.142:
	v_cmp_gt_i16_e32 vcc, 2, v3
	s_and_saveexec_b64 s[30:31], vcc
	s_cbranch_execz .LBB246_147
; %bb.143:
	v_cmp_ne_u16_e32 vcc, 1, v3
	s_mov_b64 s[36:37], 0
	s_and_saveexec_b64 s[34:35], vcc
	s_xor_b64 s[34:35], exec, s[34:35]
	s_cbranch_execnz .LBB246_207
; %bb.144:
	s_andn2_saveexec_b64 s[0:1], s[34:35]
	s_cbranch_execnz .LBB246_223
.LBB246_145:
	s_or_b64 exec, exec, s[0:1]
	s_and_b64 exec, exec, s[36:37]
	s_cbranch_execz .LBB246_147
.LBB246_146:
	v_sub_u32_e32 v2, v24, v2
	v_lshlrev_b32_e32 v2, 2, v2
	ds_write_b32 v2, v25
.LBB246_147:
	s_or_b64 exec, exec, s[30:31]
	v_cmp_lt_u32_e32 vcc, v0, v1
	s_waitcnt lgkmcnt(0)
	s_barrier
	s_and_saveexec_b64 s[0:1], vcc
	s_cbranch_execz .LBB246_150
; %bb.148:
	v_lshlrev_b32_e32 v8, 2, v0
	s_mov_b64 s[2:3], 0
	v_mov_b32_e32 v3, 0
	v_mov_b32_e32 v2, v0
.LBB246_149:                            ; =>This Inner Loop Header: Depth=1
	ds_read_b32 v10, v8
	v_lshlrev_b64 v[12:13], 3, v[2:3]
	v_add_co_u32_e32 v12, vcc, v6, v12
	v_add_u32_e32 v2, 0x100, v2
	v_addc_co_u32_e32 v13, vcc, v7, v13, vcc
	v_cmp_ge_u32_e32 vcc, v2, v1
	v_mov_b32_e32 v11, v3
	v_add_u32_e32 v8, 0x400, v8
	s_or_b64 s[2:3], vcc, s[2:3]
	s_waitcnt lgkmcnt(0)
	global_store_dwordx2 v[12:13], v[10:11], off
	s_andn2_b64 exec, exec, s[2:3]
	s_cbranch_execnz .LBB246_149
.LBB246_150:
	s_or_b64 exec, exec, s[0:1]
.LBB246_151:
	s_movk_i32 s0, 0xff
	v_cmp_eq_u32_e32 vcc, s0, v0
	s_and_b64 s[0:1], vcc, s[40:41]
	s_and_saveexec_b64 s[2:3], s[0:1]
	s_cbranch_execz .LBB246_154
; %bb.152:
	v_add_co_u32_e32 v0, vcc, v16, v18
	v_addc_co_u32_e64 v1, s[0:1], 0, 0, vcc
	v_add_co_u32_e32 v0, vcc, v0, v52
	v_mov_b32_e32 v17, 0
	v_addc_co_u32_e32 v1, vcc, v1, v53, vcc
	s_cmpk_lg_i32 s33, 0xf00
	global_store_dwordx2 v17, v[0:1], s[52:53]
	s_cbranch_scc1 .LBB246_154
; %bb.153:
	v_lshlrev_b64 v[0:1], 3, v[16:17]
	v_add_co_u32_e32 v0, vcc, v4, v0
	v_mov_b32_e32 v21, v17
	v_addc_co_u32_e32 v1, vcc, v5, v1, vcc
	global_store_dwordx2 v[0:1], v[20:21], off offset:-8
.LBB246_154:
	s_endpgm
.LBB246_155:
	s_or_b64 exec, exec, s[10:11]
	v_mov_b32_e32 v78, s14
	s_and_saveexec_b64 s[2:3], s[6:7]
	s_cbranch_execnz .LBB246_60
	s_branch .LBB246_61
.LBB246_156:
	s_and_saveexec_b64 s[38:39], s[30:31]
	s_cbranch_execnz .LBB246_224
; %bb.157:
	s_or_b64 exec, exec, s[38:39]
	s_and_saveexec_b64 s[38:39], s[28:29]
	s_cbranch_execnz .LBB246_225
.LBB246_158:
	s_or_b64 exec, exec, s[38:39]
	s_and_saveexec_b64 s[38:39], s[26:27]
	s_cbranch_execnz .LBB246_226
.LBB246_159:
	s_or_b64 exec, exec, s[38:39]
	s_and_saveexec_b64 s[38:39], s[24:25]
	s_cbranch_execnz .LBB246_227
.LBB246_160:
	s_or_b64 exec, exec, s[38:39]
	s_and_saveexec_b64 s[38:39], s[22:23]
	s_cbranch_execnz .LBB246_228
.LBB246_161:
	s_or_b64 exec, exec, s[38:39]
	s_and_saveexec_b64 s[38:39], s[20:21]
	s_cbranch_execnz .LBB246_229
.LBB246_162:
	s_or_b64 exec, exec, s[38:39]
	s_and_saveexec_b64 s[38:39], s[18:19]
	s_cbranch_execnz .LBB246_230
.LBB246_163:
	s_or_b64 exec, exec, s[38:39]
	s_and_saveexec_b64 s[38:39], s[16:17]
	s_cbranch_execnz .LBB246_231
.LBB246_164:
	s_or_b64 exec, exec, s[38:39]
	s_and_saveexec_b64 s[38:39], s[14:15]
	s_cbranch_execnz .LBB246_232
.LBB246_165:
	s_or_b64 exec, exec, s[38:39]
	s_and_saveexec_b64 s[38:39], s[12:13]
	s_cbranch_execnz .LBB246_233
.LBB246_166:
	s_or_b64 exec, exec, s[38:39]
	s_and_saveexec_b64 s[38:39], s[10:11]
	s_cbranch_execnz .LBB246_234
.LBB246_167:
	s_or_b64 exec, exec, s[38:39]
	s_and_saveexec_b64 s[38:39], s[8:9]
	s_cbranch_execnz .LBB246_235
.LBB246_168:
	s_or_b64 exec, exec, s[38:39]
	s_and_saveexec_b64 s[38:39], s[6:7]
	s_cbranch_execnz .LBB246_236
.LBB246_169:
	s_or_b64 exec, exec, s[38:39]
	s_and_saveexec_b64 s[38:39], s[4:5]
	s_cbranch_execz .LBB246_171
.LBB246_170:
	v_sub_u32_e32 v3, v22, v18
	v_readfirstlane_b32 s44, v54
	v_readfirstlane_b32 s45, v17
	s_nop 4
	global_store_byte v3, v11, s[44:45]
.LBB246_171:
	s_or_b64 exec, exec, s[38:39]
	s_and_b64 s[38:39], s[2:3], exec
	s_andn2_saveexec_b64 s[34:35], s[34:35]
	s_cbranch_execz .LBB246_110
.LBB246_172:
	v_sub_u32_e32 v3, v50, v18
	v_readfirstlane_b32 s44, v54
	v_readfirstlane_b32 s45, v17
	s_or_b64 s[38:39], s[38:39], exec
	s_nop 3
	global_store_byte v3, v8, s[44:45]
	v_sub_u32_e32 v3, v48, v18
	global_store_byte v3, v66, s[44:45]
	v_sub_u32_e32 v3, v46, v18
	;; [unrolled: 2-line block ×13, first 2 shown]
	global_store_byte v3, v11, s[44:45]
	s_or_b64 exec, exec, s[34:35]
	s_and_b64 exec, exec, s[38:39]
	s_cbranch_execnz .LBB246_111
	s_branch .LBB246_112
.LBB246_173:
	s_and_saveexec_b64 s[38:39], s[30:31]
	s_cbranch_execnz .LBB246_237
; %bb.174:
	s_or_b64 exec, exec, s[38:39]
	s_and_saveexec_b64 s[30:31], s[28:29]
	s_cbranch_execnz .LBB246_238
.LBB246_175:
	s_or_b64 exec, exec, s[30:31]
	s_and_saveexec_b64 s[28:29], s[26:27]
	s_cbranch_execnz .LBB246_239
.LBB246_176:
	s_or_b64 exec, exec, s[28:29]
	s_and_saveexec_b64 s[26:27], s[24:25]
	s_cbranch_execnz .LBB246_240
.LBB246_177:
	s_or_b64 exec, exec, s[26:27]
	s_and_saveexec_b64 s[24:25], s[22:23]
	s_cbranch_execnz .LBB246_241
.LBB246_178:
	s_or_b64 exec, exec, s[24:25]
	s_and_saveexec_b64 s[22:23], s[20:21]
	s_cbranch_execnz .LBB246_242
.LBB246_179:
	s_or_b64 exec, exec, s[22:23]
	s_and_saveexec_b64 s[20:21], s[18:19]
	s_cbranch_execnz .LBB246_243
.LBB246_180:
	s_or_b64 exec, exec, s[20:21]
	s_and_saveexec_b64 s[18:19], s[16:17]
	s_cbranch_execnz .LBB246_244
.LBB246_181:
	s_or_b64 exec, exec, s[18:19]
	s_and_saveexec_b64 s[16:17], s[14:15]
	s_cbranch_execnz .LBB246_245
.LBB246_182:
	s_or_b64 exec, exec, s[16:17]
	s_and_saveexec_b64 s[14:15], s[12:13]
	s_cbranch_execnz .LBB246_246
.LBB246_183:
	s_or_b64 exec, exec, s[14:15]
	s_and_saveexec_b64 s[12:13], s[10:11]
	s_cbranch_execnz .LBB246_247
.LBB246_184:
	s_or_b64 exec, exec, s[12:13]
	s_and_saveexec_b64 s[10:11], s[8:9]
	s_cbranch_execnz .LBB246_248
.LBB246_185:
	s_or_b64 exec, exec, s[10:11]
	s_and_saveexec_b64 s[8:9], s[6:7]
	s_cbranch_execnz .LBB246_249
.LBB246_186:
	s_or_b64 exec, exec, s[8:9]
	s_and_saveexec_b64 s[6:7], s[4:5]
	s_cbranch_execz .LBB246_188
.LBB246_187:
	v_sub_u32_e32 v2, v22, v18
	ds_write_b8 v2, v11
.LBB246_188:
	s_or_b64 exec, exec, s[6:7]
	s_and_b64 s[38:39], s[2:3], exec
                                        ; implicit-def: $vgpr11
                                        ; implicit-def: $vgpr21
                                        ; implicit-def: $vgpr55
                                        ; implicit-def: $vgpr56
                                        ; implicit-def: $vgpr57
                                        ; implicit-def: $vgpr10
                                        ; implicit-def: $vgpr58
                                        ; implicit-def: $vgpr59
                                        ; implicit-def: $vgpr60
                                        ; implicit-def: $vgpr63
                                        ; implicit-def: $vgpr64
                                        ; implicit-def: $vgpr66
	s_andn2_saveexec_b64 s[2:3], s[36:37]
	s_cbranch_execz .LBB246_117
.LBB246_189:
	v_sub_u32_e32 v2, v50, v18
	ds_write_b8 v2, v8
	v_sub_u32_e32 v2, v48, v18
	ds_write_b8 v2, v66
	;; [unrolled: 2-line block ×13, first 2 shown]
	v_sub_u32_e32 v2, v22, v18
	s_or_b64 s[38:39], s[38:39], exec
	ds_write_b8 v2, v11
	s_or_b64 exec, exec, s[2:3]
	s_and_b64 exec, exec, s[38:39]
	s_cbranch_execnz .LBB246_118
	s_branch .LBB246_119
.LBB246_190:
	s_and_saveexec_b64 s[36:37], s[28:29]
	s_cbranch_execnz .LBB246_250
; %bb.191:
	s_or_b64 exec, exec, s[36:37]
	s_and_saveexec_b64 s[36:37], s[26:27]
	s_cbranch_execnz .LBB246_251
.LBB246_192:
	s_or_b64 exec, exec, s[36:37]
	s_and_saveexec_b64 s[36:37], s[24:25]
	s_cbranch_execnz .LBB246_252
.LBB246_193:
	s_or_b64 exec, exec, s[36:37]
	s_and_saveexec_b64 s[36:37], s[22:23]
	s_cbranch_execnz .LBB246_253
.LBB246_194:
	s_or_b64 exec, exec, s[36:37]
	s_and_saveexec_b64 s[36:37], s[20:21]
	s_cbranch_execnz .LBB246_254
.LBB246_195:
	s_or_b64 exec, exec, s[36:37]
	s_and_saveexec_b64 s[36:37], s[18:19]
	s_cbranch_execnz .LBB246_255
.LBB246_196:
	s_or_b64 exec, exec, s[36:37]
	s_and_saveexec_b64 s[36:37], s[16:17]
	s_cbranch_execnz .LBB246_256
.LBB246_197:
	s_or_b64 exec, exec, s[36:37]
	s_and_saveexec_b64 s[36:37], s[14:15]
	s_cbranch_execnz .LBB246_257
.LBB246_198:
	s_or_b64 exec, exec, s[36:37]
	s_and_saveexec_b64 s[36:37], s[12:13]
	s_cbranch_execnz .LBB246_258
.LBB246_199:
	s_or_b64 exec, exec, s[36:37]
	s_and_saveexec_b64 s[36:37], s[10:11]
	s_cbranch_execnz .LBB246_259
.LBB246_200:
	s_or_b64 exec, exec, s[36:37]
	s_and_saveexec_b64 s[36:37], s[8:9]
	s_cbranch_execnz .LBB246_260
.LBB246_201:
	s_or_b64 exec, exec, s[36:37]
	s_and_saveexec_b64 s[36:37], s[6:7]
	s_cbranch_execnz .LBB246_261
.LBB246_202:
	s_or_b64 exec, exec, s[36:37]
	s_and_saveexec_b64 s[36:37], s[4:5]
	s_cbranch_execnz .LBB246_262
.LBB246_203:
	s_or_b64 exec, exec, s[36:37]
	s_and_saveexec_b64 s[36:37], s[2:3]
	s_cbranch_execz .LBB246_205
.LBB246_204:
	v_sub_u32_e32 v8, v22, v2
	v_mov_b32_e32 v9, 0
	v_lshlrev_b64 v[10:11], 3, v[8:9]
	v_add_co_u32_e32 v10, vcc, v6, v10
	v_addc_co_u32_e32 v11, vcc, v7, v11, vcc
	v_mov_b32_e32 v8, v23
	global_store_dwordx2 v[10:11], v[8:9], off
.LBB246_205:
	s_or_b64 exec, exec, s[36:37]
	s_and_b64 s[36:37], s[0:1], exec
	s_andn2_saveexec_b64 s[30:31], s[30:31]
	s_cbranch_execz .LBB246_138
.LBB246_206:
	v_mov_b32_e32 v9, 0
	v_sub_u32_e32 v10, v50, v2
	v_mov_b32_e32 v11, v9
	v_lshlrev_b64 v[10:11], 3, v[10:11]
	v_add_co_u32_e32 v10, vcc, v6, v10
	v_mov_b32_e32 v8, v51
	v_addc_co_u32_e32 v11, vcc, v7, v11, vcc
	global_store_dwordx2 v[10:11], v[8:9], off
	v_sub_u32_e32 v10, v48, v2
	v_mov_b32_e32 v11, v9
	v_lshlrev_b64 v[10:11], 3, v[10:11]
	v_add_co_u32_e32 v10, vcc, v6, v10
	v_mov_b32_e32 v8, v49
	v_addc_co_u32_e32 v11, vcc, v7, v11, vcc
	global_store_dwordx2 v[10:11], v[8:9], off
	;; [unrolled: 7-line block ×13, first 2 shown]
	v_sub_u32_e32 v10, v22, v2
	v_mov_b32_e32 v11, v9
	v_lshlrev_b64 v[10:11], 3, v[10:11]
	v_add_co_u32_e32 v10, vcc, v6, v10
	v_mov_b32_e32 v8, v23
	v_addc_co_u32_e32 v11, vcc, v7, v11, vcc
	s_or_b64 s[36:37], s[36:37], exec
	global_store_dwordx2 v[10:11], v[8:9], off
	s_or_b64 exec, exec, s[30:31]
	s_and_b64 exec, exec, s[36:37]
	s_cbranch_execnz .LBB246_139
	s_branch .LBB246_140
.LBB246_207:
	s_and_saveexec_b64 s[36:37], s[28:29]
	s_cbranch_execnz .LBB246_263
; %bb.208:
	s_or_b64 exec, exec, s[36:37]
	s_and_saveexec_b64 s[28:29], s[26:27]
	s_cbranch_execnz .LBB246_264
.LBB246_209:
	s_or_b64 exec, exec, s[28:29]
	s_and_saveexec_b64 s[26:27], s[24:25]
	s_cbranch_execnz .LBB246_265
.LBB246_210:
	s_or_b64 exec, exec, s[26:27]
	s_and_saveexec_b64 s[24:25], s[22:23]
	s_cbranch_execnz .LBB246_266
.LBB246_211:
	s_or_b64 exec, exec, s[24:25]
	s_and_saveexec_b64 s[22:23], s[20:21]
	s_cbranch_execnz .LBB246_267
.LBB246_212:
	s_or_b64 exec, exec, s[22:23]
	s_and_saveexec_b64 s[20:21], s[18:19]
	s_cbranch_execnz .LBB246_268
.LBB246_213:
	s_or_b64 exec, exec, s[20:21]
	s_and_saveexec_b64 s[18:19], s[16:17]
	s_cbranch_execnz .LBB246_269
.LBB246_214:
	s_or_b64 exec, exec, s[18:19]
	s_and_saveexec_b64 s[16:17], s[14:15]
	s_cbranch_execnz .LBB246_270
.LBB246_215:
	s_or_b64 exec, exec, s[16:17]
	s_and_saveexec_b64 s[14:15], s[12:13]
	s_cbranch_execnz .LBB246_271
.LBB246_216:
	s_or_b64 exec, exec, s[14:15]
	s_and_saveexec_b64 s[12:13], s[10:11]
	s_cbranch_execnz .LBB246_272
.LBB246_217:
	s_or_b64 exec, exec, s[12:13]
	s_and_saveexec_b64 s[10:11], s[8:9]
	s_cbranch_execnz .LBB246_273
.LBB246_218:
	s_or_b64 exec, exec, s[10:11]
	s_and_saveexec_b64 s[8:9], s[6:7]
	s_cbranch_execnz .LBB246_274
.LBB246_219:
	s_or_b64 exec, exec, s[8:9]
	s_and_saveexec_b64 s[6:7], s[4:5]
	s_cbranch_execnz .LBB246_275
.LBB246_220:
	s_or_b64 exec, exec, s[6:7]
	s_and_saveexec_b64 s[4:5], s[2:3]
	s_cbranch_execz .LBB246_222
.LBB246_221:
	v_sub_u32_e32 v3, v22, v2
	v_lshlrev_b32_e32 v3, 2, v3
	ds_write_b32 v3, v23
.LBB246_222:
	s_or_b64 exec, exec, s[4:5]
	s_and_b64 s[36:37], s[0:1], exec
                                        ; implicit-def: $vgpr22_vgpr23
                                        ; implicit-def: $vgpr26_vgpr27
                                        ; implicit-def: $vgpr28_vgpr29
                                        ; implicit-def: $vgpr50_vgpr51
                                        ; implicit-def: $vgpr48_vgpr49
                                        ; implicit-def: $vgpr46_vgpr47
                                        ; implicit-def: $vgpr44_vgpr45
                                        ; implicit-def: $vgpr42_vgpr43
                                        ; implicit-def: $vgpr40_vgpr41
                                        ; implicit-def: $vgpr38_vgpr39
                                        ; implicit-def: $vgpr36_vgpr37
                                        ; implicit-def: $vgpr34_vgpr35
                                        ; implicit-def: $vgpr32_vgpr33
                                        ; implicit-def: $vgpr30_vgpr31
	s_andn2_saveexec_b64 s[0:1], s[34:35]
	s_cbranch_execz .LBB246_145
.LBB246_223:
	v_sub_u32_e32 v3, v50, v2
	v_lshlrev_b32_e32 v3, 2, v3
	ds_write_b32 v3, v51
	v_sub_u32_e32 v3, v48, v2
	v_lshlrev_b32_e32 v3, 2, v3
	ds_write_b32 v3, v49
	;; [unrolled: 3-line block ×13, first 2 shown]
	v_sub_u32_e32 v3, v22, v2
	v_lshlrev_b32_e32 v3, 2, v3
	s_or_b64 s[36:37], s[36:37], exec
	ds_write_b32 v3, v23
	s_or_b64 exec, exec, s[0:1]
	s_and_b64 exec, exec, s[36:37]
	s_cbranch_execnz .LBB246_146
	s_branch .LBB246_147
.LBB246_224:
	v_sub_u32_e32 v3, v50, v18
	v_readfirstlane_b32 s44, v54
	v_readfirstlane_b32 s45, v17
	s_nop 4
	global_store_byte v3, v8, s[44:45]
	s_or_b64 exec, exec, s[38:39]
	s_and_saveexec_b64 s[38:39], s[28:29]
	s_cbranch_execz .LBB246_158
.LBB246_225:
	v_sub_u32_e32 v3, v48, v18
	v_readfirstlane_b32 s44, v54
	v_readfirstlane_b32 s45, v17
	s_nop 4
	global_store_byte v3, v66, s[44:45]
	s_or_b64 exec, exec, s[38:39]
	s_and_saveexec_b64 s[38:39], s[26:27]
	s_cbranch_execz .LBB246_159
.LBB246_226:
	v_sub_u32_e32 v3, v46, v18
	v_readfirstlane_b32 s44, v54
	v_readfirstlane_b32 s45, v17
	s_nop 4
	global_store_byte v3, v64, s[44:45]
	s_or_b64 exec, exec, s[38:39]
	s_and_saveexec_b64 s[38:39], s[24:25]
	s_cbranch_execz .LBB246_160
.LBB246_227:
	v_sub_u32_e32 v3, v44, v18
	v_readfirstlane_b32 s44, v54
	v_readfirstlane_b32 s45, v17
	s_nop 4
	global_store_byte v3, v63, s[44:45]
	s_or_b64 exec, exec, s[38:39]
	s_and_saveexec_b64 s[38:39], s[22:23]
	s_cbranch_execz .LBB246_161
.LBB246_228:
	v_sub_u32_e32 v3, v42, v18
	v_readfirstlane_b32 s44, v54
	v_readfirstlane_b32 s45, v17
	s_nop 4
	global_store_byte v3, v9, s[44:45]
	s_or_b64 exec, exec, s[38:39]
	s_and_saveexec_b64 s[38:39], s[20:21]
	s_cbranch_execz .LBB246_162
.LBB246_229:
	v_sub_u32_e32 v3, v40, v18
	v_readfirstlane_b32 s44, v54
	v_readfirstlane_b32 s45, v17
	s_nop 4
	global_store_byte v3, v60, s[44:45]
	s_or_b64 exec, exec, s[38:39]
	s_and_saveexec_b64 s[38:39], s[18:19]
	s_cbranch_execz .LBB246_163
.LBB246_230:
	v_sub_u32_e32 v3, v38, v18
	v_readfirstlane_b32 s44, v54
	v_readfirstlane_b32 s45, v17
	s_nop 4
	global_store_byte v3, v59, s[44:45]
	s_or_b64 exec, exec, s[38:39]
	s_and_saveexec_b64 s[38:39], s[16:17]
	s_cbranch_execz .LBB246_164
.LBB246_231:
	v_sub_u32_e32 v3, v36, v18
	v_readfirstlane_b32 s44, v54
	v_readfirstlane_b32 s45, v17
	s_nop 4
	global_store_byte v3, v58, s[44:45]
	s_or_b64 exec, exec, s[38:39]
	s_and_saveexec_b64 s[38:39], s[14:15]
	s_cbranch_execz .LBB246_165
.LBB246_232:
	v_sub_u32_e32 v3, v34, v18
	v_readfirstlane_b32 s44, v54
	v_readfirstlane_b32 s45, v17
	s_nop 4
	global_store_byte v3, v10, s[44:45]
	s_or_b64 exec, exec, s[38:39]
	s_and_saveexec_b64 s[38:39], s[12:13]
	s_cbranch_execz .LBB246_166
.LBB246_233:
	v_sub_u32_e32 v3, v32, v18
	v_readfirstlane_b32 s44, v54
	v_readfirstlane_b32 s45, v17
	s_nop 4
	global_store_byte v3, v57, s[44:45]
	s_or_b64 exec, exec, s[38:39]
	s_and_saveexec_b64 s[38:39], s[10:11]
	s_cbranch_execz .LBB246_167
.LBB246_234:
	v_sub_u32_e32 v3, v30, v18
	v_readfirstlane_b32 s44, v54
	v_readfirstlane_b32 s45, v17
	s_nop 4
	global_store_byte v3, v56, s[44:45]
	s_or_b64 exec, exec, s[38:39]
	s_and_saveexec_b64 s[38:39], s[8:9]
	s_cbranch_execz .LBB246_168
.LBB246_235:
	v_sub_u32_e32 v3, v28, v18
	v_readfirstlane_b32 s44, v54
	v_readfirstlane_b32 s45, v17
	s_nop 4
	global_store_byte v3, v55, s[44:45]
	s_or_b64 exec, exec, s[38:39]
	s_and_saveexec_b64 s[38:39], s[6:7]
	s_cbranch_execz .LBB246_169
.LBB246_236:
	v_sub_u32_e32 v3, v26, v18
	v_readfirstlane_b32 s44, v54
	v_readfirstlane_b32 s45, v17
	s_nop 4
	global_store_byte v3, v21, s[44:45]
	s_or_b64 exec, exec, s[38:39]
	s_and_saveexec_b64 s[38:39], s[4:5]
	s_cbranch_execnz .LBB246_170
	s_branch .LBB246_171
.LBB246_237:
	v_sub_u32_e32 v2, v50, v18
	ds_write_b8 v2, v8
	s_or_b64 exec, exec, s[38:39]
	s_and_saveexec_b64 s[30:31], s[28:29]
	s_cbranch_execz .LBB246_175
.LBB246_238:
	v_sub_u32_e32 v2, v48, v18
	ds_write_b8 v2, v66
	s_or_b64 exec, exec, s[30:31]
	s_and_saveexec_b64 s[28:29], s[26:27]
	s_cbranch_execz .LBB246_176
.LBB246_239:
	v_sub_u32_e32 v2, v46, v18
	ds_write_b8 v2, v64
	s_or_b64 exec, exec, s[28:29]
	s_and_saveexec_b64 s[26:27], s[24:25]
	s_cbranch_execz .LBB246_177
.LBB246_240:
	v_sub_u32_e32 v2, v44, v18
	ds_write_b8 v2, v63
	s_or_b64 exec, exec, s[26:27]
	s_and_saveexec_b64 s[24:25], s[22:23]
	s_cbranch_execz .LBB246_178
.LBB246_241:
	v_sub_u32_e32 v2, v42, v18
	ds_write_b8 v2, v9
	s_or_b64 exec, exec, s[24:25]
	s_and_saveexec_b64 s[22:23], s[20:21]
	s_cbranch_execz .LBB246_179
.LBB246_242:
	v_sub_u32_e32 v2, v40, v18
	ds_write_b8 v2, v60
	s_or_b64 exec, exec, s[22:23]
	s_and_saveexec_b64 s[20:21], s[18:19]
	s_cbranch_execz .LBB246_180
.LBB246_243:
	v_sub_u32_e32 v2, v38, v18
	ds_write_b8 v2, v59
	s_or_b64 exec, exec, s[20:21]
	s_and_saveexec_b64 s[18:19], s[16:17]
	s_cbranch_execz .LBB246_181
.LBB246_244:
	v_sub_u32_e32 v2, v36, v18
	ds_write_b8 v2, v58
	s_or_b64 exec, exec, s[18:19]
	s_and_saveexec_b64 s[16:17], s[14:15]
	s_cbranch_execz .LBB246_182
.LBB246_245:
	v_sub_u32_e32 v2, v34, v18
	ds_write_b8 v2, v10
	s_or_b64 exec, exec, s[16:17]
	s_and_saveexec_b64 s[14:15], s[12:13]
	s_cbranch_execz .LBB246_183
.LBB246_246:
	v_sub_u32_e32 v2, v32, v18
	ds_write_b8 v2, v57
	s_or_b64 exec, exec, s[14:15]
	s_and_saveexec_b64 s[12:13], s[10:11]
	s_cbranch_execz .LBB246_184
.LBB246_247:
	v_sub_u32_e32 v2, v30, v18
	ds_write_b8 v2, v56
	s_or_b64 exec, exec, s[12:13]
	s_and_saveexec_b64 s[10:11], s[8:9]
	s_cbranch_execz .LBB246_185
.LBB246_248:
	v_sub_u32_e32 v2, v28, v18
	ds_write_b8 v2, v55
	s_or_b64 exec, exec, s[10:11]
	s_and_saveexec_b64 s[8:9], s[6:7]
	s_cbranch_execz .LBB246_186
.LBB246_249:
	v_sub_u32_e32 v2, v26, v18
	ds_write_b8 v2, v21
	s_or_b64 exec, exec, s[8:9]
	s_and_saveexec_b64 s[6:7], s[4:5]
	s_cbranch_execnz .LBB246_187
	s_branch .LBB246_188
.LBB246_250:
	v_sub_u32_e32 v8, v50, v2
	v_mov_b32_e32 v9, 0
	v_lshlrev_b64 v[10:11], 3, v[8:9]
	v_add_co_u32_e32 v10, vcc, v6, v10
	v_addc_co_u32_e32 v11, vcc, v7, v11, vcc
	v_mov_b32_e32 v8, v51
	global_store_dwordx2 v[10:11], v[8:9], off
	s_or_b64 exec, exec, s[36:37]
	s_and_saveexec_b64 s[36:37], s[26:27]
	s_cbranch_execz .LBB246_192
.LBB246_251:
	v_sub_u32_e32 v8, v48, v2
	v_mov_b32_e32 v9, 0
	v_lshlrev_b64 v[10:11], 3, v[8:9]
	v_add_co_u32_e32 v10, vcc, v6, v10
	v_addc_co_u32_e32 v11, vcc, v7, v11, vcc
	v_mov_b32_e32 v8, v49
	global_store_dwordx2 v[10:11], v[8:9], off
	s_or_b64 exec, exec, s[36:37]
	s_and_saveexec_b64 s[36:37], s[24:25]
	s_cbranch_execz .LBB246_193
.LBB246_252:
	v_sub_u32_e32 v8, v46, v2
	v_mov_b32_e32 v9, 0
	v_lshlrev_b64 v[10:11], 3, v[8:9]
	v_add_co_u32_e32 v10, vcc, v6, v10
	v_addc_co_u32_e32 v11, vcc, v7, v11, vcc
	v_mov_b32_e32 v8, v47
	global_store_dwordx2 v[10:11], v[8:9], off
	s_or_b64 exec, exec, s[36:37]
	s_and_saveexec_b64 s[36:37], s[22:23]
	s_cbranch_execz .LBB246_194
.LBB246_253:
	v_sub_u32_e32 v8, v44, v2
	v_mov_b32_e32 v9, 0
	v_lshlrev_b64 v[10:11], 3, v[8:9]
	v_add_co_u32_e32 v10, vcc, v6, v10
	v_addc_co_u32_e32 v11, vcc, v7, v11, vcc
	v_mov_b32_e32 v8, v45
	global_store_dwordx2 v[10:11], v[8:9], off
	s_or_b64 exec, exec, s[36:37]
	s_and_saveexec_b64 s[36:37], s[20:21]
	s_cbranch_execz .LBB246_195
.LBB246_254:
	v_sub_u32_e32 v8, v42, v2
	v_mov_b32_e32 v9, 0
	v_lshlrev_b64 v[10:11], 3, v[8:9]
	v_add_co_u32_e32 v10, vcc, v6, v10
	v_addc_co_u32_e32 v11, vcc, v7, v11, vcc
	v_mov_b32_e32 v8, v43
	global_store_dwordx2 v[10:11], v[8:9], off
	s_or_b64 exec, exec, s[36:37]
	s_and_saveexec_b64 s[36:37], s[18:19]
	s_cbranch_execz .LBB246_196
.LBB246_255:
	v_sub_u32_e32 v8, v40, v2
	v_mov_b32_e32 v9, 0
	v_lshlrev_b64 v[10:11], 3, v[8:9]
	v_add_co_u32_e32 v10, vcc, v6, v10
	v_addc_co_u32_e32 v11, vcc, v7, v11, vcc
	v_mov_b32_e32 v8, v41
	global_store_dwordx2 v[10:11], v[8:9], off
	s_or_b64 exec, exec, s[36:37]
	s_and_saveexec_b64 s[36:37], s[16:17]
	s_cbranch_execz .LBB246_197
.LBB246_256:
	v_sub_u32_e32 v8, v38, v2
	v_mov_b32_e32 v9, 0
	v_lshlrev_b64 v[10:11], 3, v[8:9]
	v_add_co_u32_e32 v10, vcc, v6, v10
	v_addc_co_u32_e32 v11, vcc, v7, v11, vcc
	v_mov_b32_e32 v8, v39
	global_store_dwordx2 v[10:11], v[8:9], off
	s_or_b64 exec, exec, s[36:37]
	s_and_saveexec_b64 s[36:37], s[14:15]
	s_cbranch_execz .LBB246_198
.LBB246_257:
	v_sub_u32_e32 v8, v36, v2
	v_mov_b32_e32 v9, 0
	v_lshlrev_b64 v[10:11], 3, v[8:9]
	v_add_co_u32_e32 v10, vcc, v6, v10
	v_addc_co_u32_e32 v11, vcc, v7, v11, vcc
	v_mov_b32_e32 v8, v37
	global_store_dwordx2 v[10:11], v[8:9], off
	s_or_b64 exec, exec, s[36:37]
	s_and_saveexec_b64 s[36:37], s[12:13]
	s_cbranch_execz .LBB246_199
.LBB246_258:
	v_sub_u32_e32 v8, v34, v2
	v_mov_b32_e32 v9, 0
	v_lshlrev_b64 v[10:11], 3, v[8:9]
	v_add_co_u32_e32 v10, vcc, v6, v10
	v_addc_co_u32_e32 v11, vcc, v7, v11, vcc
	v_mov_b32_e32 v8, v35
	global_store_dwordx2 v[10:11], v[8:9], off
	s_or_b64 exec, exec, s[36:37]
	s_and_saveexec_b64 s[36:37], s[10:11]
	s_cbranch_execz .LBB246_200
.LBB246_259:
	v_sub_u32_e32 v8, v32, v2
	v_mov_b32_e32 v9, 0
	v_lshlrev_b64 v[10:11], 3, v[8:9]
	v_add_co_u32_e32 v10, vcc, v6, v10
	v_addc_co_u32_e32 v11, vcc, v7, v11, vcc
	v_mov_b32_e32 v8, v33
	global_store_dwordx2 v[10:11], v[8:9], off
	s_or_b64 exec, exec, s[36:37]
	s_and_saveexec_b64 s[36:37], s[8:9]
	s_cbranch_execz .LBB246_201
.LBB246_260:
	v_sub_u32_e32 v8, v30, v2
	v_mov_b32_e32 v9, 0
	v_lshlrev_b64 v[10:11], 3, v[8:9]
	v_add_co_u32_e32 v10, vcc, v6, v10
	v_addc_co_u32_e32 v11, vcc, v7, v11, vcc
	v_mov_b32_e32 v8, v31
	global_store_dwordx2 v[10:11], v[8:9], off
	s_or_b64 exec, exec, s[36:37]
	s_and_saveexec_b64 s[36:37], s[6:7]
	s_cbranch_execz .LBB246_202
.LBB246_261:
	v_sub_u32_e32 v8, v28, v2
	v_mov_b32_e32 v9, 0
	v_lshlrev_b64 v[10:11], 3, v[8:9]
	v_add_co_u32_e32 v10, vcc, v6, v10
	v_addc_co_u32_e32 v11, vcc, v7, v11, vcc
	v_mov_b32_e32 v8, v29
	global_store_dwordx2 v[10:11], v[8:9], off
	s_or_b64 exec, exec, s[36:37]
	s_and_saveexec_b64 s[36:37], s[4:5]
	s_cbranch_execz .LBB246_203
.LBB246_262:
	v_sub_u32_e32 v8, v26, v2
	v_mov_b32_e32 v9, 0
	v_lshlrev_b64 v[10:11], 3, v[8:9]
	v_add_co_u32_e32 v10, vcc, v6, v10
	v_addc_co_u32_e32 v11, vcc, v7, v11, vcc
	v_mov_b32_e32 v8, v27
	global_store_dwordx2 v[10:11], v[8:9], off
	s_or_b64 exec, exec, s[36:37]
	s_and_saveexec_b64 s[36:37], s[2:3]
	s_cbranch_execnz .LBB246_204
	s_branch .LBB246_205
.LBB246_263:
	v_sub_u32_e32 v3, v50, v2
	v_lshlrev_b32_e32 v3, 2, v3
	ds_write_b32 v3, v51
	s_or_b64 exec, exec, s[36:37]
	s_and_saveexec_b64 s[28:29], s[26:27]
	s_cbranch_execz .LBB246_209
.LBB246_264:
	v_sub_u32_e32 v3, v48, v2
	v_lshlrev_b32_e32 v3, 2, v3
	ds_write_b32 v3, v49
	s_or_b64 exec, exec, s[28:29]
	s_and_saveexec_b64 s[26:27], s[24:25]
	s_cbranch_execz .LBB246_210
.LBB246_265:
	v_sub_u32_e32 v3, v46, v2
	v_lshlrev_b32_e32 v3, 2, v3
	ds_write_b32 v3, v47
	s_or_b64 exec, exec, s[26:27]
	s_and_saveexec_b64 s[24:25], s[22:23]
	s_cbranch_execz .LBB246_211
.LBB246_266:
	v_sub_u32_e32 v3, v44, v2
	v_lshlrev_b32_e32 v3, 2, v3
	ds_write_b32 v3, v45
	s_or_b64 exec, exec, s[24:25]
	s_and_saveexec_b64 s[22:23], s[20:21]
	s_cbranch_execz .LBB246_212
.LBB246_267:
	v_sub_u32_e32 v3, v42, v2
	v_lshlrev_b32_e32 v3, 2, v3
	ds_write_b32 v3, v43
	s_or_b64 exec, exec, s[22:23]
	s_and_saveexec_b64 s[20:21], s[18:19]
	s_cbranch_execz .LBB246_213
.LBB246_268:
	v_sub_u32_e32 v3, v40, v2
	v_lshlrev_b32_e32 v3, 2, v3
	ds_write_b32 v3, v41
	s_or_b64 exec, exec, s[20:21]
	s_and_saveexec_b64 s[18:19], s[16:17]
	s_cbranch_execz .LBB246_214
.LBB246_269:
	v_sub_u32_e32 v3, v38, v2
	v_lshlrev_b32_e32 v3, 2, v3
	ds_write_b32 v3, v39
	s_or_b64 exec, exec, s[18:19]
	s_and_saveexec_b64 s[16:17], s[14:15]
	s_cbranch_execz .LBB246_215
.LBB246_270:
	v_sub_u32_e32 v3, v36, v2
	v_lshlrev_b32_e32 v3, 2, v3
	ds_write_b32 v3, v37
	s_or_b64 exec, exec, s[16:17]
	s_and_saveexec_b64 s[14:15], s[12:13]
	s_cbranch_execz .LBB246_216
.LBB246_271:
	v_sub_u32_e32 v3, v34, v2
	v_lshlrev_b32_e32 v3, 2, v3
	ds_write_b32 v3, v35
	s_or_b64 exec, exec, s[14:15]
	s_and_saveexec_b64 s[12:13], s[10:11]
	s_cbranch_execz .LBB246_217
.LBB246_272:
	v_sub_u32_e32 v3, v32, v2
	v_lshlrev_b32_e32 v3, 2, v3
	ds_write_b32 v3, v33
	s_or_b64 exec, exec, s[12:13]
	s_and_saveexec_b64 s[10:11], s[8:9]
	s_cbranch_execz .LBB246_218
.LBB246_273:
	v_sub_u32_e32 v3, v30, v2
	v_lshlrev_b32_e32 v3, 2, v3
	ds_write_b32 v3, v31
	s_or_b64 exec, exec, s[10:11]
	s_and_saveexec_b64 s[8:9], s[6:7]
	s_cbranch_execz .LBB246_219
.LBB246_274:
	v_sub_u32_e32 v3, v28, v2
	v_lshlrev_b32_e32 v3, 2, v3
	ds_write_b32 v3, v29
	s_or_b64 exec, exec, s[8:9]
	s_and_saveexec_b64 s[6:7], s[4:5]
	s_cbranch_execz .LBB246_220
.LBB246_275:
	v_sub_u32_e32 v3, v26, v2
	v_lshlrev_b32_e32 v3, 2, v3
	ds_write_b32 v3, v27
	s_or_b64 exec, exec, s[6:7]
	s_and_saveexec_b64 s[4:5], s[2:3]
	s_cbranch_execnz .LBB246_221
	s_branch .LBB246_222
	.section	.rodata,"a",@progbits
	.p2align	6, 0x0
	.amdhsa_kernel _ZN7rocprim17ROCPRIM_400000_NS6detail17trampoline_kernelINS0_14default_configENS1_33run_length_encode_config_selectorIajNS0_4plusIjEEEEZZNS1_33reduce_by_key_impl_wrapped_configILNS1_25lookback_scan_determinismE0ES3_S7_PKaNS0_17constant_iteratorIjlEEPaPlSF_S6_NS0_8equal_toIaEEEE10hipError_tPvRmT2_T3_mT4_T5_T6_T7_T8_P12ihipStream_tbENKUlT_T0_E_clISt17integral_constantIbLb1EESZ_EEDaSU_SV_EUlSU_E_NS1_11comp_targetILNS1_3genE4ELNS1_11target_archE910ELNS1_3gpuE8ELNS1_3repE0EEENS1_30default_config_static_selectorELNS0_4arch9wavefront6targetE1EEEvT1_
		.amdhsa_group_segment_fixed_size 15360
		.amdhsa_private_segment_fixed_size 0
		.amdhsa_kernarg_size 128
		.amdhsa_user_sgpr_count 6
		.amdhsa_user_sgpr_private_segment_buffer 1
		.amdhsa_user_sgpr_dispatch_ptr 0
		.amdhsa_user_sgpr_queue_ptr 0
		.amdhsa_user_sgpr_kernarg_segment_ptr 1
		.amdhsa_user_sgpr_dispatch_id 0
		.amdhsa_user_sgpr_flat_scratch_init 0
		.amdhsa_user_sgpr_kernarg_preload_length 0
		.amdhsa_user_sgpr_kernarg_preload_offset 0
		.amdhsa_user_sgpr_private_segment_size 0
		.amdhsa_uses_dynamic_stack 0
		.amdhsa_system_sgpr_private_segment_wavefront_offset 0
		.amdhsa_system_sgpr_workgroup_id_x 1
		.amdhsa_system_sgpr_workgroup_id_y 0
		.amdhsa_system_sgpr_workgroup_id_z 0
		.amdhsa_system_sgpr_workgroup_info 0
		.amdhsa_system_vgpr_workitem_id 0
		.amdhsa_next_free_vgpr 115
		.amdhsa_next_free_sgpr 66
		.amdhsa_accum_offset 116
		.amdhsa_reserve_vcc 1
		.amdhsa_reserve_flat_scratch 0
		.amdhsa_float_round_mode_32 0
		.amdhsa_float_round_mode_16_64 0
		.amdhsa_float_denorm_mode_32 3
		.amdhsa_float_denorm_mode_16_64 3
		.amdhsa_dx10_clamp 1
		.amdhsa_ieee_mode 1
		.amdhsa_fp16_overflow 0
		.amdhsa_tg_split 0
		.amdhsa_exception_fp_ieee_invalid_op 0
		.amdhsa_exception_fp_denorm_src 0
		.amdhsa_exception_fp_ieee_div_zero 0
		.amdhsa_exception_fp_ieee_overflow 0
		.amdhsa_exception_fp_ieee_underflow 0
		.amdhsa_exception_fp_ieee_inexact 0
		.amdhsa_exception_int_div_zero 0
	.end_amdhsa_kernel
	.section	.text._ZN7rocprim17ROCPRIM_400000_NS6detail17trampoline_kernelINS0_14default_configENS1_33run_length_encode_config_selectorIajNS0_4plusIjEEEEZZNS1_33reduce_by_key_impl_wrapped_configILNS1_25lookback_scan_determinismE0ES3_S7_PKaNS0_17constant_iteratorIjlEEPaPlSF_S6_NS0_8equal_toIaEEEE10hipError_tPvRmT2_T3_mT4_T5_T6_T7_T8_P12ihipStream_tbENKUlT_T0_E_clISt17integral_constantIbLb1EESZ_EEDaSU_SV_EUlSU_E_NS1_11comp_targetILNS1_3genE4ELNS1_11target_archE910ELNS1_3gpuE8ELNS1_3repE0EEENS1_30default_config_static_selectorELNS0_4arch9wavefront6targetE1EEEvT1_,"axG",@progbits,_ZN7rocprim17ROCPRIM_400000_NS6detail17trampoline_kernelINS0_14default_configENS1_33run_length_encode_config_selectorIajNS0_4plusIjEEEEZZNS1_33reduce_by_key_impl_wrapped_configILNS1_25lookback_scan_determinismE0ES3_S7_PKaNS0_17constant_iteratorIjlEEPaPlSF_S6_NS0_8equal_toIaEEEE10hipError_tPvRmT2_T3_mT4_T5_T6_T7_T8_P12ihipStream_tbENKUlT_T0_E_clISt17integral_constantIbLb1EESZ_EEDaSU_SV_EUlSU_E_NS1_11comp_targetILNS1_3genE4ELNS1_11target_archE910ELNS1_3gpuE8ELNS1_3repE0EEENS1_30default_config_static_selectorELNS0_4arch9wavefront6targetE1EEEvT1_,comdat
.Lfunc_end246:
	.size	_ZN7rocprim17ROCPRIM_400000_NS6detail17trampoline_kernelINS0_14default_configENS1_33run_length_encode_config_selectorIajNS0_4plusIjEEEEZZNS1_33reduce_by_key_impl_wrapped_configILNS1_25lookback_scan_determinismE0ES3_S7_PKaNS0_17constant_iteratorIjlEEPaPlSF_S6_NS0_8equal_toIaEEEE10hipError_tPvRmT2_T3_mT4_T5_T6_T7_T8_P12ihipStream_tbENKUlT_T0_E_clISt17integral_constantIbLb1EESZ_EEDaSU_SV_EUlSU_E_NS1_11comp_targetILNS1_3genE4ELNS1_11target_archE910ELNS1_3gpuE8ELNS1_3repE0EEENS1_30default_config_static_selectorELNS0_4arch9wavefront6targetE1EEEvT1_, .Lfunc_end246-_ZN7rocprim17ROCPRIM_400000_NS6detail17trampoline_kernelINS0_14default_configENS1_33run_length_encode_config_selectorIajNS0_4plusIjEEEEZZNS1_33reduce_by_key_impl_wrapped_configILNS1_25lookback_scan_determinismE0ES3_S7_PKaNS0_17constant_iteratorIjlEEPaPlSF_S6_NS0_8equal_toIaEEEE10hipError_tPvRmT2_T3_mT4_T5_T6_T7_T8_P12ihipStream_tbENKUlT_T0_E_clISt17integral_constantIbLb1EESZ_EEDaSU_SV_EUlSU_E_NS1_11comp_targetILNS1_3genE4ELNS1_11target_archE910ELNS1_3gpuE8ELNS1_3repE0EEENS1_30default_config_static_selectorELNS0_4arch9wavefront6targetE1EEEvT1_
                                        ; -- End function
	.section	.AMDGPU.csdata,"",@progbits
; Kernel info:
; codeLenInByte = 14896
; NumSgprs: 70
; NumVgprs: 115
; NumAgprs: 0
; TotalNumVgprs: 115
; ScratchSize: 0
; MemoryBound: 0
; FloatMode: 240
; IeeeMode: 1
; LDSByteSize: 15360 bytes/workgroup (compile time only)
; SGPRBlocks: 8
; VGPRBlocks: 14
; NumSGPRsForWavesPerEU: 70
; NumVGPRsForWavesPerEU: 115
; AccumOffset: 116
; Occupancy: 4
; WaveLimiterHint : 1
; COMPUTE_PGM_RSRC2:SCRATCH_EN: 0
; COMPUTE_PGM_RSRC2:USER_SGPR: 6
; COMPUTE_PGM_RSRC2:TRAP_HANDLER: 0
; COMPUTE_PGM_RSRC2:TGID_X_EN: 1
; COMPUTE_PGM_RSRC2:TGID_Y_EN: 0
; COMPUTE_PGM_RSRC2:TGID_Z_EN: 0
; COMPUTE_PGM_RSRC2:TIDIG_COMP_CNT: 0
; COMPUTE_PGM_RSRC3_GFX90A:ACCUM_OFFSET: 28
; COMPUTE_PGM_RSRC3_GFX90A:TG_SPLIT: 0
	.section	.text._ZN7rocprim17ROCPRIM_400000_NS6detail17trampoline_kernelINS0_14default_configENS1_33run_length_encode_config_selectorIajNS0_4plusIjEEEEZZNS1_33reduce_by_key_impl_wrapped_configILNS1_25lookback_scan_determinismE0ES3_S7_PKaNS0_17constant_iteratorIjlEEPaPlSF_S6_NS0_8equal_toIaEEEE10hipError_tPvRmT2_T3_mT4_T5_T6_T7_T8_P12ihipStream_tbENKUlT_T0_E_clISt17integral_constantIbLb1EESZ_EEDaSU_SV_EUlSU_E_NS1_11comp_targetILNS1_3genE3ELNS1_11target_archE908ELNS1_3gpuE7ELNS1_3repE0EEENS1_30default_config_static_selectorELNS0_4arch9wavefront6targetE1EEEvT1_,"axG",@progbits,_ZN7rocprim17ROCPRIM_400000_NS6detail17trampoline_kernelINS0_14default_configENS1_33run_length_encode_config_selectorIajNS0_4plusIjEEEEZZNS1_33reduce_by_key_impl_wrapped_configILNS1_25lookback_scan_determinismE0ES3_S7_PKaNS0_17constant_iteratorIjlEEPaPlSF_S6_NS0_8equal_toIaEEEE10hipError_tPvRmT2_T3_mT4_T5_T6_T7_T8_P12ihipStream_tbENKUlT_T0_E_clISt17integral_constantIbLb1EESZ_EEDaSU_SV_EUlSU_E_NS1_11comp_targetILNS1_3genE3ELNS1_11target_archE908ELNS1_3gpuE7ELNS1_3repE0EEENS1_30default_config_static_selectorELNS0_4arch9wavefront6targetE1EEEvT1_,comdat
	.protected	_ZN7rocprim17ROCPRIM_400000_NS6detail17trampoline_kernelINS0_14default_configENS1_33run_length_encode_config_selectorIajNS0_4plusIjEEEEZZNS1_33reduce_by_key_impl_wrapped_configILNS1_25lookback_scan_determinismE0ES3_S7_PKaNS0_17constant_iteratorIjlEEPaPlSF_S6_NS0_8equal_toIaEEEE10hipError_tPvRmT2_T3_mT4_T5_T6_T7_T8_P12ihipStream_tbENKUlT_T0_E_clISt17integral_constantIbLb1EESZ_EEDaSU_SV_EUlSU_E_NS1_11comp_targetILNS1_3genE3ELNS1_11target_archE908ELNS1_3gpuE7ELNS1_3repE0EEENS1_30default_config_static_selectorELNS0_4arch9wavefront6targetE1EEEvT1_ ; -- Begin function _ZN7rocprim17ROCPRIM_400000_NS6detail17trampoline_kernelINS0_14default_configENS1_33run_length_encode_config_selectorIajNS0_4plusIjEEEEZZNS1_33reduce_by_key_impl_wrapped_configILNS1_25lookback_scan_determinismE0ES3_S7_PKaNS0_17constant_iteratorIjlEEPaPlSF_S6_NS0_8equal_toIaEEEE10hipError_tPvRmT2_T3_mT4_T5_T6_T7_T8_P12ihipStream_tbENKUlT_T0_E_clISt17integral_constantIbLb1EESZ_EEDaSU_SV_EUlSU_E_NS1_11comp_targetILNS1_3genE3ELNS1_11target_archE908ELNS1_3gpuE7ELNS1_3repE0EEENS1_30default_config_static_selectorELNS0_4arch9wavefront6targetE1EEEvT1_
	.globl	_ZN7rocprim17ROCPRIM_400000_NS6detail17trampoline_kernelINS0_14default_configENS1_33run_length_encode_config_selectorIajNS0_4plusIjEEEEZZNS1_33reduce_by_key_impl_wrapped_configILNS1_25lookback_scan_determinismE0ES3_S7_PKaNS0_17constant_iteratorIjlEEPaPlSF_S6_NS0_8equal_toIaEEEE10hipError_tPvRmT2_T3_mT4_T5_T6_T7_T8_P12ihipStream_tbENKUlT_T0_E_clISt17integral_constantIbLb1EESZ_EEDaSU_SV_EUlSU_E_NS1_11comp_targetILNS1_3genE3ELNS1_11target_archE908ELNS1_3gpuE7ELNS1_3repE0EEENS1_30default_config_static_selectorELNS0_4arch9wavefront6targetE1EEEvT1_
	.p2align	8
	.type	_ZN7rocprim17ROCPRIM_400000_NS6detail17trampoline_kernelINS0_14default_configENS1_33run_length_encode_config_selectorIajNS0_4plusIjEEEEZZNS1_33reduce_by_key_impl_wrapped_configILNS1_25lookback_scan_determinismE0ES3_S7_PKaNS0_17constant_iteratorIjlEEPaPlSF_S6_NS0_8equal_toIaEEEE10hipError_tPvRmT2_T3_mT4_T5_T6_T7_T8_P12ihipStream_tbENKUlT_T0_E_clISt17integral_constantIbLb1EESZ_EEDaSU_SV_EUlSU_E_NS1_11comp_targetILNS1_3genE3ELNS1_11target_archE908ELNS1_3gpuE7ELNS1_3repE0EEENS1_30default_config_static_selectorELNS0_4arch9wavefront6targetE1EEEvT1_,@function
_ZN7rocprim17ROCPRIM_400000_NS6detail17trampoline_kernelINS0_14default_configENS1_33run_length_encode_config_selectorIajNS0_4plusIjEEEEZZNS1_33reduce_by_key_impl_wrapped_configILNS1_25lookback_scan_determinismE0ES3_S7_PKaNS0_17constant_iteratorIjlEEPaPlSF_S6_NS0_8equal_toIaEEEE10hipError_tPvRmT2_T3_mT4_T5_T6_T7_T8_P12ihipStream_tbENKUlT_T0_E_clISt17integral_constantIbLb1EESZ_EEDaSU_SV_EUlSU_E_NS1_11comp_targetILNS1_3genE3ELNS1_11target_archE908ELNS1_3gpuE7ELNS1_3repE0EEENS1_30default_config_static_selectorELNS0_4arch9wavefront6targetE1EEEvT1_: ; @_ZN7rocprim17ROCPRIM_400000_NS6detail17trampoline_kernelINS0_14default_configENS1_33run_length_encode_config_selectorIajNS0_4plusIjEEEEZZNS1_33reduce_by_key_impl_wrapped_configILNS1_25lookback_scan_determinismE0ES3_S7_PKaNS0_17constant_iteratorIjlEEPaPlSF_S6_NS0_8equal_toIaEEEE10hipError_tPvRmT2_T3_mT4_T5_T6_T7_T8_P12ihipStream_tbENKUlT_T0_E_clISt17integral_constantIbLb1EESZ_EEDaSU_SV_EUlSU_E_NS1_11comp_targetILNS1_3genE3ELNS1_11target_archE908ELNS1_3gpuE7ELNS1_3repE0EEENS1_30default_config_static_selectorELNS0_4arch9wavefront6targetE1EEEvT1_
; %bb.0:
	.section	.rodata,"a",@progbits
	.p2align	6, 0x0
	.amdhsa_kernel _ZN7rocprim17ROCPRIM_400000_NS6detail17trampoline_kernelINS0_14default_configENS1_33run_length_encode_config_selectorIajNS0_4plusIjEEEEZZNS1_33reduce_by_key_impl_wrapped_configILNS1_25lookback_scan_determinismE0ES3_S7_PKaNS0_17constant_iteratorIjlEEPaPlSF_S6_NS0_8equal_toIaEEEE10hipError_tPvRmT2_T3_mT4_T5_T6_T7_T8_P12ihipStream_tbENKUlT_T0_E_clISt17integral_constantIbLb1EESZ_EEDaSU_SV_EUlSU_E_NS1_11comp_targetILNS1_3genE3ELNS1_11target_archE908ELNS1_3gpuE7ELNS1_3repE0EEENS1_30default_config_static_selectorELNS0_4arch9wavefront6targetE1EEEvT1_
		.amdhsa_group_segment_fixed_size 0
		.amdhsa_private_segment_fixed_size 0
		.amdhsa_kernarg_size 128
		.amdhsa_user_sgpr_count 6
		.amdhsa_user_sgpr_private_segment_buffer 1
		.amdhsa_user_sgpr_dispatch_ptr 0
		.amdhsa_user_sgpr_queue_ptr 0
		.amdhsa_user_sgpr_kernarg_segment_ptr 1
		.amdhsa_user_sgpr_dispatch_id 0
		.amdhsa_user_sgpr_flat_scratch_init 0
		.amdhsa_user_sgpr_kernarg_preload_length 0
		.amdhsa_user_sgpr_kernarg_preload_offset 0
		.amdhsa_user_sgpr_private_segment_size 0
		.amdhsa_uses_dynamic_stack 0
		.amdhsa_system_sgpr_private_segment_wavefront_offset 0
		.amdhsa_system_sgpr_workgroup_id_x 1
		.amdhsa_system_sgpr_workgroup_id_y 0
		.amdhsa_system_sgpr_workgroup_id_z 0
		.amdhsa_system_sgpr_workgroup_info 0
		.amdhsa_system_vgpr_workitem_id 0
		.amdhsa_next_free_vgpr 1
		.amdhsa_next_free_sgpr 0
		.amdhsa_accum_offset 4
		.amdhsa_reserve_vcc 0
		.amdhsa_reserve_flat_scratch 0
		.amdhsa_float_round_mode_32 0
		.amdhsa_float_round_mode_16_64 0
		.amdhsa_float_denorm_mode_32 3
		.amdhsa_float_denorm_mode_16_64 3
		.amdhsa_dx10_clamp 1
		.amdhsa_ieee_mode 1
		.amdhsa_fp16_overflow 0
		.amdhsa_tg_split 0
		.amdhsa_exception_fp_ieee_invalid_op 0
		.amdhsa_exception_fp_denorm_src 0
		.amdhsa_exception_fp_ieee_div_zero 0
		.amdhsa_exception_fp_ieee_overflow 0
		.amdhsa_exception_fp_ieee_underflow 0
		.amdhsa_exception_fp_ieee_inexact 0
		.amdhsa_exception_int_div_zero 0
	.end_amdhsa_kernel
	.section	.text._ZN7rocprim17ROCPRIM_400000_NS6detail17trampoline_kernelINS0_14default_configENS1_33run_length_encode_config_selectorIajNS0_4plusIjEEEEZZNS1_33reduce_by_key_impl_wrapped_configILNS1_25lookback_scan_determinismE0ES3_S7_PKaNS0_17constant_iteratorIjlEEPaPlSF_S6_NS0_8equal_toIaEEEE10hipError_tPvRmT2_T3_mT4_T5_T6_T7_T8_P12ihipStream_tbENKUlT_T0_E_clISt17integral_constantIbLb1EESZ_EEDaSU_SV_EUlSU_E_NS1_11comp_targetILNS1_3genE3ELNS1_11target_archE908ELNS1_3gpuE7ELNS1_3repE0EEENS1_30default_config_static_selectorELNS0_4arch9wavefront6targetE1EEEvT1_,"axG",@progbits,_ZN7rocprim17ROCPRIM_400000_NS6detail17trampoline_kernelINS0_14default_configENS1_33run_length_encode_config_selectorIajNS0_4plusIjEEEEZZNS1_33reduce_by_key_impl_wrapped_configILNS1_25lookback_scan_determinismE0ES3_S7_PKaNS0_17constant_iteratorIjlEEPaPlSF_S6_NS0_8equal_toIaEEEE10hipError_tPvRmT2_T3_mT4_T5_T6_T7_T8_P12ihipStream_tbENKUlT_T0_E_clISt17integral_constantIbLb1EESZ_EEDaSU_SV_EUlSU_E_NS1_11comp_targetILNS1_3genE3ELNS1_11target_archE908ELNS1_3gpuE7ELNS1_3repE0EEENS1_30default_config_static_selectorELNS0_4arch9wavefront6targetE1EEEvT1_,comdat
.Lfunc_end247:
	.size	_ZN7rocprim17ROCPRIM_400000_NS6detail17trampoline_kernelINS0_14default_configENS1_33run_length_encode_config_selectorIajNS0_4plusIjEEEEZZNS1_33reduce_by_key_impl_wrapped_configILNS1_25lookback_scan_determinismE0ES3_S7_PKaNS0_17constant_iteratorIjlEEPaPlSF_S6_NS0_8equal_toIaEEEE10hipError_tPvRmT2_T3_mT4_T5_T6_T7_T8_P12ihipStream_tbENKUlT_T0_E_clISt17integral_constantIbLb1EESZ_EEDaSU_SV_EUlSU_E_NS1_11comp_targetILNS1_3genE3ELNS1_11target_archE908ELNS1_3gpuE7ELNS1_3repE0EEENS1_30default_config_static_selectorELNS0_4arch9wavefront6targetE1EEEvT1_, .Lfunc_end247-_ZN7rocprim17ROCPRIM_400000_NS6detail17trampoline_kernelINS0_14default_configENS1_33run_length_encode_config_selectorIajNS0_4plusIjEEEEZZNS1_33reduce_by_key_impl_wrapped_configILNS1_25lookback_scan_determinismE0ES3_S7_PKaNS0_17constant_iteratorIjlEEPaPlSF_S6_NS0_8equal_toIaEEEE10hipError_tPvRmT2_T3_mT4_T5_T6_T7_T8_P12ihipStream_tbENKUlT_T0_E_clISt17integral_constantIbLb1EESZ_EEDaSU_SV_EUlSU_E_NS1_11comp_targetILNS1_3genE3ELNS1_11target_archE908ELNS1_3gpuE7ELNS1_3repE0EEENS1_30default_config_static_selectorELNS0_4arch9wavefront6targetE1EEEvT1_
                                        ; -- End function
	.section	.AMDGPU.csdata,"",@progbits
; Kernel info:
; codeLenInByte = 0
; NumSgprs: 4
; NumVgprs: 0
; NumAgprs: 0
; TotalNumVgprs: 0
; ScratchSize: 0
; MemoryBound: 0
; FloatMode: 240
; IeeeMode: 1
; LDSByteSize: 0 bytes/workgroup (compile time only)
; SGPRBlocks: 0
; VGPRBlocks: 0
; NumSGPRsForWavesPerEU: 4
; NumVGPRsForWavesPerEU: 1
; AccumOffset: 4
; Occupancy: 8
; WaveLimiterHint : 0
; COMPUTE_PGM_RSRC2:SCRATCH_EN: 0
; COMPUTE_PGM_RSRC2:USER_SGPR: 6
; COMPUTE_PGM_RSRC2:TRAP_HANDLER: 0
; COMPUTE_PGM_RSRC2:TGID_X_EN: 1
; COMPUTE_PGM_RSRC2:TGID_Y_EN: 0
; COMPUTE_PGM_RSRC2:TGID_Z_EN: 0
; COMPUTE_PGM_RSRC2:TIDIG_COMP_CNT: 0
; COMPUTE_PGM_RSRC3_GFX90A:ACCUM_OFFSET: 0
; COMPUTE_PGM_RSRC3_GFX90A:TG_SPLIT: 0
	.section	.text._ZN7rocprim17ROCPRIM_400000_NS6detail17trampoline_kernelINS0_14default_configENS1_33run_length_encode_config_selectorIajNS0_4plusIjEEEEZZNS1_33reduce_by_key_impl_wrapped_configILNS1_25lookback_scan_determinismE0ES3_S7_PKaNS0_17constant_iteratorIjlEEPaPlSF_S6_NS0_8equal_toIaEEEE10hipError_tPvRmT2_T3_mT4_T5_T6_T7_T8_P12ihipStream_tbENKUlT_T0_E_clISt17integral_constantIbLb1EESZ_EEDaSU_SV_EUlSU_E_NS1_11comp_targetILNS1_3genE2ELNS1_11target_archE906ELNS1_3gpuE6ELNS1_3repE0EEENS1_30default_config_static_selectorELNS0_4arch9wavefront6targetE1EEEvT1_,"axG",@progbits,_ZN7rocprim17ROCPRIM_400000_NS6detail17trampoline_kernelINS0_14default_configENS1_33run_length_encode_config_selectorIajNS0_4plusIjEEEEZZNS1_33reduce_by_key_impl_wrapped_configILNS1_25lookback_scan_determinismE0ES3_S7_PKaNS0_17constant_iteratorIjlEEPaPlSF_S6_NS0_8equal_toIaEEEE10hipError_tPvRmT2_T3_mT4_T5_T6_T7_T8_P12ihipStream_tbENKUlT_T0_E_clISt17integral_constantIbLb1EESZ_EEDaSU_SV_EUlSU_E_NS1_11comp_targetILNS1_3genE2ELNS1_11target_archE906ELNS1_3gpuE6ELNS1_3repE0EEENS1_30default_config_static_selectorELNS0_4arch9wavefront6targetE1EEEvT1_,comdat
	.protected	_ZN7rocprim17ROCPRIM_400000_NS6detail17trampoline_kernelINS0_14default_configENS1_33run_length_encode_config_selectorIajNS0_4plusIjEEEEZZNS1_33reduce_by_key_impl_wrapped_configILNS1_25lookback_scan_determinismE0ES3_S7_PKaNS0_17constant_iteratorIjlEEPaPlSF_S6_NS0_8equal_toIaEEEE10hipError_tPvRmT2_T3_mT4_T5_T6_T7_T8_P12ihipStream_tbENKUlT_T0_E_clISt17integral_constantIbLb1EESZ_EEDaSU_SV_EUlSU_E_NS1_11comp_targetILNS1_3genE2ELNS1_11target_archE906ELNS1_3gpuE6ELNS1_3repE0EEENS1_30default_config_static_selectorELNS0_4arch9wavefront6targetE1EEEvT1_ ; -- Begin function _ZN7rocprim17ROCPRIM_400000_NS6detail17trampoline_kernelINS0_14default_configENS1_33run_length_encode_config_selectorIajNS0_4plusIjEEEEZZNS1_33reduce_by_key_impl_wrapped_configILNS1_25lookback_scan_determinismE0ES3_S7_PKaNS0_17constant_iteratorIjlEEPaPlSF_S6_NS0_8equal_toIaEEEE10hipError_tPvRmT2_T3_mT4_T5_T6_T7_T8_P12ihipStream_tbENKUlT_T0_E_clISt17integral_constantIbLb1EESZ_EEDaSU_SV_EUlSU_E_NS1_11comp_targetILNS1_3genE2ELNS1_11target_archE906ELNS1_3gpuE6ELNS1_3repE0EEENS1_30default_config_static_selectorELNS0_4arch9wavefront6targetE1EEEvT1_
	.globl	_ZN7rocprim17ROCPRIM_400000_NS6detail17trampoline_kernelINS0_14default_configENS1_33run_length_encode_config_selectorIajNS0_4plusIjEEEEZZNS1_33reduce_by_key_impl_wrapped_configILNS1_25lookback_scan_determinismE0ES3_S7_PKaNS0_17constant_iteratorIjlEEPaPlSF_S6_NS0_8equal_toIaEEEE10hipError_tPvRmT2_T3_mT4_T5_T6_T7_T8_P12ihipStream_tbENKUlT_T0_E_clISt17integral_constantIbLb1EESZ_EEDaSU_SV_EUlSU_E_NS1_11comp_targetILNS1_3genE2ELNS1_11target_archE906ELNS1_3gpuE6ELNS1_3repE0EEENS1_30default_config_static_selectorELNS0_4arch9wavefront6targetE1EEEvT1_
	.p2align	8
	.type	_ZN7rocprim17ROCPRIM_400000_NS6detail17trampoline_kernelINS0_14default_configENS1_33run_length_encode_config_selectorIajNS0_4plusIjEEEEZZNS1_33reduce_by_key_impl_wrapped_configILNS1_25lookback_scan_determinismE0ES3_S7_PKaNS0_17constant_iteratorIjlEEPaPlSF_S6_NS0_8equal_toIaEEEE10hipError_tPvRmT2_T3_mT4_T5_T6_T7_T8_P12ihipStream_tbENKUlT_T0_E_clISt17integral_constantIbLb1EESZ_EEDaSU_SV_EUlSU_E_NS1_11comp_targetILNS1_3genE2ELNS1_11target_archE906ELNS1_3gpuE6ELNS1_3repE0EEENS1_30default_config_static_selectorELNS0_4arch9wavefront6targetE1EEEvT1_,@function
_ZN7rocprim17ROCPRIM_400000_NS6detail17trampoline_kernelINS0_14default_configENS1_33run_length_encode_config_selectorIajNS0_4plusIjEEEEZZNS1_33reduce_by_key_impl_wrapped_configILNS1_25lookback_scan_determinismE0ES3_S7_PKaNS0_17constant_iteratorIjlEEPaPlSF_S6_NS0_8equal_toIaEEEE10hipError_tPvRmT2_T3_mT4_T5_T6_T7_T8_P12ihipStream_tbENKUlT_T0_E_clISt17integral_constantIbLb1EESZ_EEDaSU_SV_EUlSU_E_NS1_11comp_targetILNS1_3genE2ELNS1_11target_archE906ELNS1_3gpuE6ELNS1_3repE0EEENS1_30default_config_static_selectorELNS0_4arch9wavefront6targetE1EEEvT1_: ; @_ZN7rocprim17ROCPRIM_400000_NS6detail17trampoline_kernelINS0_14default_configENS1_33run_length_encode_config_selectorIajNS0_4plusIjEEEEZZNS1_33reduce_by_key_impl_wrapped_configILNS1_25lookback_scan_determinismE0ES3_S7_PKaNS0_17constant_iteratorIjlEEPaPlSF_S6_NS0_8equal_toIaEEEE10hipError_tPvRmT2_T3_mT4_T5_T6_T7_T8_P12ihipStream_tbENKUlT_T0_E_clISt17integral_constantIbLb1EESZ_EEDaSU_SV_EUlSU_E_NS1_11comp_targetILNS1_3genE2ELNS1_11target_archE906ELNS1_3gpuE6ELNS1_3repE0EEENS1_30default_config_static_selectorELNS0_4arch9wavefront6targetE1EEEvT1_
; %bb.0:
	.section	.rodata,"a",@progbits
	.p2align	6, 0x0
	.amdhsa_kernel _ZN7rocprim17ROCPRIM_400000_NS6detail17trampoline_kernelINS0_14default_configENS1_33run_length_encode_config_selectorIajNS0_4plusIjEEEEZZNS1_33reduce_by_key_impl_wrapped_configILNS1_25lookback_scan_determinismE0ES3_S7_PKaNS0_17constant_iteratorIjlEEPaPlSF_S6_NS0_8equal_toIaEEEE10hipError_tPvRmT2_T3_mT4_T5_T6_T7_T8_P12ihipStream_tbENKUlT_T0_E_clISt17integral_constantIbLb1EESZ_EEDaSU_SV_EUlSU_E_NS1_11comp_targetILNS1_3genE2ELNS1_11target_archE906ELNS1_3gpuE6ELNS1_3repE0EEENS1_30default_config_static_selectorELNS0_4arch9wavefront6targetE1EEEvT1_
		.amdhsa_group_segment_fixed_size 0
		.amdhsa_private_segment_fixed_size 0
		.amdhsa_kernarg_size 128
		.amdhsa_user_sgpr_count 6
		.amdhsa_user_sgpr_private_segment_buffer 1
		.amdhsa_user_sgpr_dispatch_ptr 0
		.amdhsa_user_sgpr_queue_ptr 0
		.amdhsa_user_sgpr_kernarg_segment_ptr 1
		.amdhsa_user_sgpr_dispatch_id 0
		.amdhsa_user_sgpr_flat_scratch_init 0
		.amdhsa_user_sgpr_kernarg_preload_length 0
		.amdhsa_user_sgpr_kernarg_preload_offset 0
		.amdhsa_user_sgpr_private_segment_size 0
		.amdhsa_uses_dynamic_stack 0
		.amdhsa_system_sgpr_private_segment_wavefront_offset 0
		.amdhsa_system_sgpr_workgroup_id_x 1
		.amdhsa_system_sgpr_workgroup_id_y 0
		.amdhsa_system_sgpr_workgroup_id_z 0
		.amdhsa_system_sgpr_workgroup_info 0
		.amdhsa_system_vgpr_workitem_id 0
		.amdhsa_next_free_vgpr 1
		.amdhsa_next_free_sgpr 0
		.amdhsa_accum_offset 4
		.amdhsa_reserve_vcc 0
		.amdhsa_reserve_flat_scratch 0
		.amdhsa_float_round_mode_32 0
		.amdhsa_float_round_mode_16_64 0
		.amdhsa_float_denorm_mode_32 3
		.amdhsa_float_denorm_mode_16_64 3
		.amdhsa_dx10_clamp 1
		.amdhsa_ieee_mode 1
		.amdhsa_fp16_overflow 0
		.amdhsa_tg_split 0
		.amdhsa_exception_fp_ieee_invalid_op 0
		.amdhsa_exception_fp_denorm_src 0
		.amdhsa_exception_fp_ieee_div_zero 0
		.amdhsa_exception_fp_ieee_overflow 0
		.amdhsa_exception_fp_ieee_underflow 0
		.amdhsa_exception_fp_ieee_inexact 0
		.amdhsa_exception_int_div_zero 0
	.end_amdhsa_kernel
	.section	.text._ZN7rocprim17ROCPRIM_400000_NS6detail17trampoline_kernelINS0_14default_configENS1_33run_length_encode_config_selectorIajNS0_4plusIjEEEEZZNS1_33reduce_by_key_impl_wrapped_configILNS1_25lookback_scan_determinismE0ES3_S7_PKaNS0_17constant_iteratorIjlEEPaPlSF_S6_NS0_8equal_toIaEEEE10hipError_tPvRmT2_T3_mT4_T5_T6_T7_T8_P12ihipStream_tbENKUlT_T0_E_clISt17integral_constantIbLb1EESZ_EEDaSU_SV_EUlSU_E_NS1_11comp_targetILNS1_3genE2ELNS1_11target_archE906ELNS1_3gpuE6ELNS1_3repE0EEENS1_30default_config_static_selectorELNS0_4arch9wavefront6targetE1EEEvT1_,"axG",@progbits,_ZN7rocprim17ROCPRIM_400000_NS6detail17trampoline_kernelINS0_14default_configENS1_33run_length_encode_config_selectorIajNS0_4plusIjEEEEZZNS1_33reduce_by_key_impl_wrapped_configILNS1_25lookback_scan_determinismE0ES3_S7_PKaNS0_17constant_iteratorIjlEEPaPlSF_S6_NS0_8equal_toIaEEEE10hipError_tPvRmT2_T3_mT4_T5_T6_T7_T8_P12ihipStream_tbENKUlT_T0_E_clISt17integral_constantIbLb1EESZ_EEDaSU_SV_EUlSU_E_NS1_11comp_targetILNS1_3genE2ELNS1_11target_archE906ELNS1_3gpuE6ELNS1_3repE0EEENS1_30default_config_static_selectorELNS0_4arch9wavefront6targetE1EEEvT1_,comdat
.Lfunc_end248:
	.size	_ZN7rocprim17ROCPRIM_400000_NS6detail17trampoline_kernelINS0_14default_configENS1_33run_length_encode_config_selectorIajNS0_4plusIjEEEEZZNS1_33reduce_by_key_impl_wrapped_configILNS1_25lookback_scan_determinismE0ES3_S7_PKaNS0_17constant_iteratorIjlEEPaPlSF_S6_NS0_8equal_toIaEEEE10hipError_tPvRmT2_T3_mT4_T5_T6_T7_T8_P12ihipStream_tbENKUlT_T0_E_clISt17integral_constantIbLb1EESZ_EEDaSU_SV_EUlSU_E_NS1_11comp_targetILNS1_3genE2ELNS1_11target_archE906ELNS1_3gpuE6ELNS1_3repE0EEENS1_30default_config_static_selectorELNS0_4arch9wavefront6targetE1EEEvT1_, .Lfunc_end248-_ZN7rocprim17ROCPRIM_400000_NS6detail17trampoline_kernelINS0_14default_configENS1_33run_length_encode_config_selectorIajNS0_4plusIjEEEEZZNS1_33reduce_by_key_impl_wrapped_configILNS1_25lookback_scan_determinismE0ES3_S7_PKaNS0_17constant_iteratorIjlEEPaPlSF_S6_NS0_8equal_toIaEEEE10hipError_tPvRmT2_T3_mT4_T5_T6_T7_T8_P12ihipStream_tbENKUlT_T0_E_clISt17integral_constantIbLb1EESZ_EEDaSU_SV_EUlSU_E_NS1_11comp_targetILNS1_3genE2ELNS1_11target_archE906ELNS1_3gpuE6ELNS1_3repE0EEENS1_30default_config_static_selectorELNS0_4arch9wavefront6targetE1EEEvT1_
                                        ; -- End function
	.section	.AMDGPU.csdata,"",@progbits
; Kernel info:
; codeLenInByte = 0
; NumSgprs: 4
; NumVgprs: 0
; NumAgprs: 0
; TotalNumVgprs: 0
; ScratchSize: 0
; MemoryBound: 0
; FloatMode: 240
; IeeeMode: 1
; LDSByteSize: 0 bytes/workgroup (compile time only)
; SGPRBlocks: 0
; VGPRBlocks: 0
; NumSGPRsForWavesPerEU: 4
; NumVGPRsForWavesPerEU: 1
; AccumOffset: 4
; Occupancy: 8
; WaveLimiterHint : 0
; COMPUTE_PGM_RSRC2:SCRATCH_EN: 0
; COMPUTE_PGM_RSRC2:USER_SGPR: 6
; COMPUTE_PGM_RSRC2:TRAP_HANDLER: 0
; COMPUTE_PGM_RSRC2:TGID_X_EN: 1
; COMPUTE_PGM_RSRC2:TGID_Y_EN: 0
; COMPUTE_PGM_RSRC2:TGID_Z_EN: 0
; COMPUTE_PGM_RSRC2:TIDIG_COMP_CNT: 0
; COMPUTE_PGM_RSRC3_GFX90A:ACCUM_OFFSET: 0
; COMPUTE_PGM_RSRC3_GFX90A:TG_SPLIT: 0
	.section	.text._ZN7rocprim17ROCPRIM_400000_NS6detail17trampoline_kernelINS0_14default_configENS1_33run_length_encode_config_selectorIajNS0_4plusIjEEEEZZNS1_33reduce_by_key_impl_wrapped_configILNS1_25lookback_scan_determinismE0ES3_S7_PKaNS0_17constant_iteratorIjlEEPaPlSF_S6_NS0_8equal_toIaEEEE10hipError_tPvRmT2_T3_mT4_T5_T6_T7_T8_P12ihipStream_tbENKUlT_T0_E_clISt17integral_constantIbLb1EESZ_EEDaSU_SV_EUlSU_E_NS1_11comp_targetILNS1_3genE10ELNS1_11target_archE1201ELNS1_3gpuE5ELNS1_3repE0EEENS1_30default_config_static_selectorELNS0_4arch9wavefront6targetE1EEEvT1_,"axG",@progbits,_ZN7rocprim17ROCPRIM_400000_NS6detail17trampoline_kernelINS0_14default_configENS1_33run_length_encode_config_selectorIajNS0_4plusIjEEEEZZNS1_33reduce_by_key_impl_wrapped_configILNS1_25lookback_scan_determinismE0ES3_S7_PKaNS0_17constant_iteratorIjlEEPaPlSF_S6_NS0_8equal_toIaEEEE10hipError_tPvRmT2_T3_mT4_T5_T6_T7_T8_P12ihipStream_tbENKUlT_T0_E_clISt17integral_constantIbLb1EESZ_EEDaSU_SV_EUlSU_E_NS1_11comp_targetILNS1_3genE10ELNS1_11target_archE1201ELNS1_3gpuE5ELNS1_3repE0EEENS1_30default_config_static_selectorELNS0_4arch9wavefront6targetE1EEEvT1_,comdat
	.protected	_ZN7rocprim17ROCPRIM_400000_NS6detail17trampoline_kernelINS0_14default_configENS1_33run_length_encode_config_selectorIajNS0_4plusIjEEEEZZNS1_33reduce_by_key_impl_wrapped_configILNS1_25lookback_scan_determinismE0ES3_S7_PKaNS0_17constant_iteratorIjlEEPaPlSF_S6_NS0_8equal_toIaEEEE10hipError_tPvRmT2_T3_mT4_T5_T6_T7_T8_P12ihipStream_tbENKUlT_T0_E_clISt17integral_constantIbLb1EESZ_EEDaSU_SV_EUlSU_E_NS1_11comp_targetILNS1_3genE10ELNS1_11target_archE1201ELNS1_3gpuE5ELNS1_3repE0EEENS1_30default_config_static_selectorELNS0_4arch9wavefront6targetE1EEEvT1_ ; -- Begin function _ZN7rocprim17ROCPRIM_400000_NS6detail17trampoline_kernelINS0_14default_configENS1_33run_length_encode_config_selectorIajNS0_4plusIjEEEEZZNS1_33reduce_by_key_impl_wrapped_configILNS1_25lookback_scan_determinismE0ES3_S7_PKaNS0_17constant_iteratorIjlEEPaPlSF_S6_NS0_8equal_toIaEEEE10hipError_tPvRmT2_T3_mT4_T5_T6_T7_T8_P12ihipStream_tbENKUlT_T0_E_clISt17integral_constantIbLb1EESZ_EEDaSU_SV_EUlSU_E_NS1_11comp_targetILNS1_3genE10ELNS1_11target_archE1201ELNS1_3gpuE5ELNS1_3repE0EEENS1_30default_config_static_selectorELNS0_4arch9wavefront6targetE1EEEvT1_
	.globl	_ZN7rocprim17ROCPRIM_400000_NS6detail17trampoline_kernelINS0_14default_configENS1_33run_length_encode_config_selectorIajNS0_4plusIjEEEEZZNS1_33reduce_by_key_impl_wrapped_configILNS1_25lookback_scan_determinismE0ES3_S7_PKaNS0_17constant_iteratorIjlEEPaPlSF_S6_NS0_8equal_toIaEEEE10hipError_tPvRmT2_T3_mT4_T5_T6_T7_T8_P12ihipStream_tbENKUlT_T0_E_clISt17integral_constantIbLb1EESZ_EEDaSU_SV_EUlSU_E_NS1_11comp_targetILNS1_3genE10ELNS1_11target_archE1201ELNS1_3gpuE5ELNS1_3repE0EEENS1_30default_config_static_selectorELNS0_4arch9wavefront6targetE1EEEvT1_
	.p2align	8
	.type	_ZN7rocprim17ROCPRIM_400000_NS6detail17trampoline_kernelINS0_14default_configENS1_33run_length_encode_config_selectorIajNS0_4plusIjEEEEZZNS1_33reduce_by_key_impl_wrapped_configILNS1_25lookback_scan_determinismE0ES3_S7_PKaNS0_17constant_iteratorIjlEEPaPlSF_S6_NS0_8equal_toIaEEEE10hipError_tPvRmT2_T3_mT4_T5_T6_T7_T8_P12ihipStream_tbENKUlT_T0_E_clISt17integral_constantIbLb1EESZ_EEDaSU_SV_EUlSU_E_NS1_11comp_targetILNS1_3genE10ELNS1_11target_archE1201ELNS1_3gpuE5ELNS1_3repE0EEENS1_30default_config_static_selectorELNS0_4arch9wavefront6targetE1EEEvT1_,@function
_ZN7rocprim17ROCPRIM_400000_NS6detail17trampoline_kernelINS0_14default_configENS1_33run_length_encode_config_selectorIajNS0_4plusIjEEEEZZNS1_33reduce_by_key_impl_wrapped_configILNS1_25lookback_scan_determinismE0ES3_S7_PKaNS0_17constant_iteratorIjlEEPaPlSF_S6_NS0_8equal_toIaEEEE10hipError_tPvRmT2_T3_mT4_T5_T6_T7_T8_P12ihipStream_tbENKUlT_T0_E_clISt17integral_constantIbLb1EESZ_EEDaSU_SV_EUlSU_E_NS1_11comp_targetILNS1_3genE10ELNS1_11target_archE1201ELNS1_3gpuE5ELNS1_3repE0EEENS1_30default_config_static_selectorELNS0_4arch9wavefront6targetE1EEEvT1_: ; @_ZN7rocprim17ROCPRIM_400000_NS6detail17trampoline_kernelINS0_14default_configENS1_33run_length_encode_config_selectorIajNS0_4plusIjEEEEZZNS1_33reduce_by_key_impl_wrapped_configILNS1_25lookback_scan_determinismE0ES3_S7_PKaNS0_17constant_iteratorIjlEEPaPlSF_S6_NS0_8equal_toIaEEEE10hipError_tPvRmT2_T3_mT4_T5_T6_T7_T8_P12ihipStream_tbENKUlT_T0_E_clISt17integral_constantIbLb1EESZ_EEDaSU_SV_EUlSU_E_NS1_11comp_targetILNS1_3genE10ELNS1_11target_archE1201ELNS1_3gpuE5ELNS1_3repE0EEENS1_30default_config_static_selectorELNS0_4arch9wavefront6targetE1EEEvT1_
; %bb.0:
	.section	.rodata,"a",@progbits
	.p2align	6, 0x0
	.amdhsa_kernel _ZN7rocprim17ROCPRIM_400000_NS6detail17trampoline_kernelINS0_14default_configENS1_33run_length_encode_config_selectorIajNS0_4plusIjEEEEZZNS1_33reduce_by_key_impl_wrapped_configILNS1_25lookback_scan_determinismE0ES3_S7_PKaNS0_17constant_iteratorIjlEEPaPlSF_S6_NS0_8equal_toIaEEEE10hipError_tPvRmT2_T3_mT4_T5_T6_T7_T8_P12ihipStream_tbENKUlT_T0_E_clISt17integral_constantIbLb1EESZ_EEDaSU_SV_EUlSU_E_NS1_11comp_targetILNS1_3genE10ELNS1_11target_archE1201ELNS1_3gpuE5ELNS1_3repE0EEENS1_30default_config_static_selectorELNS0_4arch9wavefront6targetE1EEEvT1_
		.amdhsa_group_segment_fixed_size 0
		.amdhsa_private_segment_fixed_size 0
		.amdhsa_kernarg_size 128
		.amdhsa_user_sgpr_count 6
		.amdhsa_user_sgpr_private_segment_buffer 1
		.amdhsa_user_sgpr_dispatch_ptr 0
		.amdhsa_user_sgpr_queue_ptr 0
		.amdhsa_user_sgpr_kernarg_segment_ptr 1
		.amdhsa_user_sgpr_dispatch_id 0
		.amdhsa_user_sgpr_flat_scratch_init 0
		.amdhsa_user_sgpr_kernarg_preload_length 0
		.amdhsa_user_sgpr_kernarg_preload_offset 0
		.amdhsa_user_sgpr_private_segment_size 0
		.amdhsa_uses_dynamic_stack 0
		.amdhsa_system_sgpr_private_segment_wavefront_offset 0
		.amdhsa_system_sgpr_workgroup_id_x 1
		.amdhsa_system_sgpr_workgroup_id_y 0
		.amdhsa_system_sgpr_workgroup_id_z 0
		.amdhsa_system_sgpr_workgroup_info 0
		.amdhsa_system_vgpr_workitem_id 0
		.amdhsa_next_free_vgpr 1
		.amdhsa_next_free_sgpr 0
		.amdhsa_accum_offset 4
		.amdhsa_reserve_vcc 0
		.amdhsa_reserve_flat_scratch 0
		.amdhsa_float_round_mode_32 0
		.amdhsa_float_round_mode_16_64 0
		.amdhsa_float_denorm_mode_32 3
		.amdhsa_float_denorm_mode_16_64 3
		.amdhsa_dx10_clamp 1
		.amdhsa_ieee_mode 1
		.amdhsa_fp16_overflow 0
		.amdhsa_tg_split 0
		.amdhsa_exception_fp_ieee_invalid_op 0
		.amdhsa_exception_fp_denorm_src 0
		.amdhsa_exception_fp_ieee_div_zero 0
		.amdhsa_exception_fp_ieee_overflow 0
		.amdhsa_exception_fp_ieee_underflow 0
		.amdhsa_exception_fp_ieee_inexact 0
		.amdhsa_exception_int_div_zero 0
	.end_amdhsa_kernel
	.section	.text._ZN7rocprim17ROCPRIM_400000_NS6detail17trampoline_kernelINS0_14default_configENS1_33run_length_encode_config_selectorIajNS0_4plusIjEEEEZZNS1_33reduce_by_key_impl_wrapped_configILNS1_25lookback_scan_determinismE0ES3_S7_PKaNS0_17constant_iteratorIjlEEPaPlSF_S6_NS0_8equal_toIaEEEE10hipError_tPvRmT2_T3_mT4_T5_T6_T7_T8_P12ihipStream_tbENKUlT_T0_E_clISt17integral_constantIbLb1EESZ_EEDaSU_SV_EUlSU_E_NS1_11comp_targetILNS1_3genE10ELNS1_11target_archE1201ELNS1_3gpuE5ELNS1_3repE0EEENS1_30default_config_static_selectorELNS0_4arch9wavefront6targetE1EEEvT1_,"axG",@progbits,_ZN7rocprim17ROCPRIM_400000_NS6detail17trampoline_kernelINS0_14default_configENS1_33run_length_encode_config_selectorIajNS0_4plusIjEEEEZZNS1_33reduce_by_key_impl_wrapped_configILNS1_25lookback_scan_determinismE0ES3_S7_PKaNS0_17constant_iteratorIjlEEPaPlSF_S6_NS0_8equal_toIaEEEE10hipError_tPvRmT2_T3_mT4_T5_T6_T7_T8_P12ihipStream_tbENKUlT_T0_E_clISt17integral_constantIbLb1EESZ_EEDaSU_SV_EUlSU_E_NS1_11comp_targetILNS1_3genE10ELNS1_11target_archE1201ELNS1_3gpuE5ELNS1_3repE0EEENS1_30default_config_static_selectorELNS0_4arch9wavefront6targetE1EEEvT1_,comdat
.Lfunc_end249:
	.size	_ZN7rocprim17ROCPRIM_400000_NS6detail17trampoline_kernelINS0_14default_configENS1_33run_length_encode_config_selectorIajNS0_4plusIjEEEEZZNS1_33reduce_by_key_impl_wrapped_configILNS1_25lookback_scan_determinismE0ES3_S7_PKaNS0_17constant_iteratorIjlEEPaPlSF_S6_NS0_8equal_toIaEEEE10hipError_tPvRmT2_T3_mT4_T5_T6_T7_T8_P12ihipStream_tbENKUlT_T0_E_clISt17integral_constantIbLb1EESZ_EEDaSU_SV_EUlSU_E_NS1_11comp_targetILNS1_3genE10ELNS1_11target_archE1201ELNS1_3gpuE5ELNS1_3repE0EEENS1_30default_config_static_selectorELNS0_4arch9wavefront6targetE1EEEvT1_, .Lfunc_end249-_ZN7rocprim17ROCPRIM_400000_NS6detail17trampoline_kernelINS0_14default_configENS1_33run_length_encode_config_selectorIajNS0_4plusIjEEEEZZNS1_33reduce_by_key_impl_wrapped_configILNS1_25lookback_scan_determinismE0ES3_S7_PKaNS0_17constant_iteratorIjlEEPaPlSF_S6_NS0_8equal_toIaEEEE10hipError_tPvRmT2_T3_mT4_T5_T6_T7_T8_P12ihipStream_tbENKUlT_T0_E_clISt17integral_constantIbLb1EESZ_EEDaSU_SV_EUlSU_E_NS1_11comp_targetILNS1_3genE10ELNS1_11target_archE1201ELNS1_3gpuE5ELNS1_3repE0EEENS1_30default_config_static_selectorELNS0_4arch9wavefront6targetE1EEEvT1_
                                        ; -- End function
	.section	.AMDGPU.csdata,"",@progbits
; Kernel info:
; codeLenInByte = 0
; NumSgprs: 4
; NumVgprs: 0
; NumAgprs: 0
; TotalNumVgprs: 0
; ScratchSize: 0
; MemoryBound: 0
; FloatMode: 240
; IeeeMode: 1
; LDSByteSize: 0 bytes/workgroup (compile time only)
; SGPRBlocks: 0
; VGPRBlocks: 0
; NumSGPRsForWavesPerEU: 4
; NumVGPRsForWavesPerEU: 1
; AccumOffset: 4
; Occupancy: 8
; WaveLimiterHint : 0
; COMPUTE_PGM_RSRC2:SCRATCH_EN: 0
; COMPUTE_PGM_RSRC2:USER_SGPR: 6
; COMPUTE_PGM_RSRC2:TRAP_HANDLER: 0
; COMPUTE_PGM_RSRC2:TGID_X_EN: 1
; COMPUTE_PGM_RSRC2:TGID_Y_EN: 0
; COMPUTE_PGM_RSRC2:TGID_Z_EN: 0
; COMPUTE_PGM_RSRC2:TIDIG_COMP_CNT: 0
; COMPUTE_PGM_RSRC3_GFX90A:ACCUM_OFFSET: 0
; COMPUTE_PGM_RSRC3_GFX90A:TG_SPLIT: 0
	.section	.text._ZN7rocprim17ROCPRIM_400000_NS6detail17trampoline_kernelINS0_14default_configENS1_33run_length_encode_config_selectorIajNS0_4plusIjEEEEZZNS1_33reduce_by_key_impl_wrapped_configILNS1_25lookback_scan_determinismE0ES3_S7_PKaNS0_17constant_iteratorIjlEEPaPlSF_S6_NS0_8equal_toIaEEEE10hipError_tPvRmT2_T3_mT4_T5_T6_T7_T8_P12ihipStream_tbENKUlT_T0_E_clISt17integral_constantIbLb1EESZ_EEDaSU_SV_EUlSU_E_NS1_11comp_targetILNS1_3genE10ELNS1_11target_archE1200ELNS1_3gpuE4ELNS1_3repE0EEENS1_30default_config_static_selectorELNS0_4arch9wavefront6targetE1EEEvT1_,"axG",@progbits,_ZN7rocprim17ROCPRIM_400000_NS6detail17trampoline_kernelINS0_14default_configENS1_33run_length_encode_config_selectorIajNS0_4plusIjEEEEZZNS1_33reduce_by_key_impl_wrapped_configILNS1_25lookback_scan_determinismE0ES3_S7_PKaNS0_17constant_iteratorIjlEEPaPlSF_S6_NS0_8equal_toIaEEEE10hipError_tPvRmT2_T3_mT4_T5_T6_T7_T8_P12ihipStream_tbENKUlT_T0_E_clISt17integral_constantIbLb1EESZ_EEDaSU_SV_EUlSU_E_NS1_11comp_targetILNS1_3genE10ELNS1_11target_archE1200ELNS1_3gpuE4ELNS1_3repE0EEENS1_30default_config_static_selectorELNS0_4arch9wavefront6targetE1EEEvT1_,comdat
	.protected	_ZN7rocprim17ROCPRIM_400000_NS6detail17trampoline_kernelINS0_14default_configENS1_33run_length_encode_config_selectorIajNS0_4plusIjEEEEZZNS1_33reduce_by_key_impl_wrapped_configILNS1_25lookback_scan_determinismE0ES3_S7_PKaNS0_17constant_iteratorIjlEEPaPlSF_S6_NS0_8equal_toIaEEEE10hipError_tPvRmT2_T3_mT4_T5_T6_T7_T8_P12ihipStream_tbENKUlT_T0_E_clISt17integral_constantIbLb1EESZ_EEDaSU_SV_EUlSU_E_NS1_11comp_targetILNS1_3genE10ELNS1_11target_archE1200ELNS1_3gpuE4ELNS1_3repE0EEENS1_30default_config_static_selectorELNS0_4arch9wavefront6targetE1EEEvT1_ ; -- Begin function _ZN7rocprim17ROCPRIM_400000_NS6detail17trampoline_kernelINS0_14default_configENS1_33run_length_encode_config_selectorIajNS0_4plusIjEEEEZZNS1_33reduce_by_key_impl_wrapped_configILNS1_25lookback_scan_determinismE0ES3_S7_PKaNS0_17constant_iteratorIjlEEPaPlSF_S6_NS0_8equal_toIaEEEE10hipError_tPvRmT2_T3_mT4_T5_T6_T7_T8_P12ihipStream_tbENKUlT_T0_E_clISt17integral_constantIbLb1EESZ_EEDaSU_SV_EUlSU_E_NS1_11comp_targetILNS1_3genE10ELNS1_11target_archE1200ELNS1_3gpuE4ELNS1_3repE0EEENS1_30default_config_static_selectorELNS0_4arch9wavefront6targetE1EEEvT1_
	.globl	_ZN7rocprim17ROCPRIM_400000_NS6detail17trampoline_kernelINS0_14default_configENS1_33run_length_encode_config_selectorIajNS0_4plusIjEEEEZZNS1_33reduce_by_key_impl_wrapped_configILNS1_25lookback_scan_determinismE0ES3_S7_PKaNS0_17constant_iteratorIjlEEPaPlSF_S6_NS0_8equal_toIaEEEE10hipError_tPvRmT2_T3_mT4_T5_T6_T7_T8_P12ihipStream_tbENKUlT_T0_E_clISt17integral_constantIbLb1EESZ_EEDaSU_SV_EUlSU_E_NS1_11comp_targetILNS1_3genE10ELNS1_11target_archE1200ELNS1_3gpuE4ELNS1_3repE0EEENS1_30default_config_static_selectorELNS0_4arch9wavefront6targetE1EEEvT1_
	.p2align	8
	.type	_ZN7rocprim17ROCPRIM_400000_NS6detail17trampoline_kernelINS0_14default_configENS1_33run_length_encode_config_selectorIajNS0_4plusIjEEEEZZNS1_33reduce_by_key_impl_wrapped_configILNS1_25lookback_scan_determinismE0ES3_S7_PKaNS0_17constant_iteratorIjlEEPaPlSF_S6_NS0_8equal_toIaEEEE10hipError_tPvRmT2_T3_mT4_T5_T6_T7_T8_P12ihipStream_tbENKUlT_T0_E_clISt17integral_constantIbLb1EESZ_EEDaSU_SV_EUlSU_E_NS1_11comp_targetILNS1_3genE10ELNS1_11target_archE1200ELNS1_3gpuE4ELNS1_3repE0EEENS1_30default_config_static_selectorELNS0_4arch9wavefront6targetE1EEEvT1_,@function
_ZN7rocprim17ROCPRIM_400000_NS6detail17trampoline_kernelINS0_14default_configENS1_33run_length_encode_config_selectorIajNS0_4plusIjEEEEZZNS1_33reduce_by_key_impl_wrapped_configILNS1_25lookback_scan_determinismE0ES3_S7_PKaNS0_17constant_iteratorIjlEEPaPlSF_S6_NS0_8equal_toIaEEEE10hipError_tPvRmT2_T3_mT4_T5_T6_T7_T8_P12ihipStream_tbENKUlT_T0_E_clISt17integral_constantIbLb1EESZ_EEDaSU_SV_EUlSU_E_NS1_11comp_targetILNS1_3genE10ELNS1_11target_archE1200ELNS1_3gpuE4ELNS1_3repE0EEENS1_30default_config_static_selectorELNS0_4arch9wavefront6targetE1EEEvT1_: ; @_ZN7rocprim17ROCPRIM_400000_NS6detail17trampoline_kernelINS0_14default_configENS1_33run_length_encode_config_selectorIajNS0_4plusIjEEEEZZNS1_33reduce_by_key_impl_wrapped_configILNS1_25lookback_scan_determinismE0ES3_S7_PKaNS0_17constant_iteratorIjlEEPaPlSF_S6_NS0_8equal_toIaEEEE10hipError_tPvRmT2_T3_mT4_T5_T6_T7_T8_P12ihipStream_tbENKUlT_T0_E_clISt17integral_constantIbLb1EESZ_EEDaSU_SV_EUlSU_E_NS1_11comp_targetILNS1_3genE10ELNS1_11target_archE1200ELNS1_3gpuE4ELNS1_3repE0EEENS1_30default_config_static_selectorELNS0_4arch9wavefront6targetE1EEEvT1_
; %bb.0:
	.section	.rodata,"a",@progbits
	.p2align	6, 0x0
	.amdhsa_kernel _ZN7rocprim17ROCPRIM_400000_NS6detail17trampoline_kernelINS0_14default_configENS1_33run_length_encode_config_selectorIajNS0_4plusIjEEEEZZNS1_33reduce_by_key_impl_wrapped_configILNS1_25lookback_scan_determinismE0ES3_S7_PKaNS0_17constant_iteratorIjlEEPaPlSF_S6_NS0_8equal_toIaEEEE10hipError_tPvRmT2_T3_mT4_T5_T6_T7_T8_P12ihipStream_tbENKUlT_T0_E_clISt17integral_constantIbLb1EESZ_EEDaSU_SV_EUlSU_E_NS1_11comp_targetILNS1_3genE10ELNS1_11target_archE1200ELNS1_3gpuE4ELNS1_3repE0EEENS1_30default_config_static_selectorELNS0_4arch9wavefront6targetE1EEEvT1_
		.amdhsa_group_segment_fixed_size 0
		.amdhsa_private_segment_fixed_size 0
		.amdhsa_kernarg_size 128
		.amdhsa_user_sgpr_count 6
		.amdhsa_user_sgpr_private_segment_buffer 1
		.amdhsa_user_sgpr_dispatch_ptr 0
		.amdhsa_user_sgpr_queue_ptr 0
		.amdhsa_user_sgpr_kernarg_segment_ptr 1
		.amdhsa_user_sgpr_dispatch_id 0
		.amdhsa_user_sgpr_flat_scratch_init 0
		.amdhsa_user_sgpr_kernarg_preload_length 0
		.amdhsa_user_sgpr_kernarg_preload_offset 0
		.amdhsa_user_sgpr_private_segment_size 0
		.amdhsa_uses_dynamic_stack 0
		.amdhsa_system_sgpr_private_segment_wavefront_offset 0
		.amdhsa_system_sgpr_workgroup_id_x 1
		.amdhsa_system_sgpr_workgroup_id_y 0
		.amdhsa_system_sgpr_workgroup_id_z 0
		.amdhsa_system_sgpr_workgroup_info 0
		.amdhsa_system_vgpr_workitem_id 0
		.amdhsa_next_free_vgpr 1
		.amdhsa_next_free_sgpr 0
		.amdhsa_accum_offset 4
		.amdhsa_reserve_vcc 0
		.amdhsa_reserve_flat_scratch 0
		.amdhsa_float_round_mode_32 0
		.amdhsa_float_round_mode_16_64 0
		.amdhsa_float_denorm_mode_32 3
		.amdhsa_float_denorm_mode_16_64 3
		.amdhsa_dx10_clamp 1
		.amdhsa_ieee_mode 1
		.amdhsa_fp16_overflow 0
		.amdhsa_tg_split 0
		.amdhsa_exception_fp_ieee_invalid_op 0
		.amdhsa_exception_fp_denorm_src 0
		.amdhsa_exception_fp_ieee_div_zero 0
		.amdhsa_exception_fp_ieee_overflow 0
		.amdhsa_exception_fp_ieee_underflow 0
		.amdhsa_exception_fp_ieee_inexact 0
		.amdhsa_exception_int_div_zero 0
	.end_amdhsa_kernel
	.section	.text._ZN7rocprim17ROCPRIM_400000_NS6detail17trampoline_kernelINS0_14default_configENS1_33run_length_encode_config_selectorIajNS0_4plusIjEEEEZZNS1_33reduce_by_key_impl_wrapped_configILNS1_25lookback_scan_determinismE0ES3_S7_PKaNS0_17constant_iteratorIjlEEPaPlSF_S6_NS0_8equal_toIaEEEE10hipError_tPvRmT2_T3_mT4_T5_T6_T7_T8_P12ihipStream_tbENKUlT_T0_E_clISt17integral_constantIbLb1EESZ_EEDaSU_SV_EUlSU_E_NS1_11comp_targetILNS1_3genE10ELNS1_11target_archE1200ELNS1_3gpuE4ELNS1_3repE0EEENS1_30default_config_static_selectorELNS0_4arch9wavefront6targetE1EEEvT1_,"axG",@progbits,_ZN7rocprim17ROCPRIM_400000_NS6detail17trampoline_kernelINS0_14default_configENS1_33run_length_encode_config_selectorIajNS0_4plusIjEEEEZZNS1_33reduce_by_key_impl_wrapped_configILNS1_25lookback_scan_determinismE0ES3_S7_PKaNS0_17constant_iteratorIjlEEPaPlSF_S6_NS0_8equal_toIaEEEE10hipError_tPvRmT2_T3_mT4_T5_T6_T7_T8_P12ihipStream_tbENKUlT_T0_E_clISt17integral_constantIbLb1EESZ_EEDaSU_SV_EUlSU_E_NS1_11comp_targetILNS1_3genE10ELNS1_11target_archE1200ELNS1_3gpuE4ELNS1_3repE0EEENS1_30default_config_static_selectorELNS0_4arch9wavefront6targetE1EEEvT1_,comdat
.Lfunc_end250:
	.size	_ZN7rocprim17ROCPRIM_400000_NS6detail17trampoline_kernelINS0_14default_configENS1_33run_length_encode_config_selectorIajNS0_4plusIjEEEEZZNS1_33reduce_by_key_impl_wrapped_configILNS1_25lookback_scan_determinismE0ES3_S7_PKaNS0_17constant_iteratorIjlEEPaPlSF_S6_NS0_8equal_toIaEEEE10hipError_tPvRmT2_T3_mT4_T5_T6_T7_T8_P12ihipStream_tbENKUlT_T0_E_clISt17integral_constantIbLb1EESZ_EEDaSU_SV_EUlSU_E_NS1_11comp_targetILNS1_3genE10ELNS1_11target_archE1200ELNS1_3gpuE4ELNS1_3repE0EEENS1_30default_config_static_selectorELNS0_4arch9wavefront6targetE1EEEvT1_, .Lfunc_end250-_ZN7rocprim17ROCPRIM_400000_NS6detail17trampoline_kernelINS0_14default_configENS1_33run_length_encode_config_selectorIajNS0_4plusIjEEEEZZNS1_33reduce_by_key_impl_wrapped_configILNS1_25lookback_scan_determinismE0ES3_S7_PKaNS0_17constant_iteratorIjlEEPaPlSF_S6_NS0_8equal_toIaEEEE10hipError_tPvRmT2_T3_mT4_T5_T6_T7_T8_P12ihipStream_tbENKUlT_T0_E_clISt17integral_constantIbLb1EESZ_EEDaSU_SV_EUlSU_E_NS1_11comp_targetILNS1_3genE10ELNS1_11target_archE1200ELNS1_3gpuE4ELNS1_3repE0EEENS1_30default_config_static_selectorELNS0_4arch9wavefront6targetE1EEEvT1_
                                        ; -- End function
	.section	.AMDGPU.csdata,"",@progbits
; Kernel info:
; codeLenInByte = 0
; NumSgprs: 4
; NumVgprs: 0
; NumAgprs: 0
; TotalNumVgprs: 0
; ScratchSize: 0
; MemoryBound: 0
; FloatMode: 240
; IeeeMode: 1
; LDSByteSize: 0 bytes/workgroup (compile time only)
; SGPRBlocks: 0
; VGPRBlocks: 0
; NumSGPRsForWavesPerEU: 4
; NumVGPRsForWavesPerEU: 1
; AccumOffset: 4
; Occupancy: 8
; WaveLimiterHint : 0
; COMPUTE_PGM_RSRC2:SCRATCH_EN: 0
; COMPUTE_PGM_RSRC2:USER_SGPR: 6
; COMPUTE_PGM_RSRC2:TRAP_HANDLER: 0
; COMPUTE_PGM_RSRC2:TGID_X_EN: 1
; COMPUTE_PGM_RSRC2:TGID_Y_EN: 0
; COMPUTE_PGM_RSRC2:TGID_Z_EN: 0
; COMPUTE_PGM_RSRC2:TIDIG_COMP_CNT: 0
; COMPUTE_PGM_RSRC3_GFX90A:ACCUM_OFFSET: 0
; COMPUTE_PGM_RSRC3_GFX90A:TG_SPLIT: 0
	.section	.text._ZN7rocprim17ROCPRIM_400000_NS6detail17trampoline_kernelINS0_14default_configENS1_33run_length_encode_config_selectorIajNS0_4plusIjEEEEZZNS1_33reduce_by_key_impl_wrapped_configILNS1_25lookback_scan_determinismE0ES3_S7_PKaNS0_17constant_iteratorIjlEEPaPlSF_S6_NS0_8equal_toIaEEEE10hipError_tPvRmT2_T3_mT4_T5_T6_T7_T8_P12ihipStream_tbENKUlT_T0_E_clISt17integral_constantIbLb1EESZ_EEDaSU_SV_EUlSU_E_NS1_11comp_targetILNS1_3genE9ELNS1_11target_archE1100ELNS1_3gpuE3ELNS1_3repE0EEENS1_30default_config_static_selectorELNS0_4arch9wavefront6targetE1EEEvT1_,"axG",@progbits,_ZN7rocprim17ROCPRIM_400000_NS6detail17trampoline_kernelINS0_14default_configENS1_33run_length_encode_config_selectorIajNS0_4plusIjEEEEZZNS1_33reduce_by_key_impl_wrapped_configILNS1_25lookback_scan_determinismE0ES3_S7_PKaNS0_17constant_iteratorIjlEEPaPlSF_S6_NS0_8equal_toIaEEEE10hipError_tPvRmT2_T3_mT4_T5_T6_T7_T8_P12ihipStream_tbENKUlT_T0_E_clISt17integral_constantIbLb1EESZ_EEDaSU_SV_EUlSU_E_NS1_11comp_targetILNS1_3genE9ELNS1_11target_archE1100ELNS1_3gpuE3ELNS1_3repE0EEENS1_30default_config_static_selectorELNS0_4arch9wavefront6targetE1EEEvT1_,comdat
	.protected	_ZN7rocprim17ROCPRIM_400000_NS6detail17trampoline_kernelINS0_14default_configENS1_33run_length_encode_config_selectorIajNS0_4plusIjEEEEZZNS1_33reduce_by_key_impl_wrapped_configILNS1_25lookback_scan_determinismE0ES3_S7_PKaNS0_17constant_iteratorIjlEEPaPlSF_S6_NS0_8equal_toIaEEEE10hipError_tPvRmT2_T3_mT4_T5_T6_T7_T8_P12ihipStream_tbENKUlT_T0_E_clISt17integral_constantIbLb1EESZ_EEDaSU_SV_EUlSU_E_NS1_11comp_targetILNS1_3genE9ELNS1_11target_archE1100ELNS1_3gpuE3ELNS1_3repE0EEENS1_30default_config_static_selectorELNS0_4arch9wavefront6targetE1EEEvT1_ ; -- Begin function _ZN7rocprim17ROCPRIM_400000_NS6detail17trampoline_kernelINS0_14default_configENS1_33run_length_encode_config_selectorIajNS0_4plusIjEEEEZZNS1_33reduce_by_key_impl_wrapped_configILNS1_25lookback_scan_determinismE0ES3_S7_PKaNS0_17constant_iteratorIjlEEPaPlSF_S6_NS0_8equal_toIaEEEE10hipError_tPvRmT2_T3_mT4_T5_T6_T7_T8_P12ihipStream_tbENKUlT_T0_E_clISt17integral_constantIbLb1EESZ_EEDaSU_SV_EUlSU_E_NS1_11comp_targetILNS1_3genE9ELNS1_11target_archE1100ELNS1_3gpuE3ELNS1_3repE0EEENS1_30default_config_static_selectorELNS0_4arch9wavefront6targetE1EEEvT1_
	.globl	_ZN7rocprim17ROCPRIM_400000_NS6detail17trampoline_kernelINS0_14default_configENS1_33run_length_encode_config_selectorIajNS0_4plusIjEEEEZZNS1_33reduce_by_key_impl_wrapped_configILNS1_25lookback_scan_determinismE0ES3_S7_PKaNS0_17constant_iteratorIjlEEPaPlSF_S6_NS0_8equal_toIaEEEE10hipError_tPvRmT2_T3_mT4_T5_T6_T7_T8_P12ihipStream_tbENKUlT_T0_E_clISt17integral_constantIbLb1EESZ_EEDaSU_SV_EUlSU_E_NS1_11comp_targetILNS1_3genE9ELNS1_11target_archE1100ELNS1_3gpuE3ELNS1_3repE0EEENS1_30default_config_static_selectorELNS0_4arch9wavefront6targetE1EEEvT1_
	.p2align	8
	.type	_ZN7rocprim17ROCPRIM_400000_NS6detail17trampoline_kernelINS0_14default_configENS1_33run_length_encode_config_selectorIajNS0_4plusIjEEEEZZNS1_33reduce_by_key_impl_wrapped_configILNS1_25lookback_scan_determinismE0ES3_S7_PKaNS0_17constant_iteratorIjlEEPaPlSF_S6_NS0_8equal_toIaEEEE10hipError_tPvRmT2_T3_mT4_T5_T6_T7_T8_P12ihipStream_tbENKUlT_T0_E_clISt17integral_constantIbLb1EESZ_EEDaSU_SV_EUlSU_E_NS1_11comp_targetILNS1_3genE9ELNS1_11target_archE1100ELNS1_3gpuE3ELNS1_3repE0EEENS1_30default_config_static_selectorELNS0_4arch9wavefront6targetE1EEEvT1_,@function
_ZN7rocprim17ROCPRIM_400000_NS6detail17trampoline_kernelINS0_14default_configENS1_33run_length_encode_config_selectorIajNS0_4plusIjEEEEZZNS1_33reduce_by_key_impl_wrapped_configILNS1_25lookback_scan_determinismE0ES3_S7_PKaNS0_17constant_iteratorIjlEEPaPlSF_S6_NS0_8equal_toIaEEEE10hipError_tPvRmT2_T3_mT4_T5_T6_T7_T8_P12ihipStream_tbENKUlT_T0_E_clISt17integral_constantIbLb1EESZ_EEDaSU_SV_EUlSU_E_NS1_11comp_targetILNS1_3genE9ELNS1_11target_archE1100ELNS1_3gpuE3ELNS1_3repE0EEENS1_30default_config_static_selectorELNS0_4arch9wavefront6targetE1EEEvT1_: ; @_ZN7rocprim17ROCPRIM_400000_NS6detail17trampoline_kernelINS0_14default_configENS1_33run_length_encode_config_selectorIajNS0_4plusIjEEEEZZNS1_33reduce_by_key_impl_wrapped_configILNS1_25lookback_scan_determinismE0ES3_S7_PKaNS0_17constant_iteratorIjlEEPaPlSF_S6_NS0_8equal_toIaEEEE10hipError_tPvRmT2_T3_mT4_T5_T6_T7_T8_P12ihipStream_tbENKUlT_T0_E_clISt17integral_constantIbLb1EESZ_EEDaSU_SV_EUlSU_E_NS1_11comp_targetILNS1_3genE9ELNS1_11target_archE1100ELNS1_3gpuE3ELNS1_3repE0EEENS1_30default_config_static_selectorELNS0_4arch9wavefront6targetE1EEEvT1_
; %bb.0:
	.section	.rodata,"a",@progbits
	.p2align	6, 0x0
	.amdhsa_kernel _ZN7rocprim17ROCPRIM_400000_NS6detail17trampoline_kernelINS0_14default_configENS1_33run_length_encode_config_selectorIajNS0_4plusIjEEEEZZNS1_33reduce_by_key_impl_wrapped_configILNS1_25lookback_scan_determinismE0ES3_S7_PKaNS0_17constant_iteratorIjlEEPaPlSF_S6_NS0_8equal_toIaEEEE10hipError_tPvRmT2_T3_mT4_T5_T6_T7_T8_P12ihipStream_tbENKUlT_T0_E_clISt17integral_constantIbLb1EESZ_EEDaSU_SV_EUlSU_E_NS1_11comp_targetILNS1_3genE9ELNS1_11target_archE1100ELNS1_3gpuE3ELNS1_3repE0EEENS1_30default_config_static_selectorELNS0_4arch9wavefront6targetE1EEEvT1_
		.amdhsa_group_segment_fixed_size 0
		.amdhsa_private_segment_fixed_size 0
		.amdhsa_kernarg_size 128
		.amdhsa_user_sgpr_count 6
		.amdhsa_user_sgpr_private_segment_buffer 1
		.amdhsa_user_sgpr_dispatch_ptr 0
		.amdhsa_user_sgpr_queue_ptr 0
		.amdhsa_user_sgpr_kernarg_segment_ptr 1
		.amdhsa_user_sgpr_dispatch_id 0
		.amdhsa_user_sgpr_flat_scratch_init 0
		.amdhsa_user_sgpr_kernarg_preload_length 0
		.amdhsa_user_sgpr_kernarg_preload_offset 0
		.amdhsa_user_sgpr_private_segment_size 0
		.amdhsa_uses_dynamic_stack 0
		.amdhsa_system_sgpr_private_segment_wavefront_offset 0
		.amdhsa_system_sgpr_workgroup_id_x 1
		.amdhsa_system_sgpr_workgroup_id_y 0
		.amdhsa_system_sgpr_workgroup_id_z 0
		.amdhsa_system_sgpr_workgroup_info 0
		.amdhsa_system_vgpr_workitem_id 0
		.amdhsa_next_free_vgpr 1
		.amdhsa_next_free_sgpr 0
		.amdhsa_accum_offset 4
		.amdhsa_reserve_vcc 0
		.amdhsa_reserve_flat_scratch 0
		.amdhsa_float_round_mode_32 0
		.amdhsa_float_round_mode_16_64 0
		.amdhsa_float_denorm_mode_32 3
		.amdhsa_float_denorm_mode_16_64 3
		.amdhsa_dx10_clamp 1
		.amdhsa_ieee_mode 1
		.amdhsa_fp16_overflow 0
		.amdhsa_tg_split 0
		.amdhsa_exception_fp_ieee_invalid_op 0
		.amdhsa_exception_fp_denorm_src 0
		.amdhsa_exception_fp_ieee_div_zero 0
		.amdhsa_exception_fp_ieee_overflow 0
		.amdhsa_exception_fp_ieee_underflow 0
		.amdhsa_exception_fp_ieee_inexact 0
		.amdhsa_exception_int_div_zero 0
	.end_amdhsa_kernel
	.section	.text._ZN7rocprim17ROCPRIM_400000_NS6detail17trampoline_kernelINS0_14default_configENS1_33run_length_encode_config_selectorIajNS0_4plusIjEEEEZZNS1_33reduce_by_key_impl_wrapped_configILNS1_25lookback_scan_determinismE0ES3_S7_PKaNS0_17constant_iteratorIjlEEPaPlSF_S6_NS0_8equal_toIaEEEE10hipError_tPvRmT2_T3_mT4_T5_T6_T7_T8_P12ihipStream_tbENKUlT_T0_E_clISt17integral_constantIbLb1EESZ_EEDaSU_SV_EUlSU_E_NS1_11comp_targetILNS1_3genE9ELNS1_11target_archE1100ELNS1_3gpuE3ELNS1_3repE0EEENS1_30default_config_static_selectorELNS0_4arch9wavefront6targetE1EEEvT1_,"axG",@progbits,_ZN7rocprim17ROCPRIM_400000_NS6detail17trampoline_kernelINS0_14default_configENS1_33run_length_encode_config_selectorIajNS0_4plusIjEEEEZZNS1_33reduce_by_key_impl_wrapped_configILNS1_25lookback_scan_determinismE0ES3_S7_PKaNS0_17constant_iteratorIjlEEPaPlSF_S6_NS0_8equal_toIaEEEE10hipError_tPvRmT2_T3_mT4_T5_T6_T7_T8_P12ihipStream_tbENKUlT_T0_E_clISt17integral_constantIbLb1EESZ_EEDaSU_SV_EUlSU_E_NS1_11comp_targetILNS1_3genE9ELNS1_11target_archE1100ELNS1_3gpuE3ELNS1_3repE0EEENS1_30default_config_static_selectorELNS0_4arch9wavefront6targetE1EEEvT1_,comdat
.Lfunc_end251:
	.size	_ZN7rocprim17ROCPRIM_400000_NS6detail17trampoline_kernelINS0_14default_configENS1_33run_length_encode_config_selectorIajNS0_4plusIjEEEEZZNS1_33reduce_by_key_impl_wrapped_configILNS1_25lookback_scan_determinismE0ES3_S7_PKaNS0_17constant_iteratorIjlEEPaPlSF_S6_NS0_8equal_toIaEEEE10hipError_tPvRmT2_T3_mT4_T5_T6_T7_T8_P12ihipStream_tbENKUlT_T0_E_clISt17integral_constantIbLb1EESZ_EEDaSU_SV_EUlSU_E_NS1_11comp_targetILNS1_3genE9ELNS1_11target_archE1100ELNS1_3gpuE3ELNS1_3repE0EEENS1_30default_config_static_selectorELNS0_4arch9wavefront6targetE1EEEvT1_, .Lfunc_end251-_ZN7rocprim17ROCPRIM_400000_NS6detail17trampoline_kernelINS0_14default_configENS1_33run_length_encode_config_selectorIajNS0_4plusIjEEEEZZNS1_33reduce_by_key_impl_wrapped_configILNS1_25lookback_scan_determinismE0ES3_S7_PKaNS0_17constant_iteratorIjlEEPaPlSF_S6_NS0_8equal_toIaEEEE10hipError_tPvRmT2_T3_mT4_T5_T6_T7_T8_P12ihipStream_tbENKUlT_T0_E_clISt17integral_constantIbLb1EESZ_EEDaSU_SV_EUlSU_E_NS1_11comp_targetILNS1_3genE9ELNS1_11target_archE1100ELNS1_3gpuE3ELNS1_3repE0EEENS1_30default_config_static_selectorELNS0_4arch9wavefront6targetE1EEEvT1_
                                        ; -- End function
	.section	.AMDGPU.csdata,"",@progbits
; Kernel info:
; codeLenInByte = 0
; NumSgprs: 4
; NumVgprs: 0
; NumAgprs: 0
; TotalNumVgprs: 0
; ScratchSize: 0
; MemoryBound: 0
; FloatMode: 240
; IeeeMode: 1
; LDSByteSize: 0 bytes/workgroup (compile time only)
; SGPRBlocks: 0
; VGPRBlocks: 0
; NumSGPRsForWavesPerEU: 4
; NumVGPRsForWavesPerEU: 1
; AccumOffset: 4
; Occupancy: 8
; WaveLimiterHint : 0
; COMPUTE_PGM_RSRC2:SCRATCH_EN: 0
; COMPUTE_PGM_RSRC2:USER_SGPR: 6
; COMPUTE_PGM_RSRC2:TRAP_HANDLER: 0
; COMPUTE_PGM_RSRC2:TGID_X_EN: 1
; COMPUTE_PGM_RSRC2:TGID_Y_EN: 0
; COMPUTE_PGM_RSRC2:TGID_Z_EN: 0
; COMPUTE_PGM_RSRC2:TIDIG_COMP_CNT: 0
; COMPUTE_PGM_RSRC3_GFX90A:ACCUM_OFFSET: 0
; COMPUTE_PGM_RSRC3_GFX90A:TG_SPLIT: 0
	.section	.text._ZN7rocprim17ROCPRIM_400000_NS6detail17trampoline_kernelINS0_14default_configENS1_33run_length_encode_config_selectorIajNS0_4plusIjEEEEZZNS1_33reduce_by_key_impl_wrapped_configILNS1_25lookback_scan_determinismE0ES3_S7_PKaNS0_17constant_iteratorIjlEEPaPlSF_S6_NS0_8equal_toIaEEEE10hipError_tPvRmT2_T3_mT4_T5_T6_T7_T8_P12ihipStream_tbENKUlT_T0_E_clISt17integral_constantIbLb1EESZ_EEDaSU_SV_EUlSU_E_NS1_11comp_targetILNS1_3genE8ELNS1_11target_archE1030ELNS1_3gpuE2ELNS1_3repE0EEENS1_30default_config_static_selectorELNS0_4arch9wavefront6targetE1EEEvT1_,"axG",@progbits,_ZN7rocprim17ROCPRIM_400000_NS6detail17trampoline_kernelINS0_14default_configENS1_33run_length_encode_config_selectorIajNS0_4plusIjEEEEZZNS1_33reduce_by_key_impl_wrapped_configILNS1_25lookback_scan_determinismE0ES3_S7_PKaNS0_17constant_iteratorIjlEEPaPlSF_S6_NS0_8equal_toIaEEEE10hipError_tPvRmT2_T3_mT4_T5_T6_T7_T8_P12ihipStream_tbENKUlT_T0_E_clISt17integral_constantIbLb1EESZ_EEDaSU_SV_EUlSU_E_NS1_11comp_targetILNS1_3genE8ELNS1_11target_archE1030ELNS1_3gpuE2ELNS1_3repE0EEENS1_30default_config_static_selectorELNS0_4arch9wavefront6targetE1EEEvT1_,comdat
	.protected	_ZN7rocprim17ROCPRIM_400000_NS6detail17trampoline_kernelINS0_14default_configENS1_33run_length_encode_config_selectorIajNS0_4plusIjEEEEZZNS1_33reduce_by_key_impl_wrapped_configILNS1_25lookback_scan_determinismE0ES3_S7_PKaNS0_17constant_iteratorIjlEEPaPlSF_S6_NS0_8equal_toIaEEEE10hipError_tPvRmT2_T3_mT4_T5_T6_T7_T8_P12ihipStream_tbENKUlT_T0_E_clISt17integral_constantIbLb1EESZ_EEDaSU_SV_EUlSU_E_NS1_11comp_targetILNS1_3genE8ELNS1_11target_archE1030ELNS1_3gpuE2ELNS1_3repE0EEENS1_30default_config_static_selectorELNS0_4arch9wavefront6targetE1EEEvT1_ ; -- Begin function _ZN7rocprim17ROCPRIM_400000_NS6detail17trampoline_kernelINS0_14default_configENS1_33run_length_encode_config_selectorIajNS0_4plusIjEEEEZZNS1_33reduce_by_key_impl_wrapped_configILNS1_25lookback_scan_determinismE0ES3_S7_PKaNS0_17constant_iteratorIjlEEPaPlSF_S6_NS0_8equal_toIaEEEE10hipError_tPvRmT2_T3_mT4_T5_T6_T7_T8_P12ihipStream_tbENKUlT_T0_E_clISt17integral_constantIbLb1EESZ_EEDaSU_SV_EUlSU_E_NS1_11comp_targetILNS1_3genE8ELNS1_11target_archE1030ELNS1_3gpuE2ELNS1_3repE0EEENS1_30default_config_static_selectorELNS0_4arch9wavefront6targetE1EEEvT1_
	.globl	_ZN7rocprim17ROCPRIM_400000_NS6detail17trampoline_kernelINS0_14default_configENS1_33run_length_encode_config_selectorIajNS0_4plusIjEEEEZZNS1_33reduce_by_key_impl_wrapped_configILNS1_25lookback_scan_determinismE0ES3_S7_PKaNS0_17constant_iteratorIjlEEPaPlSF_S6_NS0_8equal_toIaEEEE10hipError_tPvRmT2_T3_mT4_T5_T6_T7_T8_P12ihipStream_tbENKUlT_T0_E_clISt17integral_constantIbLb1EESZ_EEDaSU_SV_EUlSU_E_NS1_11comp_targetILNS1_3genE8ELNS1_11target_archE1030ELNS1_3gpuE2ELNS1_3repE0EEENS1_30default_config_static_selectorELNS0_4arch9wavefront6targetE1EEEvT1_
	.p2align	8
	.type	_ZN7rocprim17ROCPRIM_400000_NS6detail17trampoline_kernelINS0_14default_configENS1_33run_length_encode_config_selectorIajNS0_4plusIjEEEEZZNS1_33reduce_by_key_impl_wrapped_configILNS1_25lookback_scan_determinismE0ES3_S7_PKaNS0_17constant_iteratorIjlEEPaPlSF_S6_NS0_8equal_toIaEEEE10hipError_tPvRmT2_T3_mT4_T5_T6_T7_T8_P12ihipStream_tbENKUlT_T0_E_clISt17integral_constantIbLb1EESZ_EEDaSU_SV_EUlSU_E_NS1_11comp_targetILNS1_3genE8ELNS1_11target_archE1030ELNS1_3gpuE2ELNS1_3repE0EEENS1_30default_config_static_selectorELNS0_4arch9wavefront6targetE1EEEvT1_,@function
_ZN7rocprim17ROCPRIM_400000_NS6detail17trampoline_kernelINS0_14default_configENS1_33run_length_encode_config_selectorIajNS0_4plusIjEEEEZZNS1_33reduce_by_key_impl_wrapped_configILNS1_25lookback_scan_determinismE0ES3_S7_PKaNS0_17constant_iteratorIjlEEPaPlSF_S6_NS0_8equal_toIaEEEE10hipError_tPvRmT2_T3_mT4_T5_T6_T7_T8_P12ihipStream_tbENKUlT_T0_E_clISt17integral_constantIbLb1EESZ_EEDaSU_SV_EUlSU_E_NS1_11comp_targetILNS1_3genE8ELNS1_11target_archE1030ELNS1_3gpuE2ELNS1_3repE0EEENS1_30default_config_static_selectorELNS0_4arch9wavefront6targetE1EEEvT1_: ; @_ZN7rocprim17ROCPRIM_400000_NS6detail17trampoline_kernelINS0_14default_configENS1_33run_length_encode_config_selectorIajNS0_4plusIjEEEEZZNS1_33reduce_by_key_impl_wrapped_configILNS1_25lookback_scan_determinismE0ES3_S7_PKaNS0_17constant_iteratorIjlEEPaPlSF_S6_NS0_8equal_toIaEEEE10hipError_tPvRmT2_T3_mT4_T5_T6_T7_T8_P12ihipStream_tbENKUlT_T0_E_clISt17integral_constantIbLb1EESZ_EEDaSU_SV_EUlSU_E_NS1_11comp_targetILNS1_3genE8ELNS1_11target_archE1030ELNS1_3gpuE2ELNS1_3repE0EEENS1_30default_config_static_selectorELNS0_4arch9wavefront6targetE1EEEvT1_
; %bb.0:
	.section	.rodata,"a",@progbits
	.p2align	6, 0x0
	.amdhsa_kernel _ZN7rocprim17ROCPRIM_400000_NS6detail17trampoline_kernelINS0_14default_configENS1_33run_length_encode_config_selectorIajNS0_4plusIjEEEEZZNS1_33reduce_by_key_impl_wrapped_configILNS1_25lookback_scan_determinismE0ES3_S7_PKaNS0_17constant_iteratorIjlEEPaPlSF_S6_NS0_8equal_toIaEEEE10hipError_tPvRmT2_T3_mT4_T5_T6_T7_T8_P12ihipStream_tbENKUlT_T0_E_clISt17integral_constantIbLb1EESZ_EEDaSU_SV_EUlSU_E_NS1_11comp_targetILNS1_3genE8ELNS1_11target_archE1030ELNS1_3gpuE2ELNS1_3repE0EEENS1_30default_config_static_selectorELNS0_4arch9wavefront6targetE1EEEvT1_
		.amdhsa_group_segment_fixed_size 0
		.amdhsa_private_segment_fixed_size 0
		.amdhsa_kernarg_size 128
		.amdhsa_user_sgpr_count 6
		.amdhsa_user_sgpr_private_segment_buffer 1
		.amdhsa_user_sgpr_dispatch_ptr 0
		.amdhsa_user_sgpr_queue_ptr 0
		.amdhsa_user_sgpr_kernarg_segment_ptr 1
		.amdhsa_user_sgpr_dispatch_id 0
		.amdhsa_user_sgpr_flat_scratch_init 0
		.amdhsa_user_sgpr_kernarg_preload_length 0
		.amdhsa_user_sgpr_kernarg_preload_offset 0
		.amdhsa_user_sgpr_private_segment_size 0
		.amdhsa_uses_dynamic_stack 0
		.amdhsa_system_sgpr_private_segment_wavefront_offset 0
		.amdhsa_system_sgpr_workgroup_id_x 1
		.amdhsa_system_sgpr_workgroup_id_y 0
		.amdhsa_system_sgpr_workgroup_id_z 0
		.amdhsa_system_sgpr_workgroup_info 0
		.amdhsa_system_vgpr_workitem_id 0
		.amdhsa_next_free_vgpr 1
		.amdhsa_next_free_sgpr 0
		.amdhsa_accum_offset 4
		.amdhsa_reserve_vcc 0
		.amdhsa_reserve_flat_scratch 0
		.amdhsa_float_round_mode_32 0
		.amdhsa_float_round_mode_16_64 0
		.amdhsa_float_denorm_mode_32 3
		.amdhsa_float_denorm_mode_16_64 3
		.amdhsa_dx10_clamp 1
		.amdhsa_ieee_mode 1
		.amdhsa_fp16_overflow 0
		.amdhsa_tg_split 0
		.amdhsa_exception_fp_ieee_invalid_op 0
		.amdhsa_exception_fp_denorm_src 0
		.amdhsa_exception_fp_ieee_div_zero 0
		.amdhsa_exception_fp_ieee_overflow 0
		.amdhsa_exception_fp_ieee_underflow 0
		.amdhsa_exception_fp_ieee_inexact 0
		.amdhsa_exception_int_div_zero 0
	.end_amdhsa_kernel
	.section	.text._ZN7rocprim17ROCPRIM_400000_NS6detail17trampoline_kernelINS0_14default_configENS1_33run_length_encode_config_selectorIajNS0_4plusIjEEEEZZNS1_33reduce_by_key_impl_wrapped_configILNS1_25lookback_scan_determinismE0ES3_S7_PKaNS0_17constant_iteratorIjlEEPaPlSF_S6_NS0_8equal_toIaEEEE10hipError_tPvRmT2_T3_mT4_T5_T6_T7_T8_P12ihipStream_tbENKUlT_T0_E_clISt17integral_constantIbLb1EESZ_EEDaSU_SV_EUlSU_E_NS1_11comp_targetILNS1_3genE8ELNS1_11target_archE1030ELNS1_3gpuE2ELNS1_3repE0EEENS1_30default_config_static_selectorELNS0_4arch9wavefront6targetE1EEEvT1_,"axG",@progbits,_ZN7rocprim17ROCPRIM_400000_NS6detail17trampoline_kernelINS0_14default_configENS1_33run_length_encode_config_selectorIajNS0_4plusIjEEEEZZNS1_33reduce_by_key_impl_wrapped_configILNS1_25lookback_scan_determinismE0ES3_S7_PKaNS0_17constant_iteratorIjlEEPaPlSF_S6_NS0_8equal_toIaEEEE10hipError_tPvRmT2_T3_mT4_T5_T6_T7_T8_P12ihipStream_tbENKUlT_T0_E_clISt17integral_constantIbLb1EESZ_EEDaSU_SV_EUlSU_E_NS1_11comp_targetILNS1_3genE8ELNS1_11target_archE1030ELNS1_3gpuE2ELNS1_3repE0EEENS1_30default_config_static_selectorELNS0_4arch9wavefront6targetE1EEEvT1_,comdat
.Lfunc_end252:
	.size	_ZN7rocprim17ROCPRIM_400000_NS6detail17trampoline_kernelINS0_14default_configENS1_33run_length_encode_config_selectorIajNS0_4plusIjEEEEZZNS1_33reduce_by_key_impl_wrapped_configILNS1_25lookback_scan_determinismE0ES3_S7_PKaNS0_17constant_iteratorIjlEEPaPlSF_S6_NS0_8equal_toIaEEEE10hipError_tPvRmT2_T3_mT4_T5_T6_T7_T8_P12ihipStream_tbENKUlT_T0_E_clISt17integral_constantIbLb1EESZ_EEDaSU_SV_EUlSU_E_NS1_11comp_targetILNS1_3genE8ELNS1_11target_archE1030ELNS1_3gpuE2ELNS1_3repE0EEENS1_30default_config_static_selectorELNS0_4arch9wavefront6targetE1EEEvT1_, .Lfunc_end252-_ZN7rocprim17ROCPRIM_400000_NS6detail17trampoline_kernelINS0_14default_configENS1_33run_length_encode_config_selectorIajNS0_4plusIjEEEEZZNS1_33reduce_by_key_impl_wrapped_configILNS1_25lookback_scan_determinismE0ES3_S7_PKaNS0_17constant_iteratorIjlEEPaPlSF_S6_NS0_8equal_toIaEEEE10hipError_tPvRmT2_T3_mT4_T5_T6_T7_T8_P12ihipStream_tbENKUlT_T0_E_clISt17integral_constantIbLb1EESZ_EEDaSU_SV_EUlSU_E_NS1_11comp_targetILNS1_3genE8ELNS1_11target_archE1030ELNS1_3gpuE2ELNS1_3repE0EEENS1_30default_config_static_selectorELNS0_4arch9wavefront6targetE1EEEvT1_
                                        ; -- End function
	.section	.AMDGPU.csdata,"",@progbits
; Kernel info:
; codeLenInByte = 0
; NumSgprs: 4
; NumVgprs: 0
; NumAgprs: 0
; TotalNumVgprs: 0
; ScratchSize: 0
; MemoryBound: 0
; FloatMode: 240
; IeeeMode: 1
; LDSByteSize: 0 bytes/workgroup (compile time only)
; SGPRBlocks: 0
; VGPRBlocks: 0
; NumSGPRsForWavesPerEU: 4
; NumVGPRsForWavesPerEU: 1
; AccumOffset: 4
; Occupancy: 8
; WaveLimiterHint : 0
; COMPUTE_PGM_RSRC2:SCRATCH_EN: 0
; COMPUTE_PGM_RSRC2:USER_SGPR: 6
; COMPUTE_PGM_RSRC2:TRAP_HANDLER: 0
; COMPUTE_PGM_RSRC2:TGID_X_EN: 1
; COMPUTE_PGM_RSRC2:TGID_Y_EN: 0
; COMPUTE_PGM_RSRC2:TGID_Z_EN: 0
; COMPUTE_PGM_RSRC2:TIDIG_COMP_CNT: 0
; COMPUTE_PGM_RSRC3_GFX90A:ACCUM_OFFSET: 0
; COMPUTE_PGM_RSRC3_GFX90A:TG_SPLIT: 0
	.section	.text._ZN7rocprim17ROCPRIM_400000_NS6detail17trampoline_kernelINS0_14default_configENS1_33run_length_encode_config_selectorIajNS0_4plusIjEEEEZZNS1_33reduce_by_key_impl_wrapped_configILNS1_25lookback_scan_determinismE0ES3_S7_PKaNS0_17constant_iteratorIjlEEPaPlSF_S6_NS0_8equal_toIaEEEE10hipError_tPvRmT2_T3_mT4_T5_T6_T7_T8_P12ihipStream_tbENKUlT_T0_E_clISt17integral_constantIbLb1EESY_IbLb0EEEEDaSU_SV_EUlSU_E_NS1_11comp_targetILNS1_3genE0ELNS1_11target_archE4294967295ELNS1_3gpuE0ELNS1_3repE0EEENS1_30default_config_static_selectorELNS0_4arch9wavefront6targetE1EEEvT1_,"axG",@progbits,_ZN7rocprim17ROCPRIM_400000_NS6detail17trampoline_kernelINS0_14default_configENS1_33run_length_encode_config_selectorIajNS0_4plusIjEEEEZZNS1_33reduce_by_key_impl_wrapped_configILNS1_25lookback_scan_determinismE0ES3_S7_PKaNS0_17constant_iteratorIjlEEPaPlSF_S6_NS0_8equal_toIaEEEE10hipError_tPvRmT2_T3_mT4_T5_T6_T7_T8_P12ihipStream_tbENKUlT_T0_E_clISt17integral_constantIbLb1EESY_IbLb0EEEEDaSU_SV_EUlSU_E_NS1_11comp_targetILNS1_3genE0ELNS1_11target_archE4294967295ELNS1_3gpuE0ELNS1_3repE0EEENS1_30default_config_static_selectorELNS0_4arch9wavefront6targetE1EEEvT1_,comdat
	.protected	_ZN7rocprim17ROCPRIM_400000_NS6detail17trampoline_kernelINS0_14default_configENS1_33run_length_encode_config_selectorIajNS0_4plusIjEEEEZZNS1_33reduce_by_key_impl_wrapped_configILNS1_25lookback_scan_determinismE0ES3_S7_PKaNS0_17constant_iteratorIjlEEPaPlSF_S6_NS0_8equal_toIaEEEE10hipError_tPvRmT2_T3_mT4_T5_T6_T7_T8_P12ihipStream_tbENKUlT_T0_E_clISt17integral_constantIbLb1EESY_IbLb0EEEEDaSU_SV_EUlSU_E_NS1_11comp_targetILNS1_3genE0ELNS1_11target_archE4294967295ELNS1_3gpuE0ELNS1_3repE0EEENS1_30default_config_static_selectorELNS0_4arch9wavefront6targetE1EEEvT1_ ; -- Begin function _ZN7rocprim17ROCPRIM_400000_NS6detail17trampoline_kernelINS0_14default_configENS1_33run_length_encode_config_selectorIajNS0_4plusIjEEEEZZNS1_33reduce_by_key_impl_wrapped_configILNS1_25lookback_scan_determinismE0ES3_S7_PKaNS0_17constant_iteratorIjlEEPaPlSF_S6_NS0_8equal_toIaEEEE10hipError_tPvRmT2_T3_mT4_T5_T6_T7_T8_P12ihipStream_tbENKUlT_T0_E_clISt17integral_constantIbLb1EESY_IbLb0EEEEDaSU_SV_EUlSU_E_NS1_11comp_targetILNS1_3genE0ELNS1_11target_archE4294967295ELNS1_3gpuE0ELNS1_3repE0EEENS1_30default_config_static_selectorELNS0_4arch9wavefront6targetE1EEEvT1_
	.globl	_ZN7rocprim17ROCPRIM_400000_NS6detail17trampoline_kernelINS0_14default_configENS1_33run_length_encode_config_selectorIajNS0_4plusIjEEEEZZNS1_33reduce_by_key_impl_wrapped_configILNS1_25lookback_scan_determinismE0ES3_S7_PKaNS0_17constant_iteratorIjlEEPaPlSF_S6_NS0_8equal_toIaEEEE10hipError_tPvRmT2_T3_mT4_T5_T6_T7_T8_P12ihipStream_tbENKUlT_T0_E_clISt17integral_constantIbLb1EESY_IbLb0EEEEDaSU_SV_EUlSU_E_NS1_11comp_targetILNS1_3genE0ELNS1_11target_archE4294967295ELNS1_3gpuE0ELNS1_3repE0EEENS1_30default_config_static_selectorELNS0_4arch9wavefront6targetE1EEEvT1_
	.p2align	8
	.type	_ZN7rocprim17ROCPRIM_400000_NS6detail17trampoline_kernelINS0_14default_configENS1_33run_length_encode_config_selectorIajNS0_4plusIjEEEEZZNS1_33reduce_by_key_impl_wrapped_configILNS1_25lookback_scan_determinismE0ES3_S7_PKaNS0_17constant_iteratorIjlEEPaPlSF_S6_NS0_8equal_toIaEEEE10hipError_tPvRmT2_T3_mT4_T5_T6_T7_T8_P12ihipStream_tbENKUlT_T0_E_clISt17integral_constantIbLb1EESY_IbLb0EEEEDaSU_SV_EUlSU_E_NS1_11comp_targetILNS1_3genE0ELNS1_11target_archE4294967295ELNS1_3gpuE0ELNS1_3repE0EEENS1_30default_config_static_selectorELNS0_4arch9wavefront6targetE1EEEvT1_,@function
_ZN7rocprim17ROCPRIM_400000_NS6detail17trampoline_kernelINS0_14default_configENS1_33run_length_encode_config_selectorIajNS0_4plusIjEEEEZZNS1_33reduce_by_key_impl_wrapped_configILNS1_25lookback_scan_determinismE0ES3_S7_PKaNS0_17constant_iteratorIjlEEPaPlSF_S6_NS0_8equal_toIaEEEE10hipError_tPvRmT2_T3_mT4_T5_T6_T7_T8_P12ihipStream_tbENKUlT_T0_E_clISt17integral_constantIbLb1EESY_IbLb0EEEEDaSU_SV_EUlSU_E_NS1_11comp_targetILNS1_3genE0ELNS1_11target_archE4294967295ELNS1_3gpuE0ELNS1_3repE0EEENS1_30default_config_static_selectorELNS0_4arch9wavefront6targetE1EEEvT1_: ; @_ZN7rocprim17ROCPRIM_400000_NS6detail17trampoline_kernelINS0_14default_configENS1_33run_length_encode_config_selectorIajNS0_4plusIjEEEEZZNS1_33reduce_by_key_impl_wrapped_configILNS1_25lookback_scan_determinismE0ES3_S7_PKaNS0_17constant_iteratorIjlEEPaPlSF_S6_NS0_8equal_toIaEEEE10hipError_tPvRmT2_T3_mT4_T5_T6_T7_T8_P12ihipStream_tbENKUlT_T0_E_clISt17integral_constantIbLb1EESY_IbLb0EEEEDaSU_SV_EUlSU_E_NS1_11comp_targetILNS1_3genE0ELNS1_11target_archE4294967295ELNS1_3gpuE0ELNS1_3repE0EEENS1_30default_config_static_selectorELNS0_4arch9wavefront6targetE1EEEvT1_
; %bb.0:
	.section	.rodata,"a",@progbits
	.p2align	6, 0x0
	.amdhsa_kernel _ZN7rocprim17ROCPRIM_400000_NS6detail17trampoline_kernelINS0_14default_configENS1_33run_length_encode_config_selectorIajNS0_4plusIjEEEEZZNS1_33reduce_by_key_impl_wrapped_configILNS1_25lookback_scan_determinismE0ES3_S7_PKaNS0_17constant_iteratorIjlEEPaPlSF_S6_NS0_8equal_toIaEEEE10hipError_tPvRmT2_T3_mT4_T5_T6_T7_T8_P12ihipStream_tbENKUlT_T0_E_clISt17integral_constantIbLb1EESY_IbLb0EEEEDaSU_SV_EUlSU_E_NS1_11comp_targetILNS1_3genE0ELNS1_11target_archE4294967295ELNS1_3gpuE0ELNS1_3repE0EEENS1_30default_config_static_selectorELNS0_4arch9wavefront6targetE1EEEvT1_
		.amdhsa_group_segment_fixed_size 0
		.amdhsa_private_segment_fixed_size 0
		.amdhsa_kernarg_size 128
		.amdhsa_user_sgpr_count 6
		.amdhsa_user_sgpr_private_segment_buffer 1
		.amdhsa_user_sgpr_dispatch_ptr 0
		.amdhsa_user_sgpr_queue_ptr 0
		.amdhsa_user_sgpr_kernarg_segment_ptr 1
		.amdhsa_user_sgpr_dispatch_id 0
		.amdhsa_user_sgpr_flat_scratch_init 0
		.amdhsa_user_sgpr_kernarg_preload_length 0
		.amdhsa_user_sgpr_kernarg_preload_offset 0
		.amdhsa_user_sgpr_private_segment_size 0
		.amdhsa_uses_dynamic_stack 0
		.amdhsa_system_sgpr_private_segment_wavefront_offset 0
		.amdhsa_system_sgpr_workgroup_id_x 1
		.amdhsa_system_sgpr_workgroup_id_y 0
		.amdhsa_system_sgpr_workgroup_id_z 0
		.amdhsa_system_sgpr_workgroup_info 0
		.amdhsa_system_vgpr_workitem_id 0
		.amdhsa_next_free_vgpr 1
		.amdhsa_next_free_sgpr 0
		.amdhsa_accum_offset 4
		.amdhsa_reserve_vcc 0
		.amdhsa_reserve_flat_scratch 0
		.amdhsa_float_round_mode_32 0
		.amdhsa_float_round_mode_16_64 0
		.amdhsa_float_denorm_mode_32 3
		.amdhsa_float_denorm_mode_16_64 3
		.amdhsa_dx10_clamp 1
		.amdhsa_ieee_mode 1
		.amdhsa_fp16_overflow 0
		.amdhsa_tg_split 0
		.amdhsa_exception_fp_ieee_invalid_op 0
		.amdhsa_exception_fp_denorm_src 0
		.amdhsa_exception_fp_ieee_div_zero 0
		.amdhsa_exception_fp_ieee_overflow 0
		.amdhsa_exception_fp_ieee_underflow 0
		.amdhsa_exception_fp_ieee_inexact 0
		.amdhsa_exception_int_div_zero 0
	.end_amdhsa_kernel
	.section	.text._ZN7rocprim17ROCPRIM_400000_NS6detail17trampoline_kernelINS0_14default_configENS1_33run_length_encode_config_selectorIajNS0_4plusIjEEEEZZNS1_33reduce_by_key_impl_wrapped_configILNS1_25lookback_scan_determinismE0ES3_S7_PKaNS0_17constant_iteratorIjlEEPaPlSF_S6_NS0_8equal_toIaEEEE10hipError_tPvRmT2_T3_mT4_T5_T6_T7_T8_P12ihipStream_tbENKUlT_T0_E_clISt17integral_constantIbLb1EESY_IbLb0EEEEDaSU_SV_EUlSU_E_NS1_11comp_targetILNS1_3genE0ELNS1_11target_archE4294967295ELNS1_3gpuE0ELNS1_3repE0EEENS1_30default_config_static_selectorELNS0_4arch9wavefront6targetE1EEEvT1_,"axG",@progbits,_ZN7rocprim17ROCPRIM_400000_NS6detail17trampoline_kernelINS0_14default_configENS1_33run_length_encode_config_selectorIajNS0_4plusIjEEEEZZNS1_33reduce_by_key_impl_wrapped_configILNS1_25lookback_scan_determinismE0ES3_S7_PKaNS0_17constant_iteratorIjlEEPaPlSF_S6_NS0_8equal_toIaEEEE10hipError_tPvRmT2_T3_mT4_T5_T6_T7_T8_P12ihipStream_tbENKUlT_T0_E_clISt17integral_constantIbLb1EESY_IbLb0EEEEDaSU_SV_EUlSU_E_NS1_11comp_targetILNS1_3genE0ELNS1_11target_archE4294967295ELNS1_3gpuE0ELNS1_3repE0EEENS1_30default_config_static_selectorELNS0_4arch9wavefront6targetE1EEEvT1_,comdat
.Lfunc_end253:
	.size	_ZN7rocprim17ROCPRIM_400000_NS6detail17trampoline_kernelINS0_14default_configENS1_33run_length_encode_config_selectorIajNS0_4plusIjEEEEZZNS1_33reduce_by_key_impl_wrapped_configILNS1_25lookback_scan_determinismE0ES3_S7_PKaNS0_17constant_iteratorIjlEEPaPlSF_S6_NS0_8equal_toIaEEEE10hipError_tPvRmT2_T3_mT4_T5_T6_T7_T8_P12ihipStream_tbENKUlT_T0_E_clISt17integral_constantIbLb1EESY_IbLb0EEEEDaSU_SV_EUlSU_E_NS1_11comp_targetILNS1_3genE0ELNS1_11target_archE4294967295ELNS1_3gpuE0ELNS1_3repE0EEENS1_30default_config_static_selectorELNS0_4arch9wavefront6targetE1EEEvT1_, .Lfunc_end253-_ZN7rocprim17ROCPRIM_400000_NS6detail17trampoline_kernelINS0_14default_configENS1_33run_length_encode_config_selectorIajNS0_4plusIjEEEEZZNS1_33reduce_by_key_impl_wrapped_configILNS1_25lookback_scan_determinismE0ES3_S7_PKaNS0_17constant_iteratorIjlEEPaPlSF_S6_NS0_8equal_toIaEEEE10hipError_tPvRmT2_T3_mT4_T5_T6_T7_T8_P12ihipStream_tbENKUlT_T0_E_clISt17integral_constantIbLb1EESY_IbLb0EEEEDaSU_SV_EUlSU_E_NS1_11comp_targetILNS1_3genE0ELNS1_11target_archE4294967295ELNS1_3gpuE0ELNS1_3repE0EEENS1_30default_config_static_selectorELNS0_4arch9wavefront6targetE1EEEvT1_
                                        ; -- End function
	.section	.AMDGPU.csdata,"",@progbits
; Kernel info:
; codeLenInByte = 0
; NumSgprs: 4
; NumVgprs: 0
; NumAgprs: 0
; TotalNumVgprs: 0
; ScratchSize: 0
; MemoryBound: 0
; FloatMode: 240
; IeeeMode: 1
; LDSByteSize: 0 bytes/workgroup (compile time only)
; SGPRBlocks: 0
; VGPRBlocks: 0
; NumSGPRsForWavesPerEU: 4
; NumVGPRsForWavesPerEU: 1
; AccumOffset: 4
; Occupancy: 8
; WaveLimiterHint : 0
; COMPUTE_PGM_RSRC2:SCRATCH_EN: 0
; COMPUTE_PGM_RSRC2:USER_SGPR: 6
; COMPUTE_PGM_RSRC2:TRAP_HANDLER: 0
; COMPUTE_PGM_RSRC2:TGID_X_EN: 1
; COMPUTE_PGM_RSRC2:TGID_Y_EN: 0
; COMPUTE_PGM_RSRC2:TGID_Z_EN: 0
; COMPUTE_PGM_RSRC2:TIDIG_COMP_CNT: 0
; COMPUTE_PGM_RSRC3_GFX90A:ACCUM_OFFSET: 0
; COMPUTE_PGM_RSRC3_GFX90A:TG_SPLIT: 0
	.section	.text._ZN7rocprim17ROCPRIM_400000_NS6detail17trampoline_kernelINS0_14default_configENS1_33run_length_encode_config_selectorIajNS0_4plusIjEEEEZZNS1_33reduce_by_key_impl_wrapped_configILNS1_25lookback_scan_determinismE0ES3_S7_PKaNS0_17constant_iteratorIjlEEPaPlSF_S6_NS0_8equal_toIaEEEE10hipError_tPvRmT2_T3_mT4_T5_T6_T7_T8_P12ihipStream_tbENKUlT_T0_E_clISt17integral_constantIbLb1EESY_IbLb0EEEEDaSU_SV_EUlSU_E_NS1_11comp_targetILNS1_3genE5ELNS1_11target_archE942ELNS1_3gpuE9ELNS1_3repE0EEENS1_30default_config_static_selectorELNS0_4arch9wavefront6targetE1EEEvT1_,"axG",@progbits,_ZN7rocprim17ROCPRIM_400000_NS6detail17trampoline_kernelINS0_14default_configENS1_33run_length_encode_config_selectorIajNS0_4plusIjEEEEZZNS1_33reduce_by_key_impl_wrapped_configILNS1_25lookback_scan_determinismE0ES3_S7_PKaNS0_17constant_iteratorIjlEEPaPlSF_S6_NS0_8equal_toIaEEEE10hipError_tPvRmT2_T3_mT4_T5_T6_T7_T8_P12ihipStream_tbENKUlT_T0_E_clISt17integral_constantIbLb1EESY_IbLb0EEEEDaSU_SV_EUlSU_E_NS1_11comp_targetILNS1_3genE5ELNS1_11target_archE942ELNS1_3gpuE9ELNS1_3repE0EEENS1_30default_config_static_selectorELNS0_4arch9wavefront6targetE1EEEvT1_,comdat
	.protected	_ZN7rocprim17ROCPRIM_400000_NS6detail17trampoline_kernelINS0_14default_configENS1_33run_length_encode_config_selectorIajNS0_4plusIjEEEEZZNS1_33reduce_by_key_impl_wrapped_configILNS1_25lookback_scan_determinismE0ES3_S7_PKaNS0_17constant_iteratorIjlEEPaPlSF_S6_NS0_8equal_toIaEEEE10hipError_tPvRmT2_T3_mT4_T5_T6_T7_T8_P12ihipStream_tbENKUlT_T0_E_clISt17integral_constantIbLb1EESY_IbLb0EEEEDaSU_SV_EUlSU_E_NS1_11comp_targetILNS1_3genE5ELNS1_11target_archE942ELNS1_3gpuE9ELNS1_3repE0EEENS1_30default_config_static_selectorELNS0_4arch9wavefront6targetE1EEEvT1_ ; -- Begin function _ZN7rocprim17ROCPRIM_400000_NS6detail17trampoline_kernelINS0_14default_configENS1_33run_length_encode_config_selectorIajNS0_4plusIjEEEEZZNS1_33reduce_by_key_impl_wrapped_configILNS1_25lookback_scan_determinismE0ES3_S7_PKaNS0_17constant_iteratorIjlEEPaPlSF_S6_NS0_8equal_toIaEEEE10hipError_tPvRmT2_T3_mT4_T5_T6_T7_T8_P12ihipStream_tbENKUlT_T0_E_clISt17integral_constantIbLb1EESY_IbLb0EEEEDaSU_SV_EUlSU_E_NS1_11comp_targetILNS1_3genE5ELNS1_11target_archE942ELNS1_3gpuE9ELNS1_3repE0EEENS1_30default_config_static_selectorELNS0_4arch9wavefront6targetE1EEEvT1_
	.globl	_ZN7rocprim17ROCPRIM_400000_NS6detail17trampoline_kernelINS0_14default_configENS1_33run_length_encode_config_selectorIajNS0_4plusIjEEEEZZNS1_33reduce_by_key_impl_wrapped_configILNS1_25lookback_scan_determinismE0ES3_S7_PKaNS0_17constant_iteratorIjlEEPaPlSF_S6_NS0_8equal_toIaEEEE10hipError_tPvRmT2_T3_mT4_T5_T6_T7_T8_P12ihipStream_tbENKUlT_T0_E_clISt17integral_constantIbLb1EESY_IbLb0EEEEDaSU_SV_EUlSU_E_NS1_11comp_targetILNS1_3genE5ELNS1_11target_archE942ELNS1_3gpuE9ELNS1_3repE0EEENS1_30default_config_static_selectorELNS0_4arch9wavefront6targetE1EEEvT1_
	.p2align	8
	.type	_ZN7rocprim17ROCPRIM_400000_NS6detail17trampoline_kernelINS0_14default_configENS1_33run_length_encode_config_selectorIajNS0_4plusIjEEEEZZNS1_33reduce_by_key_impl_wrapped_configILNS1_25lookback_scan_determinismE0ES3_S7_PKaNS0_17constant_iteratorIjlEEPaPlSF_S6_NS0_8equal_toIaEEEE10hipError_tPvRmT2_T3_mT4_T5_T6_T7_T8_P12ihipStream_tbENKUlT_T0_E_clISt17integral_constantIbLb1EESY_IbLb0EEEEDaSU_SV_EUlSU_E_NS1_11comp_targetILNS1_3genE5ELNS1_11target_archE942ELNS1_3gpuE9ELNS1_3repE0EEENS1_30default_config_static_selectorELNS0_4arch9wavefront6targetE1EEEvT1_,@function
_ZN7rocprim17ROCPRIM_400000_NS6detail17trampoline_kernelINS0_14default_configENS1_33run_length_encode_config_selectorIajNS0_4plusIjEEEEZZNS1_33reduce_by_key_impl_wrapped_configILNS1_25lookback_scan_determinismE0ES3_S7_PKaNS0_17constant_iteratorIjlEEPaPlSF_S6_NS0_8equal_toIaEEEE10hipError_tPvRmT2_T3_mT4_T5_T6_T7_T8_P12ihipStream_tbENKUlT_T0_E_clISt17integral_constantIbLb1EESY_IbLb0EEEEDaSU_SV_EUlSU_E_NS1_11comp_targetILNS1_3genE5ELNS1_11target_archE942ELNS1_3gpuE9ELNS1_3repE0EEENS1_30default_config_static_selectorELNS0_4arch9wavefront6targetE1EEEvT1_: ; @_ZN7rocprim17ROCPRIM_400000_NS6detail17trampoline_kernelINS0_14default_configENS1_33run_length_encode_config_selectorIajNS0_4plusIjEEEEZZNS1_33reduce_by_key_impl_wrapped_configILNS1_25lookback_scan_determinismE0ES3_S7_PKaNS0_17constant_iteratorIjlEEPaPlSF_S6_NS0_8equal_toIaEEEE10hipError_tPvRmT2_T3_mT4_T5_T6_T7_T8_P12ihipStream_tbENKUlT_T0_E_clISt17integral_constantIbLb1EESY_IbLb0EEEEDaSU_SV_EUlSU_E_NS1_11comp_targetILNS1_3genE5ELNS1_11target_archE942ELNS1_3gpuE9ELNS1_3repE0EEENS1_30default_config_static_selectorELNS0_4arch9wavefront6targetE1EEEvT1_
; %bb.0:
	.section	.rodata,"a",@progbits
	.p2align	6, 0x0
	.amdhsa_kernel _ZN7rocprim17ROCPRIM_400000_NS6detail17trampoline_kernelINS0_14default_configENS1_33run_length_encode_config_selectorIajNS0_4plusIjEEEEZZNS1_33reduce_by_key_impl_wrapped_configILNS1_25lookback_scan_determinismE0ES3_S7_PKaNS0_17constant_iteratorIjlEEPaPlSF_S6_NS0_8equal_toIaEEEE10hipError_tPvRmT2_T3_mT4_T5_T6_T7_T8_P12ihipStream_tbENKUlT_T0_E_clISt17integral_constantIbLb1EESY_IbLb0EEEEDaSU_SV_EUlSU_E_NS1_11comp_targetILNS1_3genE5ELNS1_11target_archE942ELNS1_3gpuE9ELNS1_3repE0EEENS1_30default_config_static_selectorELNS0_4arch9wavefront6targetE1EEEvT1_
		.amdhsa_group_segment_fixed_size 0
		.amdhsa_private_segment_fixed_size 0
		.amdhsa_kernarg_size 128
		.amdhsa_user_sgpr_count 6
		.amdhsa_user_sgpr_private_segment_buffer 1
		.amdhsa_user_sgpr_dispatch_ptr 0
		.amdhsa_user_sgpr_queue_ptr 0
		.amdhsa_user_sgpr_kernarg_segment_ptr 1
		.amdhsa_user_sgpr_dispatch_id 0
		.amdhsa_user_sgpr_flat_scratch_init 0
		.amdhsa_user_sgpr_kernarg_preload_length 0
		.amdhsa_user_sgpr_kernarg_preload_offset 0
		.amdhsa_user_sgpr_private_segment_size 0
		.amdhsa_uses_dynamic_stack 0
		.amdhsa_system_sgpr_private_segment_wavefront_offset 0
		.amdhsa_system_sgpr_workgroup_id_x 1
		.amdhsa_system_sgpr_workgroup_id_y 0
		.amdhsa_system_sgpr_workgroup_id_z 0
		.amdhsa_system_sgpr_workgroup_info 0
		.amdhsa_system_vgpr_workitem_id 0
		.amdhsa_next_free_vgpr 1
		.amdhsa_next_free_sgpr 0
		.amdhsa_accum_offset 4
		.amdhsa_reserve_vcc 0
		.amdhsa_reserve_flat_scratch 0
		.amdhsa_float_round_mode_32 0
		.amdhsa_float_round_mode_16_64 0
		.amdhsa_float_denorm_mode_32 3
		.amdhsa_float_denorm_mode_16_64 3
		.amdhsa_dx10_clamp 1
		.amdhsa_ieee_mode 1
		.amdhsa_fp16_overflow 0
		.amdhsa_tg_split 0
		.amdhsa_exception_fp_ieee_invalid_op 0
		.amdhsa_exception_fp_denorm_src 0
		.amdhsa_exception_fp_ieee_div_zero 0
		.amdhsa_exception_fp_ieee_overflow 0
		.amdhsa_exception_fp_ieee_underflow 0
		.amdhsa_exception_fp_ieee_inexact 0
		.amdhsa_exception_int_div_zero 0
	.end_amdhsa_kernel
	.section	.text._ZN7rocprim17ROCPRIM_400000_NS6detail17trampoline_kernelINS0_14default_configENS1_33run_length_encode_config_selectorIajNS0_4plusIjEEEEZZNS1_33reduce_by_key_impl_wrapped_configILNS1_25lookback_scan_determinismE0ES3_S7_PKaNS0_17constant_iteratorIjlEEPaPlSF_S6_NS0_8equal_toIaEEEE10hipError_tPvRmT2_T3_mT4_T5_T6_T7_T8_P12ihipStream_tbENKUlT_T0_E_clISt17integral_constantIbLb1EESY_IbLb0EEEEDaSU_SV_EUlSU_E_NS1_11comp_targetILNS1_3genE5ELNS1_11target_archE942ELNS1_3gpuE9ELNS1_3repE0EEENS1_30default_config_static_selectorELNS0_4arch9wavefront6targetE1EEEvT1_,"axG",@progbits,_ZN7rocprim17ROCPRIM_400000_NS6detail17trampoline_kernelINS0_14default_configENS1_33run_length_encode_config_selectorIajNS0_4plusIjEEEEZZNS1_33reduce_by_key_impl_wrapped_configILNS1_25lookback_scan_determinismE0ES3_S7_PKaNS0_17constant_iteratorIjlEEPaPlSF_S6_NS0_8equal_toIaEEEE10hipError_tPvRmT2_T3_mT4_T5_T6_T7_T8_P12ihipStream_tbENKUlT_T0_E_clISt17integral_constantIbLb1EESY_IbLb0EEEEDaSU_SV_EUlSU_E_NS1_11comp_targetILNS1_3genE5ELNS1_11target_archE942ELNS1_3gpuE9ELNS1_3repE0EEENS1_30default_config_static_selectorELNS0_4arch9wavefront6targetE1EEEvT1_,comdat
.Lfunc_end254:
	.size	_ZN7rocprim17ROCPRIM_400000_NS6detail17trampoline_kernelINS0_14default_configENS1_33run_length_encode_config_selectorIajNS0_4plusIjEEEEZZNS1_33reduce_by_key_impl_wrapped_configILNS1_25lookback_scan_determinismE0ES3_S7_PKaNS0_17constant_iteratorIjlEEPaPlSF_S6_NS0_8equal_toIaEEEE10hipError_tPvRmT2_T3_mT4_T5_T6_T7_T8_P12ihipStream_tbENKUlT_T0_E_clISt17integral_constantIbLb1EESY_IbLb0EEEEDaSU_SV_EUlSU_E_NS1_11comp_targetILNS1_3genE5ELNS1_11target_archE942ELNS1_3gpuE9ELNS1_3repE0EEENS1_30default_config_static_selectorELNS0_4arch9wavefront6targetE1EEEvT1_, .Lfunc_end254-_ZN7rocprim17ROCPRIM_400000_NS6detail17trampoline_kernelINS0_14default_configENS1_33run_length_encode_config_selectorIajNS0_4plusIjEEEEZZNS1_33reduce_by_key_impl_wrapped_configILNS1_25lookback_scan_determinismE0ES3_S7_PKaNS0_17constant_iteratorIjlEEPaPlSF_S6_NS0_8equal_toIaEEEE10hipError_tPvRmT2_T3_mT4_T5_T6_T7_T8_P12ihipStream_tbENKUlT_T0_E_clISt17integral_constantIbLb1EESY_IbLb0EEEEDaSU_SV_EUlSU_E_NS1_11comp_targetILNS1_3genE5ELNS1_11target_archE942ELNS1_3gpuE9ELNS1_3repE0EEENS1_30default_config_static_selectorELNS0_4arch9wavefront6targetE1EEEvT1_
                                        ; -- End function
	.section	.AMDGPU.csdata,"",@progbits
; Kernel info:
; codeLenInByte = 0
; NumSgprs: 4
; NumVgprs: 0
; NumAgprs: 0
; TotalNumVgprs: 0
; ScratchSize: 0
; MemoryBound: 0
; FloatMode: 240
; IeeeMode: 1
; LDSByteSize: 0 bytes/workgroup (compile time only)
; SGPRBlocks: 0
; VGPRBlocks: 0
; NumSGPRsForWavesPerEU: 4
; NumVGPRsForWavesPerEU: 1
; AccumOffset: 4
; Occupancy: 8
; WaveLimiterHint : 0
; COMPUTE_PGM_RSRC2:SCRATCH_EN: 0
; COMPUTE_PGM_RSRC2:USER_SGPR: 6
; COMPUTE_PGM_RSRC2:TRAP_HANDLER: 0
; COMPUTE_PGM_RSRC2:TGID_X_EN: 1
; COMPUTE_PGM_RSRC2:TGID_Y_EN: 0
; COMPUTE_PGM_RSRC2:TGID_Z_EN: 0
; COMPUTE_PGM_RSRC2:TIDIG_COMP_CNT: 0
; COMPUTE_PGM_RSRC3_GFX90A:ACCUM_OFFSET: 0
; COMPUTE_PGM_RSRC3_GFX90A:TG_SPLIT: 0
	.section	.text._ZN7rocprim17ROCPRIM_400000_NS6detail17trampoline_kernelINS0_14default_configENS1_33run_length_encode_config_selectorIajNS0_4plusIjEEEEZZNS1_33reduce_by_key_impl_wrapped_configILNS1_25lookback_scan_determinismE0ES3_S7_PKaNS0_17constant_iteratorIjlEEPaPlSF_S6_NS0_8equal_toIaEEEE10hipError_tPvRmT2_T3_mT4_T5_T6_T7_T8_P12ihipStream_tbENKUlT_T0_E_clISt17integral_constantIbLb1EESY_IbLb0EEEEDaSU_SV_EUlSU_E_NS1_11comp_targetILNS1_3genE4ELNS1_11target_archE910ELNS1_3gpuE8ELNS1_3repE0EEENS1_30default_config_static_selectorELNS0_4arch9wavefront6targetE1EEEvT1_,"axG",@progbits,_ZN7rocprim17ROCPRIM_400000_NS6detail17trampoline_kernelINS0_14default_configENS1_33run_length_encode_config_selectorIajNS0_4plusIjEEEEZZNS1_33reduce_by_key_impl_wrapped_configILNS1_25lookback_scan_determinismE0ES3_S7_PKaNS0_17constant_iteratorIjlEEPaPlSF_S6_NS0_8equal_toIaEEEE10hipError_tPvRmT2_T3_mT4_T5_T6_T7_T8_P12ihipStream_tbENKUlT_T0_E_clISt17integral_constantIbLb1EESY_IbLb0EEEEDaSU_SV_EUlSU_E_NS1_11comp_targetILNS1_3genE4ELNS1_11target_archE910ELNS1_3gpuE8ELNS1_3repE0EEENS1_30default_config_static_selectorELNS0_4arch9wavefront6targetE1EEEvT1_,comdat
	.protected	_ZN7rocprim17ROCPRIM_400000_NS6detail17trampoline_kernelINS0_14default_configENS1_33run_length_encode_config_selectorIajNS0_4plusIjEEEEZZNS1_33reduce_by_key_impl_wrapped_configILNS1_25lookback_scan_determinismE0ES3_S7_PKaNS0_17constant_iteratorIjlEEPaPlSF_S6_NS0_8equal_toIaEEEE10hipError_tPvRmT2_T3_mT4_T5_T6_T7_T8_P12ihipStream_tbENKUlT_T0_E_clISt17integral_constantIbLb1EESY_IbLb0EEEEDaSU_SV_EUlSU_E_NS1_11comp_targetILNS1_3genE4ELNS1_11target_archE910ELNS1_3gpuE8ELNS1_3repE0EEENS1_30default_config_static_selectorELNS0_4arch9wavefront6targetE1EEEvT1_ ; -- Begin function _ZN7rocprim17ROCPRIM_400000_NS6detail17trampoline_kernelINS0_14default_configENS1_33run_length_encode_config_selectorIajNS0_4plusIjEEEEZZNS1_33reduce_by_key_impl_wrapped_configILNS1_25lookback_scan_determinismE0ES3_S7_PKaNS0_17constant_iteratorIjlEEPaPlSF_S6_NS0_8equal_toIaEEEE10hipError_tPvRmT2_T3_mT4_T5_T6_T7_T8_P12ihipStream_tbENKUlT_T0_E_clISt17integral_constantIbLb1EESY_IbLb0EEEEDaSU_SV_EUlSU_E_NS1_11comp_targetILNS1_3genE4ELNS1_11target_archE910ELNS1_3gpuE8ELNS1_3repE0EEENS1_30default_config_static_selectorELNS0_4arch9wavefront6targetE1EEEvT1_
	.globl	_ZN7rocprim17ROCPRIM_400000_NS6detail17trampoline_kernelINS0_14default_configENS1_33run_length_encode_config_selectorIajNS0_4plusIjEEEEZZNS1_33reduce_by_key_impl_wrapped_configILNS1_25lookback_scan_determinismE0ES3_S7_PKaNS0_17constant_iteratorIjlEEPaPlSF_S6_NS0_8equal_toIaEEEE10hipError_tPvRmT2_T3_mT4_T5_T6_T7_T8_P12ihipStream_tbENKUlT_T0_E_clISt17integral_constantIbLb1EESY_IbLb0EEEEDaSU_SV_EUlSU_E_NS1_11comp_targetILNS1_3genE4ELNS1_11target_archE910ELNS1_3gpuE8ELNS1_3repE0EEENS1_30default_config_static_selectorELNS0_4arch9wavefront6targetE1EEEvT1_
	.p2align	8
	.type	_ZN7rocprim17ROCPRIM_400000_NS6detail17trampoline_kernelINS0_14default_configENS1_33run_length_encode_config_selectorIajNS0_4plusIjEEEEZZNS1_33reduce_by_key_impl_wrapped_configILNS1_25lookback_scan_determinismE0ES3_S7_PKaNS0_17constant_iteratorIjlEEPaPlSF_S6_NS0_8equal_toIaEEEE10hipError_tPvRmT2_T3_mT4_T5_T6_T7_T8_P12ihipStream_tbENKUlT_T0_E_clISt17integral_constantIbLb1EESY_IbLb0EEEEDaSU_SV_EUlSU_E_NS1_11comp_targetILNS1_3genE4ELNS1_11target_archE910ELNS1_3gpuE8ELNS1_3repE0EEENS1_30default_config_static_selectorELNS0_4arch9wavefront6targetE1EEEvT1_,@function
_ZN7rocprim17ROCPRIM_400000_NS6detail17trampoline_kernelINS0_14default_configENS1_33run_length_encode_config_selectorIajNS0_4plusIjEEEEZZNS1_33reduce_by_key_impl_wrapped_configILNS1_25lookback_scan_determinismE0ES3_S7_PKaNS0_17constant_iteratorIjlEEPaPlSF_S6_NS0_8equal_toIaEEEE10hipError_tPvRmT2_T3_mT4_T5_T6_T7_T8_P12ihipStream_tbENKUlT_T0_E_clISt17integral_constantIbLb1EESY_IbLb0EEEEDaSU_SV_EUlSU_E_NS1_11comp_targetILNS1_3genE4ELNS1_11target_archE910ELNS1_3gpuE8ELNS1_3repE0EEENS1_30default_config_static_selectorELNS0_4arch9wavefront6targetE1EEEvT1_: ; @_ZN7rocprim17ROCPRIM_400000_NS6detail17trampoline_kernelINS0_14default_configENS1_33run_length_encode_config_selectorIajNS0_4plusIjEEEEZZNS1_33reduce_by_key_impl_wrapped_configILNS1_25lookback_scan_determinismE0ES3_S7_PKaNS0_17constant_iteratorIjlEEPaPlSF_S6_NS0_8equal_toIaEEEE10hipError_tPvRmT2_T3_mT4_T5_T6_T7_T8_P12ihipStream_tbENKUlT_T0_E_clISt17integral_constantIbLb1EESY_IbLb0EEEEDaSU_SV_EUlSU_E_NS1_11comp_targetILNS1_3genE4ELNS1_11target_archE910ELNS1_3gpuE8ELNS1_3repE0EEENS1_30default_config_static_selectorELNS0_4arch9wavefront6targetE1EEEvT1_
; %bb.0:
	s_load_dwordx8 s[36:43], s[4:5], 0x40
	s_load_dwordx4 s[0:3], s[4:5], 0x0
	s_load_dword s7, s[4:5], 0x10
	s_load_dwordx4 s[44:47], s[4:5], 0x60
	s_mov_b64 s[12:13], -1
	s_waitcnt lgkmcnt(0)
	s_mul_i32 s8, s40, s39
	s_mul_hi_u32 s9, s40, s38
	s_add_i32 s8, s9, s8
	s_mul_i32 s9, s41, s38
	s_add_i32 s8, s8, s9
	s_add_u32 s0, s0, s2
	s_addc_u32 s1, s1, s3
	s_mul_i32 s2, s6, 0xf00
	s_add_u32 s0, s0, s2
	s_mul_i32 s9, s40, s38
	s_addc_u32 s1, s1, 0
	s_add_u32 s2, s9, s6
	s_addc_u32 s3, s8, 0
	s_add_u32 s8, s42, -1
	s_addc_u32 s9, s43, -1
	s_cmp_eq_u64 s[2:3], s[8:9]
	s_cselect_b64 s[34:35], -1, 0
	s_cmp_lg_u64 s[2:3], s[8:9]
	s_cselect_b64 s[10:11], -1, 0
	s_mul_i32 s33, s8, 0xfffff100
	s_and_b64 vcc, exec, s[34:35]
	v_mad_u32_u24 v2, v0, 14, v0
	s_cbranch_vccnz .LBB255_2
; %bb.1:
	global_load_ubyte v1, v0, s[0:1]
	global_load_ubyte v3, v0, s[0:1] offset:256
	global_load_ubyte v4, v0, s[0:1] offset:512
	;; [unrolled: 1-line block ×14, first 2 shown]
	s_mov_b64 s[8:9], -1
	s_waitcnt vmcnt(14)
	ds_write_b8 v0, v1
	s_waitcnt vmcnt(13)
	ds_write_b8 v0, v3 offset:256
	s_waitcnt vmcnt(12)
	ds_write_b8 v0, v4 offset:512
	;; [unrolled: 2-line block ×14, first 2 shown]
	s_waitcnt lgkmcnt(0)
	s_barrier
	ds_read_b96 v[8:10], v2
	ds_read_u8 v21, v2 offset:12
	ds_read_u8 v11, v2 offset:13
	;; [unrolled: 1-line block ×3, first 2 shown]
	s_waitcnt lgkmcnt(3)
	v_lshrrev_b32_e32 v66, 8, v8
	v_lshrrev_b32_e32 v64, 16, v8
	;; [unrolled: 1-line block ×9, first 2 shown]
	s_add_i32 s33, s33, s44
	s_cbranch_execz .LBB255_3
	s_branch .LBB255_34
.LBB255_2:
	s_mov_b64 s[8:9], 0
                                        ; implicit-def: $vgpr8
                                        ; implicit-def: $vgpr66
                                        ; implicit-def: $vgpr64
                                        ; implicit-def: $vgpr62
                                        ; implicit-def: $vgpr60
                                        ; implicit-def: $vgpr59
                                        ; implicit-def: $vgpr58
                                        ; implicit-def: $vgpr57
                                        ; implicit-def: $vgpr56
                                        ; implicit-def: $vgpr55
                                        ; implicit-def: $vgpr21
                                        ; implicit-def: $vgpr11
                                        ; implicit-def: $vgpr1
	s_add_i32 s33, s33, s44
	s_andn2_b64 vcc, exec, s[12:13]
	s_cbranch_vccnz .LBB255_34
.LBB255_3:
	v_cmp_gt_u32_e32 vcc, s33, v0
                                        ; implicit-def: $vgpr1
	s_and_saveexec_b64 s[8:9], vcc
	s_cbranch_execz .LBB255_5
; %bb.4:
	s_waitcnt lgkmcnt(0)
	global_load_ubyte v1, v0, s[0:1]
.LBB255_5:
	s_or_b64 exec, exec, s[8:9]
	v_or_b32_e32 v3, 0x100, v0
	v_cmp_gt_u32_e32 vcc, s33, v3
                                        ; implicit-def: $vgpr3
	s_and_saveexec_b64 s[8:9], vcc
	s_cbranch_execz .LBB255_7
; %bb.6:
	global_load_ubyte v3, v0, s[0:1] offset:256
.LBB255_7:
	s_or_b64 exec, exec, s[8:9]
	v_or_b32_e32 v4, 0x200, v0
	v_cmp_gt_u32_e32 vcc, s33, v4
                                        ; implicit-def: $vgpr4
	s_and_saveexec_b64 s[8:9], vcc
	s_cbranch_execz .LBB255_9
; %bb.8:
	global_load_ubyte v4, v0, s[0:1] offset:512
.LBB255_9:
	s_or_b64 exec, exec, s[8:9]
	v_or_b32_e32 v5, 0x300, v0
	v_cmp_gt_u32_e32 vcc, s33, v5
                                        ; implicit-def: $vgpr5
	s_and_saveexec_b64 s[8:9], vcc
	s_cbranch_execz .LBB255_11
; %bb.10:
	global_load_ubyte v5, v0, s[0:1] offset:768
.LBB255_11:
	s_or_b64 exec, exec, s[8:9]
	v_or_b32_e32 v6, 0x400, v0
	v_cmp_gt_u32_e32 vcc, s33, v6
                                        ; implicit-def: $vgpr6
	s_and_saveexec_b64 s[8:9], vcc
	s_cbranch_execz .LBB255_13
; %bb.12:
	global_load_ubyte v6, v0, s[0:1] offset:1024
.LBB255_13:
	s_or_b64 exec, exec, s[8:9]
	v_or_b32_e32 v7, 0x500, v0
	v_cmp_gt_u32_e32 vcc, s33, v7
                                        ; implicit-def: $vgpr7
	s_and_saveexec_b64 s[8:9], vcc
	s_cbranch_execz .LBB255_15
; %bb.14:
	global_load_ubyte v7, v0, s[0:1] offset:1280
.LBB255_15:
	s_or_b64 exec, exec, s[8:9]
	v_or_b32_e32 v8, 0x600, v0
	v_cmp_gt_u32_e32 vcc, s33, v8
                                        ; implicit-def: $vgpr8
	s_and_saveexec_b64 s[8:9], vcc
	s_cbranch_execz .LBB255_17
; %bb.16:
	global_load_ubyte v8, v0, s[0:1] offset:1536
.LBB255_17:
	s_or_b64 exec, exec, s[8:9]
	v_or_b32_e32 v9, 0x700, v0
	v_cmp_gt_u32_e32 vcc, s33, v9
                                        ; implicit-def: $vgpr9
	s_and_saveexec_b64 s[8:9], vcc
	s_cbranch_execz .LBB255_19
; %bb.18:
	global_load_ubyte v9, v0, s[0:1] offset:1792
.LBB255_19:
	s_or_b64 exec, exec, s[8:9]
	v_or_b32_e32 v10, 0x800, v0
	v_cmp_gt_u32_e32 vcc, s33, v10
                                        ; implicit-def: $vgpr10
	s_and_saveexec_b64 s[8:9], vcc
	s_cbranch_execz .LBB255_21
; %bb.20:
	global_load_ubyte v10, v0, s[0:1] offset:2048
.LBB255_21:
	s_or_b64 exec, exec, s[8:9]
	s_waitcnt lgkmcnt(1)
	v_or_b32_e32 v11, 0x900, v0
	v_cmp_gt_u32_e32 vcc, s33, v11
                                        ; implicit-def: $vgpr11
	s_and_saveexec_b64 s[8:9], vcc
	s_cbranch_execz .LBB255_23
; %bb.22:
	global_load_ubyte v11, v0, s[0:1] offset:2304
.LBB255_23:
	s_or_b64 exec, exec, s[8:9]
	v_or_b32_e32 v12, 0xa00, v0
	v_cmp_gt_u32_e32 vcc, s33, v12
                                        ; implicit-def: $vgpr12
	s_and_saveexec_b64 s[8:9], vcc
	s_cbranch_execz .LBB255_25
; %bb.24:
	global_load_ubyte v12, v0, s[0:1] offset:2560
.LBB255_25:
	s_or_b64 exec, exec, s[8:9]
	v_or_b32_e32 v13, 0xb00, v0
	v_cmp_gt_u32_e32 vcc, s33, v13
                                        ; implicit-def: $vgpr13
	s_and_saveexec_b64 s[8:9], vcc
	s_cbranch_execz .LBB255_27
; %bb.26:
	global_load_ubyte v13, v0, s[0:1] offset:2816
.LBB255_27:
	s_or_b64 exec, exec, s[8:9]
	v_or_b32_e32 v14, 0xc00, v0
	v_cmp_gt_u32_e32 vcc, s33, v14
                                        ; implicit-def: $vgpr14
	s_and_saveexec_b64 s[8:9], vcc
	s_cbranch_execz .LBB255_29
; %bb.28:
	global_load_ubyte v14, v0, s[0:1] offset:3072
.LBB255_29:
	s_or_b64 exec, exec, s[8:9]
	v_or_b32_e32 v15, 0xd00, v0
	v_cmp_gt_u32_e32 vcc, s33, v15
                                        ; implicit-def: $vgpr15
	s_and_saveexec_b64 s[8:9], vcc
	s_cbranch_execz .LBB255_31
; %bb.30:
	global_load_ubyte v15, v0, s[0:1] offset:3328
.LBB255_31:
	s_or_b64 exec, exec, s[8:9]
	v_or_b32_e32 v16, 0xe00, v0
	v_cmp_gt_u32_e32 vcc, s33, v16
                                        ; implicit-def: $vgpr16
	s_and_saveexec_b64 s[8:9], vcc
	s_cbranch_execz .LBB255_33
; %bb.32:
	global_load_ubyte v16, v0, s[0:1] offset:3584
.LBB255_33:
	s_or_b64 exec, exec, s[8:9]
	s_waitcnt vmcnt(0) lgkmcnt(0)
	ds_write_b8 v0, v1
	ds_write_b8 v0, v3 offset:256
	ds_write_b8 v0, v4 offset:512
	ds_write_b8 v0, v5 offset:768
	ds_write_b8 v0, v6 offset:1024
	ds_write_b8 v0, v7 offset:1280
	ds_write_b8 v0, v8 offset:1536
	ds_write_b8 v0, v9 offset:1792
	ds_write_b8 v0, v10 offset:2048
	ds_write_b8 v0, v11 offset:2304
	ds_write_b8 v0, v12 offset:2560
	ds_write_b8 v0, v13 offset:2816
	ds_write_b8 v0, v14 offset:3072
	ds_write_b8 v0, v15 offset:3328
	ds_write_b8 v0, v16 offset:3584
	s_waitcnt lgkmcnt(0)
	s_barrier
	ds_read_b96 v[8:10], v2
	ds_read_u8 v21, v2 offset:12
	ds_read_u8 v11, v2 offset:13
	;; [unrolled: 1-line block ×3, first 2 shown]
	v_mad_u32_u24 v2, v0, 15, 14
	s_waitcnt lgkmcnt(3)
	v_lshrrev_b32_e32 v66, 8, v8
	v_lshrrev_b32_e32 v64, 16, v8
	;; [unrolled: 1-line block ×9, first 2 shown]
	v_cmp_gt_u32_e64 s[8:9], s33, v2
.LBB255_34:
	v_mov_b32_e32 v52, s7
                                        ; implicit-def: $vgpr53
	s_and_saveexec_b64 s[12:13], s[8:9]
; %bb.35:
	v_mov_b32_e32 v53, s7
; %bb.36:
	s_or_b64 exec, exec, s[12:13]
	s_load_dwordx2 s[50:51], s[4:5], 0x70
	s_cmp_eq_u64 s[2:3], 0
	s_cselect_b64 s[48:49], -1, 0
	s_cmp_lg_u64 s[2:3], 0
	s_mov_b64 s[8:9], 0
	s_cselect_b64 s[12:13], -1, 0
	s_and_b64 vcc, exec, s[10:11]
	s_waitcnt lgkmcnt(0)
	s_barrier
	s_cbranch_vccz .LBB255_42
; %bb.37:
	s_and_b64 vcc, exec, s[12:13]
	s_cbranch_vccz .LBB255_43
; %bb.38:
	v_mov_b32_e32 v2, 0
	global_load_ubyte v2, v2, s[0:1] offset:-1
	v_cmp_ne_u16_sdwa s[8:9], v11, v1 src0_sel:BYTE_0 src1_sel:BYTE_0
	v_cmp_ne_u16_sdwa s[10:11], v21, v11 src0_sel:BYTE_0 src1_sel:BYTE_0
	;; [unrolled: 1-line block ×14, first 2 shown]
	v_cmp_ne_u32_e32 vcc, 0, v0
	ds_write_b8 v0, v1
	s_waitcnt lgkmcnt(0)
	s_barrier
	s_and_saveexec_b64 s[54:55], vcc
	s_cbranch_execz .LBB255_40
; %bb.39:
	s_waitcnt vmcnt(0)
	v_add_u32_e32 v2, -1, v0
	ds_read_u8 v2, v2
.LBB255_40:
	s_or_b64 exec, exec, s[54:55]
	s_waitcnt vmcnt(0) lgkmcnt(0)
	v_and_b32_e32 v2, 0xff, v2
	v_cndmask_b32_e64 v61, 0, 1, s[8:9]
	v_cndmask_b32_e64 v63, 0, 1, s[10:11]
	;; [unrolled: 1-line block ×14, first 2 shown]
	v_cmp_ne_u16_sdwa s[10:11], v2, v8 src0_sel:DWORD src1_sel:BYTE_0
	s_mov_b64 s[8:9], -1
.LBB255_41:
                                        ; implicit-def: $sgpr7
	s_branch .LBB255_55
.LBB255_42:
                                        ; implicit-def: $sgpr10_sgpr11
                                        ; implicit-def: $vgpr61
                                        ; implicit-def: $vgpr63
                                        ; implicit-def: $vgpr65
                                        ; implicit-def: $vgpr67
                                        ; implicit-def: $vgpr68
                                        ; implicit-def: $vgpr69
                                        ; implicit-def: $vgpr70
                                        ; implicit-def: $vgpr71
                                        ; implicit-def: $vgpr72
                                        ; implicit-def: $vgpr73
                                        ; implicit-def: $vgpr74
                                        ; implicit-def: $vgpr75
                                        ; implicit-def: $vgpr76
                                        ; implicit-def: $vgpr77
                                        ; implicit-def: $sgpr7
	s_cbranch_execnz .LBB255_47
	s_branch .LBB255_55
.LBB255_43:
                                        ; implicit-def: $sgpr10_sgpr11
                                        ; implicit-def: $vgpr61
                                        ; implicit-def: $vgpr63
                                        ; implicit-def: $vgpr65
                                        ; implicit-def: $vgpr67
                                        ; implicit-def: $vgpr68
                                        ; implicit-def: $vgpr69
                                        ; implicit-def: $vgpr70
                                        ; implicit-def: $vgpr71
                                        ; implicit-def: $vgpr72
                                        ; implicit-def: $vgpr73
                                        ; implicit-def: $vgpr74
                                        ; implicit-def: $vgpr75
                                        ; implicit-def: $vgpr76
                                        ; implicit-def: $vgpr77
	s_cbranch_execz .LBB255_41
; %bb.44:
	v_cmp_ne_u16_sdwa s[10:11], v11, v1 src0_sel:BYTE_0 src1_sel:BYTE_0
	v_cndmask_b32_e64 v61, 0, 1, s[10:11]
	v_cmp_ne_u16_sdwa s[10:11], v21, v11 src0_sel:BYTE_0 src1_sel:BYTE_0
	v_cndmask_b32_e64 v63, 0, 1, s[10:11]
	;; [unrolled: 2-line block ×14, first 2 shown]
	v_cmp_ne_u32_e32 vcc, 0, v0
	ds_write_b8 v0, v1
	s_waitcnt lgkmcnt(0)
	s_barrier
	s_waitcnt lgkmcnt(0)
                                        ; implicit-def: $sgpr10_sgpr11
	s_and_saveexec_b64 s[14:15], vcc
	s_xor_b64 s[14:15], exec, s[14:15]
	s_cbranch_execz .LBB255_46
; %bb.45:
	v_add_u32_e32 v2, -1, v0
	ds_read_u8 v2, v2
	s_or_b64 s[8:9], s[8:9], exec
	s_waitcnt lgkmcnt(0)
	v_cmp_ne_u16_sdwa s[10:11], v2, v8 src0_sel:DWORD src1_sel:BYTE_0
	s_and_b64 s[10:11], s[10:11], exec
.LBB255_46:
	s_or_b64 exec, exec, s[14:15]
	s_mov_b32 s7, 1
	s_branch .LBB255_55
.LBB255_47:
	s_mul_hi_u32 s7, s2, 0xfffff100
	s_mulk_i32 s3, 0xf100
	s_sub_i32 s7, s7, s2
	s_add_i32 s7, s7, s3
	s_mulk_i32 s2, 0xf100
	s_add_u32 s2, s2, s44
	s_addc_u32 s3, s7, s45
	s_and_b64 vcc, exec, s[12:13]
	s_cbranch_vccz .LBB255_52
; %bb.48:
	v_mov_b32_e32 v3, 0
	global_load_ubyte v6, v3, s[0:1] offset:-1
	v_mad_u32_u24 v2, v0, 15, 14
	v_cmp_gt_u64_e32 vcc, s[2:3], v[2:3]
	v_cmp_ne_u16_sdwa s[0:1], v11, v1 src0_sel:BYTE_0 src1_sel:BYTE_0
	v_mad_u32_u24 v2, v0, 15, 13
	s_and_b64 s[0:1], vcc, s[0:1]
	v_cmp_gt_u64_e32 vcc, s[2:3], v[2:3]
	v_cmp_ne_u16_sdwa s[8:9], v21, v11 src0_sel:BYTE_0 src1_sel:BYTE_0
	v_mad_u32_u24 v2, v0, 15, 12
	s_and_b64 s[8:9], vcc, s[8:9]
	;; [unrolled: 4-line block ×13, first 2 shown]
	v_cmp_gt_u64_e32 vcc, s[2:3], v[2:3]
	v_cmp_ne_u16_sdwa s[40:41], v8, v66 src0_sel:BYTE_0 src1_sel:BYTE_0
	v_mul_u32_u24_e32 v4, 15, v0
	s_and_b64 s[40:41], vcc, s[40:41]
	v_cmp_ne_u32_e32 vcc, 0, v0
	ds_write_b8 v0, v1
	s_waitcnt lgkmcnt(0)
	s_barrier
	s_and_saveexec_b64 s[42:43], vcc
	s_cbranch_execz .LBB255_50
; %bb.49:
	v_add_u32_e32 v2, -1, v0
	s_waitcnt vmcnt(0)
	ds_read_u8 v6, v2
.LBB255_50:
	s_or_b64 exec, exec, s[42:43]
	v_mov_b32_e32 v5, v3
	s_waitcnt vmcnt(0) lgkmcnt(0)
	v_and_b32_e32 v2, 0xff, v6
	v_cndmask_b32_e64 v61, 0, 1, s[0:1]
	v_cmp_gt_u64_e32 vcc, s[2:3], v[4:5]
	v_cmp_ne_u16_sdwa s[0:1], v2, v8 src0_sel:DWORD src1_sel:BYTE_0
	v_cndmask_b32_e64 v63, 0, 1, s[8:9]
	v_cndmask_b32_e64 v65, 0, 1, s[10:11]
	;; [unrolled: 1-line block ×13, first 2 shown]
	s_and_b64 s[10:11], vcc, s[0:1]
	s_mov_b64 s[8:9], -1
.LBB255_51:
                                        ; implicit-def: $sgpr7
	v_mov_b32_e32 v78, s7
	s_and_saveexec_b64 s[0:1], s[8:9]
	s_cbranch_execnz .LBB255_56
	s_branch .LBB255_57
.LBB255_52:
                                        ; implicit-def: $sgpr10_sgpr11
                                        ; implicit-def: $vgpr61
                                        ; implicit-def: $vgpr63
                                        ; implicit-def: $vgpr65
                                        ; implicit-def: $vgpr67
                                        ; implicit-def: $vgpr68
                                        ; implicit-def: $vgpr69
                                        ; implicit-def: $vgpr70
                                        ; implicit-def: $vgpr71
                                        ; implicit-def: $vgpr72
                                        ; implicit-def: $vgpr73
                                        ; implicit-def: $vgpr74
                                        ; implicit-def: $vgpr75
                                        ; implicit-def: $vgpr76
                                        ; implicit-def: $vgpr77
	s_cbranch_execz .LBB255_51
; %bb.53:
	v_mad_u32_u24 v2, v0, 15, 14
	v_mov_b32_e32 v3, 0
	v_cmp_gt_u64_e32 vcc, s[2:3], v[2:3]
	v_cmp_ne_u16_sdwa s[0:1], v11, v1 src0_sel:BYTE_0 src1_sel:BYTE_0
	s_and_b64 s[0:1], vcc, s[0:1]
	v_mad_u32_u24 v2, v0, 15, 13
	v_cndmask_b32_e64 v61, 0, 1, s[0:1]
	v_cmp_gt_u64_e32 vcc, s[2:3], v[2:3]
	v_cmp_ne_u16_sdwa s[0:1], v21, v11 src0_sel:BYTE_0 src1_sel:BYTE_0
	s_and_b64 s[0:1], vcc, s[0:1]
	v_mad_u32_u24 v2, v0, 15, 12
	v_cndmask_b32_e64 v63, 0, 1, s[0:1]
	;; [unrolled: 5-line block ×13, first 2 shown]
	v_cmp_gt_u64_e32 vcc, s[2:3], v[2:3]
	v_cmp_ne_u16_sdwa s[0:1], v8, v66 src0_sel:BYTE_0 src1_sel:BYTE_0
	s_and_b64 s[0:1], vcc, s[0:1]
	s_mov_b32 s7, 1
	v_cndmask_b32_e64 v77, 0, 1, s[0:1]
	v_cmp_ne_u32_e32 vcc, 0, v0
	ds_write_b8 v0, v1
	s_waitcnt lgkmcnt(0)
	s_barrier
	s_waitcnt lgkmcnt(0)
                                        ; implicit-def: $sgpr10_sgpr11
	s_and_saveexec_b64 s[0:1], vcc
	s_cbranch_execz .LBB255_151
; %bb.54:
	v_add_u32_e32 v2, -1, v0
	ds_read_u8 v4, v2
	v_mul_u32_u24_e32 v2, 15, v0
	v_cmp_gt_u64_e32 vcc, s[2:3], v[2:3]
	s_or_b64 s[8:9], s[8:9], exec
	s_waitcnt lgkmcnt(0)
	v_and_b32_e32 v2, 0xff, v4
	v_cmp_ne_u16_sdwa s[2:3], v2, v8 src0_sel:DWORD src1_sel:BYTE_0
	s_and_b64 s[2:3], vcc, s[2:3]
	s_and_b64 s[10:11], s[2:3], exec
	s_or_b64 exec, exec, s[0:1]
.LBB255_55:
	v_mov_b32_e32 v78, s7
	s_and_saveexec_b64 s[0:1], s[8:9]
.LBB255_56:
	v_cndmask_b32_e64 v78, 0, 1, s[10:11]
.LBB255_57:
	s_or_b64 exec, exec, s[0:1]
	s_load_dwordx4 s[40:43], s[4:5], 0x20
	s_load_dwordx2 s[44:45], s[4:5], 0x30
	s_cmp_eq_u64 s[38:39], 0
	v_add3_u32 v2, v77, v78, v76
	s_cselect_b64 s[38:39], -1, 0
	s_cmp_lg_u32 s6, 0
	v_cmp_eq_u32_e64 s[24:25], 0, v77
	v_cmp_eq_u32_e64 s[22:23], 0, v76
	;; [unrolled: 1-line block ×3, first 2 shown]
	v_add3_u32 v81, v2, v75, v74
	v_cmp_eq_u32_e64 s[18:19], 0, v74
	v_cmp_eq_u32_e64 s[16:17], 0, v73
	;; [unrolled: 1-line block ×10, first 2 shown]
	v_cmp_eq_u32_e32 vcc, 0, v61
	v_mbcnt_lo_u32_b32 v80, -1, 0
	v_lshrrev_b32_e32 v54, 6, v0
	v_or_b32_e32 v79, 63, v0
	s_cbranch_scc0 .LBB255_88
; %bb.58:
	v_cndmask_b32_e64 v2, 0, v52, s[24:25]
	v_add_u32_e32 v2, v2, v52
	v_cndmask_b32_e64 v2, 0, v2, s[22:23]
	v_add_u32_e32 v2, v2, v52
	;; [unrolled: 2-line block ×11, first 2 shown]
	v_cndmask_b32_e64 v2, 0, v2, s[2:3]
	v_add3_u32 v3, v81, v73, v72
	v_add_u32_e32 v2, v2, v52
	v_add3_u32 v3, v3, v71, v70
	v_cndmask_b32_e64 v2, 0, v2, s[0:1]
	v_add3_u32 v3, v3, v69, v68
	v_add_u32_e32 v2, v2, v52
	v_add3_u32 v3, v3, v67, v65
	v_cndmask_b32_e32 v2, 0, v2, vcc
	v_add3_u32 v3, v3, v63, v61
	v_add_u32_e32 v2, v2, v53
	v_mbcnt_hi_u32_b32 v15, -1, v80
	v_and_b32_e32 v4, 15, v15
	v_mov_b32_dpp v6, v2 row_shr:1 row_mask:0xf bank_mask:0xf
	v_cmp_eq_u32_e32 vcc, 0, v3
	v_mov_b32_dpp v5, v3 row_shr:1 row_mask:0xf bank_mask:0xf
	v_cndmask_b32_e32 v6, 0, v6, vcc
	v_cmp_eq_u32_e32 vcc, 0, v4
	v_cndmask_b32_e64 v5, v5, 0, vcc
	v_add_u32_e32 v3, v5, v3
	v_cndmask_b32_e64 v5, v6, 0, vcc
	v_add_u32_e32 v2, v5, v2
	v_cmp_eq_u32_e32 vcc, 0, v3
	v_mov_b32_dpp v5, v3 row_shr:2 row_mask:0xf bank_mask:0xf
	v_cmp_lt_u32_e64 s[26:27], 1, v4
	v_mov_b32_dpp v6, v2 row_shr:2 row_mask:0xf bank_mask:0xf
	v_cndmask_b32_e64 v5, 0, v5, s[26:27]
	s_and_b64 vcc, s[26:27], vcc
	v_cndmask_b32_e32 v6, 0, v6, vcc
	v_add_u32_e32 v3, v3, v5
	v_add_u32_e32 v2, v6, v2
	v_cmp_eq_u32_e32 vcc, 0, v3
	v_mov_b32_dpp v5, v3 row_shr:4 row_mask:0xf bank_mask:0xf
	v_cmp_lt_u32_e64 s[26:27], 3, v4
	v_mov_b32_dpp v6, v2 row_shr:4 row_mask:0xf bank_mask:0xf
	v_cndmask_b32_e64 v5, 0, v5, s[26:27]
	s_and_b64 vcc, s[26:27], vcc
	v_cndmask_b32_e32 v6, 0, v6, vcc
	v_add_u32_e32 v3, v5, v3
	v_add_u32_e32 v2, v2, v6
	v_cmp_eq_u32_e32 vcc, 0, v3
	v_cmp_lt_u32_e64 s[26:27], 7, v4
	v_mov_b32_dpp v5, v3 row_shr:8 row_mask:0xf bank_mask:0xf
	v_mov_b32_dpp v6, v2 row_shr:8 row_mask:0xf bank_mask:0xf
	s_and_b64 vcc, s[26:27], vcc
	v_cndmask_b32_e64 v4, 0, v5, s[26:27]
	v_cndmask_b32_e32 v5, 0, v6, vcc
	v_add_u32_e32 v2, v5, v2
	v_add_u32_e32 v3, v4, v3
	v_bfe_i32 v6, v15, 4, 1
	v_mov_b32_dpp v5, v2 row_bcast:15 row_mask:0xf bank_mask:0xf
	v_mov_b32_dpp v4, v3 row_bcast:15 row_mask:0xf bank_mask:0xf
	v_cmp_eq_u32_e32 vcc, 0, v3
	v_cndmask_b32_e32 v5, 0, v5, vcc
	v_and_b32_e32 v4, v6, v4
	v_add_u32_e32 v3, v4, v3
	v_and_b32_e32 v4, v6, v5
	v_add_u32_e32 v4, v4, v2
	v_mov_b32_dpp v2, v3 row_bcast:31 row_mask:0xf bank_mask:0xf
	v_cmp_eq_u32_e32 vcc, 0, v3
	v_cmp_lt_u32_e64 s[26:27], 31, v15
	v_mov_b32_dpp v5, v4 row_bcast:31 row_mask:0xf bank_mask:0xf
	v_cndmask_b32_e64 v2, 0, v2, s[26:27]
	s_and_b64 vcc, s[26:27], vcc
	v_add_u32_e32 v2, v2, v3
	v_cndmask_b32_e32 v3, 0, v5, vcc
	v_add_u32_e32 v3, v3, v4
	v_cmp_eq_u32_e32 vcc, v79, v0
	v_lshlrev_b32_e32 v4, 3, v54
	s_and_saveexec_b64 s[26:27], vcc
	s_cbranch_execz .LBB255_60
; %bb.59:
	ds_write_b64 v4, v[2:3] offset:528
.LBB255_60:
	s_or_b64 exec, exec, s[26:27]
	v_cmp_gt_u32_e32 vcc, 4, v0
	s_waitcnt lgkmcnt(0)
	s_barrier
	s_and_saveexec_b64 s[30:31], vcc
	s_cbranch_execz .LBB255_62
; %bb.61:
	v_lshlrev_b32_e32 v5, 3, v0
	ds_read_b64 v[6:7], v5 offset:528
	v_and_b32_e32 v12, 3, v15
	v_cmp_lt_u32_e64 s[26:27], 1, v12
	s_waitcnt lgkmcnt(0)
	v_mov_b32_dpp v14, v7 row_shr:1 row_mask:0xf bank_mask:0xf
	v_cmp_eq_u32_e32 vcc, 0, v6
	v_mov_b32_dpp v13, v6 row_shr:1 row_mask:0xf bank_mask:0xf
	v_cndmask_b32_e32 v14, 0, v14, vcc
	v_cmp_eq_u32_e32 vcc, 0, v12
	v_cndmask_b32_e64 v13, v13, 0, vcc
	v_add_u32_e32 v6, v13, v6
	v_cndmask_b32_e64 v13, v14, 0, vcc
	v_add_u32_e32 v7, v13, v7
	v_cmp_eq_u32_e32 vcc, 0, v6
	v_mov_b32_dpp v13, v6 row_shr:2 row_mask:0xf bank_mask:0xf
	v_mov_b32_dpp v14, v7 row_shr:2 row_mask:0xf bank_mask:0xf
	v_cndmask_b32_e64 v12, 0, v13, s[26:27]
	s_and_b64 vcc, s[26:27], vcc
	v_add_u32_e32 v6, v12, v6
	v_cndmask_b32_e32 v12, 0, v14, vcc
	v_add_u32_e32 v7, v12, v7
	ds_write_b64 v5, v[6:7] offset:528
.LBB255_62:
	s_or_b64 exec, exec, s[30:31]
	v_cmp_gt_u32_e32 vcc, 64, v0
	v_cmp_lt_u32_e64 s[26:27], 63, v0
	v_mov_b32_e32 v12, 0
	v_mov_b32_e32 v13, 0
	s_waitcnt lgkmcnt(0)
	s_barrier
	s_and_saveexec_b64 s[30:31], s[26:27]
	s_cbranch_execz .LBB255_64
; %bb.63:
	ds_read_b64 v[12:13], v4 offset:520
	v_cmp_eq_u32_e64 s[26:27], 0, v2
	s_waitcnt lgkmcnt(0)
	v_add_u32_e32 v4, v12, v2
	v_cndmask_b32_e64 v2, 0, v13, s[26:27]
	v_add_u32_e32 v3, v2, v3
	v_mov_b32_e32 v2, v4
.LBB255_64:
	s_or_b64 exec, exec, s[30:31]
	v_add_u32_e32 v4, -1, v15
	v_and_b32_e32 v5, 64, v15
	v_cmp_lt_i32_e64 s[26:27], v4, v5
	v_cndmask_b32_e64 v4, v4, v15, s[26:27]
	v_lshlrev_b32_e32 v4, 2, v4
	ds_bpermute_b32 v20, v4, v2
	ds_bpermute_b32 v22, v4, v3
	v_cmp_eq_u32_e64 s[26:27], 0, v15
	s_and_saveexec_b64 s[52:53], vcc
	s_cbranch_execz .LBB255_87
; %bb.65:
	v_mov_b32_e32 v7, 0
	ds_read_b64 v[2:3], v7 offset:552
	s_waitcnt lgkmcnt(0)
	v_readfirstlane_b32 s7, v2
	v_readfirstlane_b32 s56, v3
	s_and_saveexec_b64 s[30:31], s[26:27]
	s_cbranch_execz .LBB255_67
; %bb.66:
	s_add_i32 s54, s6, 64
	s_mov_b32 s55, 0
	s_lshl_b64 s[58:59], s[54:55], 4
	s_add_u32 s58, s36, s58
	s_addc_u32 s59, s37, s59
	s_and_b32 s61, s56, 0xff000000
	s_mov_b32 s60, s55
	s_and_b32 s63, s56, 0xff0000
	s_mov_b32 s62, s55
	s_or_b64 s[60:61], s[62:63], s[60:61]
	s_and_b32 s63, s56, 0xff00
	s_or_b64 s[60:61], s[60:61], s[62:63]
	s_and_b32 s63, s56, 0xff
	s_or_b64 s[54:55], s[60:61], s[62:63]
	v_mov_b32_e32 v4, s7
	v_mov_b32_e32 v5, s55
	;; [unrolled: 1-line block ×3, first 2 shown]
	v_pk_mov_b32 v[2:3], s[58:59], s[58:59] op_sel:[0,1]
	;;#ASMSTART
	global_store_dwordx4 v[2:3], v[4:7] off	
s_waitcnt vmcnt(0)
	;;#ASMEND
.LBB255_67:
	s_or_b64 exec, exec, s[30:31]
	v_xad_u32 v14, v15, -1, s6
	v_add_u32_e32 v6, 64, v14
	v_lshlrev_b64 v[2:3], 4, v[6:7]
	v_mov_b32_e32 v4, s37
	v_add_co_u32_e32 v16, vcc, s36, v2
	v_addc_co_u32_e32 v17, vcc, v4, v3, vcc
	;;#ASMSTART
	global_load_dwordx4 v[2:5], v[16:17] off glc	
s_waitcnt vmcnt(0)
	;;#ASMEND
	v_and_b32_e32 v5, 0xff, v3
	v_and_b32_e32 v6, 0xff00, v3
	v_or3_b32 v5, 0, v5, v6
	v_or3_b32 v2, v2, 0, 0
	v_and_b32_e32 v6, 0xff000000, v3
	v_and_b32_e32 v3, 0xff0000, v3
	v_or3_b32 v3, v5, v3, v6
	v_or3_b32 v2, v2, 0, 0
	v_cmp_eq_u16_sdwa s[54:55], v4, v7 src0_sel:BYTE_0 src1_sel:DWORD
	s_and_saveexec_b64 s[30:31], s[54:55]
	s_cbranch_execz .LBB255_73
; %bb.68:
	s_mov_b32 s57, 1
	s_mov_b64 s[54:55], 0
	v_mov_b32_e32 v6, 0
.LBB255_69:                             ; =>This Loop Header: Depth=1
                                        ;     Child Loop BB255_70 Depth 2
	s_max_u32 s58, s57, 1
.LBB255_70:                             ;   Parent Loop BB255_69 Depth=1
                                        ; =>  This Inner Loop Header: Depth=2
	s_add_i32 s58, s58, -1
	s_cmp_eq_u32 s58, 0
	s_sleep 1
	s_cbranch_scc0 .LBB255_70
; %bb.71:                               ;   in Loop: Header=BB255_69 Depth=1
	s_cmp_lt_u32 s57, 32
	s_cselect_b64 s[58:59], -1, 0
	s_cmp_lg_u64 s[58:59], 0
	s_addc_u32 s57, s57, 0
	;;#ASMSTART
	global_load_dwordx4 v[2:5], v[16:17] off glc	
s_waitcnt vmcnt(0)
	;;#ASMEND
	v_cmp_ne_u16_sdwa s[58:59], v4, v6 src0_sel:BYTE_0 src1_sel:DWORD
	s_or_b64 s[54:55], s[58:59], s[54:55]
	s_andn2_b64 exec, exec, s[54:55]
	s_cbranch_execnz .LBB255_69
; %bb.72:
	s_or_b64 exec, exec, s[54:55]
.LBB255_73:
	s_or_b64 exec, exec, s[30:31]
	v_mov_b32_e32 v23, 2
	v_cmp_eq_u16_sdwa s[30:31], v4, v23 src0_sel:BYTE_0 src1_sel:DWORD
	v_lshlrev_b64 v[16:17], v15, -1
	v_and_b32_e32 v5, s31, v17
	v_and_b32_e32 v24, 63, v15
	v_or_b32_e32 v5, 0x80000000, v5
	v_cmp_ne_u32_e32 vcc, 63, v24
	v_and_b32_e32 v6, s30, v16
	v_ffbl_b32_e32 v5, v5
	v_addc_co_u32_e32 v7, vcc, 0, v15, vcc
	v_add_u32_e32 v5, 32, v5
	v_ffbl_b32_e32 v6, v6
	v_lshlrev_b32_e32 v25, 2, v7
	v_min_u32_e32 v5, v6, v5
	ds_bpermute_b32 v6, v25, v3
	v_cmp_eq_u32_e32 vcc, 0, v2
	v_cmp_lt_u32_e64 s[30:31], v24, v5
	ds_bpermute_b32 v7, v25, v2
	s_and_b64 vcc, s[30:31], vcc
	s_waitcnt lgkmcnt(1)
	v_cndmask_b32_e32 v6, 0, v6, vcc
	v_cmp_gt_u32_e32 vcc, 62, v24
	v_add_u32_e32 v3, v6, v3
	v_cndmask_b32_e64 v6, 0, 1, vcc
	v_lshlrev_b32_e32 v6, 1, v6
	v_add_lshl_u32 v26, v6, v15, 2
	s_waitcnt lgkmcnt(0)
	v_cndmask_b32_e64 v7, 0, v7, s[30:31]
	ds_bpermute_b32 v6, v26, v3
	v_add_u32_e32 v2, v7, v2
	ds_bpermute_b32 v7, v26, v2
	v_add_u32_e32 v27, 2, v24
	v_cmp_eq_u32_e32 vcc, 0, v2
	s_waitcnt lgkmcnt(1)
	v_cndmask_b32_e32 v6, 0, v6, vcc
	v_cmp_gt_u32_e32 vcc, v27, v5
	v_cndmask_b32_e64 v6, v6, 0, vcc
	v_add_u32_e32 v3, v6, v3
	s_waitcnt lgkmcnt(0)
	v_cndmask_b32_e64 v6, v7, 0, vcc
	v_cmp_gt_u32_e32 vcc, 60, v24
	v_cndmask_b32_e64 v7, 0, 1, vcc
	v_lshlrev_b32_e32 v7, 2, v7
	v_add_lshl_u32 v28, v7, v15, 2
	ds_bpermute_b32 v7, v28, v3
	v_add_u32_e32 v2, v2, v6
	ds_bpermute_b32 v6, v28, v2
	v_add_u32_e32 v29, 4, v24
	v_cmp_eq_u32_e32 vcc, 0, v2
	s_waitcnt lgkmcnt(1)
	v_cndmask_b32_e32 v7, 0, v7, vcc
	v_cmp_gt_u32_e32 vcc, v29, v5
	v_cndmask_b32_e64 v7, v7, 0, vcc
	s_waitcnt lgkmcnt(0)
	v_cndmask_b32_e64 v6, v6, 0, vcc
	v_cmp_gt_u32_e32 vcc, 56, v24
	v_add_u32_e32 v3, v3, v7
	v_cndmask_b32_e64 v7, 0, 1, vcc
	v_lshlrev_b32_e32 v7, 3, v7
	v_add_lshl_u32 v30, v7, v15, 2
	ds_bpermute_b32 v7, v30, v3
	v_add_u32_e32 v2, v2, v6
	ds_bpermute_b32 v6, v30, v2
	v_add_u32_e32 v31, 8, v24
	v_cmp_eq_u32_e32 vcc, 0, v2
	s_waitcnt lgkmcnt(1)
	v_cndmask_b32_e32 v7, 0, v7, vcc
	v_cmp_gt_u32_e32 vcc, v31, v5
	v_cndmask_b32_e64 v7, v7, 0, vcc
	s_waitcnt lgkmcnt(0)
	v_cndmask_b32_e64 v6, v6, 0, vcc
	v_cmp_gt_u32_e32 vcc, 48, v24
	v_add_u32_e32 v3, v3, v7
	;; [unrolled: 16-line block ×3, first 2 shown]
	v_cndmask_b32_e64 v7, 0, 1, vcc
	v_lshlrev_b32_e32 v7, 5, v7
	v_add_lshl_u32 v34, v7, v15, 2
	ds_bpermute_b32 v7, v34, v3
	v_add_u32_e32 v2, v2, v6
	ds_bpermute_b32 v6, v34, v2
	v_add_u32_e32 v35, 32, v24
	v_cmp_eq_u32_e32 vcc, 0, v2
	s_waitcnt lgkmcnt(1)
	v_cndmask_b32_e32 v7, 0, v7, vcc
	v_cmp_gt_u32_e32 vcc, v35, v5
	v_cndmask_b32_e64 v5, v7, 0, vcc
	v_add_u32_e32 v3, v5, v3
	s_waitcnt lgkmcnt(0)
	v_cndmask_b32_e64 v5, v6, 0, vcc
	v_add_u32_e32 v2, v5, v2
	v_mov_b32_e32 v15, 0
	s_branch .LBB255_75
.LBB255_74:                             ;   in Loop: Header=BB255_75 Depth=1
	s_or_b64 exec, exec, s[30:31]
	v_cmp_eq_u16_sdwa s[30:31], v4, v23 src0_sel:BYTE_0 src1_sel:DWORD
	v_and_b32_e32 v5, s31, v17
	v_or_b32_e32 v5, 0x80000000, v5
	v_and_b32_e32 v18, s30, v16
	v_ffbl_b32_e32 v5, v5
	v_add_u32_e32 v5, 32, v5
	v_ffbl_b32_e32 v18, v18
	v_min_u32_e32 v5, v18, v5
	ds_bpermute_b32 v18, v25, v3
	v_cmp_eq_u32_e32 vcc, 0, v2
	v_cmp_lt_u32_e64 s[30:31], v24, v5
	ds_bpermute_b32 v19, v25, v2
	s_and_b64 vcc, s[30:31], vcc
	s_waitcnt lgkmcnt(1)
	v_cndmask_b32_e32 v18, 0, v18, vcc
	v_add_u32_e32 v3, v18, v3
	ds_bpermute_b32 v18, v26, v3
	s_waitcnt lgkmcnt(1)
	v_cndmask_b32_e64 v19, 0, v19, s[30:31]
	v_add_u32_e32 v2, v19, v2
	v_cmp_eq_u32_e32 vcc, 0, v2
	ds_bpermute_b32 v19, v26, v2
	s_waitcnt lgkmcnt(1)
	v_cndmask_b32_e32 v18, 0, v18, vcc
	v_cmp_gt_u32_e32 vcc, v27, v5
	v_cndmask_b32_e64 v18, v18, 0, vcc
	v_add_u32_e32 v3, v18, v3
	ds_bpermute_b32 v18, v28, v3
	s_waitcnt lgkmcnt(1)
	v_cndmask_b32_e64 v19, v19, 0, vcc
	v_add_u32_e32 v2, v2, v19
	v_cmp_eq_u32_e32 vcc, 0, v2
	ds_bpermute_b32 v19, v28, v2
	s_waitcnt lgkmcnt(1)
	v_cndmask_b32_e32 v18, 0, v18, vcc
	v_cmp_gt_u32_e32 vcc, v29, v5
	v_cndmask_b32_e64 v18, v18, 0, vcc
	v_add_u32_e32 v3, v3, v18
	ds_bpermute_b32 v18, v30, v3
	s_waitcnt lgkmcnt(1)
	v_cndmask_b32_e64 v19, v19, 0, vcc
	v_add_u32_e32 v2, v2, v19
	ds_bpermute_b32 v19, v30, v2
	v_cmp_eq_u32_e32 vcc, 0, v2
	s_waitcnt lgkmcnt(1)
	v_cndmask_b32_e32 v18, 0, v18, vcc
	v_cmp_gt_u32_e32 vcc, v31, v5
	v_cndmask_b32_e64 v18, v18, 0, vcc
	v_add_u32_e32 v3, v3, v18
	ds_bpermute_b32 v18, v32, v3
	s_waitcnt lgkmcnt(1)
	v_cndmask_b32_e64 v19, v19, 0, vcc
	v_add_u32_e32 v2, v2, v19
	ds_bpermute_b32 v19, v32, v2
	v_cmp_eq_u32_e32 vcc, 0, v2
	;; [unrolled: 11-line block ×3, first 2 shown]
	s_waitcnt lgkmcnt(1)
	v_cndmask_b32_e32 v18, 0, v18, vcc
	v_cmp_gt_u32_e32 vcc, v35, v5
	v_cndmask_b32_e64 v5, v18, 0, vcc
	v_add_u32_e32 v3, v5, v3
	s_waitcnt lgkmcnt(0)
	v_cndmask_b32_e64 v5, v19, 0, vcc
	v_cmp_eq_u32_e32 vcc, 0, v6
	v_cndmask_b32_e32 v3, 0, v3, vcc
	v_subrev_u32_e32 v14, 64, v14
	v_add3_u32 v2, v2, v6, v5
	v_add_u32_e32 v3, v3, v7
.LBB255_75:                             ; =>This Loop Header: Depth=1
                                        ;     Child Loop BB255_78 Depth 2
                                        ;       Child Loop BB255_79 Depth 3
	v_cmp_ne_u16_sdwa s[30:31], v4, v23 src0_sel:BYTE_0 src1_sel:DWORD
	v_mov_b32_e32 v7, v3
	v_cndmask_b32_e64 v3, 0, 1, s[30:31]
	;;#ASMSTART
	;;#ASMEND
	v_cmp_ne_u32_e32 vcc, 0, v3
	s_cmp_lg_u64 vcc, exec
	v_mov_b32_e32 v6, v2
	s_cbranch_scc1 .LBB255_82
; %bb.76:                               ;   in Loop: Header=BB255_75 Depth=1
	v_lshlrev_b64 v[2:3], 4, v[14:15]
	v_mov_b32_e32 v4, s37
	v_add_co_u32_e32 v18, vcc, s36, v2
	v_addc_co_u32_e32 v19, vcc, v4, v3, vcc
	;;#ASMSTART
	global_load_dwordx4 v[2:5], v[18:19] off glc	
s_waitcnt vmcnt(0)
	;;#ASMEND
	v_and_b32_e32 v5, 0xff, v3
	v_and_b32_e32 v36, 0xff00, v3
	v_or3_b32 v5, 0, v5, v36
	v_or3_b32 v2, v2, 0, 0
	v_and_b32_e32 v36, 0xff000000, v3
	v_and_b32_e32 v3, 0xff0000, v3
	v_or3_b32 v3, v5, v3, v36
	v_or3_b32 v2, v2, 0, 0
	v_cmp_eq_u16_sdwa s[54:55], v4, v15 src0_sel:BYTE_0 src1_sel:DWORD
	s_and_saveexec_b64 s[30:31], s[54:55]
	s_cbranch_execz .LBB255_74
; %bb.77:                               ;   in Loop: Header=BB255_75 Depth=1
	s_mov_b32 s57, 1
	s_mov_b64 s[54:55], 0
.LBB255_78:                             ;   Parent Loop BB255_75 Depth=1
                                        ; =>  This Loop Header: Depth=2
                                        ;       Child Loop BB255_79 Depth 3
	s_max_u32 s58, s57, 1
.LBB255_79:                             ;   Parent Loop BB255_75 Depth=1
                                        ;     Parent Loop BB255_78 Depth=2
                                        ; =>    This Inner Loop Header: Depth=3
	s_add_i32 s58, s58, -1
	s_cmp_eq_u32 s58, 0
	s_sleep 1
	s_cbranch_scc0 .LBB255_79
; %bb.80:                               ;   in Loop: Header=BB255_78 Depth=2
	s_cmp_lt_u32 s57, 32
	s_cselect_b64 s[58:59], -1, 0
	s_cmp_lg_u64 s[58:59], 0
	s_addc_u32 s57, s57, 0
	;;#ASMSTART
	global_load_dwordx4 v[2:5], v[18:19] off glc	
s_waitcnt vmcnt(0)
	;;#ASMEND
	v_cmp_ne_u16_sdwa s[58:59], v4, v15 src0_sel:BYTE_0 src1_sel:DWORD
	s_or_b64 s[54:55], s[58:59], s[54:55]
	s_andn2_b64 exec, exec, s[54:55]
	s_cbranch_execnz .LBB255_78
; %bb.81:                               ;   in Loop: Header=BB255_75 Depth=1
	s_or_b64 exec, exec, s[54:55]
	s_branch .LBB255_74
.LBB255_82:                             ;   in Loop: Header=BB255_75 Depth=1
                                        ; implicit-def: $vgpr3
                                        ; implicit-def: $vgpr2
                                        ; implicit-def: $vgpr4
	s_cbranch_execz .LBB255_75
; %bb.83:
	s_and_saveexec_b64 s[30:31], s[26:27]
	s_cbranch_execz .LBB255_85
; %bb.84:
	s_cmp_eq_u32 s7, 0
	s_cselect_b64 vcc, -1, 0
	s_mov_b32 s55, 0
	v_cndmask_b32_e32 v2, 0, v7, vcc
	s_add_i32 s54, s6, 64
	v_add_u32_e32 v2, s56, v2
	s_lshl_b64 s[54:55], s[54:55], 4
	s_add_u32 s54, s36, s54
	v_and_b32_e32 v3, 0xff000000, v2
	v_and_b32_e32 v4, 0xff0000, v2
	s_addc_u32 s55, s37, s55
	v_or_b32_e32 v3, v4, v3
	v_and_b32_e32 v4, 0xff00, v2
	v_and_b32_e32 v2, 0xff, v2
	v_add_u32_e32 v14, s7, v6
	v_mov_b32_e32 v17, 0
	v_or3_b32 v15, v3, v4, v2
	v_mov_b32_e32 v16, 2
	v_pk_mov_b32 v[2:3], s[54:55], s[54:55] op_sel:[0,1]
	;;#ASMSTART
	global_store_dwordx4 v[2:3], v[14:17] off	
s_waitcnt vmcnt(0)
	;;#ASMEND
	v_mov_b32_e32 v4, s7
	v_mov_b32_e32 v5, s56
	ds_write_b128 v17, v[4:7] offset:512
.LBB255_85:
	s_or_b64 exec, exec, s[30:31]
	v_cmp_eq_u32_e32 vcc, 0, v0
	s_and_b64 exec, exec, vcc
	s_cbranch_execz .LBB255_87
; %bb.86:
	v_mov_b32_e32 v2, 0
	ds_write_b64 v2, v[6:7] offset:552
.LBB255_87:
	s_or_b64 exec, exec, s[52:53]
	v_mov_b32_e32 v4, 0
	s_waitcnt lgkmcnt(0)
	s_barrier
	ds_read_b64 v[2:3], v4 offset:552
	v_cndmask_b32_e64 v6, v20, v12, s[26:27]
	v_cmp_eq_u32_e32 vcc, 0, v6
	v_cndmask_b32_e64 v5, v22, v13, s[26:27]
	s_waitcnt lgkmcnt(0)
	v_cndmask_b32_e32 v7, 0, v3, vcc
	v_add_u32_e32 v5, v7, v5
	v_cmp_eq_u32_e32 vcc, 0, v0
	v_cndmask_b32_e32 v51, v5, v3, vcc
	v_cndmask_b32_e64 v3, v6, 0, vcc
	v_cmp_eq_u32_e32 vcc, 0, v78
	v_add_u32_e32 v50, v2, v3
	v_cndmask_b32_e32 v2, 0, v51, vcc
	v_add_u32_e32 v49, v2, v52
	v_cndmask_b32_e64 v2, 0, v49, s[24:25]
	v_add_u32_e32 v47, v2, v52
	v_cndmask_b32_e64 v2, 0, v47, s[22:23]
	;; [unrolled: 2-line block ×7, first 2 shown]
	v_add_u32_e32 v48, v50, v78
	v_add_u32_e32 v35, v2, v52
	v_add_u32_e32 v46, v48, v77
	v_cndmask_b32_e64 v2, 0, v35, s[10:11]
	v_add_u32_e32 v44, v46, v76
	v_add_u32_e32 v33, v2, v52
	v_add_u32_e32 v42, v44, v75
	v_cndmask_b32_e64 v2, 0, v33, s[8:9]
	;; [unrolled: 4-line block ×3, first 2 shown]
	v_add_u32_e32 v36, v38, v72
	v_add_u32_e32 v29, v2, v52
	s_barrier
	ds_read_b128 v[16:19], v4 offset:512
	v_add_u32_e32 v34, v36, v71
	v_cndmask_b32_e64 v2, 0, v29, s[4:5]
	v_add_u32_e32 v32, v34, v70
	v_add_u32_e32 v27, v2, v52
	v_add_u32_e32 v30, v32, v69
	v_cndmask_b32_e64 v2, 0, v27, s[2:3]
	v_add_u32_e32 v28, v30, v68
	v_add_u32_e32 v23, v2, v52
	;; [unrolled: 1-line block ×3, first 2 shown]
	v_cndmask_b32_e64 v2, 0, v23, s[0:1]
	s_waitcnt lgkmcnt(0)
	v_cmp_eq_u32_e32 vcc, 0, v16
	v_add_u32_e32 v22, v26, v65
	v_add_u32_e32 v25, v2, v52
	v_cndmask_b32_e32 v2, 0, v19, vcc
	v_add_u32_e32 v24, v22, v63
	v_add_u32_e32 v20, v2, v17
	s_branch .LBB255_100
.LBB255_88:
                                        ; implicit-def: $vgpr16
                                        ; implicit-def: $vgpr20
                                        ; implicit-def: $vgpr24_vgpr25
                                        ; implicit-def: $vgpr22_vgpr23
                                        ; implicit-def: $vgpr26_vgpr27
                                        ; implicit-def: $vgpr28_vgpr29
                                        ; implicit-def: $vgpr50_vgpr51
                                        ; implicit-def: $vgpr48_vgpr49
                                        ; implicit-def: $vgpr46_vgpr47
                                        ; implicit-def: $vgpr44_vgpr45
                                        ; implicit-def: $vgpr42_vgpr43
                                        ; implicit-def: $vgpr40_vgpr41
                                        ; implicit-def: $vgpr38_vgpr39
                                        ; implicit-def: $vgpr36_vgpr37
                                        ; implicit-def: $vgpr34_vgpr35
                                        ; implicit-def: $vgpr32_vgpr33
                                        ; implicit-def: $vgpr30_vgpr31
	s_cbranch_execz .LBB255_100
; %bb.89:
	s_and_b64 s[0:1], s[38:39], exec
	s_cselect_b32 s1, 0, s51
	s_cselect_b32 s0, 0, s50
	s_cmp_eq_u64 s[0:1], 0
	v_mov_b32_e32 v6, v52
	s_cbranch_scc1 .LBB255_91
; %bb.90:
	v_mov_b32_e32 v2, 0
	global_load_dword v6, v2, s[0:1]
.LBB255_91:
	v_cmp_eq_u32_e64 s[0:1], 0, v77
	v_cndmask_b32_e64 v2, 0, v52, s[0:1]
	v_add_u32_e32 v2, v2, v52
	v_cmp_eq_u32_e64 s[2:3], 0, v76
	v_cndmask_b32_e64 v2, 0, v2, s[2:3]
	v_add_u32_e32 v2, v2, v52
	;; [unrolled: 3-line block ×11, first 2 shown]
	v_cmp_eq_u32_e64 s[22:23], 0, v65
	v_cndmask_b32_e64 v2, 0, v2, s[22:23]
	v_add3_u32 v3, v81, v73, v72
	v_add_u32_e32 v2, v2, v52
	v_cmp_eq_u32_e32 vcc, 0, v63
	v_add3_u32 v3, v3, v71, v70
	v_cndmask_b32_e32 v2, 0, v2, vcc
	v_add3_u32 v3, v3, v69, v68
	v_add_u32_e32 v2, v2, v52
	v_cmp_eq_u32_e64 s[24:25], 0, v61
	v_add3_u32 v3, v3, v67, v65
	v_cndmask_b32_e64 v2, 0, v2, s[24:25]
	v_add3_u32 v3, v3, v63, v61
	v_add_u32_e32 v2, v2, v53
	v_mbcnt_hi_u32_b32 v7, -1, v80
	v_and_b32_e32 v4, 15, v7
	v_mov_b32_dpp v12, v2 row_shr:1 row_mask:0xf bank_mask:0xf
	v_cmp_eq_u32_e64 s[24:25], 0, v3
	v_mov_b32_dpp v5, v3 row_shr:1 row_mask:0xf bank_mask:0xf
	v_cndmask_b32_e64 v12, 0, v12, s[24:25]
	v_cmp_eq_u32_e64 s[24:25], 0, v4
	v_cndmask_b32_e64 v5, v5, 0, s[24:25]
	v_add_u32_e32 v3, v5, v3
	v_cndmask_b32_e64 v5, v12, 0, s[24:25]
	v_add_u32_e32 v2, v5, v2
	v_cmp_eq_u32_e64 s[24:25], 0, v3
	v_mov_b32_dpp v5, v3 row_shr:2 row_mask:0xf bank_mask:0xf
	v_cmp_lt_u32_e64 s[26:27], 1, v4
	v_mov_b32_dpp v12, v2 row_shr:2 row_mask:0xf bank_mask:0xf
	v_cndmask_b32_e64 v5, 0, v5, s[26:27]
	s_and_b64 s[24:25], s[26:27], s[24:25]
	v_cndmask_b32_e64 v12, 0, v12, s[24:25]
	v_add_u32_e32 v3, v3, v5
	v_add_u32_e32 v2, v12, v2
	v_cmp_eq_u32_e64 s[24:25], 0, v3
	v_mov_b32_dpp v5, v3 row_shr:4 row_mask:0xf bank_mask:0xf
	v_cmp_lt_u32_e64 s[26:27], 3, v4
	v_mov_b32_dpp v12, v2 row_shr:4 row_mask:0xf bank_mask:0xf
	v_cndmask_b32_e64 v5, 0, v5, s[26:27]
	s_and_b64 s[24:25], s[26:27], s[24:25]
	v_cndmask_b32_e64 v12, 0, v12, s[24:25]
	v_add_u32_e32 v3, v5, v3
	v_add_u32_e32 v2, v2, v12
	v_cmp_eq_u32_e64 s[24:25], 0, v3
	v_cmp_lt_u32_e64 s[26:27], 7, v4
	v_mov_b32_dpp v5, v3 row_shr:8 row_mask:0xf bank_mask:0xf
	v_mov_b32_dpp v12, v2 row_shr:8 row_mask:0xf bank_mask:0xf
	s_and_b64 s[24:25], s[26:27], s[24:25]
	v_cndmask_b32_e64 v4, 0, v5, s[26:27]
	v_cndmask_b32_e64 v5, 0, v12, s[24:25]
	v_add_u32_e32 v2, v5, v2
	v_add_u32_e32 v3, v4, v3
	v_bfe_i32 v12, v7, 4, 1
	v_mov_b32_dpp v5, v2 row_bcast:15 row_mask:0xf bank_mask:0xf
	v_mov_b32_dpp v4, v3 row_bcast:15 row_mask:0xf bank_mask:0xf
	v_cmp_eq_u32_e64 s[24:25], 0, v3
	v_cndmask_b32_e64 v5, 0, v5, s[24:25]
	v_and_b32_e32 v4, v12, v4
	v_add_u32_e32 v3, v4, v3
	v_and_b32_e32 v4, v12, v5
	v_add_u32_e32 v4, v4, v2
	v_mov_b32_dpp v2, v3 row_bcast:31 row_mask:0xf bank_mask:0xf
	v_cmp_eq_u32_e64 s[24:25], 0, v3
	v_cmp_lt_u32_e64 s[26:27], 31, v7
	v_mov_b32_dpp v5, v4 row_bcast:31 row_mask:0xf bank_mask:0xf
	v_cndmask_b32_e64 v2, 0, v2, s[26:27]
	s_and_b64 s[24:25], s[26:27], s[24:25]
	v_add_u32_e32 v2, v2, v3
	v_cndmask_b32_e64 v3, 0, v5, s[24:25]
	v_add_u32_e32 v3, v3, v4
	v_cmp_eq_u32_e64 s[24:25], v79, v0
	s_and_saveexec_b64 s[26:27], s[24:25]
	s_cbranch_execz .LBB255_93
; %bb.92:
	v_lshlrev_b32_e32 v4, 3, v54
	ds_write_b64 v4, v[2:3] offset:528
.LBB255_93:
	s_or_b64 exec, exec, s[26:27]
	v_cmp_gt_u32_e64 s[24:25], 4, v0
	s_waitcnt lgkmcnt(0)
	s_barrier
	s_and_saveexec_b64 s[28:29], s[24:25]
	s_cbranch_execz .LBB255_95
; %bb.94:
	v_lshlrev_b32_e32 v12, 3, v0
	ds_read_b64 v[4:5], v12 offset:528
	v_and_b32_e32 v13, 3, v7
	v_cmp_lt_u32_e64 s[26:27], 1, v13
	s_waitcnt lgkmcnt(0)
	v_mov_b32_dpp v15, v5 row_shr:1 row_mask:0xf bank_mask:0xf
	v_cmp_eq_u32_e64 s[24:25], 0, v4
	v_mov_b32_dpp v14, v4 row_shr:1 row_mask:0xf bank_mask:0xf
	v_cndmask_b32_e64 v15, 0, v15, s[24:25]
	v_cmp_eq_u32_e64 s[24:25], 0, v13
	v_cndmask_b32_e64 v14, v14, 0, s[24:25]
	v_add_u32_e32 v4, v14, v4
	v_cndmask_b32_e64 v14, v15, 0, s[24:25]
	v_add_u32_e32 v5, v14, v5
	v_cmp_eq_u32_e64 s[24:25], 0, v4
	v_mov_b32_dpp v14, v4 row_shr:2 row_mask:0xf bank_mask:0xf
	v_mov_b32_dpp v15, v5 row_shr:2 row_mask:0xf bank_mask:0xf
	v_cndmask_b32_e64 v13, 0, v14, s[26:27]
	s_and_b64 s[24:25], s[26:27], s[24:25]
	v_add_u32_e32 v4, v13, v4
	v_cndmask_b32_e64 v13, 0, v15, s[24:25]
	v_add_u32_e32 v5, v13, v5
	ds_write_b64 v12, v[4:5] offset:528
.LBB255_95:
	s_or_b64 exec, exec, s[28:29]
	v_cmp_lt_u32_e64 s[24:25], 63, v0
	v_mov_b32_e32 v12, 0
	v_mov_b32_e32 v4, 0
	s_waitcnt vmcnt(0)
	v_mov_b32_e32 v5, v6
	s_waitcnt lgkmcnt(0)
	s_barrier
	s_and_saveexec_b64 s[26:27], s[24:25]
	s_cbranch_execz .LBB255_97
; %bb.96:
	v_lshlrev_b32_e32 v4, 3, v54
	ds_read_b64 v[4:5], v4 offset:520
	s_waitcnt lgkmcnt(0)
	v_cmp_eq_u32_e64 s[24:25], 0, v4
	v_cndmask_b32_e64 v13, 0, v6, s[24:25]
	v_add_u32_e32 v5, v13, v5
.LBB255_97:
	s_or_b64 exec, exec, s[26:27]
	v_cmp_eq_u32_e64 s[24:25], 0, v2
	v_add_u32_e32 v13, v4, v2
	v_cndmask_b32_e64 v2, 0, v5, s[24:25]
	v_add_u32_e32 v2, v2, v3
	v_add_u32_e32 v3, -1, v7
	v_and_b32_e32 v14, 64, v7
	v_cmp_lt_i32_e64 s[24:25], v3, v14
	v_cndmask_b32_e64 v3, v3, v7, s[24:25]
	v_lshlrev_b32_e32 v3, 2, v3
	ds_bpermute_b32 v13, v3, v13
	ds_bpermute_b32 v2, v3, v2
	v_cmp_eq_u32_e64 s[24:25], 0, v7
	v_cmp_eq_u32_e64 s[26:27], 0, v78
	ds_read_b64 v[16:17], v12 offset:552
	s_waitcnt lgkmcnt(2)
	v_cndmask_b32_e64 v3, v13, v4, s[24:25]
	s_waitcnt lgkmcnt(1)
	v_cndmask_b32_e64 v2, v2, v5, s[24:25]
	v_cmp_eq_u32_e64 s[24:25], 0, v0
	v_cndmask_b32_e64 v51, v2, v6, s[24:25]
	v_cndmask_b32_e64 v2, 0, v51, s[26:27]
	v_add_u32_e32 v49, v2, v52
	v_cndmask_b32_e64 v2, 0, v49, s[0:1]
	v_add_u32_e32 v47, v2, v52
	;; [unrolled: 2-line block ×7, first 2 shown]
	v_cndmask_b32_e64 v50, v3, 0, s[24:25]
	v_cndmask_b32_e64 v2, 0, v37, s[12:13]
	v_add_u32_e32 v48, v50, v78
	v_add_u32_e32 v35, v2, v52
	v_add_u32_e32 v46, v48, v77
	v_cndmask_b32_e64 v2, 0, v35, s[14:15]
	v_add_u32_e32 v44, v46, v76
	v_add_u32_e32 v33, v2, v52
	v_add_u32_e32 v42, v44, v75
	;; [unrolled: 4-line block ×6, first 2 shown]
	v_cndmask_b32_e32 v2, 0, v23, vcc
	s_waitcnt lgkmcnt(0)
	v_cmp_eq_u32_e32 vcc, 0, v16
	v_add_u32_e32 v22, v26, v65
	v_add_u32_e32 v25, v2, v52
	v_cndmask_b32_e32 v2, 0, v6, vcc
	v_add_u32_e32 v24, v22, v63
	v_add_u32_e32 v20, v2, v17
	s_and_saveexec_b64 s[0:1], s[24:25]
	s_cbranch_execz .LBB255_99
; %bb.98:
	s_add_u32 s2, s36, 0x400
	v_and_b32_e32 v2, 0xff000000, v20
	v_and_b32_e32 v3, 0xff0000, v20
	s_addc_u32 s3, s37, 0
	v_or_b32_e32 v2, v3, v2
	v_and_b32_e32 v3, 0xff00, v20
	v_and_b32_e32 v4, 0xff, v20
	v_mov_b32_e32 v19, 0
	v_or3_b32 v17, v2, v3, v4
	v_mov_b32_e32 v18, 2
	v_pk_mov_b32 v[2:3], s[2:3], s[2:3] op_sel:[0,1]
	;;#ASMSTART
	global_store_dwordx4 v[2:3], v[16:19] off	
s_waitcnt vmcnt(0)
	;;#ASMEND
.LBB255_99:
	s_or_b64 exec, exec, s[0:1]
	v_mov_b32_e32 v18, 0
.LBB255_100:
	s_and_b64 s[0:1], s[38:39], exec
	s_cselect_b32 s1, 0, s47
	s_cselect_b32 s0, 0, s46
	s_cmp_eq_u64 s[0:1], 0
	v_pk_mov_b32 v[52:53], 0, 0
	s_waitcnt lgkmcnt(0)
	s_barrier
	s_cbranch_scc1 .LBB255_102
; %bb.101:
	v_mov_b32_e32 v2, 0
	global_load_dwordx2 v[52:53], v2, s[0:1]
.LBB255_102:
	v_mov_b32_e32 v2, s41
	s_waitcnt vmcnt(0)
	v_add_co_u32_e32 v3, vcc, s40, v52
	v_addc_co_u32_e32 v2, vcc, v2, v53, vcc
	v_add_co_u32_e32 v54, vcc, v3, v18
	v_addc_co_u32_e32 v17, vcc, 0, v2, vcc
	v_cmp_eq_u32_e32 vcc, 0, v78
	v_cndmask_b32_e64 v2, 1, 2, vcc
	v_cmp_eq_u32_e32 vcc, 0, v77
	v_cndmask_b32_e64 v3, 1, 2, vcc
	v_cmp_eq_u32_e32 vcc, 0, v76
	v_and_b32_e32 v2, v3, v2
	v_cndmask_b32_e64 v3, 1, 2, vcc
	v_cmp_eq_u32_e32 vcc, 0, v75
	v_and_b32_e32 v2, v2, v3
	;; [unrolled: 3-line block ×13, first 2 shown]
	v_cndmask_b32_e64 v3, 1, 2, vcc
	s_movk_i32 s30, 0x100
	v_and_b32_e32 v2, v2, v3
	v_cmp_gt_u32_e32 vcc, s30, v16
	v_mov_b32_e32 v19, 0
	v_cmp_ne_u32_e64 s[28:29], 0, v78
	v_cmp_ne_u32_e64 s[26:27], 0, v77
	;; [unrolled: 1-line block ×15, first 2 shown]
	s_mov_b64 s[36:37], -1
	v_cmp_gt_i16_e64 s[30:31], 2, v2
	s_cbranch_vccz .LBB255_109
; %bb.103:
	s_and_saveexec_b64 s[36:37], s[30:31]
	s_cbranch_execz .LBB255_108
; %bb.104:
	v_cmp_ne_u16_e32 vcc, 1, v2
	s_mov_b64 s[38:39], 0
	s_and_saveexec_b64 s[30:31], vcc
	s_xor_b64 s[30:31], exec, s[30:31]
	s_cbranch_execnz .LBB255_152
; %bb.105:
	s_andn2_saveexec_b64 s[30:31], s[30:31]
	s_cbranch_execnz .LBB255_168
.LBB255_106:
	s_or_b64 exec, exec, s[30:31]
	s_and_b64 exec, exec, s[38:39]
	s_cbranch_execz .LBB255_108
.LBB255_107:
	v_sub_u32_e32 v3, v24, v18
	v_readfirstlane_b32 s30, v54
	v_readfirstlane_b32 s31, v17
	s_nop 4
	global_store_byte v3, v1, s[30:31]
.LBB255_108:
	s_or_b64 exec, exec, s[36:37]
	s_mov_b64 s[36:37], 0
.LBB255_109:
	s_and_b64 vcc, exec, s[36:37]
	s_cbranch_vccz .LBB255_130
; %bb.110:
	v_cmp_gt_i16_e32 vcc, 2, v2
	s_and_saveexec_b64 s[30:31], vcc
	s_cbranch_execz .LBB255_115
; %bb.111:
	v_cmp_ne_u16_e32 vcc, 1, v2
	s_mov_b64 s[38:39], 0
	s_and_saveexec_b64 s[36:37], vcc
	s_xor_b64 s[36:37], exec, s[36:37]
	s_cbranch_execnz .LBB255_169
; %bb.112:
	s_andn2_saveexec_b64 s[0:1], s[36:37]
	s_cbranch_execnz .LBB255_185
.LBB255_113:
	s_or_b64 exec, exec, s[0:1]
	s_and_b64 exec, exec, s[38:39]
	s_cbranch_execz .LBB255_115
.LBB255_114:
	v_sub_u32_e32 v2, v24, v18
	ds_write_b8 v2, v1
.LBB255_115:
	s_or_b64 exec, exec, s[30:31]
	v_cmp_lt_u32_e32 vcc, v0, v16
	s_waitcnt lgkmcnt(0)
	s_barrier
	s_and_saveexec_b64 s[0:1], vcc
	s_cbranch_execz .LBB255_129
; %bb.116:
	v_xad_u32 v2, v0, -1, v16
	s_movk_i32 s2, 0x1700
	s_movk_i32 s4, 0x16ff
	v_cmp_gt_u32_e64 s[2:3], s2, v2
	v_cmp_lt_u32_e32 vcc, s4, v2
	v_mov_b32_e32 v1, v0
	s_and_saveexec_b64 s[4:5], vcc
	s_cbranch_execz .LBB255_126
; %bb.117:
	v_sub_u32_e32 v1, v0, v16
	v_or_b32_e32 v1, 0xff, v1
	v_cmp_ge_u32_e32 vcc, v1, v0
	s_mov_b64 s[8:9], -1
	v_mov_b32_e32 v1, v0
	s_and_saveexec_b64 s[6:7], vcc
	s_cbranch_execz .LBB255_125
; %bb.118:
	v_lshrrev_b32_e32 v21, 8, v2
	v_or_b32_e32 v7, 0x700, v0
	v_or_b32_e32 v6, 0x600, v0
	;; [unrolled: 1-line block ×7, first 2 shown]
	v_add_u32_e32 v55, -7, v21
	v_pk_mov_b32 v[14:15], v[6:7], v[6:7] op_sel:[0,1]
	v_cmp_lt_u32_e32 vcc, 7, v55
	v_mov_b32_e32 v58, 0
	v_pk_mov_b32 v[12:13], v[4:5], v[4:5] op_sel:[0,1]
	v_pk_mov_b32 v[10:11], v[2:3], v[2:3] op_sel:[0,1]
	;; [unrolled: 1-line block ×3, first 2 shown]
	s_and_saveexec_b64 s[8:9], vcc
	s_cbranch_execz .LBB255_122
; %bb.119:
	v_lshrrev_b32_e32 v8, 3, v55
	v_add_u32_e32 v8, 1, v8
	v_and_b32_e32 v56, 0x3ffffffe, v8
	v_pk_mov_b32 v[14:15], v[6:7], v[6:7] op_sel:[0,1]
	s_mov_b32 s12, 0
	s_mov_b64 s[10:11], 0
	v_mov_b32_e32 v57, v0
	v_pk_mov_b32 v[12:13], v[4:5], v[4:5] op_sel:[0,1]
	v_pk_mov_b32 v[10:11], v[2:3], v[2:3] op_sel:[0,1]
	;; [unrolled: 1-line block ×3, first 2 shown]
.LBB255_120:                            ; =>This Inner Loop Header: Depth=1
	v_add_co_u32_e32 v2, vcc, v54, v8
	v_addc_co_u32_e32 v3, vcc, 0, v17, vcc
	v_add_co_u32_e32 v4, vcc, v54, v9
	v_addc_co_u32_e32 v5, vcc, 0, v17, vcc
	;; [unrolled: 2-line block ×8, first 2 shown]
	v_add_u32_e32 v90, 0x800, v8
	v_add_co_u32_e32 v90, vcc, v54, v90
	v_add_u32_e32 v92, 0x800, v9
	v_addc_co_u32_e32 v91, vcc, 0, v17, vcc
	v_add_co_u32_e32 v92, vcc, v54, v92
	v_add_u32_e32 v94, 0x800, v10
	v_addc_co_u32_e32 v93, vcc, 0, v17, vcc
	;; [unrolled: 3-line block ×6, first 2 shown]
	v_add_co_u32_e32 v102, vcc, v54, v102
	ds_read_u8 v1, v57
	ds_read_u8 v59, v57 offset:256
	ds_read_u8 v60, v57 offset:512
	;; [unrolled: 1-line block ×7, first 2 shown]
	v_add_u32_e32 v58, 0x800, v15
	ds_read_u8 v107, v57 offset:2048
	ds_read_u8 v108, v57 offset:2304
	;; [unrolled: 1-line block ×8, first 2 shown]
	v_addc_co_u32_e32 v103, vcc, 0, v17, vcc
	v_add_co_u32_e32 v104, vcc, v54, v58
	v_add_u32_e32 v56, -2, v56
	v_addc_co_u32_e32 v105, vcc, 0, v17, vcc
	s_add_i32 s12, s12, 16
	v_cmp_eq_u32_e32 vcc, 0, v56
	v_add_u32_e32 v15, 0x1000, v15
	v_add_u32_e32 v14, 0x1000, v14
	;; [unrolled: 1-line block ×9, first 2 shown]
	v_mov_b32_e32 v58, s12
	s_or_b64 s[10:11], vcc, s[10:11]
	s_waitcnt lgkmcnt(14)
	global_store_byte v[2:3], v1, off
	global_store_byte v[4:5], v59, off
	s_waitcnt lgkmcnt(13)
	global_store_byte v[6:7], v60, off
	s_waitcnt lgkmcnt(12)
	;; [unrolled: 2-line block ×14, first 2 shown]
	global_store_byte v[104:105], v114, off
	s_andn2_b64 exec, exec, s[10:11]
	s_cbranch_execnz .LBB255_120
; %bb.121:
	s_or_b64 exec, exec, s[10:11]
.LBB255_122:
	s_or_b64 exec, exec, s[8:9]
	v_and_b32_e32 v1, 8, v55
	v_cmp_eq_u32_e32 vcc, 0, v1
	s_and_saveexec_b64 s[8:9], vcc
	s_cbranch_execz .LBB255_124
; %bb.123:
	v_add_co_u32_e32 v2, vcc, v54, v8
	v_addc_co_u32_e32 v3, vcc, 0, v17, vcc
	v_add_co_u32_e32 v4, vcc, v54, v9
	v_addc_co_u32_e32 v5, vcc, 0, v17, vcc
	;; [unrolled: 2-line block ×4, first 2 shown]
	v_add_co_u32_e32 v10, vcc, v54, v12
	v_lshl_or_b32 v1, v58, 8, v0
	v_addc_co_u32_e32 v11, vcc, 0, v17, vcc
	ds_read_u8 v55, v1
	ds_read_u8 v58, v1 offset:256
	ds_read_u8 v59, v1 offset:512
	;; [unrolled: 1-line block ×7, first 2 shown]
	v_add_co_u32_e32 v12, vcc, v54, v13
	v_addc_co_u32_e32 v13, vcc, 0, v17, vcc
	v_add_co_u32_e32 v56, vcc, v54, v14
	v_addc_co_u32_e32 v57, vcc, 0, v17, vcc
	;; [unrolled: 2-line block ×3, first 2 shown]
	s_waitcnt lgkmcnt(7)
	global_store_byte v[2:3], v55, off
	s_waitcnt lgkmcnt(6)
	global_store_byte v[4:5], v58, off
	;; [unrolled: 2-line block ×8, first 2 shown]
.LBB255_124:
	s_or_b64 exec, exec, s[8:9]
	v_add_u32_e32 v2, 1, v21
	v_and_b32_e32 v3, 0x1fffff8, v2
	v_cmp_ne_u32_e32 vcc, v2, v3
	v_lshl_or_b32 v1, v3, 8, v0
	s_orn2_b64 s[8:9], vcc, exec
.LBB255_125:
	s_or_b64 exec, exec, s[6:7]
	s_andn2_b64 s[2:3], s[2:3], exec
	s_and_b64 s[6:7], s[8:9], exec
	s_or_b64 s[2:3], s[2:3], s[6:7]
.LBB255_126:
	s_or_b64 exec, exec, s[4:5]
	s_and_b64 exec, exec, s[2:3]
	s_cbranch_execz .LBB255_129
; %bb.127:
	s_mov_b64 s[2:3], 0
.LBB255_128:                            ; =>This Inner Loop Header: Depth=1
	ds_read_u8 v2, v1
	v_readfirstlane_b32 s4, v54
	v_readfirstlane_b32 s5, v17
	s_waitcnt lgkmcnt(0)
	s_nop 3
	global_store_byte v1, v2, s[4:5]
	v_add_u32_e32 v1, 0x100, v1
	v_cmp_ge_u32_e32 vcc, v1, v16
	s_or_b64 s[2:3], vcc, s[2:3]
	s_andn2_b64 exec, exec, s[2:3]
	s_cbranch_execnz .LBB255_128
.LBB255_129:
	s_or_b64 exec, exec, s[0:1]
.LBB255_130:
	s_cmpk_lg_i32 s33, 0xf00
	s_cselect_b64 s[0:1], -1, 0
	v_cndmask_b32_e64 v8, 0, 1, s[48:49]
	s_and_b64 s[0:1], s[34:35], s[0:1]
	v_cmp_eq_u32_e32 vcc, 0, v0
	v_sub_u32_e32 v1, v16, v8
	v_cndmask_b32_e64 v2, 0, 1, s[0:1]
	s_and_b64 s[0:1], vcc, s[48:49]
	v_add_u32_e32 v1, v1, v2
	v_cndmask_b32_e64 v2, v78, 0, s[0:1]
	s_mul_hi_u32 s0, s33, 0x88888889
	s_lshr_b32 s0, s0, 3
	v_mad_i32_i24 v3, v0, -15, s33
	v_cmp_eq_u32_e32 vcc, s0, v0
	v_cmp_ne_u32_e64 s[0:1], 0, v3
	v_cndmask_b32_e64 v4, 1, v2, s[0:1]
	v_cmp_ne_u32_e64 s[0:1], 1, v3
	v_cndmask_b32_e64 v5, 1, v77, s[0:1]
	;; [unrolled: 2-line block ×15, first 2 shown]
	s_and_b64 vcc, s[34:35], vcc
	v_cndmask_b32_e32 v55, v61, v3, vcc
	v_cndmask_b32_e32 v59, v2, v4, vcc
	v_lshlrev_b64 v[2:3], 3, v[52:53]
	v_cndmask_b32_e32 v54, v63, v54, vcc
	v_cndmask_b32_e32 v21, v65, v21, vcc
	;; [unrolled: 1-line block ×13, first 2 shown]
	v_mov_b32_e32 v4, s43
	v_add_co_u32_e32 v5, vcc, s42, v2
	v_addc_co_u32_e32 v6, vcc, v4, v3, vcc
	v_lshlrev_b64 v[2:3], 3, v[18:19]
	v_add_co_u32_e32 v4, vcc, v5, v2
	v_addc_co_u32_e32 v5, vcc, v6, v3, vcc
	v_lshlrev_b32_e32 v2, 3, v8
	v_add_co_u32_e32 v2, vcc, v2, v4
	v_addc_co_u32_e32 v3, vcc, 0, v5, vcc
	v_add_co_u32_e32 v6, vcc, -8, v2
	v_addc_co_u32_e32 v7, vcc, -1, v3, vcc
	v_cmp_eq_u32_e32 vcc, 0, v59
	v_cndmask_b32_e64 v3, 1, 2, vcc
	v_cmp_eq_u32_e32 vcc, 0, v58
	v_add_u32_e32 v2, v18, v8
	v_cndmask_b32_e64 v8, 1, 2, vcc
	v_cmp_eq_u32_e32 vcc, 0, v57
	v_and_b32_e32 v3, v8, v3
	v_cndmask_b32_e64 v8, 1, 2, vcc
	v_cmp_eq_u32_e32 vcc, 0, v56
	v_and_b32_e32 v3, v3, v8
	;; [unrolled: 3-line block ×13, first 2 shown]
	v_cndmask_b32_e64 v8, 1, 2, vcc
	s_movk_i32 s30, 0x100
	v_and_b32_e32 v3, v3, v8
	v_cmp_gt_u32_e32 vcc, s30, v1
	v_cmp_ne_u32_e64 s[28:29], 0, v59
	v_cmp_ne_u32_e64 s[26:27], 0, v58
	;; [unrolled: 1-line block ×15, first 2 shown]
	s_mov_b64 s[36:37], -1
	v_cmp_gt_i16_e64 s[30:31], 2, v3
	s_barrier
	s_cbranch_vccz .LBB255_137
; %bb.131:
	s_and_saveexec_b64 s[36:37], s[30:31]
	s_cbranch_execz .LBB255_136
; %bb.132:
	v_cmp_ne_u16_e32 vcc, 1, v3
	s_mov_b64 s[38:39], 0
	s_and_saveexec_b64 s[30:31], vcc
	s_xor_b64 s[30:31], exec, s[30:31]
	s_cbranch_execnz .LBB255_186
; %bb.133:
	s_andn2_saveexec_b64 s[30:31], s[30:31]
	s_cbranch_execnz .LBB255_202
.LBB255_134:
	s_or_b64 exec, exec, s[30:31]
	s_and_b64 exec, exec, s[38:39]
	s_cbranch_execz .LBB255_136
.LBB255_135:
	v_mov_b32_e32 v9, 0
	v_sub_u32_e32 v10, v24, v2
	v_mov_b32_e32 v11, v9
	v_lshlrev_b64 v[10:11], 3, v[10:11]
	v_add_co_u32_e32 v10, vcc, v6, v10
	v_mov_b32_e32 v8, v25
	v_addc_co_u32_e32 v11, vcc, v7, v11, vcc
	global_store_dwordx2 v[10:11], v[8:9], off
.LBB255_136:
	s_or_b64 exec, exec, s[36:37]
	s_mov_b64 s[36:37], 0
.LBB255_137:
	s_and_b64 vcc, exec, s[36:37]
	s_cbranch_vccz .LBB255_147
; %bb.138:
	v_cmp_gt_i16_e32 vcc, 2, v3
	s_and_saveexec_b64 s[30:31], vcc
	s_cbranch_execz .LBB255_143
; %bb.139:
	v_cmp_ne_u16_e32 vcc, 1, v3
	s_mov_b64 s[38:39], 0
	s_and_saveexec_b64 s[36:37], vcc
	s_xor_b64 s[36:37], exec, s[36:37]
	s_cbranch_execnz .LBB255_203
; %bb.140:
	s_andn2_saveexec_b64 s[0:1], s[36:37]
	s_cbranch_execnz .LBB255_219
.LBB255_141:
	s_or_b64 exec, exec, s[0:1]
	s_and_b64 exec, exec, s[38:39]
	s_cbranch_execz .LBB255_143
.LBB255_142:
	v_sub_u32_e32 v2, v24, v2
	v_lshlrev_b32_e32 v2, 2, v2
	ds_write_b32 v2, v25
.LBB255_143:
	s_or_b64 exec, exec, s[30:31]
	v_cmp_lt_u32_e32 vcc, v0, v1
	s_waitcnt lgkmcnt(0)
	s_barrier
	s_and_saveexec_b64 s[0:1], vcc
	s_cbranch_execz .LBB255_146
; %bb.144:
	v_lshlrev_b32_e32 v8, 2, v0
	s_mov_b64 s[2:3], 0
	v_mov_b32_e32 v3, 0
	v_mov_b32_e32 v2, v0
.LBB255_145:                            ; =>This Inner Loop Header: Depth=1
	ds_read_b32 v10, v8
	v_lshlrev_b64 v[12:13], 3, v[2:3]
	v_add_co_u32_e32 v12, vcc, v6, v12
	v_add_u32_e32 v2, 0x100, v2
	v_addc_co_u32_e32 v13, vcc, v7, v13, vcc
	v_cmp_ge_u32_e32 vcc, v2, v1
	v_mov_b32_e32 v11, v3
	v_add_u32_e32 v8, 0x400, v8
	s_or_b64 s[2:3], vcc, s[2:3]
	s_waitcnt lgkmcnt(0)
	global_store_dwordx2 v[12:13], v[10:11], off
	s_andn2_b64 exec, exec, s[2:3]
	s_cbranch_execnz .LBB255_145
.LBB255_146:
	s_or_b64 exec, exec, s[0:1]
.LBB255_147:
	s_movk_i32 s0, 0xff
	v_cmp_eq_u32_e32 vcc, s0, v0
	s_and_b64 s[0:1], vcc, s[34:35]
	s_and_saveexec_b64 s[2:3], s[0:1]
	s_cbranch_execz .LBB255_150
; %bb.148:
	v_add_co_u32_e32 v0, vcc, v16, v18
	v_addc_co_u32_e64 v1, s[0:1], 0, 0, vcc
	v_add_co_u32_e32 v0, vcc, v0, v52
	v_mov_b32_e32 v17, 0
	v_addc_co_u32_e32 v1, vcc, v1, v53, vcc
	s_cmpk_lg_i32 s33, 0xf00
	global_store_dwordx2 v17, v[0:1], s[44:45]
	s_cbranch_scc1 .LBB255_150
; %bb.149:
	v_lshlrev_b64 v[0:1], 3, v[16:17]
	v_add_co_u32_e32 v0, vcc, v4, v0
	v_mov_b32_e32 v21, v17
	v_addc_co_u32_e32 v1, vcc, v5, v1, vcc
	global_store_dwordx2 v[0:1], v[20:21], off offset:-8
.LBB255_150:
	s_endpgm
.LBB255_151:
	s_or_b64 exec, exec, s[0:1]
	v_mov_b32_e32 v78, s7
	s_and_saveexec_b64 s[0:1], s[8:9]
	s_cbranch_execnz .LBB255_56
	s_branch .LBB255_57
.LBB255_152:
	s_and_saveexec_b64 s[38:39], s[28:29]
	s_cbranch_execnz .LBB255_220
; %bb.153:
	s_or_b64 exec, exec, s[38:39]
	s_and_saveexec_b64 s[38:39], s[26:27]
	s_cbranch_execnz .LBB255_221
.LBB255_154:
	s_or_b64 exec, exec, s[38:39]
	s_and_saveexec_b64 s[38:39], s[24:25]
	s_cbranch_execnz .LBB255_222
.LBB255_155:
	s_or_b64 exec, exec, s[38:39]
	s_and_saveexec_b64 s[38:39], s[22:23]
	s_cbranch_execnz .LBB255_223
.LBB255_156:
	s_or_b64 exec, exec, s[38:39]
	s_and_saveexec_b64 s[38:39], s[20:21]
	s_cbranch_execnz .LBB255_224
.LBB255_157:
	s_or_b64 exec, exec, s[38:39]
	s_and_saveexec_b64 s[38:39], s[18:19]
	s_cbranch_execnz .LBB255_225
.LBB255_158:
	s_or_b64 exec, exec, s[38:39]
	s_and_saveexec_b64 s[38:39], s[16:17]
	s_cbranch_execnz .LBB255_226
.LBB255_159:
	s_or_b64 exec, exec, s[38:39]
	s_and_saveexec_b64 s[38:39], s[14:15]
	s_cbranch_execnz .LBB255_227
.LBB255_160:
	s_or_b64 exec, exec, s[38:39]
	s_and_saveexec_b64 s[38:39], s[12:13]
	s_cbranch_execnz .LBB255_228
.LBB255_161:
	s_or_b64 exec, exec, s[38:39]
	s_and_saveexec_b64 s[38:39], s[10:11]
	s_cbranch_execnz .LBB255_229
.LBB255_162:
	s_or_b64 exec, exec, s[38:39]
	s_and_saveexec_b64 s[38:39], s[8:9]
	s_cbranch_execnz .LBB255_230
.LBB255_163:
	s_or_b64 exec, exec, s[38:39]
	s_and_saveexec_b64 s[38:39], s[6:7]
	s_cbranch_execnz .LBB255_231
.LBB255_164:
	s_or_b64 exec, exec, s[38:39]
	s_and_saveexec_b64 s[38:39], s[4:5]
	s_cbranch_execnz .LBB255_232
.LBB255_165:
	s_or_b64 exec, exec, s[38:39]
	s_and_saveexec_b64 s[38:39], s[2:3]
	s_cbranch_execz .LBB255_167
.LBB255_166:
	v_sub_u32_e32 v3, v22, v18
	v_readfirstlane_b32 s40, v54
	v_readfirstlane_b32 s41, v17
	s_nop 4
	global_store_byte v3, v11, s[40:41]
.LBB255_167:
	s_or_b64 exec, exec, s[38:39]
	s_and_b64 s[38:39], s[0:1], exec
	s_andn2_saveexec_b64 s[30:31], s[30:31]
	s_cbranch_execz .LBB255_106
.LBB255_168:
	v_sub_u32_e32 v3, v50, v18
	v_readfirstlane_b32 s40, v54
	v_readfirstlane_b32 s41, v17
	s_or_b64 s[38:39], s[38:39], exec
	s_nop 3
	global_store_byte v3, v8, s[40:41]
	v_sub_u32_e32 v3, v48, v18
	global_store_byte v3, v66, s[40:41]
	v_sub_u32_e32 v3, v46, v18
	;; [unrolled: 2-line block ×13, first 2 shown]
	global_store_byte v3, v11, s[40:41]
	s_or_b64 exec, exec, s[30:31]
	s_and_b64 exec, exec, s[38:39]
	s_cbranch_execnz .LBB255_107
	s_branch .LBB255_108
.LBB255_169:
	s_and_saveexec_b64 s[38:39], s[28:29]
	s_cbranch_execnz .LBB255_233
; %bb.170:
	s_or_b64 exec, exec, s[38:39]
	s_and_saveexec_b64 s[28:29], s[26:27]
	s_cbranch_execnz .LBB255_234
.LBB255_171:
	s_or_b64 exec, exec, s[28:29]
	s_and_saveexec_b64 s[26:27], s[24:25]
	s_cbranch_execnz .LBB255_235
.LBB255_172:
	s_or_b64 exec, exec, s[26:27]
	s_and_saveexec_b64 s[24:25], s[22:23]
	s_cbranch_execnz .LBB255_236
.LBB255_173:
	s_or_b64 exec, exec, s[24:25]
	s_and_saveexec_b64 s[22:23], s[20:21]
	s_cbranch_execnz .LBB255_237
.LBB255_174:
	s_or_b64 exec, exec, s[22:23]
	s_and_saveexec_b64 s[20:21], s[18:19]
	s_cbranch_execnz .LBB255_238
.LBB255_175:
	s_or_b64 exec, exec, s[20:21]
	s_and_saveexec_b64 s[18:19], s[16:17]
	s_cbranch_execnz .LBB255_239
.LBB255_176:
	s_or_b64 exec, exec, s[18:19]
	s_and_saveexec_b64 s[16:17], s[14:15]
	s_cbranch_execnz .LBB255_240
.LBB255_177:
	s_or_b64 exec, exec, s[16:17]
	s_and_saveexec_b64 s[14:15], s[12:13]
	s_cbranch_execnz .LBB255_241
.LBB255_178:
	s_or_b64 exec, exec, s[14:15]
	s_and_saveexec_b64 s[12:13], s[10:11]
	s_cbranch_execnz .LBB255_242
.LBB255_179:
	s_or_b64 exec, exec, s[12:13]
	s_and_saveexec_b64 s[10:11], s[8:9]
	s_cbranch_execnz .LBB255_243
.LBB255_180:
	s_or_b64 exec, exec, s[10:11]
	s_and_saveexec_b64 s[8:9], s[6:7]
	s_cbranch_execnz .LBB255_244
.LBB255_181:
	s_or_b64 exec, exec, s[8:9]
	s_and_saveexec_b64 s[6:7], s[4:5]
	s_cbranch_execnz .LBB255_245
.LBB255_182:
	s_or_b64 exec, exec, s[6:7]
	s_and_saveexec_b64 s[4:5], s[2:3]
	s_cbranch_execz .LBB255_184
.LBB255_183:
	v_sub_u32_e32 v2, v22, v18
	ds_write_b8 v2, v11
.LBB255_184:
	s_or_b64 exec, exec, s[4:5]
	s_and_b64 s[38:39], s[0:1], exec
                                        ; implicit-def: $vgpr11
                                        ; implicit-def: $vgpr21
                                        ; implicit-def: $vgpr55
                                        ; implicit-def: $vgpr56
                                        ; implicit-def: $vgpr57
                                        ; implicit-def: $vgpr10
                                        ; implicit-def: $vgpr58
                                        ; implicit-def: $vgpr59
                                        ; implicit-def: $vgpr60
                                        ; implicit-def: $vgpr62
                                        ; implicit-def: $vgpr64
                                        ; implicit-def: $vgpr66
	s_andn2_saveexec_b64 s[0:1], s[36:37]
	s_cbranch_execz .LBB255_113
.LBB255_185:
	v_sub_u32_e32 v2, v50, v18
	ds_write_b8 v2, v8
	v_sub_u32_e32 v2, v48, v18
	ds_write_b8 v2, v66
	;; [unrolled: 2-line block ×13, first 2 shown]
	v_sub_u32_e32 v2, v22, v18
	s_or_b64 s[38:39], s[38:39], exec
	ds_write_b8 v2, v11
	s_or_b64 exec, exec, s[0:1]
	s_and_b64 exec, exec, s[38:39]
	s_cbranch_execnz .LBB255_114
	s_branch .LBB255_115
.LBB255_186:
	s_and_saveexec_b64 s[38:39], s[28:29]
	s_cbranch_execnz .LBB255_246
; %bb.187:
	s_or_b64 exec, exec, s[38:39]
	s_and_saveexec_b64 s[38:39], s[26:27]
	s_cbranch_execnz .LBB255_247
.LBB255_188:
	s_or_b64 exec, exec, s[38:39]
	s_and_saveexec_b64 s[38:39], s[24:25]
	s_cbranch_execnz .LBB255_248
.LBB255_189:
	s_or_b64 exec, exec, s[38:39]
	s_and_saveexec_b64 s[38:39], s[22:23]
	s_cbranch_execnz .LBB255_249
.LBB255_190:
	s_or_b64 exec, exec, s[38:39]
	s_and_saveexec_b64 s[38:39], s[20:21]
	s_cbranch_execnz .LBB255_250
.LBB255_191:
	s_or_b64 exec, exec, s[38:39]
	s_and_saveexec_b64 s[38:39], s[18:19]
	s_cbranch_execnz .LBB255_251
.LBB255_192:
	s_or_b64 exec, exec, s[38:39]
	s_and_saveexec_b64 s[38:39], s[16:17]
	s_cbranch_execnz .LBB255_252
.LBB255_193:
	s_or_b64 exec, exec, s[38:39]
	s_and_saveexec_b64 s[38:39], s[14:15]
	s_cbranch_execnz .LBB255_253
.LBB255_194:
	s_or_b64 exec, exec, s[38:39]
	s_and_saveexec_b64 s[38:39], s[12:13]
	s_cbranch_execnz .LBB255_254
.LBB255_195:
	s_or_b64 exec, exec, s[38:39]
	s_and_saveexec_b64 s[38:39], s[10:11]
	s_cbranch_execnz .LBB255_255
.LBB255_196:
	s_or_b64 exec, exec, s[38:39]
	s_and_saveexec_b64 s[38:39], s[8:9]
	s_cbranch_execnz .LBB255_256
.LBB255_197:
	s_or_b64 exec, exec, s[38:39]
	s_and_saveexec_b64 s[38:39], s[6:7]
	s_cbranch_execnz .LBB255_257
.LBB255_198:
	s_or_b64 exec, exec, s[38:39]
	s_and_saveexec_b64 s[38:39], s[4:5]
	s_cbranch_execnz .LBB255_258
.LBB255_199:
	s_or_b64 exec, exec, s[38:39]
	s_and_saveexec_b64 s[38:39], s[2:3]
	s_cbranch_execz .LBB255_201
.LBB255_200:
	v_sub_u32_e32 v8, v22, v2
	v_mov_b32_e32 v9, 0
	v_lshlrev_b64 v[10:11], 3, v[8:9]
	v_add_co_u32_e32 v10, vcc, v6, v10
	v_addc_co_u32_e32 v11, vcc, v7, v11, vcc
	v_mov_b32_e32 v8, v23
	global_store_dwordx2 v[10:11], v[8:9], off
.LBB255_201:
	s_or_b64 exec, exec, s[38:39]
	s_and_b64 s[38:39], s[0:1], exec
	s_andn2_saveexec_b64 s[30:31], s[30:31]
	s_cbranch_execz .LBB255_134
.LBB255_202:
	v_mov_b32_e32 v9, 0
	v_sub_u32_e32 v10, v50, v2
	v_mov_b32_e32 v11, v9
	v_lshlrev_b64 v[10:11], 3, v[10:11]
	v_add_co_u32_e32 v10, vcc, v6, v10
	v_mov_b32_e32 v8, v51
	v_addc_co_u32_e32 v11, vcc, v7, v11, vcc
	global_store_dwordx2 v[10:11], v[8:9], off
	v_sub_u32_e32 v10, v48, v2
	v_mov_b32_e32 v11, v9
	v_lshlrev_b64 v[10:11], 3, v[10:11]
	v_add_co_u32_e32 v10, vcc, v6, v10
	v_mov_b32_e32 v8, v49
	v_addc_co_u32_e32 v11, vcc, v7, v11, vcc
	global_store_dwordx2 v[10:11], v[8:9], off
	;; [unrolled: 7-line block ×13, first 2 shown]
	v_sub_u32_e32 v10, v22, v2
	v_mov_b32_e32 v11, v9
	v_lshlrev_b64 v[10:11], 3, v[10:11]
	v_add_co_u32_e32 v10, vcc, v6, v10
	v_mov_b32_e32 v8, v23
	v_addc_co_u32_e32 v11, vcc, v7, v11, vcc
	s_or_b64 s[38:39], s[38:39], exec
	global_store_dwordx2 v[10:11], v[8:9], off
	s_or_b64 exec, exec, s[30:31]
	s_and_b64 exec, exec, s[38:39]
	s_cbranch_execnz .LBB255_135
	s_branch .LBB255_136
.LBB255_203:
	s_and_saveexec_b64 s[38:39], s[28:29]
	s_cbranch_execnz .LBB255_259
; %bb.204:
	s_or_b64 exec, exec, s[38:39]
	s_and_saveexec_b64 s[28:29], s[26:27]
	s_cbranch_execnz .LBB255_260
.LBB255_205:
	s_or_b64 exec, exec, s[28:29]
	s_and_saveexec_b64 s[26:27], s[24:25]
	s_cbranch_execnz .LBB255_261
.LBB255_206:
	s_or_b64 exec, exec, s[26:27]
	s_and_saveexec_b64 s[24:25], s[22:23]
	s_cbranch_execnz .LBB255_262
.LBB255_207:
	s_or_b64 exec, exec, s[24:25]
	s_and_saveexec_b64 s[22:23], s[20:21]
	s_cbranch_execnz .LBB255_263
.LBB255_208:
	s_or_b64 exec, exec, s[22:23]
	s_and_saveexec_b64 s[20:21], s[18:19]
	s_cbranch_execnz .LBB255_264
.LBB255_209:
	s_or_b64 exec, exec, s[20:21]
	s_and_saveexec_b64 s[18:19], s[16:17]
	s_cbranch_execnz .LBB255_265
.LBB255_210:
	s_or_b64 exec, exec, s[18:19]
	s_and_saveexec_b64 s[16:17], s[14:15]
	s_cbranch_execnz .LBB255_266
.LBB255_211:
	s_or_b64 exec, exec, s[16:17]
	s_and_saveexec_b64 s[14:15], s[12:13]
	s_cbranch_execnz .LBB255_267
.LBB255_212:
	s_or_b64 exec, exec, s[14:15]
	s_and_saveexec_b64 s[12:13], s[10:11]
	s_cbranch_execnz .LBB255_268
.LBB255_213:
	s_or_b64 exec, exec, s[12:13]
	s_and_saveexec_b64 s[10:11], s[8:9]
	s_cbranch_execnz .LBB255_269
.LBB255_214:
	s_or_b64 exec, exec, s[10:11]
	s_and_saveexec_b64 s[8:9], s[6:7]
	s_cbranch_execnz .LBB255_270
.LBB255_215:
	s_or_b64 exec, exec, s[8:9]
	s_and_saveexec_b64 s[6:7], s[4:5]
	s_cbranch_execnz .LBB255_271
.LBB255_216:
	s_or_b64 exec, exec, s[6:7]
	s_and_saveexec_b64 s[4:5], s[2:3]
	s_cbranch_execz .LBB255_218
.LBB255_217:
	v_sub_u32_e32 v3, v22, v2
	v_lshlrev_b32_e32 v3, 2, v3
	ds_write_b32 v3, v23
.LBB255_218:
	s_or_b64 exec, exec, s[4:5]
	s_and_b64 s[38:39], s[0:1], exec
                                        ; implicit-def: $vgpr22_vgpr23
                                        ; implicit-def: $vgpr26_vgpr27
                                        ; implicit-def: $vgpr28_vgpr29
                                        ; implicit-def: $vgpr50_vgpr51
                                        ; implicit-def: $vgpr48_vgpr49
                                        ; implicit-def: $vgpr46_vgpr47
                                        ; implicit-def: $vgpr44_vgpr45
                                        ; implicit-def: $vgpr42_vgpr43
                                        ; implicit-def: $vgpr40_vgpr41
                                        ; implicit-def: $vgpr38_vgpr39
                                        ; implicit-def: $vgpr36_vgpr37
                                        ; implicit-def: $vgpr34_vgpr35
                                        ; implicit-def: $vgpr32_vgpr33
                                        ; implicit-def: $vgpr30_vgpr31
	s_andn2_saveexec_b64 s[0:1], s[36:37]
	s_cbranch_execz .LBB255_141
.LBB255_219:
	v_sub_u32_e32 v3, v50, v2
	v_lshlrev_b32_e32 v3, 2, v3
	ds_write_b32 v3, v51
	v_sub_u32_e32 v3, v48, v2
	v_lshlrev_b32_e32 v3, 2, v3
	ds_write_b32 v3, v49
	;; [unrolled: 3-line block ×13, first 2 shown]
	v_sub_u32_e32 v3, v22, v2
	v_lshlrev_b32_e32 v3, 2, v3
	s_or_b64 s[38:39], s[38:39], exec
	ds_write_b32 v3, v23
	s_or_b64 exec, exec, s[0:1]
	s_and_b64 exec, exec, s[38:39]
	s_cbranch_execnz .LBB255_142
	s_branch .LBB255_143
.LBB255_220:
	v_sub_u32_e32 v3, v50, v18
	v_readfirstlane_b32 s40, v54
	v_readfirstlane_b32 s41, v17
	s_nop 4
	global_store_byte v3, v8, s[40:41]
	s_or_b64 exec, exec, s[38:39]
	s_and_saveexec_b64 s[38:39], s[26:27]
	s_cbranch_execz .LBB255_154
.LBB255_221:
	v_sub_u32_e32 v3, v48, v18
	v_readfirstlane_b32 s40, v54
	v_readfirstlane_b32 s41, v17
	s_nop 4
	global_store_byte v3, v66, s[40:41]
	s_or_b64 exec, exec, s[38:39]
	s_and_saveexec_b64 s[38:39], s[24:25]
	s_cbranch_execz .LBB255_155
.LBB255_222:
	v_sub_u32_e32 v3, v46, v18
	v_readfirstlane_b32 s40, v54
	v_readfirstlane_b32 s41, v17
	s_nop 4
	global_store_byte v3, v64, s[40:41]
	s_or_b64 exec, exec, s[38:39]
	s_and_saveexec_b64 s[38:39], s[22:23]
	s_cbranch_execz .LBB255_156
.LBB255_223:
	v_sub_u32_e32 v3, v44, v18
	v_readfirstlane_b32 s40, v54
	v_readfirstlane_b32 s41, v17
	s_nop 4
	global_store_byte v3, v62, s[40:41]
	s_or_b64 exec, exec, s[38:39]
	s_and_saveexec_b64 s[38:39], s[20:21]
	s_cbranch_execz .LBB255_157
.LBB255_224:
	v_sub_u32_e32 v3, v42, v18
	v_readfirstlane_b32 s40, v54
	v_readfirstlane_b32 s41, v17
	s_nop 4
	global_store_byte v3, v9, s[40:41]
	s_or_b64 exec, exec, s[38:39]
	s_and_saveexec_b64 s[38:39], s[18:19]
	s_cbranch_execz .LBB255_158
.LBB255_225:
	v_sub_u32_e32 v3, v40, v18
	v_readfirstlane_b32 s40, v54
	v_readfirstlane_b32 s41, v17
	s_nop 4
	global_store_byte v3, v60, s[40:41]
	s_or_b64 exec, exec, s[38:39]
	s_and_saveexec_b64 s[38:39], s[16:17]
	s_cbranch_execz .LBB255_159
.LBB255_226:
	v_sub_u32_e32 v3, v38, v18
	v_readfirstlane_b32 s40, v54
	v_readfirstlane_b32 s41, v17
	s_nop 4
	global_store_byte v3, v59, s[40:41]
	s_or_b64 exec, exec, s[38:39]
	s_and_saveexec_b64 s[38:39], s[14:15]
	s_cbranch_execz .LBB255_160
.LBB255_227:
	v_sub_u32_e32 v3, v36, v18
	v_readfirstlane_b32 s40, v54
	v_readfirstlane_b32 s41, v17
	s_nop 4
	global_store_byte v3, v58, s[40:41]
	s_or_b64 exec, exec, s[38:39]
	s_and_saveexec_b64 s[38:39], s[12:13]
	s_cbranch_execz .LBB255_161
.LBB255_228:
	v_sub_u32_e32 v3, v34, v18
	v_readfirstlane_b32 s40, v54
	v_readfirstlane_b32 s41, v17
	s_nop 4
	global_store_byte v3, v10, s[40:41]
	s_or_b64 exec, exec, s[38:39]
	s_and_saveexec_b64 s[38:39], s[10:11]
	s_cbranch_execz .LBB255_162
.LBB255_229:
	v_sub_u32_e32 v3, v32, v18
	v_readfirstlane_b32 s40, v54
	v_readfirstlane_b32 s41, v17
	s_nop 4
	global_store_byte v3, v57, s[40:41]
	s_or_b64 exec, exec, s[38:39]
	s_and_saveexec_b64 s[38:39], s[8:9]
	s_cbranch_execz .LBB255_163
.LBB255_230:
	v_sub_u32_e32 v3, v30, v18
	v_readfirstlane_b32 s40, v54
	v_readfirstlane_b32 s41, v17
	s_nop 4
	global_store_byte v3, v56, s[40:41]
	s_or_b64 exec, exec, s[38:39]
	s_and_saveexec_b64 s[38:39], s[6:7]
	s_cbranch_execz .LBB255_164
.LBB255_231:
	v_sub_u32_e32 v3, v28, v18
	v_readfirstlane_b32 s40, v54
	v_readfirstlane_b32 s41, v17
	s_nop 4
	global_store_byte v3, v55, s[40:41]
	s_or_b64 exec, exec, s[38:39]
	s_and_saveexec_b64 s[38:39], s[4:5]
	s_cbranch_execz .LBB255_165
.LBB255_232:
	v_sub_u32_e32 v3, v26, v18
	v_readfirstlane_b32 s40, v54
	v_readfirstlane_b32 s41, v17
	s_nop 4
	global_store_byte v3, v21, s[40:41]
	s_or_b64 exec, exec, s[38:39]
	s_and_saveexec_b64 s[38:39], s[2:3]
	s_cbranch_execnz .LBB255_166
	s_branch .LBB255_167
.LBB255_233:
	v_sub_u32_e32 v2, v50, v18
	ds_write_b8 v2, v8
	s_or_b64 exec, exec, s[38:39]
	s_and_saveexec_b64 s[28:29], s[26:27]
	s_cbranch_execz .LBB255_171
.LBB255_234:
	v_sub_u32_e32 v2, v48, v18
	ds_write_b8 v2, v66
	s_or_b64 exec, exec, s[28:29]
	s_and_saveexec_b64 s[26:27], s[24:25]
	s_cbranch_execz .LBB255_172
.LBB255_235:
	v_sub_u32_e32 v2, v46, v18
	ds_write_b8 v2, v64
	s_or_b64 exec, exec, s[26:27]
	s_and_saveexec_b64 s[24:25], s[22:23]
	s_cbranch_execz .LBB255_173
.LBB255_236:
	v_sub_u32_e32 v2, v44, v18
	ds_write_b8 v2, v62
	s_or_b64 exec, exec, s[24:25]
	s_and_saveexec_b64 s[22:23], s[20:21]
	s_cbranch_execz .LBB255_174
.LBB255_237:
	v_sub_u32_e32 v2, v42, v18
	ds_write_b8 v2, v9
	s_or_b64 exec, exec, s[22:23]
	s_and_saveexec_b64 s[20:21], s[18:19]
	s_cbranch_execz .LBB255_175
.LBB255_238:
	v_sub_u32_e32 v2, v40, v18
	ds_write_b8 v2, v60
	s_or_b64 exec, exec, s[20:21]
	s_and_saveexec_b64 s[18:19], s[16:17]
	s_cbranch_execz .LBB255_176
.LBB255_239:
	v_sub_u32_e32 v2, v38, v18
	ds_write_b8 v2, v59
	s_or_b64 exec, exec, s[18:19]
	s_and_saveexec_b64 s[16:17], s[14:15]
	s_cbranch_execz .LBB255_177
.LBB255_240:
	v_sub_u32_e32 v2, v36, v18
	ds_write_b8 v2, v58
	s_or_b64 exec, exec, s[16:17]
	s_and_saveexec_b64 s[14:15], s[12:13]
	s_cbranch_execz .LBB255_178
.LBB255_241:
	v_sub_u32_e32 v2, v34, v18
	ds_write_b8 v2, v10
	s_or_b64 exec, exec, s[14:15]
	s_and_saveexec_b64 s[12:13], s[10:11]
	s_cbranch_execz .LBB255_179
.LBB255_242:
	v_sub_u32_e32 v2, v32, v18
	ds_write_b8 v2, v57
	s_or_b64 exec, exec, s[12:13]
	s_and_saveexec_b64 s[10:11], s[8:9]
	s_cbranch_execz .LBB255_180
.LBB255_243:
	v_sub_u32_e32 v2, v30, v18
	ds_write_b8 v2, v56
	s_or_b64 exec, exec, s[10:11]
	s_and_saveexec_b64 s[8:9], s[6:7]
	s_cbranch_execz .LBB255_181
.LBB255_244:
	v_sub_u32_e32 v2, v28, v18
	ds_write_b8 v2, v55
	s_or_b64 exec, exec, s[8:9]
	s_and_saveexec_b64 s[6:7], s[4:5]
	s_cbranch_execz .LBB255_182
.LBB255_245:
	v_sub_u32_e32 v2, v26, v18
	ds_write_b8 v2, v21
	s_or_b64 exec, exec, s[6:7]
	s_and_saveexec_b64 s[4:5], s[2:3]
	s_cbranch_execnz .LBB255_183
	s_branch .LBB255_184
.LBB255_246:
	v_sub_u32_e32 v8, v50, v2
	v_mov_b32_e32 v9, 0
	v_lshlrev_b64 v[10:11], 3, v[8:9]
	v_add_co_u32_e32 v10, vcc, v6, v10
	v_addc_co_u32_e32 v11, vcc, v7, v11, vcc
	v_mov_b32_e32 v8, v51
	global_store_dwordx2 v[10:11], v[8:9], off
	s_or_b64 exec, exec, s[38:39]
	s_and_saveexec_b64 s[38:39], s[26:27]
	s_cbranch_execz .LBB255_188
.LBB255_247:
	v_sub_u32_e32 v8, v48, v2
	v_mov_b32_e32 v9, 0
	v_lshlrev_b64 v[10:11], 3, v[8:9]
	v_add_co_u32_e32 v10, vcc, v6, v10
	v_addc_co_u32_e32 v11, vcc, v7, v11, vcc
	v_mov_b32_e32 v8, v49
	global_store_dwordx2 v[10:11], v[8:9], off
	s_or_b64 exec, exec, s[38:39]
	s_and_saveexec_b64 s[38:39], s[24:25]
	s_cbranch_execz .LBB255_189
.LBB255_248:
	v_sub_u32_e32 v8, v46, v2
	v_mov_b32_e32 v9, 0
	v_lshlrev_b64 v[10:11], 3, v[8:9]
	v_add_co_u32_e32 v10, vcc, v6, v10
	v_addc_co_u32_e32 v11, vcc, v7, v11, vcc
	v_mov_b32_e32 v8, v47
	global_store_dwordx2 v[10:11], v[8:9], off
	s_or_b64 exec, exec, s[38:39]
	s_and_saveexec_b64 s[38:39], s[22:23]
	s_cbranch_execz .LBB255_190
.LBB255_249:
	v_sub_u32_e32 v8, v44, v2
	v_mov_b32_e32 v9, 0
	v_lshlrev_b64 v[10:11], 3, v[8:9]
	v_add_co_u32_e32 v10, vcc, v6, v10
	v_addc_co_u32_e32 v11, vcc, v7, v11, vcc
	v_mov_b32_e32 v8, v45
	global_store_dwordx2 v[10:11], v[8:9], off
	s_or_b64 exec, exec, s[38:39]
	s_and_saveexec_b64 s[38:39], s[20:21]
	s_cbranch_execz .LBB255_191
.LBB255_250:
	v_sub_u32_e32 v8, v42, v2
	v_mov_b32_e32 v9, 0
	v_lshlrev_b64 v[10:11], 3, v[8:9]
	v_add_co_u32_e32 v10, vcc, v6, v10
	v_addc_co_u32_e32 v11, vcc, v7, v11, vcc
	v_mov_b32_e32 v8, v43
	global_store_dwordx2 v[10:11], v[8:9], off
	s_or_b64 exec, exec, s[38:39]
	s_and_saveexec_b64 s[38:39], s[18:19]
	s_cbranch_execz .LBB255_192
.LBB255_251:
	v_sub_u32_e32 v8, v40, v2
	v_mov_b32_e32 v9, 0
	v_lshlrev_b64 v[10:11], 3, v[8:9]
	v_add_co_u32_e32 v10, vcc, v6, v10
	v_addc_co_u32_e32 v11, vcc, v7, v11, vcc
	v_mov_b32_e32 v8, v41
	global_store_dwordx2 v[10:11], v[8:9], off
	s_or_b64 exec, exec, s[38:39]
	s_and_saveexec_b64 s[38:39], s[16:17]
	s_cbranch_execz .LBB255_193
.LBB255_252:
	v_sub_u32_e32 v8, v38, v2
	v_mov_b32_e32 v9, 0
	v_lshlrev_b64 v[10:11], 3, v[8:9]
	v_add_co_u32_e32 v10, vcc, v6, v10
	v_addc_co_u32_e32 v11, vcc, v7, v11, vcc
	v_mov_b32_e32 v8, v39
	global_store_dwordx2 v[10:11], v[8:9], off
	s_or_b64 exec, exec, s[38:39]
	s_and_saveexec_b64 s[38:39], s[14:15]
	s_cbranch_execz .LBB255_194
.LBB255_253:
	v_sub_u32_e32 v8, v36, v2
	v_mov_b32_e32 v9, 0
	v_lshlrev_b64 v[10:11], 3, v[8:9]
	v_add_co_u32_e32 v10, vcc, v6, v10
	v_addc_co_u32_e32 v11, vcc, v7, v11, vcc
	v_mov_b32_e32 v8, v37
	global_store_dwordx2 v[10:11], v[8:9], off
	s_or_b64 exec, exec, s[38:39]
	s_and_saveexec_b64 s[38:39], s[12:13]
	s_cbranch_execz .LBB255_195
.LBB255_254:
	v_sub_u32_e32 v8, v34, v2
	v_mov_b32_e32 v9, 0
	v_lshlrev_b64 v[10:11], 3, v[8:9]
	v_add_co_u32_e32 v10, vcc, v6, v10
	v_addc_co_u32_e32 v11, vcc, v7, v11, vcc
	v_mov_b32_e32 v8, v35
	global_store_dwordx2 v[10:11], v[8:9], off
	s_or_b64 exec, exec, s[38:39]
	s_and_saveexec_b64 s[38:39], s[10:11]
	s_cbranch_execz .LBB255_196
.LBB255_255:
	v_sub_u32_e32 v8, v32, v2
	v_mov_b32_e32 v9, 0
	v_lshlrev_b64 v[10:11], 3, v[8:9]
	v_add_co_u32_e32 v10, vcc, v6, v10
	v_addc_co_u32_e32 v11, vcc, v7, v11, vcc
	v_mov_b32_e32 v8, v33
	global_store_dwordx2 v[10:11], v[8:9], off
	s_or_b64 exec, exec, s[38:39]
	s_and_saveexec_b64 s[38:39], s[8:9]
	s_cbranch_execz .LBB255_197
.LBB255_256:
	v_sub_u32_e32 v8, v30, v2
	v_mov_b32_e32 v9, 0
	v_lshlrev_b64 v[10:11], 3, v[8:9]
	v_add_co_u32_e32 v10, vcc, v6, v10
	v_addc_co_u32_e32 v11, vcc, v7, v11, vcc
	v_mov_b32_e32 v8, v31
	global_store_dwordx2 v[10:11], v[8:9], off
	s_or_b64 exec, exec, s[38:39]
	s_and_saveexec_b64 s[38:39], s[6:7]
	s_cbranch_execz .LBB255_198
.LBB255_257:
	v_sub_u32_e32 v8, v28, v2
	v_mov_b32_e32 v9, 0
	v_lshlrev_b64 v[10:11], 3, v[8:9]
	v_add_co_u32_e32 v10, vcc, v6, v10
	v_addc_co_u32_e32 v11, vcc, v7, v11, vcc
	v_mov_b32_e32 v8, v29
	global_store_dwordx2 v[10:11], v[8:9], off
	s_or_b64 exec, exec, s[38:39]
	s_and_saveexec_b64 s[38:39], s[4:5]
	s_cbranch_execz .LBB255_199
.LBB255_258:
	v_sub_u32_e32 v8, v26, v2
	v_mov_b32_e32 v9, 0
	v_lshlrev_b64 v[10:11], 3, v[8:9]
	v_add_co_u32_e32 v10, vcc, v6, v10
	v_addc_co_u32_e32 v11, vcc, v7, v11, vcc
	v_mov_b32_e32 v8, v27
	global_store_dwordx2 v[10:11], v[8:9], off
	s_or_b64 exec, exec, s[38:39]
	s_and_saveexec_b64 s[38:39], s[2:3]
	s_cbranch_execnz .LBB255_200
	s_branch .LBB255_201
.LBB255_259:
	v_sub_u32_e32 v3, v50, v2
	v_lshlrev_b32_e32 v3, 2, v3
	ds_write_b32 v3, v51
	s_or_b64 exec, exec, s[38:39]
	s_and_saveexec_b64 s[28:29], s[26:27]
	s_cbranch_execz .LBB255_205
.LBB255_260:
	v_sub_u32_e32 v3, v48, v2
	v_lshlrev_b32_e32 v3, 2, v3
	ds_write_b32 v3, v49
	s_or_b64 exec, exec, s[28:29]
	s_and_saveexec_b64 s[26:27], s[24:25]
	s_cbranch_execz .LBB255_206
.LBB255_261:
	v_sub_u32_e32 v3, v46, v2
	v_lshlrev_b32_e32 v3, 2, v3
	ds_write_b32 v3, v47
	s_or_b64 exec, exec, s[26:27]
	s_and_saveexec_b64 s[24:25], s[22:23]
	s_cbranch_execz .LBB255_207
.LBB255_262:
	v_sub_u32_e32 v3, v44, v2
	v_lshlrev_b32_e32 v3, 2, v3
	ds_write_b32 v3, v45
	s_or_b64 exec, exec, s[24:25]
	s_and_saveexec_b64 s[22:23], s[20:21]
	s_cbranch_execz .LBB255_208
.LBB255_263:
	v_sub_u32_e32 v3, v42, v2
	v_lshlrev_b32_e32 v3, 2, v3
	ds_write_b32 v3, v43
	s_or_b64 exec, exec, s[22:23]
	s_and_saveexec_b64 s[20:21], s[18:19]
	s_cbranch_execz .LBB255_209
.LBB255_264:
	v_sub_u32_e32 v3, v40, v2
	v_lshlrev_b32_e32 v3, 2, v3
	ds_write_b32 v3, v41
	s_or_b64 exec, exec, s[20:21]
	s_and_saveexec_b64 s[18:19], s[16:17]
	s_cbranch_execz .LBB255_210
.LBB255_265:
	v_sub_u32_e32 v3, v38, v2
	v_lshlrev_b32_e32 v3, 2, v3
	ds_write_b32 v3, v39
	s_or_b64 exec, exec, s[18:19]
	s_and_saveexec_b64 s[16:17], s[14:15]
	s_cbranch_execz .LBB255_211
.LBB255_266:
	v_sub_u32_e32 v3, v36, v2
	v_lshlrev_b32_e32 v3, 2, v3
	ds_write_b32 v3, v37
	s_or_b64 exec, exec, s[16:17]
	s_and_saveexec_b64 s[14:15], s[12:13]
	s_cbranch_execz .LBB255_212
.LBB255_267:
	v_sub_u32_e32 v3, v34, v2
	v_lshlrev_b32_e32 v3, 2, v3
	ds_write_b32 v3, v35
	s_or_b64 exec, exec, s[14:15]
	s_and_saveexec_b64 s[12:13], s[10:11]
	s_cbranch_execz .LBB255_213
.LBB255_268:
	v_sub_u32_e32 v3, v32, v2
	v_lshlrev_b32_e32 v3, 2, v3
	ds_write_b32 v3, v33
	s_or_b64 exec, exec, s[12:13]
	s_and_saveexec_b64 s[10:11], s[8:9]
	s_cbranch_execz .LBB255_214
.LBB255_269:
	v_sub_u32_e32 v3, v30, v2
	v_lshlrev_b32_e32 v3, 2, v3
	ds_write_b32 v3, v31
	s_or_b64 exec, exec, s[10:11]
	s_and_saveexec_b64 s[8:9], s[6:7]
	s_cbranch_execz .LBB255_215
.LBB255_270:
	v_sub_u32_e32 v3, v28, v2
	v_lshlrev_b32_e32 v3, 2, v3
	ds_write_b32 v3, v29
	s_or_b64 exec, exec, s[8:9]
	s_and_saveexec_b64 s[6:7], s[4:5]
	s_cbranch_execz .LBB255_216
.LBB255_271:
	v_sub_u32_e32 v3, v26, v2
	v_lshlrev_b32_e32 v3, 2, v3
	ds_write_b32 v3, v27
	s_or_b64 exec, exec, s[6:7]
	s_and_saveexec_b64 s[4:5], s[2:3]
	s_cbranch_execnz .LBB255_217
	s_branch .LBB255_218
	.section	.rodata,"a",@progbits
	.p2align	6, 0x0
	.amdhsa_kernel _ZN7rocprim17ROCPRIM_400000_NS6detail17trampoline_kernelINS0_14default_configENS1_33run_length_encode_config_selectorIajNS0_4plusIjEEEEZZNS1_33reduce_by_key_impl_wrapped_configILNS1_25lookback_scan_determinismE0ES3_S7_PKaNS0_17constant_iteratorIjlEEPaPlSF_S6_NS0_8equal_toIaEEEE10hipError_tPvRmT2_T3_mT4_T5_T6_T7_T8_P12ihipStream_tbENKUlT_T0_E_clISt17integral_constantIbLb1EESY_IbLb0EEEEDaSU_SV_EUlSU_E_NS1_11comp_targetILNS1_3genE4ELNS1_11target_archE910ELNS1_3gpuE8ELNS1_3repE0EEENS1_30default_config_static_selectorELNS0_4arch9wavefront6targetE1EEEvT1_
		.amdhsa_group_segment_fixed_size 15360
		.amdhsa_private_segment_fixed_size 0
		.amdhsa_kernarg_size 128
		.amdhsa_user_sgpr_count 6
		.amdhsa_user_sgpr_private_segment_buffer 1
		.amdhsa_user_sgpr_dispatch_ptr 0
		.amdhsa_user_sgpr_queue_ptr 0
		.amdhsa_user_sgpr_kernarg_segment_ptr 1
		.amdhsa_user_sgpr_dispatch_id 0
		.amdhsa_user_sgpr_flat_scratch_init 0
		.amdhsa_user_sgpr_kernarg_preload_length 0
		.amdhsa_user_sgpr_kernarg_preload_offset 0
		.amdhsa_user_sgpr_private_segment_size 0
		.amdhsa_uses_dynamic_stack 0
		.amdhsa_system_sgpr_private_segment_wavefront_offset 0
		.amdhsa_system_sgpr_workgroup_id_x 1
		.amdhsa_system_sgpr_workgroup_id_y 0
		.amdhsa_system_sgpr_workgroup_id_z 0
		.amdhsa_system_sgpr_workgroup_info 0
		.amdhsa_system_vgpr_workitem_id 0
		.amdhsa_next_free_vgpr 115
		.amdhsa_next_free_sgpr 64
		.amdhsa_accum_offset 116
		.amdhsa_reserve_vcc 1
		.amdhsa_reserve_flat_scratch 0
		.amdhsa_float_round_mode_32 0
		.amdhsa_float_round_mode_16_64 0
		.amdhsa_float_denorm_mode_32 3
		.amdhsa_float_denorm_mode_16_64 3
		.amdhsa_dx10_clamp 1
		.amdhsa_ieee_mode 1
		.amdhsa_fp16_overflow 0
		.amdhsa_tg_split 0
		.amdhsa_exception_fp_ieee_invalid_op 0
		.amdhsa_exception_fp_denorm_src 0
		.amdhsa_exception_fp_ieee_div_zero 0
		.amdhsa_exception_fp_ieee_overflow 0
		.amdhsa_exception_fp_ieee_underflow 0
		.amdhsa_exception_fp_ieee_inexact 0
		.amdhsa_exception_int_div_zero 0
	.end_amdhsa_kernel
	.section	.text._ZN7rocprim17ROCPRIM_400000_NS6detail17trampoline_kernelINS0_14default_configENS1_33run_length_encode_config_selectorIajNS0_4plusIjEEEEZZNS1_33reduce_by_key_impl_wrapped_configILNS1_25lookback_scan_determinismE0ES3_S7_PKaNS0_17constant_iteratorIjlEEPaPlSF_S6_NS0_8equal_toIaEEEE10hipError_tPvRmT2_T3_mT4_T5_T6_T7_T8_P12ihipStream_tbENKUlT_T0_E_clISt17integral_constantIbLb1EESY_IbLb0EEEEDaSU_SV_EUlSU_E_NS1_11comp_targetILNS1_3genE4ELNS1_11target_archE910ELNS1_3gpuE8ELNS1_3repE0EEENS1_30default_config_static_selectorELNS0_4arch9wavefront6targetE1EEEvT1_,"axG",@progbits,_ZN7rocprim17ROCPRIM_400000_NS6detail17trampoline_kernelINS0_14default_configENS1_33run_length_encode_config_selectorIajNS0_4plusIjEEEEZZNS1_33reduce_by_key_impl_wrapped_configILNS1_25lookback_scan_determinismE0ES3_S7_PKaNS0_17constant_iteratorIjlEEPaPlSF_S6_NS0_8equal_toIaEEEE10hipError_tPvRmT2_T3_mT4_T5_T6_T7_T8_P12ihipStream_tbENKUlT_T0_E_clISt17integral_constantIbLb1EESY_IbLb0EEEEDaSU_SV_EUlSU_E_NS1_11comp_targetILNS1_3genE4ELNS1_11target_archE910ELNS1_3gpuE8ELNS1_3repE0EEENS1_30default_config_static_selectorELNS0_4arch9wavefront6targetE1EEEvT1_,comdat
.Lfunc_end255:
	.size	_ZN7rocprim17ROCPRIM_400000_NS6detail17trampoline_kernelINS0_14default_configENS1_33run_length_encode_config_selectorIajNS0_4plusIjEEEEZZNS1_33reduce_by_key_impl_wrapped_configILNS1_25lookback_scan_determinismE0ES3_S7_PKaNS0_17constant_iteratorIjlEEPaPlSF_S6_NS0_8equal_toIaEEEE10hipError_tPvRmT2_T3_mT4_T5_T6_T7_T8_P12ihipStream_tbENKUlT_T0_E_clISt17integral_constantIbLb1EESY_IbLb0EEEEDaSU_SV_EUlSU_E_NS1_11comp_targetILNS1_3genE4ELNS1_11target_archE910ELNS1_3gpuE8ELNS1_3repE0EEENS1_30default_config_static_selectorELNS0_4arch9wavefront6targetE1EEEvT1_, .Lfunc_end255-_ZN7rocprim17ROCPRIM_400000_NS6detail17trampoline_kernelINS0_14default_configENS1_33run_length_encode_config_selectorIajNS0_4plusIjEEEEZZNS1_33reduce_by_key_impl_wrapped_configILNS1_25lookback_scan_determinismE0ES3_S7_PKaNS0_17constant_iteratorIjlEEPaPlSF_S6_NS0_8equal_toIaEEEE10hipError_tPvRmT2_T3_mT4_T5_T6_T7_T8_P12ihipStream_tbENKUlT_T0_E_clISt17integral_constantIbLb1EESY_IbLb0EEEEDaSU_SV_EUlSU_E_NS1_11comp_targetILNS1_3genE4ELNS1_11target_archE910ELNS1_3gpuE8ELNS1_3repE0EEENS1_30default_config_static_selectorELNS0_4arch9wavefront6targetE1EEEvT1_
                                        ; -- End function
	.section	.AMDGPU.csdata,"",@progbits
; Kernel info:
; codeLenInByte = 14588
; NumSgprs: 68
; NumVgprs: 115
; NumAgprs: 0
; TotalNumVgprs: 115
; ScratchSize: 0
; MemoryBound: 0
; FloatMode: 240
; IeeeMode: 1
; LDSByteSize: 15360 bytes/workgroup (compile time only)
; SGPRBlocks: 8
; VGPRBlocks: 14
; NumSGPRsForWavesPerEU: 68
; NumVGPRsForWavesPerEU: 115
; AccumOffset: 116
; Occupancy: 4
; WaveLimiterHint : 1
; COMPUTE_PGM_RSRC2:SCRATCH_EN: 0
; COMPUTE_PGM_RSRC2:USER_SGPR: 6
; COMPUTE_PGM_RSRC2:TRAP_HANDLER: 0
; COMPUTE_PGM_RSRC2:TGID_X_EN: 1
; COMPUTE_PGM_RSRC2:TGID_Y_EN: 0
; COMPUTE_PGM_RSRC2:TGID_Z_EN: 0
; COMPUTE_PGM_RSRC2:TIDIG_COMP_CNT: 0
; COMPUTE_PGM_RSRC3_GFX90A:ACCUM_OFFSET: 28
; COMPUTE_PGM_RSRC3_GFX90A:TG_SPLIT: 0
	.section	.text._ZN7rocprim17ROCPRIM_400000_NS6detail17trampoline_kernelINS0_14default_configENS1_33run_length_encode_config_selectorIajNS0_4plusIjEEEEZZNS1_33reduce_by_key_impl_wrapped_configILNS1_25lookback_scan_determinismE0ES3_S7_PKaNS0_17constant_iteratorIjlEEPaPlSF_S6_NS0_8equal_toIaEEEE10hipError_tPvRmT2_T3_mT4_T5_T6_T7_T8_P12ihipStream_tbENKUlT_T0_E_clISt17integral_constantIbLb1EESY_IbLb0EEEEDaSU_SV_EUlSU_E_NS1_11comp_targetILNS1_3genE3ELNS1_11target_archE908ELNS1_3gpuE7ELNS1_3repE0EEENS1_30default_config_static_selectorELNS0_4arch9wavefront6targetE1EEEvT1_,"axG",@progbits,_ZN7rocprim17ROCPRIM_400000_NS6detail17trampoline_kernelINS0_14default_configENS1_33run_length_encode_config_selectorIajNS0_4plusIjEEEEZZNS1_33reduce_by_key_impl_wrapped_configILNS1_25lookback_scan_determinismE0ES3_S7_PKaNS0_17constant_iteratorIjlEEPaPlSF_S6_NS0_8equal_toIaEEEE10hipError_tPvRmT2_T3_mT4_T5_T6_T7_T8_P12ihipStream_tbENKUlT_T0_E_clISt17integral_constantIbLb1EESY_IbLb0EEEEDaSU_SV_EUlSU_E_NS1_11comp_targetILNS1_3genE3ELNS1_11target_archE908ELNS1_3gpuE7ELNS1_3repE0EEENS1_30default_config_static_selectorELNS0_4arch9wavefront6targetE1EEEvT1_,comdat
	.protected	_ZN7rocprim17ROCPRIM_400000_NS6detail17trampoline_kernelINS0_14default_configENS1_33run_length_encode_config_selectorIajNS0_4plusIjEEEEZZNS1_33reduce_by_key_impl_wrapped_configILNS1_25lookback_scan_determinismE0ES3_S7_PKaNS0_17constant_iteratorIjlEEPaPlSF_S6_NS0_8equal_toIaEEEE10hipError_tPvRmT2_T3_mT4_T5_T6_T7_T8_P12ihipStream_tbENKUlT_T0_E_clISt17integral_constantIbLb1EESY_IbLb0EEEEDaSU_SV_EUlSU_E_NS1_11comp_targetILNS1_3genE3ELNS1_11target_archE908ELNS1_3gpuE7ELNS1_3repE0EEENS1_30default_config_static_selectorELNS0_4arch9wavefront6targetE1EEEvT1_ ; -- Begin function _ZN7rocprim17ROCPRIM_400000_NS6detail17trampoline_kernelINS0_14default_configENS1_33run_length_encode_config_selectorIajNS0_4plusIjEEEEZZNS1_33reduce_by_key_impl_wrapped_configILNS1_25lookback_scan_determinismE0ES3_S7_PKaNS0_17constant_iteratorIjlEEPaPlSF_S6_NS0_8equal_toIaEEEE10hipError_tPvRmT2_T3_mT4_T5_T6_T7_T8_P12ihipStream_tbENKUlT_T0_E_clISt17integral_constantIbLb1EESY_IbLb0EEEEDaSU_SV_EUlSU_E_NS1_11comp_targetILNS1_3genE3ELNS1_11target_archE908ELNS1_3gpuE7ELNS1_3repE0EEENS1_30default_config_static_selectorELNS0_4arch9wavefront6targetE1EEEvT1_
	.globl	_ZN7rocprim17ROCPRIM_400000_NS6detail17trampoline_kernelINS0_14default_configENS1_33run_length_encode_config_selectorIajNS0_4plusIjEEEEZZNS1_33reduce_by_key_impl_wrapped_configILNS1_25lookback_scan_determinismE0ES3_S7_PKaNS0_17constant_iteratorIjlEEPaPlSF_S6_NS0_8equal_toIaEEEE10hipError_tPvRmT2_T3_mT4_T5_T6_T7_T8_P12ihipStream_tbENKUlT_T0_E_clISt17integral_constantIbLb1EESY_IbLb0EEEEDaSU_SV_EUlSU_E_NS1_11comp_targetILNS1_3genE3ELNS1_11target_archE908ELNS1_3gpuE7ELNS1_3repE0EEENS1_30default_config_static_selectorELNS0_4arch9wavefront6targetE1EEEvT1_
	.p2align	8
	.type	_ZN7rocprim17ROCPRIM_400000_NS6detail17trampoline_kernelINS0_14default_configENS1_33run_length_encode_config_selectorIajNS0_4plusIjEEEEZZNS1_33reduce_by_key_impl_wrapped_configILNS1_25lookback_scan_determinismE0ES3_S7_PKaNS0_17constant_iteratorIjlEEPaPlSF_S6_NS0_8equal_toIaEEEE10hipError_tPvRmT2_T3_mT4_T5_T6_T7_T8_P12ihipStream_tbENKUlT_T0_E_clISt17integral_constantIbLb1EESY_IbLb0EEEEDaSU_SV_EUlSU_E_NS1_11comp_targetILNS1_3genE3ELNS1_11target_archE908ELNS1_3gpuE7ELNS1_3repE0EEENS1_30default_config_static_selectorELNS0_4arch9wavefront6targetE1EEEvT1_,@function
_ZN7rocprim17ROCPRIM_400000_NS6detail17trampoline_kernelINS0_14default_configENS1_33run_length_encode_config_selectorIajNS0_4plusIjEEEEZZNS1_33reduce_by_key_impl_wrapped_configILNS1_25lookback_scan_determinismE0ES3_S7_PKaNS0_17constant_iteratorIjlEEPaPlSF_S6_NS0_8equal_toIaEEEE10hipError_tPvRmT2_T3_mT4_T5_T6_T7_T8_P12ihipStream_tbENKUlT_T0_E_clISt17integral_constantIbLb1EESY_IbLb0EEEEDaSU_SV_EUlSU_E_NS1_11comp_targetILNS1_3genE3ELNS1_11target_archE908ELNS1_3gpuE7ELNS1_3repE0EEENS1_30default_config_static_selectorELNS0_4arch9wavefront6targetE1EEEvT1_: ; @_ZN7rocprim17ROCPRIM_400000_NS6detail17trampoline_kernelINS0_14default_configENS1_33run_length_encode_config_selectorIajNS0_4plusIjEEEEZZNS1_33reduce_by_key_impl_wrapped_configILNS1_25lookback_scan_determinismE0ES3_S7_PKaNS0_17constant_iteratorIjlEEPaPlSF_S6_NS0_8equal_toIaEEEE10hipError_tPvRmT2_T3_mT4_T5_T6_T7_T8_P12ihipStream_tbENKUlT_T0_E_clISt17integral_constantIbLb1EESY_IbLb0EEEEDaSU_SV_EUlSU_E_NS1_11comp_targetILNS1_3genE3ELNS1_11target_archE908ELNS1_3gpuE7ELNS1_3repE0EEENS1_30default_config_static_selectorELNS0_4arch9wavefront6targetE1EEEvT1_
; %bb.0:
	.section	.rodata,"a",@progbits
	.p2align	6, 0x0
	.amdhsa_kernel _ZN7rocprim17ROCPRIM_400000_NS6detail17trampoline_kernelINS0_14default_configENS1_33run_length_encode_config_selectorIajNS0_4plusIjEEEEZZNS1_33reduce_by_key_impl_wrapped_configILNS1_25lookback_scan_determinismE0ES3_S7_PKaNS0_17constant_iteratorIjlEEPaPlSF_S6_NS0_8equal_toIaEEEE10hipError_tPvRmT2_T3_mT4_T5_T6_T7_T8_P12ihipStream_tbENKUlT_T0_E_clISt17integral_constantIbLb1EESY_IbLb0EEEEDaSU_SV_EUlSU_E_NS1_11comp_targetILNS1_3genE3ELNS1_11target_archE908ELNS1_3gpuE7ELNS1_3repE0EEENS1_30default_config_static_selectorELNS0_4arch9wavefront6targetE1EEEvT1_
		.amdhsa_group_segment_fixed_size 0
		.amdhsa_private_segment_fixed_size 0
		.amdhsa_kernarg_size 128
		.amdhsa_user_sgpr_count 6
		.amdhsa_user_sgpr_private_segment_buffer 1
		.amdhsa_user_sgpr_dispatch_ptr 0
		.amdhsa_user_sgpr_queue_ptr 0
		.amdhsa_user_sgpr_kernarg_segment_ptr 1
		.amdhsa_user_sgpr_dispatch_id 0
		.amdhsa_user_sgpr_flat_scratch_init 0
		.amdhsa_user_sgpr_kernarg_preload_length 0
		.amdhsa_user_sgpr_kernarg_preload_offset 0
		.amdhsa_user_sgpr_private_segment_size 0
		.amdhsa_uses_dynamic_stack 0
		.amdhsa_system_sgpr_private_segment_wavefront_offset 0
		.amdhsa_system_sgpr_workgroup_id_x 1
		.amdhsa_system_sgpr_workgroup_id_y 0
		.amdhsa_system_sgpr_workgroup_id_z 0
		.amdhsa_system_sgpr_workgroup_info 0
		.amdhsa_system_vgpr_workitem_id 0
		.amdhsa_next_free_vgpr 1
		.amdhsa_next_free_sgpr 0
		.amdhsa_accum_offset 4
		.amdhsa_reserve_vcc 0
		.amdhsa_reserve_flat_scratch 0
		.amdhsa_float_round_mode_32 0
		.amdhsa_float_round_mode_16_64 0
		.amdhsa_float_denorm_mode_32 3
		.amdhsa_float_denorm_mode_16_64 3
		.amdhsa_dx10_clamp 1
		.amdhsa_ieee_mode 1
		.amdhsa_fp16_overflow 0
		.amdhsa_tg_split 0
		.amdhsa_exception_fp_ieee_invalid_op 0
		.amdhsa_exception_fp_denorm_src 0
		.amdhsa_exception_fp_ieee_div_zero 0
		.amdhsa_exception_fp_ieee_overflow 0
		.amdhsa_exception_fp_ieee_underflow 0
		.amdhsa_exception_fp_ieee_inexact 0
		.amdhsa_exception_int_div_zero 0
	.end_amdhsa_kernel
	.section	.text._ZN7rocprim17ROCPRIM_400000_NS6detail17trampoline_kernelINS0_14default_configENS1_33run_length_encode_config_selectorIajNS0_4plusIjEEEEZZNS1_33reduce_by_key_impl_wrapped_configILNS1_25lookback_scan_determinismE0ES3_S7_PKaNS0_17constant_iteratorIjlEEPaPlSF_S6_NS0_8equal_toIaEEEE10hipError_tPvRmT2_T3_mT4_T5_T6_T7_T8_P12ihipStream_tbENKUlT_T0_E_clISt17integral_constantIbLb1EESY_IbLb0EEEEDaSU_SV_EUlSU_E_NS1_11comp_targetILNS1_3genE3ELNS1_11target_archE908ELNS1_3gpuE7ELNS1_3repE0EEENS1_30default_config_static_selectorELNS0_4arch9wavefront6targetE1EEEvT1_,"axG",@progbits,_ZN7rocprim17ROCPRIM_400000_NS6detail17trampoline_kernelINS0_14default_configENS1_33run_length_encode_config_selectorIajNS0_4plusIjEEEEZZNS1_33reduce_by_key_impl_wrapped_configILNS1_25lookback_scan_determinismE0ES3_S7_PKaNS0_17constant_iteratorIjlEEPaPlSF_S6_NS0_8equal_toIaEEEE10hipError_tPvRmT2_T3_mT4_T5_T6_T7_T8_P12ihipStream_tbENKUlT_T0_E_clISt17integral_constantIbLb1EESY_IbLb0EEEEDaSU_SV_EUlSU_E_NS1_11comp_targetILNS1_3genE3ELNS1_11target_archE908ELNS1_3gpuE7ELNS1_3repE0EEENS1_30default_config_static_selectorELNS0_4arch9wavefront6targetE1EEEvT1_,comdat
.Lfunc_end256:
	.size	_ZN7rocprim17ROCPRIM_400000_NS6detail17trampoline_kernelINS0_14default_configENS1_33run_length_encode_config_selectorIajNS0_4plusIjEEEEZZNS1_33reduce_by_key_impl_wrapped_configILNS1_25lookback_scan_determinismE0ES3_S7_PKaNS0_17constant_iteratorIjlEEPaPlSF_S6_NS0_8equal_toIaEEEE10hipError_tPvRmT2_T3_mT4_T5_T6_T7_T8_P12ihipStream_tbENKUlT_T0_E_clISt17integral_constantIbLb1EESY_IbLb0EEEEDaSU_SV_EUlSU_E_NS1_11comp_targetILNS1_3genE3ELNS1_11target_archE908ELNS1_3gpuE7ELNS1_3repE0EEENS1_30default_config_static_selectorELNS0_4arch9wavefront6targetE1EEEvT1_, .Lfunc_end256-_ZN7rocprim17ROCPRIM_400000_NS6detail17trampoline_kernelINS0_14default_configENS1_33run_length_encode_config_selectorIajNS0_4plusIjEEEEZZNS1_33reduce_by_key_impl_wrapped_configILNS1_25lookback_scan_determinismE0ES3_S7_PKaNS0_17constant_iteratorIjlEEPaPlSF_S6_NS0_8equal_toIaEEEE10hipError_tPvRmT2_T3_mT4_T5_T6_T7_T8_P12ihipStream_tbENKUlT_T0_E_clISt17integral_constantIbLb1EESY_IbLb0EEEEDaSU_SV_EUlSU_E_NS1_11comp_targetILNS1_3genE3ELNS1_11target_archE908ELNS1_3gpuE7ELNS1_3repE0EEENS1_30default_config_static_selectorELNS0_4arch9wavefront6targetE1EEEvT1_
                                        ; -- End function
	.section	.AMDGPU.csdata,"",@progbits
; Kernel info:
; codeLenInByte = 0
; NumSgprs: 4
; NumVgprs: 0
; NumAgprs: 0
; TotalNumVgprs: 0
; ScratchSize: 0
; MemoryBound: 0
; FloatMode: 240
; IeeeMode: 1
; LDSByteSize: 0 bytes/workgroup (compile time only)
; SGPRBlocks: 0
; VGPRBlocks: 0
; NumSGPRsForWavesPerEU: 4
; NumVGPRsForWavesPerEU: 1
; AccumOffset: 4
; Occupancy: 8
; WaveLimiterHint : 0
; COMPUTE_PGM_RSRC2:SCRATCH_EN: 0
; COMPUTE_PGM_RSRC2:USER_SGPR: 6
; COMPUTE_PGM_RSRC2:TRAP_HANDLER: 0
; COMPUTE_PGM_RSRC2:TGID_X_EN: 1
; COMPUTE_PGM_RSRC2:TGID_Y_EN: 0
; COMPUTE_PGM_RSRC2:TGID_Z_EN: 0
; COMPUTE_PGM_RSRC2:TIDIG_COMP_CNT: 0
; COMPUTE_PGM_RSRC3_GFX90A:ACCUM_OFFSET: 0
; COMPUTE_PGM_RSRC3_GFX90A:TG_SPLIT: 0
	.section	.text._ZN7rocprim17ROCPRIM_400000_NS6detail17trampoline_kernelINS0_14default_configENS1_33run_length_encode_config_selectorIajNS0_4plusIjEEEEZZNS1_33reduce_by_key_impl_wrapped_configILNS1_25lookback_scan_determinismE0ES3_S7_PKaNS0_17constant_iteratorIjlEEPaPlSF_S6_NS0_8equal_toIaEEEE10hipError_tPvRmT2_T3_mT4_T5_T6_T7_T8_P12ihipStream_tbENKUlT_T0_E_clISt17integral_constantIbLb1EESY_IbLb0EEEEDaSU_SV_EUlSU_E_NS1_11comp_targetILNS1_3genE2ELNS1_11target_archE906ELNS1_3gpuE6ELNS1_3repE0EEENS1_30default_config_static_selectorELNS0_4arch9wavefront6targetE1EEEvT1_,"axG",@progbits,_ZN7rocprim17ROCPRIM_400000_NS6detail17trampoline_kernelINS0_14default_configENS1_33run_length_encode_config_selectorIajNS0_4plusIjEEEEZZNS1_33reduce_by_key_impl_wrapped_configILNS1_25lookback_scan_determinismE0ES3_S7_PKaNS0_17constant_iteratorIjlEEPaPlSF_S6_NS0_8equal_toIaEEEE10hipError_tPvRmT2_T3_mT4_T5_T6_T7_T8_P12ihipStream_tbENKUlT_T0_E_clISt17integral_constantIbLb1EESY_IbLb0EEEEDaSU_SV_EUlSU_E_NS1_11comp_targetILNS1_3genE2ELNS1_11target_archE906ELNS1_3gpuE6ELNS1_3repE0EEENS1_30default_config_static_selectorELNS0_4arch9wavefront6targetE1EEEvT1_,comdat
	.protected	_ZN7rocprim17ROCPRIM_400000_NS6detail17trampoline_kernelINS0_14default_configENS1_33run_length_encode_config_selectorIajNS0_4plusIjEEEEZZNS1_33reduce_by_key_impl_wrapped_configILNS1_25lookback_scan_determinismE0ES3_S7_PKaNS0_17constant_iteratorIjlEEPaPlSF_S6_NS0_8equal_toIaEEEE10hipError_tPvRmT2_T3_mT4_T5_T6_T7_T8_P12ihipStream_tbENKUlT_T0_E_clISt17integral_constantIbLb1EESY_IbLb0EEEEDaSU_SV_EUlSU_E_NS1_11comp_targetILNS1_3genE2ELNS1_11target_archE906ELNS1_3gpuE6ELNS1_3repE0EEENS1_30default_config_static_selectorELNS0_4arch9wavefront6targetE1EEEvT1_ ; -- Begin function _ZN7rocprim17ROCPRIM_400000_NS6detail17trampoline_kernelINS0_14default_configENS1_33run_length_encode_config_selectorIajNS0_4plusIjEEEEZZNS1_33reduce_by_key_impl_wrapped_configILNS1_25lookback_scan_determinismE0ES3_S7_PKaNS0_17constant_iteratorIjlEEPaPlSF_S6_NS0_8equal_toIaEEEE10hipError_tPvRmT2_T3_mT4_T5_T6_T7_T8_P12ihipStream_tbENKUlT_T0_E_clISt17integral_constantIbLb1EESY_IbLb0EEEEDaSU_SV_EUlSU_E_NS1_11comp_targetILNS1_3genE2ELNS1_11target_archE906ELNS1_3gpuE6ELNS1_3repE0EEENS1_30default_config_static_selectorELNS0_4arch9wavefront6targetE1EEEvT1_
	.globl	_ZN7rocprim17ROCPRIM_400000_NS6detail17trampoline_kernelINS0_14default_configENS1_33run_length_encode_config_selectorIajNS0_4plusIjEEEEZZNS1_33reduce_by_key_impl_wrapped_configILNS1_25lookback_scan_determinismE0ES3_S7_PKaNS0_17constant_iteratorIjlEEPaPlSF_S6_NS0_8equal_toIaEEEE10hipError_tPvRmT2_T3_mT4_T5_T6_T7_T8_P12ihipStream_tbENKUlT_T0_E_clISt17integral_constantIbLb1EESY_IbLb0EEEEDaSU_SV_EUlSU_E_NS1_11comp_targetILNS1_3genE2ELNS1_11target_archE906ELNS1_3gpuE6ELNS1_3repE0EEENS1_30default_config_static_selectorELNS0_4arch9wavefront6targetE1EEEvT1_
	.p2align	8
	.type	_ZN7rocprim17ROCPRIM_400000_NS6detail17trampoline_kernelINS0_14default_configENS1_33run_length_encode_config_selectorIajNS0_4plusIjEEEEZZNS1_33reduce_by_key_impl_wrapped_configILNS1_25lookback_scan_determinismE0ES3_S7_PKaNS0_17constant_iteratorIjlEEPaPlSF_S6_NS0_8equal_toIaEEEE10hipError_tPvRmT2_T3_mT4_T5_T6_T7_T8_P12ihipStream_tbENKUlT_T0_E_clISt17integral_constantIbLb1EESY_IbLb0EEEEDaSU_SV_EUlSU_E_NS1_11comp_targetILNS1_3genE2ELNS1_11target_archE906ELNS1_3gpuE6ELNS1_3repE0EEENS1_30default_config_static_selectorELNS0_4arch9wavefront6targetE1EEEvT1_,@function
_ZN7rocprim17ROCPRIM_400000_NS6detail17trampoline_kernelINS0_14default_configENS1_33run_length_encode_config_selectorIajNS0_4plusIjEEEEZZNS1_33reduce_by_key_impl_wrapped_configILNS1_25lookback_scan_determinismE0ES3_S7_PKaNS0_17constant_iteratorIjlEEPaPlSF_S6_NS0_8equal_toIaEEEE10hipError_tPvRmT2_T3_mT4_T5_T6_T7_T8_P12ihipStream_tbENKUlT_T0_E_clISt17integral_constantIbLb1EESY_IbLb0EEEEDaSU_SV_EUlSU_E_NS1_11comp_targetILNS1_3genE2ELNS1_11target_archE906ELNS1_3gpuE6ELNS1_3repE0EEENS1_30default_config_static_selectorELNS0_4arch9wavefront6targetE1EEEvT1_: ; @_ZN7rocprim17ROCPRIM_400000_NS6detail17trampoline_kernelINS0_14default_configENS1_33run_length_encode_config_selectorIajNS0_4plusIjEEEEZZNS1_33reduce_by_key_impl_wrapped_configILNS1_25lookback_scan_determinismE0ES3_S7_PKaNS0_17constant_iteratorIjlEEPaPlSF_S6_NS0_8equal_toIaEEEE10hipError_tPvRmT2_T3_mT4_T5_T6_T7_T8_P12ihipStream_tbENKUlT_T0_E_clISt17integral_constantIbLb1EESY_IbLb0EEEEDaSU_SV_EUlSU_E_NS1_11comp_targetILNS1_3genE2ELNS1_11target_archE906ELNS1_3gpuE6ELNS1_3repE0EEENS1_30default_config_static_selectorELNS0_4arch9wavefront6targetE1EEEvT1_
; %bb.0:
	.section	.rodata,"a",@progbits
	.p2align	6, 0x0
	.amdhsa_kernel _ZN7rocprim17ROCPRIM_400000_NS6detail17trampoline_kernelINS0_14default_configENS1_33run_length_encode_config_selectorIajNS0_4plusIjEEEEZZNS1_33reduce_by_key_impl_wrapped_configILNS1_25lookback_scan_determinismE0ES3_S7_PKaNS0_17constant_iteratorIjlEEPaPlSF_S6_NS0_8equal_toIaEEEE10hipError_tPvRmT2_T3_mT4_T5_T6_T7_T8_P12ihipStream_tbENKUlT_T0_E_clISt17integral_constantIbLb1EESY_IbLb0EEEEDaSU_SV_EUlSU_E_NS1_11comp_targetILNS1_3genE2ELNS1_11target_archE906ELNS1_3gpuE6ELNS1_3repE0EEENS1_30default_config_static_selectorELNS0_4arch9wavefront6targetE1EEEvT1_
		.amdhsa_group_segment_fixed_size 0
		.amdhsa_private_segment_fixed_size 0
		.amdhsa_kernarg_size 128
		.amdhsa_user_sgpr_count 6
		.amdhsa_user_sgpr_private_segment_buffer 1
		.amdhsa_user_sgpr_dispatch_ptr 0
		.amdhsa_user_sgpr_queue_ptr 0
		.amdhsa_user_sgpr_kernarg_segment_ptr 1
		.amdhsa_user_sgpr_dispatch_id 0
		.amdhsa_user_sgpr_flat_scratch_init 0
		.amdhsa_user_sgpr_kernarg_preload_length 0
		.amdhsa_user_sgpr_kernarg_preload_offset 0
		.amdhsa_user_sgpr_private_segment_size 0
		.amdhsa_uses_dynamic_stack 0
		.amdhsa_system_sgpr_private_segment_wavefront_offset 0
		.amdhsa_system_sgpr_workgroup_id_x 1
		.amdhsa_system_sgpr_workgroup_id_y 0
		.amdhsa_system_sgpr_workgroup_id_z 0
		.amdhsa_system_sgpr_workgroup_info 0
		.amdhsa_system_vgpr_workitem_id 0
		.amdhsa_next_free_vgpr 1
		.amdhsa_next_free_sgpr 0
		.amdhsa_accum_offset 4
		.amdhsa_reserve_vcc 0
		.amdhsa_reserve_flat_scratch 0
		.amdhsa_float_round_mode_32 0
		.amdhsa_float_round_mode_16_64 0
		.amdhsa_float_denorm_mode_32 3
		.amdhsa_float_denorm_mode_16_64 3
		.amdhsa_dx10_clamp 1
		.amdhsa_ieee_mode 1
		.amdhsa_fp16_overflow 0
		.amdhsa_tg_split 0
		.amdhsa_exception_fp_ieee_invalid_op 0
		.amdhsa_exception_fp_denorm_src 0
		.amdhsa_exception_fp_ieee_div_zero 0
		.amdhsa_exception_fp_ieee_overflow 0
		.amdhsa_exception_fp_ieee_underflow 0
		.amdhsa_exception_fp_ieee_inexact 0
		.amdhsa_exception_int_div_zero 0
	.end_amdhsa_kernel
	.section	.text._ZN7rocprim17ROCPRIM_400000_NS6detail17trampoline_kernelINS0_14default_configENS1_33run_length_encode_config_selectorIajNS0_4plusIjEEEEZZNS1_33reduce_by_key_impl_wrapped_configILNS1_25lookback_scan_determinismE0ES3_S7_PKaNS0_17constant_iteratorIjlEEPaPlSF_S6_NS0_8equal_toIaEEEE10hipError_tPvRmT2_T3_mT4_T5_T6_T7_T8_P12ihipStream_tbENKUlT_T0_E_clISt17integral_constantIbLb1EESY_IbLb0EEEEDaSU_SV_EUlSU_E_NS1_11comp_targetILNS1_3genE2ELNS1_11target_archE906ELNS1_3gpuE6ELNS1_3repE0EEENS1_30default_config_static_selectorELNS0_4arch9wavefront6targetE1EEEvT1_,"axG",@progbits,_ZN7rocprim17ROCPRIM_400000_NS6detail17trampoline_kernelINS0_14default_configENS1_33run_length_encode_config_selectorIajNS0_4plusIjEEEEZZNS1_33reduce_by_key_impl_wrapped_configILNS1_25lookback_scan_determinismE0ES3_S7_PKaNS0_17constant_iteratorIjlEEPaPlSF_S6_NS0_8equal_toIaEEEE10hipError_tPvRmT2_T3_mT4_T5_T6_T7_T8_P12ihipStream_tbENKUlT_T0_E_clISt17integral_constantIbLb1EESY_IbLb0EEEEDaSU_SV_EUlSU_E_NS1_11comp_targetILNS1_3genE2ELNS1_11target_archE906ELNS1_3gpuE6ELNS1_3repE0EEENS1_30default_config_static_selectorELNS0_4arch9wavefront6targetE1EEEvT1_,comdat
.Lfunc_end257:
	.size	_ZN7rocprim17ROCPRIM_400000_NS6detail17trampoline_kernelINS0_14default_configENS1_33run_length_encode_config_selectorIajNS0_4plusIjEEEEZZNS1_33reduce_by_key_impl_wrapped_configILNS1_25lookback_scan_determinismE0ES3_S7_PKaNS0_17constant_iteratorIjlEEPaPlSF_S6_NS0_8equal_toIaEEEE10hipError_tPvRmT2_T3_mT4_T5_T6_T7_T8_P12ihipStream_tbENKUlT_T0_E_clISt17integral_constantIbLb1EESY_IbLb0EEEEDaSU_SV_EUlSU_E_NS1_11comp_targetILNS1_3genE2ELNS1_11target_archE906ELNS1_3gpuE6ELNS1_3repE0EEENS1_30default_config_static_selectorELNS0_4arch9wavefront6targetE1EEEvT1_, .Lfunc_end257-_ZN7rocprim17ROCPRIM_400000_NS6detail17trampoline_kernelINS0_14default_configENS1_33run_length_encode_config_selectorIajNS0_4plusIjEEEEZZNS1_33reduce_by_key_impl_wrapped_configILNS1_25lookback_scan_determinismE0ES3_S7_PKaNS0_17constant_iteratorIjlEEPaPlSF_S6_NS0_8equal_toIaEEEE10hipError_tPvRmT2_T3_mT4_T5_T6_T7_T8_P12ihipStream_tbENKUlT_T0_E_clISt17integral_constantIbLb1EESY_IbLb0EEEEDaSU_SV_EUlSU_E_NS1_11comp_targetILNS1_3genE2ELNS1_11target_archE906ELNS1_3gpuE6ELNS1_3repE0EEENS1_30default_config_static_selectorELNS0_4arch9wavefront6targetE1EEEvT1_
                                        ; -- End function
	.section	.AMDGPU.csdata,"",@progbits
; Kernel info:
; codeLenInByte = 0
; NumSgprs: 4
; NumVgprs: 0
; NumAgprs: 0
; TotalNumVgprs: 0
; ScratchSize: 0
; MemoryBound: 0
; FloatMode: 240
; IeeeMode: 1
; LDSByteSize: 0 bytes/workgroup (compile time only)
; SGPRBlocks: 0
; VGPRBlocks: 0
; NumSGPRsForWavesPerEU: 4
; NumVGPRsForWavesPerEU: 1
; AccumOffset: 4
; Occupancy: 8
; WaveLimiterHint : 0
; COMPUTE_PGM_RSRC2:SCRATCH_EN: 0
; COMPUTE_PGM_RSRC2:USER_SGPR: 6
; COMPUTE_PGM_RSRC2:TRAP_HANDLER: 0
; COMPUTE_PGM_RSRC2:TGID_X_EN: 1
; COMPUTE_PGM_RSRC2:TGID_Y_EN: 0
; COMPUTE_PGM_RSRC2:TGID_Z_EN: 0
; COMPUTE_PGM_RSRC2:TIDIG_COMP_CNT: 0
; COMPUTE_PGM_RSRC3_GFX90A:ACCUM_OFFSET: 0
; COMPUTE_PGM_RSRC3_GFX90A:TG_SPLIT: 0
	.section	.text._ZN7rocprim17ROCPRIM_400000_NS6detail17trampoline_kernelINS0_14default_configENS1_33run_length_encode_config_selectorIajNS0_4plusIjEEEEZZNS1_33reduce_by_key_impl_wrapped_configILNS1_25lookback_scan_determinismE0ES3_S7_PKaNS0_17constant_iteratorIjlEEPaPlSF_S6_NS0_8equal_toIaEEEE10hipError_tPvRmT2_T3_mT4_T5_T6_T7_T8_P12ihipStream_tbENKUlT_T0_E_clISt17integral_constantIbLb1EESY_IbLb0EEEEDaSU_SV_EUlSU_E_NS1_11comp_targetILNS1_3genE10ELNS1_11target_archE1201ELNS1_3gpuE5ELNS1_3repE0EEENS1_30default_config_static_selectorELNS0_4arch9wavefront6targetE1EEEvT1_,"axG",@progbits,_ZN7rocprim17ROCPRIM_400000_NS6detail17trampoline_kernelINS0_14default_configENS1_33run_length_encode_config_selectorIajNS0_4plusIjEEEEZZNS1_33reduce_by_key_impl_wrapped_configILNS1_25lookback_scan_determinismE0ES3_S7_PKaNS0_17constant_iteratorIjlEEPaPlSF_S6_NS0_8equal_toIaEEEE10hipError_tPvRmT2_T3_mT4_T5_T6_T7_T8_P12ihipStream_tbENKUlT_T0_E_clISt17integral_constantIbLb1EESY_IbLb0EEEEDaSU_SV_EUlSU_E_NS1_11comp_targetILNS1_3genE10ELNS1_11target_archE1201ELNS1_3gpuE5ELNS1_3repE0EEENS1_30default_config_static_selectorELNS0_4arch9wavefront6targetE1EEEvT1_,comdat
	.protected	_ZN7rocprim17ROCPRIM_400000_NS6detail17trampoline_kernelINS0_14default_configENS1_33run_length_encode_config_selectorIajNS0_4plusIjEEEEZZNS1_33reduce_by_key_impl_wrapped_configILNS1_25lookback_scan_determinismE0ES3_S7_PKaNS0_17constant_iteratorIjlEEPaPlSF_S6_NS0_8equal_toIaEEEE10hipError_tPvRmT2_T3_mT4_T5_T6_T7_T8_P12ihipStream_tbENKUlT_T0_E_clISt17integral_constantIbLb1EESY_IbLb0EEEEDaSU_SV_EUlSU_E_NS1_11comp_targetILNS1_3genE10ELNS1_11target_archE1201ELNS1_3gpuE5ELNS1_3repE0EEENS1_30default_config_static_selectorELNS0_4arch9wavefront6targetE1EEEvT1_ ; -- Begin function _ZN7rocprim17ROCPRIM_400000_NS6detail17trampoline_kernelINS0_14default_configENS1_33run_length_encode_config_selectorIajNS0_4plusIjEEEEZZNS1_33reduce_by_key_impl_wrapped_configILNS1_25lookback_scan_determinismE0ES3_S7_PKaNS0_17constant_iteratorIjlEEPaPlSF_S6_NS0_8equal_toIaEEEE10hipError_tPvRmT2_T3_mT4_T5_T6_T7_T8_P12ihipStream_tbENKUlT_T0_E_clISt17integral_constantIbLb1EESY_IbLb0EEEEDaSU_SV_EUlSU_E_NS1_11comp_targetILNS1_3genE10ELNS1_11target_archE1201ELNS1_3gpuE5ELNS1_3repE0EEENS1_30default_config_static_selectorELNS0_4arch9wavefront6targetE1EEEvT1_
	.globl	_ZN7rocprim17ROCPRIM_400000_NS6detail17trampoline_kernelINS0_14default_configENS1_33run_length_encode_config_selectorIajNS0_4plusIjEEEEZZNS1_33reduce_by_key_impl_wrapped_configILNS1_25lookback_scan_determinismE0ES3_S7_PKaNS0_17constant_iteratorIjlEEPaPlSF_S6_NS0_8equal_toIaEEEE10hipError_tPvRmT2_T3_mT4_T5_T6_T7_T8_P12ihipStream_tbENKUlT_T0_E_clISt17integral_constantIbLb1EESY_IbLb0EEEEDaSU_SV_EUlSU_E_NS1_11comp_targetILNS1_3genE10ELNS1_11target_archE1201ELNS1_3gpuE5ELNS1_3repE0EEENS1_30default_config_static_selectorELNS0_4arch9wavefront6targetE1EEEvT1_
	.p2align	8
	.type	_ZN7rocprim17ROCPRIM_400000_NS6detail17trampoline_kernelINS0_14default_configENS1_33run_length_encode_config_selectorIajNS0_4plusIjEEEEZZNS1_33reduce_by_key_impl_wrapped_configILNS1_25lookback_scan_determinismE0ES3_S7_PKaNS0_17constant_iteratorIjlEEPaPlSF_S6_NS0_8equal_toIaEEEE10hipError_tPvRmT2_T3_mT4_T5_T6_T7_T8_P12ihipStream_tbENKUlT_T0_E_clISt17integral_constantIbLb1EESY_IbLb0EEEEDaSU_SV_EUlSU_E_NS1_11comp_targetILNS1_3genE10ELNS1_11target_archE1201ELNS1_3gpuE5ELNS1_3repE0EEENS1_30default_config_static_selectorELNS0_4arch9wavefront6targetE1EEEvT1_,@function
_ZN7rocprim17ROCPRIM_400000_NS6detail17trampoline_kernelINS0_14default_configENS1_33run_length_encode_config_selectorIajNS0_4plusIjEEEEZZNS1_33reduce_by_key_impl_wrapped_configILNS1_25lookback_scan_determinismE0ES3_S7_PKaNS0_17constant_iteratorIjlEEPaPlSF_S6_NS0_8equal_toIaEEEE10hipError_tPvRmT2_T3_mT4_T5_T6_T7_T8_P12ihipStream_tbENKUlT_T0_E_clISt17integral_constantIbLb1EESY_IbLb0EEEEDaSU_SV_EUlSU_E_NS1_11comp_targetILNS1_3genE10ELNS1_11target_archE1201ELNS1_3gpuE5ELNS1_3repE0EEENS1_30default_config_static_selectorELNS0_4arch9wavefront6targetE1EEEvT1_: ; @_ZN7rocprim17ROCPRIM_400000_NS6detail17trampoline_kernelINS0_14default_configENS1_33run_length_encode_config_selectorIajNS0_4plusIjEEEEZZNS1_33reduce_by_key_impl_wrapped_configILNS1_25lookback_scan_determinismE0ES3_S7_PKaNS0_17constant_iteratorIjlEEPaPlSF_S6_NS0_8equal_toIaEEEE10hipError_tPvRmT2_T3_mT4_T5_T6_T7_T8_P12ihipStream_tbENKUlT_T0_E_clISt17integral_constantIbLb1EESY_IbLb0EEEEDaSU_SV_EUlSU_E_NS1_11comp_targetILNS1_3genE10ELNS1_11target_archE1201ELNS1_3gpuE5ELNS1_3repE0EEENS1_30default_config_static_selectorELNS0_4arch9wavefront6targetE1EEEvT1_
; %bb.0:
	.section	.rodata,"a",@progbits
	.p2align	6, 0x0
	.amdhsa_kernel _ZN7rocprim17ROCPRIM_400000_NS6detail17trampoline_kernelINS0_14default_configENS1_33run_length_encode_config_selectorIajNS0_4plusIjEEEEZZNS1_33reduce_by_key_impl_wrapped_configILNS1_25lookback_scan_determinismE0ES3_S7_PKaNS0_17constant_iteratorIjlEEPaPlSF_S6_NS0_8equal_toIaEEEE10hipError_tPvRmT2_T3_mT4_T5_T6_T7_T8_P12ihipStream_tbENKUlT_T0_E_clISt17integral_constantIbLb1EESY_IbLb0EEEEDaSU_SV_EUlSU_E_NS1_11comp_targetILNS1_3genE10ELNS1_11target_archE1201ELNS1_3gpuE5ELNS1_3repE0EEENS1_30default_config_static_selectorELNS0_4arch9wavefront6targetE1EEEvT1_
		.amdhsa_group_segment_fixed_size 0
		.amdhsa_private_segment_fixed_size 0
		.amdhsa_kernarg_size 128
		.amdhsa_user_sgpr_count 6
		.amdhsa_user_sgpr_private_segment_buffer 1
		.amdhsa_user_sgpr_dispatch_ptr 0
		.amdhsa_user_sgpr_queue_ptr 0
		.amdhsa_user_sgpr_kernarg_segment_ptr 1
		.amdhsa_user_sgpr_dispatch_id 0
		.amdhsa_user_sgpr_flat_scratch_init 0
		.amdhsa_user_sgpr_kernarg_preload_length 0
		.amdhsa_user_sgpr_kernarg_preload_offset 0
		.amdhsa_user_sgpr_private_segment_size 0
		.amdhsa_uses_dynamic_stack 0
		.amdhsa_system_sgpr_private_segment_wavefront_offset 0
		.amdhsa_system_sgpr_workgroup_id_x 1
		.amdhsa_system_sgpr_workgroup_id_y 0
		.amdhsa_system_sgpr_workgroup_id_z 0
		.amdhsa_system_sgpr_workgroup_info 0
		.amdhsa_system_vgpr_workitem_id 0
		.amdhsa_next_free_vgpr 1
		.amdhsa_next_free_sgpr 0
		.amdhsa_accum_offset 4
		.amdhsa_reserve_vcc 0
		.amdhsa_reserve_flat_scratch 0
		.amdhsa_float_round_mode_32 0
		.amdhsa_float_round_mode_16_64 0
		.amdhsa_float_denorm_mode_32 3
		.amdhsa_float_denorm_mode_16_64 3
		.amdhsa_dx10_clamp 1
		.amdhsa_ieee_mode 1
		.amdhsa_fp16_overflow 0
		.amdhsa_tg_split 0
		.amdhsa_exception_fp_ieee_invalid_op 0
		.amdhsa_exception_fp_denorm_src 0
		.amdhsa_exception_fp_ieee_div_zero 0
		.amdhsa_exception_fp_ieee_overflow 0
		.amdhsa_exception_fp_ieee_underflow 0
		.amdhsa_exception_fp_ieee_inexact 0
		.amdhsa_exception_int_div_zero 0
	.end_amdhsa_kernel
	.section	.text._ZN7rocprim17ROCPRIM_400000_NS6detail17trampoline_kernelINS0_14default_configENS1_33run_length_encode_config_selectorIajNS0_4plusIjEEEEZZNS1_33reduce_by_key_impl_wrapped_configILNS1_25lookback_scan_determinismE0ES3_S7_PKaNS0_17constant_iteratorIjlEEPaPlSF_S6_NS0_8equal_toIaEEEE10hipError_tPvRmT2_T3_mT4_T5_T6_T7_T8_P12ihipStream_tbENKUlT_T0_E_clISt17integral_constantIbLb1EESY_IbLb0EEEEDaSU_SV_EUlSU_E_NS1_11comp_targetILNS1_3genE10ELNS1_11target_archE1201ELNS1_3gpuE5ELNS1_3repE0EEENS1_30default_config_static_selectorELNS0_4arch9wavefront6targetE1EEEvT1_,"axG",@progbits,_ZN7rocprim17ROCPRIM_400000_NS6detail17trampoline_kernelINS0_14default_configENS1_33run_length_encode_config_selectorIajNS0_4plusIjEEEEZZNS1_33reduce_by_key_impl_wrapped_configILNS1_25lookback_scan_determinismE0ES3_S7_PKaNS0_17constant_iteratorIjlEEPaPlSF_S6_NS0_8equal_toIaEEEE10hipError_tPvRmT2_T3_mT4_T5_T6_T7_T8_P12ihipStream_tbENKUlT_T0_E_clISt17integral_constantIbLb1EESY_IbLb0EEEEDaSU_SV_EUlSU_E_NS1_11comp_targetILNS1_3genE10ELNS1_11target_archE1201ELNS1_3gpuE5ELNS1_3repE0EEENS1_30default_config_static_selectorELNS0_4arch9wavefront6targetE1EEEvT1_,comdat
.Lfunc_end258:
	.size	_ZN7rocprim17ROCPRIM_400000_NS6detail17trampoline_kernelINS0_14default_configENS1_33run_length_encode_config_selectorIajNS0_4plusIjEEEEZZNS1_33reduce_by_key_impl_wrapped_configILNS1_25lookback_scan_determinismE0ES3_S7_PKaNS0_17constant_iteratorIjlEEPaPlSF_S6_NS0_8equal_toIaEEEE10hipError_tPvRmT2_T3_mT4_T5_T6_T7_T8_P12ihipStream_tbENKUlT_T0_E_clISt17integral_constantIbLb1EESY_IbLb0EEEEDaSU_SV_EUlSU_E_NS1_11comp_targetILNS1_3genE10ELNS1_11target_archE1201ELNS1_3gpuE5ELNS1_3repE0EEENS1_30default_config_static_selectorELNS0_4arch9wavefront6targetE1EEEvT1_, .Lfunc_end258-_ZN7rocprim17ROCPRIM_400000_NS6detail17trampoline_kernelINS0_14default_configENS1_33run_length_encode_config_selectorIajNS0_4plusIjEEEEZZNS1_33reduce_by_key_impl_wrapped_configILNS1_25lookback_scan_determinismE0ES3_S7_PKaNS0_17constant_iteratorIjlEEPaPlSF_S6_NS0_8equal_toIaEEEE10hipError_tPvRmT2_T3_mT4_T5_T6_T7_T8_P12ihipStream_tbENKUlT_T0_E_clISt17integral_constantIbLb1EESY_IbLb0EEEEDaSU_SV_EUlSU_E_NS1_11comp_targetILNS1_3genE10ELNS1_11target_archE1201ELNS1_3gpuE5ELNS1_3repE0EEENS1_30default_config_static_selectorELNS0_4arch9wavefront6targetE1EEEvT1_
                                        ; -- End function
	.section	.AMDGPU.csdata,"",@progbits
; Kernel info:
; codeLenInByte = 0
; NumSgprs: 4
; NumVgprs: 0
; NumAgprs: 0
; TotalNumVgprs: 0
; ScratchSize: 0
; MemoryBound: 0
; FloatMode: 240
; IeeeMode: 1
; LDSByteSize: 0 bytes/workgroup (compile time only)
; SGPRBlocks: 0
; VGPRBlocks: 0
; NumSGPRsForWavesPerEU: 4
; NumVGPRsForWavesPerEU: 1
; AccumOffset: 4
; Occupancy: 8
; WaveLimiterHint : 0
; COMPUTE_PGM_RSRC2:SCRATCH_EN: 0
; COMPUTE_PGM_RSRC2:USER_SGPR: 6
; COMPUTE_PGM_RSRC2:TRAP_HANDLER: 0
; COMPUTE_PGM_RSRC2:TGID_X_EN: 1
; COMPUTE_PGM_RSRC2:TGID_Y_EN: 0
; COMPUTE_PGM_RSRC2:TGID_Z_EN: 0
; COMPUTE_PGM_RSRC2:TIDIG_COMP_CNT: 0
; COMPUTE_PGM_RSRC3_GFX90A:ACCUM_OFFSET: 0
; COMPUTE_PGM_RSRC3_GFX90A:TG_SPLIT: 0
	.section	.text._ZN7rocprim17ROCPRIM_400000_NS6detail17trampoline_kernelINS0_14default_configENS1_33run_length_encode_config_selectorIajNS0_4plusIjEEEEZZNS1_33reduce_by_key_impl_wrapped_configILNS1_25lookback_scan_determinismE0ES3_S7_PKaNS0_17constant_iteratorIjlEEPaPlSF_S6_NS0_8equal_toIaEEEE10hipError_tPvRmT2_T3_mT4_T5_T6_T7_T8_P12ihipStream_tbENKUlT_T0_E_clISt17integral_constantIbLb1EESY_IbLb0EEEEDaSU_SV_EUlSU_E_NS1_11comp_targetILNS1_3genE10ELNS1_11target_archE1200ELNS1_3gpuE4ELNS1_3repE0EEENS1_30default_config_static_selectorELNS0_4arch9wavefront6targetE1EEEvT1_,"axG",@progbits,_ZN7rocprim17ROCPRIM_400000_NS6detail17trampoline_kernelINS0_14default_configENS1_33run_length_encode_config_selectorIajNS0_4plusIjEEEEZZNS1_33reduce_by_key_impl_wrapped_configILNS1_25lookback_scan_determinismE0ES3_S7_PKaNS0_17constant_iteratorIjlEEPaPlSF_S6_NS0_8equal_toIaEEEE10hipError_tPvRmT2_T3_mT4_T5_T6_T7_T8_P12ihipStream_tbENKUlT_T0_E_clISt17integral_constantIbLb1EESY_IbLb0EEEEDaSU_SV_EUlSU_E_NS1_11comp_targetILNS1_3genE10ELNS1_11target_archE1200ELNS1_3gpuE4ELNS1_3repE0EEENS1_30default_config_static_selectorELNS0_4arch9wavefront6targetE1EEEvT1_,comdat
	.protected	_ZN7rocprim17ROCPRIM_400000_NS6detail17trampoline_kernelINS0_14default_configENS1_33run_length_encode_config_selectorIajNS0_4plusIjEEEEZZNS1_33reduce_by_key_impl_wrapped_configILNS1_25lookback_scan_determinismE0ES3_S7_PKaNS0_17constant_iteratorIjlEEPaPlSF_S6_NS0_8equal_toIaEEEE10hipError_tPvRmT2_T3_mT4_T5_T6_T7_T8_P12ihipStream_tbENKUlT_T0_E_clISt17integral_constantIbLb1EESY_IbLb0EEEEDaSU_SV_EUlSU_E_NS1_11comp_targetILNS1_3genE10ELNS1_11target_archE1200ELNS1_3gpuE4ELNS1_3repE0EEENS1_30default_config_static_selectorELNS0_4arch9wavefront6targetE1EEEvT1_ ; -- Begin function _ZN7rocprim17ROCPRIM_400000_NS6detail17trampoline_kernelINS0_14default_configENS1_33run_length_encode_config_selectorIajNS0_4plusIjEEEEZZNS1_33reduce_by_key_impl_wrapped_configILNS1_25lookback_scan_determinismE0ES3_S7_PKaNS0_17constant_iteratorIjlEEPaPlSF_S6_NS0_8equal_toIaEEEE10hipError_tPvRmT2_T3_mT4_T5_T6_T7_T8_P12ihipStream_tbENKUlT_T0_E_clISt17integral_constantIbLb1EESY_IbLb0EEEEDaSU_SV_EUlSU_E_NS1_11comp_targetILNS1_3genE10ELNS1_11target_archE1200ELNS1_3gpuE4ELNS1_3repE0EEENS1_30default_config_static_selectorELNS0_4arch9wavefront6targetE1EEEvT1_
	.globl	_ZN7rocprim17ROCPRIM_400000_NS6detail17trampoline_kernelINS0_14default_configENS1_33run_length_encode_config_selectorIajNS0_4plusIjEEEEZZNS1_33reduce_by_key_impl_wrapped_configILNS1_25lookback_scan_determinismE0ES3_S7_PKaNS0_17constant_iteratorIjlEEPaPlSF_S6_NS0_8equal_toIaEEEE10hipError_tPvRmT2_T3_mT4_T5_T6_T7_T8_P12ihipStream_tbENKUlT_T0_E_clISt17integral_constantIbLb1EESY_IbLb0EEEEDaSU_SV_EUlSU_E_NS1_11comp_targetILNS1_3genE10ELNS1_11target_archE1200ELNS1_3gpuE4ELNS1_3repE0EEENS1_30default_config_static_selectorELNS0_4arch9wavefront6targetE1EEEvT1_
	.p2align	8
	.type	_ZN7rocprim17ROCPRIM_400000_NS6detail17trampoline_kernelINS0_14default_configENS1_33run_length_encode_config_selectorIajNS0_4plusIjEEEEZZNS1_33reduce_by_key_impl_wrapped_configILNS1_25lookback_scan_determinismE0ES3_S7_PKaNS0_17constant_iteratorIjlEEPaPlSF_S6_NS0_8equal_toIaEEEE10hipError_tPvRmT2_T3_mT4_T5_T6_T7_T8_P12ihipStream_tbENKUlT_T0_E_clISt17integral_constantIbLb1EESY_IbLb0EEEEDaSU_SV_EUlSU_E_NS1_11comp_targetILNS1_3genE10ELNS1_11target_archE1200ELNS1_3gpuE4ELNS1_3repE0EEENS1_30default_config_static_selectorELNS0_4arch9wavefront6targetE1EEEvT1_,@function
_ZN7rocprim17ROCPRIM_400000_NS6detail17trampoline_kernelINS0_14default_configENS1_33run_length_encode_config_selectorIajNS0_4plusIjEEEEZZNS1_33reduce_by_key_impl_wrapped_configILNS1_25lookback_scan_determinismE0ES3_S7_PKaNS0_17constant_iteratorIjlEEPaPlSF_S6_NS0_8equal_toIaEEEE10hipError_tPvRmT2_T3_mT4_T5_T6_T7_T8_P12ihipStream_tbENKUlT_T0_E_clISt17integral_constantIbLb1EESY_IbLb0EEEEDaSU_SV_EUlSU_E_NS1_11comp_targetILNS1_3genE10ELNS1_11target_archE1200ELNS1_3gpuE4ELNS1_3repE0EEENS1_30default_config_static_selectorELNS0_4arch9wavefront6targetE1EEEvT1_: ; @_ZN7rocprim17ROCPRIM_400000_NS6detail17trampoline_kernelINS0_14default_configENS1_33run_length_encode_config_selectorIajNS0_4plusIjEEEEZZNS1_33reduce_by_key_impl_wrapped_configILNS1_25lookback_scan_determinismE0ES3_S7_PKaNS0_17constant_iteratorIjlEEPaPlSF_S6_NS0_8equal_toIaEEEE10hipError_tPvRmT2_T3_mT4_T5_T6_T7_T8_P12ihipStream_tbENKUlT_T0_E_clISt17integral_constantIbLb1EESY_IbLb0EEEEDaSU_SV_EUlSU_E_NS1_11comp_targetILNS1_3genE10ELNS1_11target_archE1200ELNS1_3gpuE4ELNS1_3repE0EEENS1_30default_config_static_selectorELNS0_4arch9wavefront6targetE1EEEvT1_
; %bb.0:
	.section	.rodata,"a",@progbits
	.p2align	6, 0x0
	.amdhsa_kernel _ZN7rocprim17ROCPRIM_400000_NS6detail17trampoline_kernelINS0_14default_configENS1_33run_length_encode_config_selectorIajNS0_4plusIjEEEEZZNS1_33reduce_by_key_impl_wrapped_configILNS1_25lookback_scan_determinismE0ES3_S7_PKaNS0_17constant_iteratorIjlEEPaPlSF_S6_NS0_8equal_toIaEEEE10hipError_tPvRmT2_T3_mT4_T5_T6_T7_T8_P12ihipStream_tbENKUlT_T0_E_clISt17integral_constantIbLb1EESY_IbLb0EEEEDaSU_SV_EUlSU_E_NS1_11comp_targetILNS1_3genE10ELNS1_11target_archE1200ELNS1_3gpuE4ELNS1_3repE0EEENS1_30default_config_static_selectorELNS0_4arch9wavefront6targetE1EEEvT1_
		.amdhsa_group_segment_fixed_size 0
		.amdhsa_private_segment_fixed_size 0
		.amdhsa_kernarg_size 128
		.amdhsa_user_sgpr_count 6
		.amdhsa_user_sgpr_private_segment_buffer 1
		.amdhsa_user_sgpr_dispatch_ptr 0
		.amdhsa_user_sgpr_queue_ptr 0
		.amdhsa_user_sgpr_kernarg_segment_ptr 1
		.amdhsa_user_sgpr_dispatch_id 0
		.amdhsa_user_sgpr_flat_scratch_init 0
		.amdhsa_user_sgpr_kernarg_preload_length 0
		.amdhsa_user_sgpr_kernarg_preload_offset 0
		.amdhsa_user_sgpr_private_segment_size 0
		.amdhsa_uses_dynamic_stack 0
		.amdhsa_system_sgpr_private_segment_wavefront_offset 0
		.amdhsa_system_sgpr_workgroup_id_x 1
		.amdhsa_system_sgpr_workgroup_id_y 0
		.amdhsa_system_sgpr_workgroup_id_z 0
		.amdhsa_system_sgpr_workgroup_info 0
		.amdhsa_system_vgpr_workitem_id 0
		.amdhsa_next_free_vgpr 1
		.amdhsa_next_free_sgpr 0
		.amdhsa_accum_offset 4
		.amdhsa_reserve_vcc 0
		.amdhsa_reserve_flat_scratch 0
		.amdhsa_float_round_mode_32 0
		.amdhsa_float_round_mode_16_64 0
		.amdhsa_float_denorm_mode_32 3
		.amdhsa_float_denorm_mode_16_64 3
		.amdhsa_dx10_clamp 1
		.amdhsa_ieee_mode 1
		.amdhsa_fp16_overflow 0
		.amdhsa_tg_split 0
		.amdhsa_exception_fp_ieee_invalid_op 0
		.amdhsa_exception_fp_denorm_src 0
		.amdhsa_exception_fp_ieee_div_zero 0
		.amdhsa_exception_fp_ieee_overflow 0
		.amdhsa_exception_fp_ieee_underflow 0
		.amdhsa_exception_fp_ieee_inexact 0
		.amdhsa_exception_int_div_zero 0
	.end_amdhsa_kernel
	.section	.text._ZN7rocprim17ROCPRIM_400000_NS6detail17trampoline_kernelINS0_14default_configENS1_33run_length_encode_config_selectorIajNS0_4plusIjEEEEZZNS1_33reduce_by_key_impl_wrapped_configILNS1_25lookback_scan_determinismE0ES3_S7_PKaNS0_17constant_iteratorIjlEEPaPlSF_S6_NS0_8equal_toIaEEEE10hipError_tPvRmT2_T3_mT4_T5_T6_T7_T8_P12ihipStream_tbENKUlT_T0_E_clISt17integral_constantIbLb1EESY_IbLb0EEEEDaSU_SV_EUlSU_E_NS1_11comp_targetILNS1_3genE10ELNS1_11target_archE1200ELNS1_3gpuE4ELNS1_3repE0EEENS1_30default_config_static_selectorELNS0_4arch9wavefront6targetE1EEEvT1_,"axG",@progbits,_ZN7rocprim17ROCPRIM_400000_NS6detail17trampoline_kernelINS0_14default_configENS1_33run_length_encode_config_selectorIajNS0_4plusIjEEEEZZNS1_33reduce_by_key_impl_wrapped_configILNS1_25lookback_scan_determinismE0ES3_S7_PKaNS0_17constant_iteratorIjlEEPaPlSF_S6_NS0_8equal_toIaEEEE10hipError_tPvRmT2_T3_mT4_T5_T6_T7_T8_P12ihipStream_tbENKUlT_T0_E_clISt17integral_constantIbLb1EESY_IbLb0EEEEDaSU_SV_EUlSU_E_NS1_11comp_targetILNS1_3genE10ELNS1_11target_archE1200ELNS1_3gpuE4ELNS1_3repE0EEENS1_30default_config_static_selectorELNS0_4arch9wavefront6targetE1EEEvT1_,comdat
.Lfunc_end259:
	.size	_ZN7rocprim17ROCPRIM_400000_NS6detail17trampoline_kernelINS0_14default_configENS1_33run_length_encode_config_selectorIajNS0_4plusIjEEEEZZNS1_33reduce_by_key_impl_wrapped_configILNS1_25lookback_scan_determinismE0ES3_S7_PKaNS0_17constant_iteratorIjlEEPaPlSF_S6_NS0_8equal_toIaEEEE10hipError_tPvRmT2_T3_mT4_T5_T6_T7_T8_P12ihipStream_tbENKUlT_T0_E_clISt17integral_constantIbLb1EESY_IbLb0EEEEDaSU_SV_EUlSU_E_NS1_11comp_targetILNS1_3genE10ELNS1_11target_archE1200ELNS1_3gpuE4ELNS1_3repE0EEENS1_30default_config_static_selectorELNS0_4arch9wavefront6targetE1EEEvT1_, .Lfunc_end259-_ZN7rocprim17ROCPRIM_400000_NS6detail17trampoline_kernelINS0_14default_configENS1_33run_length_encode_config_selectorIajNS0_4plusIjEEEEZZNS1_33reduce_by_key_impl_wrapped_configILNS1_25lookback_scan_determinismE0ES3_S7_PKaNS0_17constant_iteratorIjlEEPaPlSF_S6_NS0_8equal_toIaEEEE10hipError_tPvRmT2_T3_mT4_T5_T6_T7_T8_P12ihipStream_tbENKUlT_T0_E_clISt17integral_constantIbLb1EESY_IbLb0EEEEDaSU_SV_EUlSU_E_NS1_11comp_targetILNS1_3genE10ELNS1_11target_archE1200ELNS1_3gpuE4ELNS1_3repE0EEENS1_30default_config_static_selectorELNS0_4arch9wavefront6targetE1EEEvT1_
                                        ; -- End function
	.section	.AMDGPU.csdata,"",@progbits
; Kernel info:
; codeLenInByte = 0
; NumSgprs: 4
; NumVgprs: 0
; NumAgprs: 0
; TotalNumVgprs: 0
; ScratchSize: 0
; MemoryBound: 0
; FloatMode: 240
; IeeeMode: 1
; LDSByteSize: 0 bytes/workgroup (compile time only)
; SGPRBlocks: 0
; VGPRBlocks: 0
; NumSGPRsForWavesPerEU: 4
; NumVGPRsForWavesPerEU: 1
; AccumOffset: 4
; Occupancy: 8
; WaveLimiterHint : 0
; COMPUTE_PGM_RSRC2:SCRATCH_EN: 0
; COMPUTE_PGM_RSRC2:USER_SGPR: 6
; COMPUTE_PGM_RSRC2:TRAP_HANDLER: 0
; COMPUTE_PGM_RSRC2:TGID_X_EN: 1
; COMPUTE_PGM_RSRC2:TGID_Y_EN: 0
; COMPUTE_PGM_RSRC2:TGID_Z_EN: 0
; COMPUTE_PGM_RSRC2:TIDIG_COMP_CNT: 0
; COMPUTE_PGM_RSRC3_GFX90A:ACCUM_OFFSET: 0
; COMPUTE_PGM_RSRC3_GFX90A:TG_SPLIT: 0
	.section	.text._ZN7rocprim17ROCPRIM_400000_NS6detail17trampoline_kernelINS0_14default_configENS1_33run_length_encode_config_selectorIajNS0_4plusIjEEEEZZNS1_33reduce_by_key_impl_wrapped_configILNS1_25lookback_scan_determinismE0ES3_S7_PKaNS0_17constant_iteratorIjlEEPaPlSF_S6_NS0_8equal_toIaEEEE10hipError_tPvRmT2_T3_mT4_T5_T6_T7_T8_P12ihipStream_tbENKUlT_T0_E_clISt17integral_constantIbLb1EESY_IbLb0EEEEDaSU_SV_EUlSU_E_NS1_11comp_targetILNS1_3genE9ELNS1_11target_archE1100ELNS1_3gpuE3ELNS1_3repE0EEENS1_30default_config_static_selectorELNS0_4arch9wavefront6targetE1EEEvT1_,"axG",@progbits,_ZN7rocprim17ROCPRIM_400000_NS6detail17trampoline_kernelINS0_14default_configENS1_33run_length_encode_config_selectorIajNS0_4plusIjEEEEZZNS1_33reduce_by_key_impl_wrapped_configILNS1_25lookback_scan_determinismE0ES3_S7_PKaNS0_17constant_iteratorIjlEEPaPlSF_S6_NS0_8equal_toIaEEEE10hipError_tPvRmT2_T3_mT4_T5_T6_T7_T8_P12ihipStream_tbENKUlT_T0_E_clISt17integral_constantIbLb1EESY_IbLb0EEEEDaSU_SV_EUlSU_E_NS1_11comp_targetILNS1_3genE9ELNS1_11target_archE1100ELNS1_3gpuE3ELNS1_3repE0EEENS1_30default_config_static_selectorELNS0_4arch9wavefront6targetE1EEEvT1_,comdat
	.protected	_ZN7rocprim17ROCPRIM_400000_NS6detail17trampoline_kernelINS0_14default_configENS1_33run_length_encode_config_selectorIajNS0_4plusIjEEEEZZNS1_33reduce_by_key_impl_wrapped_configILNS1_25lookback_scan_determinismE0ES3_S7_PKaNS0_17constant_iteratorIjlEEPaPlSF_S6_NS0_8equal_toIaEEEE10hipError_tPvRmT2_T3_mT4_T5_T6_T7_T8_P12ihipStream_tbENKUlT_T0_E_clISt17integral_constantIbLb1EESY_IbLb0EEEEDaSU_SV_EUlSU_E_NS1_11comp_targetILNS1_3genE9ELNS1_11target_archE1100ELNS1_3gpuE3ELNS1_3repE0EEENS1_30default_config_static_selectorELNS0_4arch9wavefront6targetE1EEEvT1_ ; -- Begin function _ZN7rocprim17ROCPRIM_400000_NS6detail17trampoline_kernelINS0_14default_configENS1_33run_length_encode_config_selectorIajNS0_4plusIjEEEEZZNS1_33reduce_by_key_impl_wrapped_configILNS1_25lookback_scan_determinismE0ES3_S7_PKaNS0_17constant_iteratorIjlEEPaPlSF_S6_NS0_8equal_toIaEEEE10hipError_tPvRmT2_T3_mT4_T5_T6_T7_T8_P12ihipStream_tbENKUlT_T0_E_clISt17integral_constantIbLb1EESY_IbLb0EEEEDaSU_SV_EUlSU_E_NS1_11comp_targetILNS1_3genE9ELNS1_11target_archE1100ELNS1_3gpuE3ELNS1_3repE0EEENS1_30default_config_static_selectorELNS0_4arch9wavefront6targetE1EEEvT1_
	.globl	_ZN7rocprim17ROCPRIM_400000_NS6detail17trampoline_kernelINS0_14default_configENS1_33run_length_encode_config_selectorIajNS0_4plusIjEEEEZZNS1_33reduce_by_key_impl_wrapped_configILNS1_25lookback_scan_determinismE0ES3_S7_PKaNS0_17constant_iteratorIjlEEPaPlSF_S6_NS0_8equal_toIaEEEE10hipError_tPvRmT2_T3_mT4_T5_T6_T7_T8_P12ihipStream_tbENKUlT_T0_E_clISt17integral_constantIbLb1EESY_IbLb0EEEEDaSU_SV_EUlSU_E_NS1_11comp_targetILNS1_3genE9ELNS1_11target_archE1100ELNS1_3gpuE3ELNS1_3repE0EEENS1_30default_config_static_selectorELNS0_4arch9wavefront6targetE1EEEvT1_
	.p2align	8
	.type	_ZN7rocprim17ROCPRIM_400000_NS6detail17trampoline_kernelINS0_14default_configENS1_33run_length_encode_config_selectorIajNS0_4plusIjEEEEZZNS1_33reduce_by_key_impl_wrapped_configILNS1_25lookback_scan_determinismE0ES3_S7_PKaNS0_17constant_iteratorIjlEEPaPlSF_S6_NS0_8equal_toIaEEEE10hipError_tPvRmT2_T3_mT4_T5_T6_T7_T8_P12ihipStream_tbENKUlT_T0_E_clISt17integral_constantIbLb1EESY_IbLb0EEEEDaSU_SV_EUlSU_E_NS1_11comp_targetILNS1_3genE9ELNS1_11target_archE1100ELNS1_3gpuE3ELNS1_3repE0EEENS1_30default_config_static_selectorELNS0_4arch9wavefront6targetE1EEEvT1_,@function
_ZN7rocprim17ROCPRIM_400000_NS6detail17trampoline_kernelINS0_14default_configENS1_33run_length_encode_config_selectorIajNS0_4plusIjEEEEZZNS1_33reduce_by_key_impl_wrapped_configILNS1_25lookback_scan_determinismE0ES3_S7_PKaNS0_17constant_iteratorIjlEEPaPlSF_S6_NS0_8equal_toIaEEEE10hipError_tPvRmT2_T3_mT4_T5_T6_T7_T8_P12ihipStream_tbENKUlT_T0_E_clISt17integral_constantIbLb1EESY_IbLb0EEEEDaSU_SV_EUlSU_E_NS1_11comp_targetILNS1_3genE9ELNS1_11target_archE1100ELNS1_3gpuE3ELNS1_3repE0EEENS1_30default_config_static_selectorELNS0_4arch9wavefront6targetE1EEEvT1_: ; @_ZN7rocprim17ROCPRIM_400000_NS6detail17trampoline_kernelINS0_14default_configENS1_33run_length_encode_config_selectorIajNS0_4plusIjEEEEZZNS1_33reduce_by_key_impl_wrapped_configILNS1_25lookback_scan_determinismE0ES3_S7_PKaNS0_17constant_iteratorIjlEEPaPlSF_S6_NS0_8equal_toIaEEEE10hipError_tPvRmT2_T3_mT4_T5_T6_T7_T8_P12ihipStream_tbENKUlT_T0_E_clISt17integral_constantIbLb1EESY_IbLb0EEEEDaSU_SV_EUlSU_E_NS1_11comp_targetILNS1_3genE9ELNS1_11target_archE1100ELNS1_3gpuE3ELNS1_3repE0EEENS1_30default_config_static_selectorELNS0_4arch9wavefront6targetE1EEEvT1_
; %bb.0:
	.section	.rodata,"a",@progbits
	.p2align	6, 0x0
	.amdhsa_kernel _ZN7rocprim17ROCPRIM_400000_NS6detail17trampoline_kernelINS0_14default_configENS1_33run_length_encode_config_selectorIajNS0_4plusIjEEEEZZNS1_33reduce_by_key_impl_wrapped_configILNS1_25lookback_scan_determinismE0ES3_S7_PKaNS0_17constant_iteratorIjlEEPaPlSF_S6_NS0_8equal_toIaEEEE10hipError_tPvRmT2_T3_mT4_T5_T6_T7_T8_P12ihipStream_tbENKUlT_T0_E_clISt17integral_constantIbLb1EESY_IbLb0EEEEDaSU_SV_EUlSU_E_NS1_11comp_targetILNS1_3genE9ELNS1_11target_archE1100ELNS1_3gpuE3ELNS1_3repE0EEENS1_30default_config_static_selectorELNS0_4arch9wavefront6targetE1EEEvT1_
		.amdhsa_group_segment_fixed_size 0
		.amdhsa_private_segment_fixed_size 0
		.amdhsa_kernarg_size 128
		.amdhsa_user_sgpr_count 6
		.amdhsa_user_sgpr_private_segment_buffer 1
		.amdhsa_user_sgpr_dispatch_ptr 0
		.amdhsa_user_sgpr_queue_ptr 0
		.amdhsa_user_sgpr_kernarg_segment_ptr 1
		.amdhsa_user_sgpr_dispatch_id 0
		.amdhsa_user_sgpr_flat_scratch_init 0
		.amdhsa_user_sgpr_kernarg_preload_length 0
		.amdhsa_user_sgpr_kernarg_preload_offset 0
		.amdhsa_user_sgpr_private_segment_size 0
		.amdhsa_uses_dynamic_stack 0
		.amdhsa_system_sgpr_private_segment_wavefront_offset 0
		.amdhsa_system_sgpr_workgroup_id_x 1
		.amdhsa_system_sgpr_workgroup_id_y 0
		.amdhsa_system_sgpr_workgroup_id_z 0
		.amdhsa_system_sgpr_workgroup_info 0
		.amdhsa_system_vgpr_workitem_id 0
		.amdhsa_next_free_vgpr 1
		.amdhsa_next_free_sgpr 0
		.amdhsa_accum_offset 4
		.amdhsa_reserve_vcc 0
		.amdhsa_reserve_flat_scratch 0
		.amdhsa_float_round_mode_32 0
		.amdhsa_float_round_mode_16_64 0
		.amdhsa_float_denorm_mode_32 3
		.amdhsa_float_denorm_mode_16_64 3
		.amdhsa_dx10_clamp 1
		.amdhsa_ieee_mode 1
		.amdhsa_fp16_overflow 0
		.amdhsa_tg_split 0
		.amdhsa_exception_fp_ieee_invalid_op 0
		.amdhsa_exception_fp_denorm_src 0
		.amdhsa_exception_fp_ieee_div_zero 0
		.amdhsa_exception_fp_ieee_overflow 0
		.amdhsa_exception_fp_ieee_underflow 0
		.amdhsa_exception_fp_ieee_inexact 0
		.amdhsa_exception_int_div_zero 0
	.end_amdhsa_kernel
	.section	.text._ZN7rocprim17ROCPRIM_400000_NS6detail17trampoline_kernelINS0_14default_configENS1_33run_length_encode_config_selectorIajNS0_4plusIjEEEEZZNS1_33reduce_by_key_impl_wrapped_configILNS1_25lookback_scan_determinismE0ES3_S7_PKaNS0_17constant_iteratorIjlEEPaPlSF_S6_NS0_8equal_toIaEEEE10hipError_tPvRmT2_T3_mT4_T5_T6_T7_T8_P12ihipStream_tbENKUlT_T0_E_clISt17integral_constantIbLb1EESY_IbLb0EEEEDaSU_SV_EUlSU_E_NS1_11comp_targetILNS1_3genE9ELNS1_11target_archE1100ELNS1_3gpuE3ELNS1_3repE0EEENS1_30default_config_static_selectorELNS0_4arch9wavefront6targetE1EEEvT1_,"axG",@progbits,_ZN7rocprim17ROCPRIM_400000_NS6detail17trampoline_kernelINS0_14default_configENS1_33run_length_encode_config_selectorIajNS0_4plusIjEEEEZZNS1_33reduce_by_key_impl_wrapped_configILNS1_25lookback_scan_determinismE0ES3_S7_PKaNS0_17constant_iteratorIjlEEPaPlSF_S6_NS0_8equal_toIaEEEE10hipError_tPvRmT2_T3_mT4_T5_T6_T7_T8_P12ihipStream_tbENKUlT_T0_E_clISt17integral_constantIbLb1EESY_IbLb0EEEEDaSU_SV_EUlSU_E_NS1_11comp_targetILNS1_3genE9ELNS1_11target_archE1100ELNS1_3gpuE3ELNS1_3repE0EEENS1_30default_config_static_selectorELNS0_4arch9wavefront6targetE1EEEvT1_,comdat
.Lfunc_end260:
	.size	_ZN7rocprim17ROCPRIM_400000_NS6detail17trampoline_kernelINS0_14default_configENS1_33run_length_encode_config_selectorIajNS0_4plusIjEEEEZZNS1_33reduce_by_key_impl_wrapped_configILNS1_25lookback_scan_determinismE0ES3_S7_PKaNS0_17constant_iteratorIjlEEPaPlSF_S6_NS0_8equal_toIaEEEE10hipError_tPvRmT2_T3_mT4_T5_T6_T7_T8_P12ihipStream_tbENKUlT_T0_E_clISt17integral_constantIbLb1EESY_IbLb0EEEEDaSU_SV_EUlSU_E_NS1_11comp_targetILNS1_3genE9ELNS1_11target_archE1100ELNS1_3gpuE3ELNS1_3repE0EEENS1_30default_config_static_selectorELNS0_4arch9wavefront6targetE1EEEvT1_, .Lfunc_end260-_ZN7rocprim17ROCPRIM_400000_NS6detail17trampoline_kernelINS0_14default_configENS1_33run_length_encode_config_selectorIajNS0_4plusIjEEEEZZNS1_33reduce_by_key_impl_wrapped_configILNS1_25lookback_scan_determinismE0ES3_S7_PKaNS0_17constant_iteratorIjlEEPaPlSF_S6_NS0_8equal_toIaEEEE10hipError_tPvRmT2_T3_mT4_T5_T6_T7_T8_P12ihipStream_tbENKUlT_T0_E_clISt17integral_constantIbLb1EESY_IbLb0EEEEDaSU_SV_EUlSU_E_NS1_11comp_targetILNS1_3genE9ELNS1_11target_archE1100ELNS1_3gpuE3ELNS1_3repE0EEENS1_30default_config_static_selectorELNS0_4arch9wavefront6targetE1EEEvT1_
                                        ; -- End function
	.section	.AMDGPU.csdata,"",@progbits
; Kernel info:
; codeLenInByte = 0
; NumSgprs: 4
; NumVgprs: 0
; NumAgprs: 0
; TotalNumVgprs: 0
; ScratchSize: 0
; MemoryBound: 0
; FloatMode: 240
; IeeeMode: 1
; LDSByteSize: 0 bytes/workgroup (compile time only)
; SGPRBlocks: 0
; VGPRBlocks: 0
; NumSGPRsForWavesPerEU: 4
; NumVGPRsForWavesPerEU: 1
; AccumOffset: 4
; Occupancy: 8
; WaveLimiterHint : 0
; COMPUTE_PGM_RSRC2:SCRATCH_EN: 0
; COMPUTE_PGM_RSRC2:USER_SGPR: 6
; COMPUTE_PGM_RSRC2:TRAP_HANDLER: 0
; COMPUTE_PGM_RSRC2:TGID_X_EN: 1
; COMPUTE_PGM_RSRC2:TGID_Y_EN: 0
; COMPUTE_PGM_RSRC2:TGID_Z_EN: 0
; COMPUTE_PGM_RSRC2:TIDIG_COMP_CNT: 0
; COMPUTE_PGM_RSRC3_GFX90A:ACCUM_OFFSET: 0
; COMPUTE_PGM_RSRC3_GFX90A:TG_SPLIT: 0
	.section	.text._ZN7rocprim17ROCPRIM_400000_NS6detail17trampoline_kernelINS0_14default_configENS1_33run_length_encode_config_selectorIajNS0_4plusIjEEEEZZNS1_33reduce_by_key_impl_wrapped_configILNS1_25lookback_scan_determinismE0ES3_S7_PKaNS0_17constant_iteratorIjlEEPaPlSF_S6_NS0_8equal_toIaEEEE10hipError_tPvRmT2_T3_mT4_T5_T6_T7_T8_P12ihipStream_tbENKUlT_T0_E_clISt17integral_constantIbLb1EESY_IbLb0EEEEDaSU_SV_EUlSU_E_NS1_11comp_targetILNS1_3genE8ELNS1_11target_archE1030ELNS1_3gpuE2ELNS1_3repE0EEENS1_30default_config_static_selectorELNS0_4arch9wavefront6targetE1EEEvT1_,"axG",@progbits,_ZN7rocprim17ROCPRIM_400000_NS6detail17trampoline_kernelINS0_14default_configENS1_33run_length_encode_config_selectorIajNS0_4plusIjEEEEZZNS1_33reduce_by_key_impl_wrapped_configILNS1_25lookback_scan_determinismE0ES3_S7_PKaNS0_17constant_iteratorIjlEEPaPlSF_S6_NS0_8equal_toIaEEEE10hipError_tPvRmT2_T3_mT4_T5_T6_T7_T8_P12ihipStream_tbENKUlT_T0_E_clISt17integral_constantIbLb1EESY_IbLb0EEEEDaSU_SV_EUlSU_E_NS1_11comp_targetILNS1_3genE8ELNS1_11target_archE1030ELNS1_3gpuE2ELNS1_3repE0EEENS1_30default_config_static_selectorELNS0_4arch9wavefront6targetE1EEEvT1_,comdat
	.protected	_ZN7rocprim17ROCPRIM_400000_NS6detail17trampoline_kernelINS0_14default_configENS1_33run_length_encode_config_selectorIajNS0_4plusIjEEEEZZNS1_33reduce_by_key_impl_wrapped_configILNS1_25lookback_scan_determinismE0ES3_S7_PKaNS0_17constant_iteratorIjlEEPaPlSF_S6_NS0_8equal_toIaEEEE10hipError_tPvRmT2_T3_mT4_T5_T6_T7_T8_P12ihipStream_tbENKUlT_T0_E_clISt17integral_constantIbLb1EESY_IbLb0EEEEDaSU_SV_EUlSU_E_NS1_11comp_targetILNS1_3genE8ELNS1_11target_archE1030ELNS1_3gpuE2ELNS1_3repE0EEENS1_30default_config_static_selectorELNS0_4arch9wavefront6targetE1EEEvT1_ ; -- Begin function _ZN7rocprim17ROCPRIM_400000_NS6detail17trampoline_kernelINS0_14default_configENS1_33run_length_encode_config_selectorIajNS0_4plusIjEEEEZZNS1_33reduce_by_key_impl_wrapped_configILNS1_25lookback_scan_determinismE0ES3_S7_PKaNS0_17constant_iteratorIjlEEPaPlSF_S6_NS0_8equal_toIaEEEE10hipError_tPvRmT2_T3_mT4_T5_T6_T7_T8_P12ihipStream_tbENKUlT_T0_E_clISt17integral_constantIbLb1EESY_IbLb0EEEEDaSU_SV_EUlSU_E_NS1_11comp_targetILNS1_3genE8ELNS1_11target_archE1030ELNS1_3gpuE2ELNS1_3repE0EEENS1_30default_config_static_selectorELNS0_4arch9wavefront6targetE1EEEvT1_
	.globl	_ZN7rocprim17ROCPRIM_400000_NS6detail17trampoline_kernelINS0_14default_configENS1_33run_length_encode_config_selectorIajNS0_4plusIjEEEEZZNS1_33reduce_by_key_impl_wrapped_configILNS1_25lookback_scan_determinismE0ES3_S7_PKaNS0_17constant_iteratorIjlEEPaPlSF_S6_NS0_8equal_toIaEEEE10hipError_tPvRmT2_T3_mT4_T5_T6_T7_T8_P12ihipStream_tbENKUlT_T0_E_clISt17integral_constantIbLb1EESY_IbLb0EEEEDaSU_SV_EUlSU_E_NS1_11comp_targetILNS1_3genE8ELNS1_11target_archE1030ELNS1_3gpuE2ELNS1_3repE0EEENS1_30default_config_static_selectorELNS0_4arch9wavefront6targetE1EEEvT1_
	.p2align	8
	.type	_ZN7rocprim17ROCPRIM_400000_NS6detail17trampoline_kernelINS0_14default_configENS1_33run_length_encode_config_selectorIajNS0_4plusIjEEEEZZNS1_33reduce_by_key_impl_wrapped_configILNS1_25lookback_scan_determinismE0ES3_S7_PKaNS0_17constant_iteratorIjlEEPaPlSF_S6_NS0_8equal_toIaEEEE10hipError_tPvRmT2_T3_mT4_T5_T6_T7_T8_P12ihipStream_tbENKUlT_T0_E_clISt17integral_constantIbLb1EESY_IbLb0EEEEDaSU_SV_EUlSU_E_NS1_11comp_targetILNS1_3genE8ELNS1_11target_archE1030ELNS1_3gpuE2ELNS1_3repE0EEENS1_30default_config_static_selectorELNS0_4arch9wavefront6targetE1EEEvT1_,@function
_ZN7rocprim17ROCPRIM_400000_NS6detail17trampoline_kernelINS0_14default_configENS1_33run_length_encode_config_selectorIajNS0_4plusIjEEEEZZNS1_33reduce_by_key_impl_wrapped_configILNS1_25lookback_scan_determinismE0ES3_S7_PKaNS0_17constant_iteratorIjlEEPaPlSF_S6_NS0_8equal_toIaEEEE10hipError_tPvRmT2_T3_mT4_T5_T6_T7_T8_P12ihipStream_tbENKUlT_T0_E_clISt17integral_constantIbLb1EESY_IbLb0EEEEDaSU_SV_EUlSU_E_NS1_11comp_targetILNS1_3genE8ELNS1_11target_archE1030ELNS1_3gpuE2ELNS1_3repE0EEENS1_30default_config_static_selectorELNS0_4arch9wavefront6targetE1EEEvT1_: ; @_ZN7rocprim17ROCPRIM_400000_NS6detail17trampoline_kernelINS0_14default_configENS1_33run_length_encode_config_selectorIajNS0_4plusIjEEEEZZNS1_33reduce_by_key_impl_wrapped_configILNS1_25lookback_scan_determinismE0ES3_S7_PKaNS0_17constant_iteratorIjlEEPaPlSF_S6_NS0_8equal_toIaEEEE10hipError_tPvRmT2_T3_mT4_T5_T6_T7_T8_P12ihipStream_tbENKUlT_T0_E_clISt17integral_constantIbLb1EESY_IbLb0EEEEDaSU_SV_EUlSU_E_NS1_11comp_targetILNS1_3genE8ELNS1_11target_archE1030ELNS1_3gpuE2ELNS1_3repE0EEENS1_30default_config_static_selectorELNS0_4arch9wavefront6targetE1EEEvT1_
; %bb.0:
	.section	.rodata,"a",@progbits
	.p2align	6, 0x0
	.amdhsa_kernel _ZN7rocprim17ROCPRIM_400000_NS6detail17trampoline_kernelINS0_14default_configENS1_33run_length_encode_config_selectorIajNS0_4plusIjEEEEZZNS1_33reduce_by_key_impl_wrapped_configILNS1_25lookback_scan_determinismE0ES3_S7_PKaNS0_17constant_iteratorIjlEEPaPlSF_S6_NS0_8equal_toIaEEEE10hipError_tPvRmT2_T3_mT4_T5_T6_T7_T8_P12ihipStream_tbENKUlT_T0_E_clISt17integral_constantIbLb1EESY_IbLb0EEEEDaSU_SV_EUlSU_E_NS1_11comp_targetILNS1_3genE8ELNS1_11target_archE1030ELNS1_3gpuE2ELNS1_3repE0EEENS1_30default_config_static_selectorELNS0_4arch9wavefront6targetE1EEEvT1_
		.amdhsa_group_segment_fixed_size 0
		.amdhsa_private_segment_fixed_size 0
		.amdhsa_kernarg_size 128
		.amdhsa_user_sgpr_count 6
		.amdhsa_user_sgpr_private_segment_buffer 1
		.amdhsa_user_sgpr_dispatch_ptr 0
		.amdhsa_user_sgpr_queue_ptr 0
		.amdhsa_user_sgpr_kernarg_segment_ptr 1
		.amdhsa_user_sgpr_dispatch_id 0
		.amdhsa_user_sgpr_flat_scratch_init 0
		.amdhsa_user_sgpr_kernarg_preload_length 0
		.amdhsa_user_sgpr_kernarg_preload_offset 0
		.amdhsa_user_sgpr_private_segment_size 0
		.amdhsa_uses_dynamic_stack 0
		.amdhsa_system_sgpr_private_segment_wavefront_offset 0
		.amdhsa_system_sgpr_workgroup_id_x 1
		.amdhsa_system_sgpr_workgroup_id_y 0
		.amdhsa_system_sgpr_workgroup_id_z 0
		.amdhsa_system_sgpr_workgroup_info 0
		.amdhsa_system_vgpr_workitem_id 0
		.amdhsa_next_free_vgpr 1
		.amdhsa_next_free_sgpr 0
		.amdhsa_accum_offset 4
		.amdhsa_reserve_vcc 0
		.amdhsa_reserve_flat_scratch 0
		.amdhsa_float_round_mode_32 0
		.amdhsa_float_round_mode_16_64 0
		.amdhsa_float_denorm_mode_32 3
		.amdhsa_float_denorm_mode_16_64 3
		.amdhsa_dx10_clamp 1
		.amdhsa_ieee_mode 1
		.amdhsa_fp16_overflow 0
		.amdhsa_tg_split 0
		.amdhsa_exception_fp_ieee_invalid_op 0
		.amdhsa_exception_fp_denorm_src 0
		.amdhsa_exception_fp_ieee_div_zero 0
		.amdhsa_exception_fp_ieee_overflow 0
		.amdhsa_exception_fp_ieee_underflow 0
		.amdhsa_exception_fp_ieee_inexact 0
		.amdhsa_exception_int_div_zero 0
	.end_amdhsa_kernel
	.section	.text._ZN7rocprim17ROCPRIM_400000_NS6detail17trampoline_kernelINS0_14default_configENS1_33run_length_encode_config_selectorIajNS0_4plusIjEEEEZZNS1_33reduce_by_key_impl_wrapped_configILNS1_25lookback_scan_determinismE0ES3_S7_PKaNS0_17constant_iteratorIjlEEPaPlSF_S6_NS0_8equal_toIaEEEE10hipError_tPvRmT2_T3_mT4_T5_T6_T7_T8_P12ihipStream_tbENKUlT_T0_E_clISt17integral_constantIbLb1EESY_IbLb0EEEEDaSU_SV_EUlSU_E_NS1_11comp_targetILNS1_3genE8ELNS1_11target_archE1030ELNS1_3gpuE2ELNS1_3repE0EEENS1_30default_config_static_selectorELNS0_4arch9wavefront6targetE1EEEvT1_,"axG",@progbits,_ZN7rocprim17ROCPRIM_400000_NS6detail17trampoline_kernelINS0_14default_configENS1_33run_length_encode_config_selectorIajNS0_4plusIjEEEEZZNS1_33reduce_by_key_impl_wrapped_configILNS1_25lookback_scan_determinismE0ES3_S7_PKaNS0_17constant_iteratorIjlEEPaPlSF_S6_NS0_8equal_toIaEEEE10hipError_tPvRmT2_T3_mT4_T5_T6_T7_T8_P12ihipStream_tbENKUlT_T0_E_clISt17integral_constantIbLb1EESY_IbLb0EEEEDaSU_SV_EUlSU_E_NS1_11comp_targetILNS1_3genE8ELNS1_11target_archE1030ELNS1_3gpuE2ELNS1_3repE0EEENS1_30default_config_static_selectorELNS0_4arch9wavefront6targetE1EEEvT1_,comdat
.Lfunc_end261:
	.size	_ZN7rocprim17ROCPRIM_400000_NS6detail17trampoline_kernelINS0_14default_configENS1_33run_length_encode_config_selectorIajNS0_4plusIjEEEEZZNS1_33reduce_by_key_impl_wrapped_configILNS1_25lookback_scan_determinismE0ES3_S7_PKaNS0_17constant_iteratorIjlEEPaPlSF_S6_NS0_8equal_toIaEEEE10hipError_tPvRmT2_T3_mT4_T5_T6_T7_T8_P12ihipStream_tbENKUlT_T0_E_clISt17integral_constantIbLb1EESY_IbLb0EEEEDaSU_SV_EUlSU_E_NS1_11comp_targetILNS1_3genE8ELNS1_11target_archE1030ELNS1_3gpuE2ELNS1_3repE0EEENS1_30default_config_static_selectorELNS0_4arch9wavefront6targetE1EEEvT1_, .Lfunc_end261-_ZN7rocprim17ROCPRIM_400000_NS6detail17trampoline_kernelINS0_14default_configENS1_33run_length_encode_config_selectorIajNS0_4plusIjEEEEZZNS1_33reduce_by_key_impl_wrapped_configILNS1_25lookback_scan_determinismE0ES3_S7_PKaNS0_17constant_iteratorIjlEEPaPlSF_S6_NS0_8equal_toIaEEEE10hipError_tPvRmT2_T3_mT4_T5_T6_T7_T8_P12ihipStream_tbENKUlT_T0_E_clISt17integral_constantIbLb1EESY_IbLb0EEEEDaSU_SV_EUlSU_E_NS1_11comp_targetILNS1_3genE8ELNS1_11target_archE1030ELNS1_3gpuE2ELNS1_3repE0EEENS1_30default_config_static_selectorELNS0_4arch9wavefront6targetE1EEEvT1_
                                        ; -- End function
	.section	.AMDGPU.csdata,"",@progbits
; Kernel info:
; codeLenInByte = 0
; NumSgprs: 4
; NumVgprs: 0
; NumAgprs: 0
; TotalNumVgprs: 0
; ScratchSize: 0
; MemoryBound: 0
; FloatMode: 240
; IeeeMode: 1
; LDSByteSize: 0 bytes/workgroup (compile time only)
; SGPRBlocks: 0
; VGPRBlocks: 0
; NumSGPRsForWavesPerEU: 4
; NumVGPRsForWavesPerEU: 1
; AccumOffset: 4
; Occupancy: 8
; WaveLimiterHint : 0
; COMPUTE_PGM_RSRC2:SCRATCH_EN: 0
; COMPUTE_PGM_RSRC2:USER_SGPR: 6
; COMPUTE_PGM_RSRC2:TRAP_HANDLER: 0
; COMPUTE_PGM_RSRC2:TGID_X_EN: 1
; COMPUTE_PGM_RSRC2:TGID_Y_EN: 0
; COMPUTE_PGM_RSRC2:TGID_Z_EN: 0
; COMPUTE_PGM_RSRC2:TIDIG_COMP_CNT: 0
; COMPUTE_PGM_RSRC3_GFX90A:ACCUM_OFFSET: 0
; COMPUTE_PGM_RSRC3_GFX90A:TG_SPLIT: 0
	.section	.text._ZN7rocprim17ROCPRIM_400000_NS6detail17trampoline_kernelINS0_14default_configENS1_33run_length_encode_config_selectorIajNS0_4plusIjEEEEZZNS1_33reduce_by_key_impl_wrapped_configILNS1_25lookback_scan_determinismE0ES3_S7_PKaNS0_17constant_iteratorIjlEEPaPlSF_S6_NS0_8equal_toIaEEEE10hipError_tPvRmT2_T3_mT4_T5_T6_T7_T8_P12ihipStream_tbENKUlT_T0_E_clISt17integral_constantIbLb0EESY_IbLb1EEEEDaSU_SV_EUlSU_E_NS1_11comp_targetILNS1_3genE0ELNS1_11target_archE4294967295ELNS1_3gpuE0ELNS1_3repE0EEENS1_30default_config_static_selectorELNS0_4arch9wavefront6targetE1EEEvT1_,"axG",@progbits,_ZN7rocprim17ROCPRIM_400000_NS6detail17trampoline_kernelINS0_14default_configENS1_33run_length_encode_config_selectorIajNS0_4plusIjEEEEZZNS1_33reduce_by_key_impl_wrapped_configILNS1_25lookback_scan_determinismE0ES3_S7_PKaNS0_17constant_iteratorIjlEEPaPlSF_S6_NS0_8equal_toIaEEEE10hipError_tPvRmT2_T3_mT4_T5_T6_T7_T8_P12ihipStream_tbENKUlT_T0_E_clISt17integral_constantIbLb0EESY_IbLb1EEEEDaSU_SV_EUlSU_E_NS1_11comp_targetILNS1_3genE0ELNS1_11target_archE4294967295ELNS1_3gpuE0ELNS1_3repE0EEENS1_30default_config_static_selectorELNS0_4arch9wavefront6targetE1EEEvT1_,comdat
	.protected	_ZN7rocprim17ROCPRIM_400000_NS6detail17trampoline_kernelINS0_14default_configENS1_33run_length_encode_config_selectorIajNS0_4plusIjEEEEZZNS1_33reduce_by_key_impl_wrapped_configILNS1_25lookback_scan_determinismE0ES3_S7_PKaNS0_17constant_iteratorIjlEEPaPlSF_S6_NS0_8equal_toIaEEEE10hipError_tPvRmT2_T3_mT4_T5_T6_T7_T8_P12ihipStream_tbENKUlT_T0_E_clISt17integral_constantIbLb0EESY_IbLb1EEEEDaSU_SV_EUlSU_E_NS1_11comp_targetILNS1_3genE0ELNS1_11target_archE4294967295ELNS1_3gpuE0ELNS1_3repE0EEENS1_30default_config_static_selectorELNS0_4arch9wavefront6targetE1EEEvT1_ ; -- Begin function _ZN7rocprim17ROCPRIM_400000_NS6detail17trampoline_kernelINS0_14default_configENS1_33run_length_encode_config_selectorIajNS0_4plusIjEEEEZZNS1_33reduce_by_key_impl_wrapped_configILNS1_25lookback_scan_determinismE0ES3_S7_PKaNS0_17constant_iteratorIjlEEPaPlSF_S6_NS0_8equal_toIaEEEE10hipError_tPvRmT2_T3_mT4_T5_T6_T7_T8_P12ihipStream_tbENKUlT_T0_E_clISt17integral_constantIbLb0EESY_IbLb1EEEEDaSU_SV_EUlSU_E_NS1_11comp_targetILNS1_3genE0ELNS1_11target_archE4294967295ELNS1_3gpuE0ELNS1_3repE0EEENS1_30default_config_static_selectorELNS0_4arch9wavefront6targetE1EEEvT1_
	.globl	_ZN7rocprim17ROCPRIM_400000_NS6detail17trampoline_kernelINS0_14default_configENS1_33run_length_encode_config_selectorIajNS0_4plusIjEEEEZZNS1_33reduce_by_key_impl_wrapped_configILNS1_25lookback_scan_determinismE0ES3_S7_PKaNS0_17constant_iteratorIjlEEPaPlSF_S6_NS0_8equal_toIaEEEE10hipError_tPvRmT2_T3_mT4_T5_T6_T7_T8_P12ihipStream_tbENKUlT_T0_E_clISt17integral_constantIbLb0EESY_IbLb1EEEEDaSU_SV_EUlSU_E_NS1_11comp_targetILNS1_3genE0ELNS1_11target_archE4294967295ELNS1_3gpuE0ELNS1_3repE0EEENS1_30default_config_static_selectorELNS0_4arch9wavefront6targetE1EEEvT1_
	.p2align	8
	.type	_ZN7rocprim17ROCPRIM_400000_NS6detail17trampoline_kernelINS0_14default_configENS1_33run_length_encode_config_selectorIajNS0_4plusIjEEEEZZNS1_33reduce_by_key_impl_wrapped_configILNS1_25lookback_scan_determinismE0ES3_S7_PKaNS0_17constant_iteratorIjlEEPaPlSF_S6_NS0_8equal_toIaEEEE10hipError_tPvRmT2_T3_mT4_T5_T6_T7_T8_P12ihipStream_tbENKUlT_T0_E_clISt17integral_constantIbLb0EESY_IbLb1EEEEDaSU_SV_EUlSU_E_NS1_11comp_targetILNS1_3genE0ELNS1_11target_archE4294967295ELNS1_3gpuE0ELNS1_3repE0EEENS1_30default_config_static_selectorELNS0_4arch9wavefront6targetE1EEEvT1_,@function
_ZN7rocprim17ROCPRIM_400000_NS6detail17trampoline_kernelINS0_14default_configENS1_33run_length_encode_config_selectorIajNS0_4plusIjEEEEZZNS1_33reduce_by_key_impl_wrapped_configILNS1_25lookback_scan_determinismE0ES3_S7_PKaNS0_17constant_iteratorIjlEEPaPlSF_S6_NS0_8equal_toIaEEEE10hipError_tPvRmT2_T3_mT4_T5_T6_T7_T8_P12ihipStream_tbENKUlT_T0_E_clISt17integral_constantIbLb0EESY_IbLb1EEEEDaSU_SV_EUlSU_E_NS1_11comp_targetILNS1_3genE0ELNS1_11target_archE4294967295ELNS1_3gpuE0ELNS1_3repE0EEENS1_30default_config_static_selectorELNS0_4arch9wavefront6targetE1EEEvT1_: ; @_ZN7rocprim17ROCPRIM_400000_NS6detail17trampoline_kernelINS0_14default_configENS1_33run_length_encode_config_selectorIajNS0_4plusIjEEEEZZNS1_33reduce_by_key_impl_wrapped_configILNS1_25lookback_scan_determinismE0ES3_S7_PKaNS0_17constant_iteratorIjlEEPaPlSF_S6_NS0_8equal_toIaEEEE10hipError_tPvRmT2_T3_mT4_T5_T6_T7_T8_P12ihipStream_tbENKUlT_T0_E_clISt17integral_constantIbLb0EESY_IbLb1EEEEDaSU_SV_EUlSU_E_NS1_11comp_targetILNS1_3genE0ELNS1_11target_archE4294967295ELNS1_3gpuE0ELNS1_3repE0EEENS1_30default_config_static_selectorELNS0_4arch9wavefront6targetE1EEEvT1_
; %bb.0:
	.section	.rodata,"a",@progbits
	.p2align	6, 0x0
	.amdhsa_kernel _ZN7rocprim17ROCPRIM_400000_NS6detail17trampoline_kernelINS0_14default_configENS1_33run_length_encode_config_selectorIajNS0_4plusIjEEEEZZNS1_33reduce_by_key_impl_wrapped_configILNS1_25lookback_scan_determinismE0ES3_S7_PKaNS0_17constant_iteratorIjlEEPaPlSF_S6_NS0_8equal_toIaEEEE10hipError_tPvRmT2_T3_mT4_T5_T6_T7_T8_P12ihipStream_tbENKUlT_T0_E_clISt17integral_constantIbLb0EESY_IbLb1EEEEDaSU_SV_EUlSU_E_NS1_11comp_targetILNS1_3genE0ELNS1_11target_archE4294967295ELNS1_3gpuE0ELNS1_3repE0EEENS1_30default_config_static_selectorELNS0_4arch9wavefront6targetE1EEEvT1_
		.amdhsa_group_segment_fixed_size 0
		.amdhsa_private_segment_fixed_size 0
		.amdhsa_kernarg_size 128
		.amdhsa_user_sgpr_count 6
		.amdhsa_user_sgpr_private_segment_buffer 1
		.amdhsa_user_sgpr_dispatch_ptr 0
		.amdhsa_user_sgpr_queue_ptr 0
		.amdhsa_user_sgpr_kernarg_segment_ptr 1
		.amdhsa_user_sgpr_dispatch_id 0
		.amdhsa_user_sgpr_flat_scratch_init 0
		.amdhsa_user_sgpr_kernarg_preload_length 0
		.amdhsa_user_sgpr_kernarg_preload_offset 0
		.amdhsa_user_sgpr_private_segment_size 0
		.amdhsa_uses_dynamic_stack 0
		.amdhsa_system_sgpr_private_segment_wavefront_offset 0
		.amdhsa_system_sgpr_workgroup_id_x 1
		.amdhsa_system_sgpr_workgroup_id_y 0
		.amdhsa_system_sgpr_workgroup_id_z 0
		.amdhsa_system_sgpr_workgroup_info 0
		.amdhsa_system_vgpr_workitem_id 0
		.amdhsa_next_free_vgpr 1
		.amdhsa_next_free_sgpr 0
		.amdhsa_accum_offset 4
		.amdhsa_reserve_vcc 0
		.amdhsa_reserve_flat_scratch 0
		.amdhsa_float_round_mode_32 0
		.amdhsa_float_round_mode_16_64 0
		.amdhsa_float_denorm_mode_32 3
		.amdhsa_float_denorm_mode_16_64 3
		.amdhsa_dx10_clamp 1
		.amdhsa_ieee_mode 1
		.amdhsa_fp16_overflow 0
		.amdhsa_tg_split 0
		.amdhsa_exception_fp_ieee_invalid_op 0
		.amdhsa_exception_fp_denorm_src 0
		.amdhsa_exception_fp_ieee_div_zero 0
		.amdhsa_exception_fp_ieee_overflow 0
		.amdhsa_exception_fp_ieee_underflow 0
		.amdhsa_exception_fp_ieee_inexact 0
		.amdhsa_exception_int_div_zero 0
	.end_amdhsa_kernel
	.section	.text._ZN7rocprim17ROCPRIM_400000_NS6detail17trampoline_kernelINS0_14default_configENS1_33run_length_encode_config_selectorIajNS0_4plusIjEEEEZZNS1_33reduce_by_key_impl_wrapped_configILNS1_25lookback_scan_determinismE0ES3_S7_PKaNS0_17constant_iteratorIjlEEPaPlSF_S6_NS0_8equal_toIaEEEE10hipError_tPvRmT2_T3_mT4_T5_T6_T7_T8_P12ihipStream_tbENKUlT_T0_E_clISt17integral_constantIbLb0EESY_IbLb1EEEEDaSU_SV_EUlSU_E_NS1_11comp_targetILNS1_3genE0ELNS1_11target_archE4294967295ELNS1_3gpuE0ELNS1_3repE0EEENS1_30default_config_static_selectorELNS0_4arch9wavefront6targetE1EEEvT1_,"axG",@progbits,_ZN7rocprim17ROCPRIM_400000_NS6detail17trampoline_kernelINS0_14default_configENS1_33run_length_encode_config_selectorIajNS0_4plusIjEEEEZZNS1_33reduce_by_key_impl_wrapped_configILNS1_25lookback_scan_determinismE0ES3_S7_PKaNS0_17constant_iteratorIjlEEPaPlSF_S6_NS0_8equal_toIaEEEE10hipError_tPvRmT2_T3_mT4_T5_T6_T7_T8_P12ihipStream_tbENKUlT_T0_E_clISt17integral_constantIbLb0EESY_IbLb1EEEEDaSU_SV_EUlSU_E_NS1_11comp_targetILNS1_3genE0ELNS1_11target_archE4294967295ELNS1_3gpuE0ELNS1_3repE0EEENS1_30default_config_static_selectorELNS0_4arch9wavefront6targetE1EEEvT1_,comdat
.Lfunc_end262:
	.size	_ZN7rocprim17ROCPRIM_400000_NS6detail17trampoline_kernelINS0_14default_configENS1_33run_length_encode_config_selectorIajNS0_4plusIjEEEEZZNS1_33reduce_by_key_impl_wrapped_configILNS1_25lookback_scan_determinismE0ES3_S7_PKaNS0_17constant_iteratorIjlEEPaPlSF_S6_NS0_8equal_toIaEEEE10hipError_tPvRmT2_T3_mT4_T5_T6_T7_T8_P12ihipStream_tbENKUlT_T0_E_clISt17integral_constantIbLb0EESY_IbLb1EEEEDaSU_SV_EUlSU_E_NS1_11comp_targetILNS1_3genE0ELNS1_11target_archE4294967295ELNS1_3gpuE0ELNS1_3repE0EEENS1_30default_config_static_selectorELNS0_4arch9wavefront6targetE1EEEvT1_, .Lfunc_end262-_ZN7rocprim17ROCPRIM_400000_NS6detail17trampoline_kernelINS0_14default_configENS1_33run_length_encode_config_selectorIajNS0_4plusIjEEEEZZNS1_33reduce_by_key_impl_wrapped_configILNS1_25lookback_scan_determinismE0ES3_S7_PKaNS0_17constant_iteratorIjlEEPaPlSF_S6_NS0_8equal_toIaEEEE10hipError_tPvRmT2_T3_mT4_T5_T6_T7_T8_P12ihipStream_tbENKUlT_T0_E_clISt17integral_constantIbLb0EESY_IbLb1EEEEDaSU_SV_EUlSU_E_NS1_11comp_targetILNS1_3genE0ELNS1_11target_archE4294967295ELNS1_3gpuE0ELNS1_3repE0EEENS1_30default_config_static_selectorELNS0_4arch9wavefront6targetE1EEEvT1_
                                        ; -- End function
	.section	.AMDGPU.csdata,"",@progbits
; Kernel info:
; codeLenInByte = 0
; NumSgprs: 4
; NumVgprs: 0
; NumAgprs: 0
; TotalNumVgprs: 0
; ScratchSize: 0
; MemoryBound: 0
; FloatMode: 240
; IeeeMode: 1
; LDSByteSize: 0 bytes/workgroup (compile time only)
; SGPRBlocks: 0
; VGPRBlocks: 0
; NumSGPRsForWavesPerEU: 4
; NumVGPRsForWavesPerEU: 1
; AccumOffset: 4
; Occupancy: 8
; WaveLimiterHint : 0
; COMPUTE_PGM_RSRC2:SCRATCH_EN: 0
; COMPUTE_PGM_RSRC2:USER_SGPR: 6
; COMPUTE_PGM_RSRC2:TRAP_HANDLER: 0
; COMPUTE_PGM_RSRC2:TGID_X_EN: 1
; COMPUTE_PGM_RSRC2:TGID_Y_EN: 0
; COMPUTE_PGM_RSRC2:TGID_Z_EN: 0
; COMPUTE_PGM_RSRC2:TIDIG_COMP_CNT: 0
; COMPUTE_PGM_RSRC3_GFX90A:ACCUM_OFFSET: 0
; COMPUTE_PGM_RSRC3_GFX90A:TG_SPLIT: 0
	.section	.text._ZN7rocprim17ROCPRIM_400000_NS6detail17trampoline_kernelINS0_14default_configENS1_33run_length_encode_config_selectorIajNS0_4plusIjEEEEZZNS1_33reduce_by_key_impl_wrapped_configILNS1_25lookback_scan_determinismE0ES3_S7_PKaNS0_17constant_iteratorIjlEEPaPlSF_S6_NS0_8equal_toIaEEEE10hipError_tPvRmT2_T3_mT4_T5_T6_T7_T8_P12ihipStream_tbENKUlT_T0_E_clISt17integral_constantIbLb0EESY_IbLb1EEEEDaSU_SV_EUlSU_E_NS1_11comp_targetILNS1_3genE5ELNS1_11target_archE942ELNS1_3gpuE9ELNS1_3repE0EEENS1_30default_config_static_selectorELNS0_4arch9wavefront6targetE1EEEvT1_,"axG",@progbits,_ZN7rocprim17ROCPRIM_400000_NS6detail17trampoline_kernelINS0_14default_configENS1_33run_length_encode_config_selectorIajNS0_4plusIjEEEEZZNS1_33reduce_by_key_impl_wrapped_configILNS1_25lookback_scan_determinismE0ES3_S7_PKaNS0_17constant_iteratorIjlEEPaPlSF_S6_NS0_8equal_toIaEEEE10hipError_tPvRmT2_T3_mT4_T5_T6_T7_T8_P12ihipStream_tbENKUlT_T0_E_clISt17integral_constantIbLb0EESY_IbLb1EEEEDaSU_SV_EUlSU_E_NS1_11comp_targetILNS1_3genE5ELNS1_11target_archE942ELNS1_3gpuE9ELNS1_3repE0EEENS1_30default_config_static_selectorELNS0_4arch9wavefront6targetE1EEEvT1_,comdat
	.protected	_ZN7rocprim17ROCPRIM_400000_NS6detail17trampoline_kernelINS0_14default_configENS1_33run_length_encode_config_selectorIajNS0_4plusIjEEEEZZNS1_33reduce_by_key_impl_wrapped_configILNS1_25lookback_scan_determinismE0ES3_S7_PKaNS0_17constant_iteratorIjlEEPaPlSF_S6_NS0_8equal_toIaEEEE10hipError_tPvRmT2_T3_mT4_T5_T6_T7_T8_P12ihipStream_tbENKUlT_T0_E_clISt17integral_constantIbLb0EESY_IbLb1EEEEDaSU_SV_EUlSU_E_NS1_11comp_targetILNS1_3genE5ELNS1_11target_archE942ELNS1_3gpuE9ELNS1_3repE0EEENS1_30default_config_static_selectorELNS0_4arch9wavefront6targetE1EEEvT1_ ; -- Begin function _ZN7rocprim17ROCPRIM_400000_NS6detail17trampoline_kernelINS0_14default_configENS1_33run_length_encode_config_selectorIajNS0_4plusIjEEEEZZNS1_33reduce_by_key_impl_wrapped_configILNS1_25lookback_scan_determinismE0ES3_S7_PKaNS0_17constant_iteratorIjlEEPaPlSF_S6_NS0_8equal_toIaEEEE10hipError_tPvRmT2_T3_mT4_T5_T6_T7_T8_P12ihipStream_tbENKUlT_T0_E_clISt17integral_constantIbLb0EESY_IbLb1EEEEDaSU_SV_EUlSU_E_NS1_11comp_targetILNS1_3genE5ELNS1_11target_archE942ELNS1_3gpuE9ELNS1_3repE0EEENS1_30default_config_static_selectorELNS0_4arch9wavefront6targetE1EEEvT1_
	.globl	_ZN7rocprim17ROCPRIM_400000_NS6detail17trampoline_kernelINS0_14default_configENS1_33run_length_encode_config_selectorIajNS0_4plusIjEEEEZZNS1_33reduce_by_key_impl_wrapped_configILNS1_25lookback_scan_determinismE0ES3_S7_PKaNS0_17constant_iteratorIjlEEPaPlSF_S6_NS0_8equal_toIaEEEE10hipError_tPvRmT2_T3_mT4_T5_T6_T7_T8_P12ihipStream_tbENKUlT_T0_E_clISt17integral_constantIbLb0EESY_IbLb1EEEEDaSU_SV_EUlSU_E_NS1_11comp_targetILNS1_3genE5ELNS1_11target_archE942ELNS1_3gpuE9ELNS1_3repE0EEENS1_30default_config_static_selectorELNS0_4arch9wavefront6targetE1EEEvT1_
	.p2align	8
	.type	_ZN7rocprim17ROCPRIM_400000_NS6detail17trampoline_kernelINS0_14default_configENS1_33run_length_encode_config_selectorIajNS0_4plusIjEEEEZZNS1_33reduce_by_key_impl_wrapped_configILNS1_25lookback_scan_determinismE0ES3_S7_PKaNS0_17constant_iteratorIjlEEPaPlSF_S6_NS0_8equal_toIaEEEE10hipError_tPvRmT2_T3_mT4_T5_T6_T7_T8_P12ihipStream_tbENKUlT_T0_E_clISt17integral_constantIbLb0EESY_IbLb1EEEEDaSU_SV_EUlSU_E_NS1_11comp_targetILNS1_3genE5ELNS1_11target_archE942ELNS1_3gpuE9ELNS1_3repE0EEENS1_30default_config_static_selectorELNS0_4arch9wavefront6targetE1EEEvT1_,@function
_ZN7rocprim17ROCPRIM_400000_NS6detail17trampoline_kernelINS0_14default_configENS1_33run_length_encode_config_selectorIajNS0_4plusIjEEEEZZNS1_33reduce_by_key_impl_wrapped_configILNS1_25lookback_scan_determinismE0ES3_S7_PKaNS0_17constant_iteratorIjlEEPaPlSF_S6_NS0_8equal_toIaEEEE10hipError_tPvRmT2_T3_mT4_T5_T6_T7_T8_P12ihipStream_tbENKUlT_T0_E_clISt17integral_constantIbLb0EESY_IbLb1EEEEDaSU_SV_EUlSU_E_NS1_11comp_targetILNS1_3genE5ELNS1_11target_archE942ELNS1_3gpuE9ELNS1_3repE0EEENS1_30default_config_static_selectorELNS0_4arch9wavefront6targetE1EEEvT1_: ; @_ZN7rocprim17ROCPRIM_400000_NS6detail17trampoline_kernelINS0_14default_configENS1_33run_length_encode_config_selectorIajNS0_4plusIjEEEEZZNS1_33reduce_by_key_impl_wrapped_configILNS1_25lookback_scan_determinismE0ES3_S7_PKaNS0_17constant_iteratorIjlEEPaPlSF_S6_NS0_8equal_toIaEEEE10hipError_tPvRmT2_T3_mT4_T5_T6_T7_T8_P12ihipStream_tbENKUlT_T0_E_clISt17integral_constantIbLb0EESY_IbLb1EEEEDaSU_SV_EUlSU_E_NS1_11comp_targetILNS1_3genE5ELNS1_11target_archE942ELNS1_3gpuE9ELNS1_3repE0EEENS1_30default_config_static_selectorELNS0_4arch9wavefront6targetE1EEEvT1_
; %bb.0:
	.section	.rodata,"a",@progbits
	.p2align	6, 0x0
	.amdhsa_kernel _ZN7rocprim17ROCPRIM_400000_NS6detail17trampoline_kernelINS0_14default_configENS1_33run_length_encode_config_selectorIajNS0_4plusIjEEEEZZNS1_33reduce_by_key_impl_wrapped_configILNS1_25lookback_scan_determinismE0ES3_S7_PKaNS0_17constant_iteratorIjlEEPaPlSF_S6_NS0_8equal_toIaEEEE10hipError_tPvRmT2_T3_mT4_T5_T6_T7_T8_P12ihipStream_tbENKUlT_T0_E_clISt17integral_constantIbLb0EESY_IbLb1EEEEDaSU_SV_EUlSU_E_NS1_11comp_targetILNS1_3genE5ELNS1_11target_archE942ELNS1_3gpuE9ELNS1_3repE0EEENS1_30default_config_static_selectorELNS0_4arch9wavefront6targetE1EEEvT1_
		.amdhsa_group_segment_fixed_size 0
		.amdhsa_private_segment_fixed_size 0
		.amdhsa_kernarg_size 128
		.amdhsa_user_sgpr_count 6
		.amdhsa_user_sgpr_private_segment_buffer 1
		.amdhsa_user_sgpr_dispatch_ptr 0
		.amdhsa_user_sgpr_queue_ptr 0
		.amdhsa_user_sgpr_kernarg_segment_ptr 1
		.amdhsa_user_sgpr_dispatch_id 0
		.amdhsa_user_sgpr_flat_scratch_init 0
		.amdhsa_user_sgpr_kernarg_preload_length 0
		.amdhsa_user_sgpr_kernarg_preload_offset 0
		.amdhsa_user_sgpr_private_segment_size 0
		.amdhsa_uses_dynamic_stack 0
		.amdhsa_system_sgpr_private_segment_wavefront_offset 0
		.amdhsa_system_sgpr_workgroup_id_x 1
		.amdhsa_system_sgpr_workgroup_id_y 0
		.amdhsa_system_sgpr_workgroup_id_z 0
		.amdhsa_system_sgpr_workgroup_info 0
		.amdhsa_system_vgpr_workitem_id 0
		.amdhsa_next_free_vgpr 1
		.amdhsa_next_free_sgpr 0
		.amdhsa_accum_offset 4
		.amdhsa_reserve_vcc 0
		.amdhsa_reserve_flat_scratch 0
		.amdhsa_float_round_mode_32 0
		.amdhsa_float_round_mode_16_64 0
		.amdhsa_float_denorm_mode_32 3
		.amdhsa_float_denorm_mode_16_64 3
		.amdhsa_dx10_clamp 1
		.amdhsa_ieee_mode 1
		.amdhsa_fp16_overflow 0
		.amdhsa_tg_split 0
		.amdhsa_exception_fp_ieee_invalid_op 0
		.amdhsa_exception_fp_denorm_src 0
		.amdhsa_exception_fp_ieee_div_zero 0
		.amdhsa_exception_fp_ieee_overflow 0
		.amdhsa_exception_fp_ieee_underflow 0
		.amdhsa_exception_fp_ieee_inexact 0
		.amdhsa_exception_int_div_zero 0
	.end_amdhsa_kernel
	.section	.text._ZN7rocprim17ROCPRIM_400000_NS6detail17trampoline_kernelINS0_14default_configENS1_33run_length_encode_config_selectorIajNS0_4plusIjEEEEZZNS1_33reduce_by_key_impl_wrapped_configILNS1_25lookback_scan_determinismE0ES3_S7_PKaNS0_17constant_iteratorIjlEEPaPlSF_S6_NS0_8equal_toIaEEEE10hipError_tPvRmT2_T3_mT4_T5_T6_T7_T8_P12ihipStream_tbENKUlT_T0_E_clISt17integral_constantIbLb0EESY_IbLb1EEEEDaSU_SV_EUlSU_E_NS1_11comp_targetILNS1_3genE5ELNS1_11target_archE942ELNS1_3gpuE9ELNS1_3repE0EEENS1_30default_config_static_selectorELNS0_4arch9wavefront6targetE1EEEvT1_,"axG",@progbits,_ZN7rocprim17ROCPRIM_400000_NS6detail17trampoline_kernelINS0_14default_configENS1_33run_length_encode_config_selectorIajNS0_4plusIjEEEEZZNS1_33reduce_by_key_impl_wrapped_configILNS1_25lookback_scan_determinismE0ES3_S7_PKaNS0_17constant_iteratorIjlEEPaPlSF_S6_NS0_8equal_toIaEEEE10hipError_tPvRmT2_T3_mT4_T5_T6_T7_T8_P12ihipStream_tbENKUlT_T0_E_clISt17integral_constantIbLb0EESY_IbLb1EEEEDaSU_SV_EUlSU_E_NS1_11comp_targetILNS1_3genE5ELNS1_11target_archE942ELNS1_3gpuE9ELNS1_3repE0EEENS1_30default_config_static_selectorELNS0_4arch9wavefront6targetE1EEEvT1_,comdat
.Lfunc_end263:
	.size	_ZN7rocprim17ROCPRIM_400000_NS6detail17trampoline_kernelINS0_14default_configENS1_33run_length_encode_config_selectorIajNS0_4plusIjEEEEZZNS1_33reduce_by_key_impl_wrapped_configILNS1_25lookback_scan_determinismE0ES3_S7_PKaNS0_17constant_iteratorIjlEEPaPlSF_S6_NS0_8equal_toIaEEEE10hipError_tPvRmT2_T3_mT4_T5_T6_T7_T8_P12ihipStream_tbENKUlT_T0_E_clISt17integral_constantIbLb0EESY_IbLb1EEEEDaSU_SV_EUlSU_E_NS1_11comp_targetILNS1_3genE5ELNS1_11target_archE942ELNS1_3gpuE9ELNS1_3repE0EEENS1_30default_config_static_selectorELNS0_4arch9wavefront6targetE1EEEvT1_, .Lfunc_end263-_ZN7rocprim17ROCPRIM_400000_NS6detail17trampoline_kernelINS0_14default_configENS1_33run_length_encode_config_selectorIajNS0_4plusIjEEEEZZNS1_33reduce_by_key_impl_wrapped_configILNS1_25lookback_scan_determinismE0ES3_S7_PKaNS0_17constant_iteratorIjlEEPaPlSF_S6_NS0_8equal_toIaEEEE10hipError_tPvRmT2_T3_mT4_T5_T6_T7_T8_P12ihipStream_tbENKUlT_T0_E_clISt17integral_constantIbLb0EESY_IbLb1EEEEDaSU_SV_EUlSU_E_NS1_11comp_targetILNS1_3genE5ELNS1_11target_archE942ELNS1_3gpuE9ELNS1_3repE0EEENS1_30default_config_static_selectorELNS0_4arch9wavefront6targetE1EEEvT1_
                                        ; -- End function
	.section	.AMDGPU.csdata,"",@progbits
; Kernel info:
; codeLenInByte = 0
; NumSgprs: 4
; NumVgprs: 0
; NumAgprs: 0
; TotalNumVgprs: 0
; ScratchSize: 0
; MemoryBound: 0
; FloatMode: 240
; IeeeMode: 1
; LDSByteSize: 0 bytes/workgroup (compile time only)
; SGPRBlocks: 0
; VGPRBlocks: 0
; NumSGPRsForWavesPerEU: 4
; NumVGPRsForWavesPerEU: 1
; AccumOffset: 4
; Occupancy: 8
; WaveLimiterHint : 0
; COMPUTE_PGM_RSRC2:SCRATCH_EN: 0
; COMPUTE_PGM_RSRC2:USER_SGPR: 6
; COMPUTE_PGM_RSRC2:TRAP_HANDLER: 0
; COMPUTE_PGM_RSRC2:TGID_X_EN: 1
; COMPUTE_PGM_RSRC2:TGID_Y_EN: 0
; COMPUTE_PGM_RSRC2:TGID_Z_EN: 0
; COMPUTE_PGM_RSRC2:TIDIG_COMP_CNT: 0
; COMPUTE_PGM_RSRC3_GFX90A:ACCUM_OFFSET: 0
; COMPUTE_PGM_RSRC3_GFX90A:TG_SPLIT: 0
	.section	.text._ZN7rocprim17ROCPRIM_400000_NS6detail17trampoline_kernelINS0_14default_configENS1_33run_length_encode_config_selectorIajNS0_4plusIjEEEEZZNS1_33reduce_by_key_impl_wrapped_configILNS1_25lookback_scan_determinismE0ES3_S7_PKaNS0_17constant_iteratorIjlEEPaPlSF_S6_NS0_8equal_toIaEEEE10hipError_tPvRmT2_T3_mT4_T5_T6_T7_T8_P12ihipStream_tbENKUlT_T0_E_clISt17integral_constantIbLb0EESY_IbLb1EEEEDaSU_SV_EUlSU_E_NS1_11comp_targetILNS1_3genE4ELNS1_11target_archE910ELNS1_3gpuE8ELNS1_3repE0EEENS1_30default_config_static_selectorELNS0_4arch9wavefront6targetE1EEEvT1_,"axG",@progbits,_ZN7rocprim17ROCPRIM_400000_NS6detail17trampoline_kernelINS0_14default_configENS1_33run_length_encode_config_selectorIajNS0_4plusIjEEEEZZNS1_33reduce_by_key_impl_wrapped_configILNS1_25lookback_scan_determinismE0ES3_S7_PKaNS0_17constant_iteratorIjlEEPaPlSF_S6_NS0_8equal_toIaEEEE10hipError_tPvRmT2_T3_mT4_T5_T6_T7_T8_P12ihipStream_tbENKUlT_T0_E_clISt17integral_constantIbLb0EESY_IbLb1EEEEDaSU_SV_EUlSU_E_NS1_11comp_targetILNS1_3genE4ELNS1_11target_archE910ELNS1_3gpuE8ELNS1_3repE0EEENS1_30default_config_static_selectorELNS0_4arch9wavefront6targetE1EEEvT1_,comdat
	.protected	_ZN7rocprim17ROCPRIM_400000_NS6detail17trampoline_kernelINS0_14default_configENS1_33run_length_encode_config_selectorIajNS0_4plusIjEEEEZZNS1_33reduce_by_key_impl_wrapped_configILNS1_25lookback_scan_determinismE0ES3_S7_PKaNS0_17constant_iteratorIjlEEPaPlSF_S6_NS0_8equal_toIaEEEE10hipError_tPvRmT2_T3_mT4_T5_T6_T7_T8_P12ihipStream_tbENKUlT_T0_E_clISt17integral_constantIbLb0EESY_IbLb1EEEEDaSU_SV_EUlSU_E_NS1_11comp_targetILNS1_3genE4ELNS1_11target_archE910ELNS1_3gpuE8ELNS1_3repE0EEENS1_30default_config_static_selectorELNS0_4arch9wavefront6targetE1EEEvT1_ ; -- Begin function _ZN7rocprim17ROCPRIM_400000_NS6detail17trampoline_kernelINS0_14default_configENS1_33run_length_encode_config_selectorIajNS0_4plusIjEEEEZZNS1_33reduce_by_key_impl_wrapped_configILNS1_25lookback_scan_determinismE0ES3_S7_PKaNS0_17constant_iteratorIjlEEPaPlSF_S6_NS0_8equal_toIaEEEE10hipError_tPvRmT2_T3_mT4_T5_T6_T7_T8_P12ihipStream_tbENKUlT_T0_E_clISt17integral_constantIbLb0EESY_IbLb1EEEEDaSU_SV_EUlSU_E_NS1_11comp_targetILNS1_3genE4ELNS1_11target_archE910ELNS1_3gpuE8ELNS1_3repE0EEENS1_30default_config_static_selectorELNS0_4arch9wavefront6targetE1EEEvT1_
	.globl	_ZN7rocprim17ROCPRIM_400000_NS6detail17trampoline_kernelINS0_14default_configENS1_33run_length_encode_config_selectorIajNS0_4plusIjEEEEZZNS1_33reduce_by_key_impl_wrapped_configILNS1_25lookback_scan_determinismE0ES3_S7_PKaNS0_17constant_iteratorIjlEEPaPlSF_S6_NS0_8equal_toIaEEEE10hipError_tPvRmT2_T3_mT4_T5_T6_T7_T8_P12ihipStream_tbENKUlT_T0_E_clISt17integral_constantIbLb0EESY_IbLb1EEEEDaSU_SV_EUlSU_E_NS1_11comp_targetILNS1_3genE4ELNS1_11target_archE910ELNS1_3gpuE8ELNS1_3repE0EEENS1_30default_config_static_selectorELNS0_4arch9wavefront6targetE1EEEvT1_
	.p2align	8
	.type	_ZN7rocprim17ROCPRIM_400000_NS6detail17trampoline_kernelINS0_14default_configENS1_33run_length_encode_config_selectorIajNS0_4plusIjEEEEZZNS1_33reduce_by_key_impl_wrapped_configILNS1_25lookback_scan_determinismE0ES3_S7_PKaNS0_17constant_iteratorIjlEEPaPlSF_S6_NS0_8equal_toIaEEEE10hipError_tPvRmT2_T3_mT4_T5_T6_T7_T8_P12ihipStream_tbENKUlT_T0_E_clISt17integral_constantIbLb0EESY_IbLb1EEEEDaSU_SV_EUlSU_E_NS1_11comp_targetILNS1_3genE4ELNS1_11target_archE910ELNS1_3gpuE8ELNS1_3repE0EEENS1_30default_config_static_selectorELNS0_4arch9wavefront6targetE1EEEvT1_,@function
_ZN7rocprim17ROCPRIM_400000_NS6detail17trampoline_kernelINS0_14default_configENS1_33run_length_encode_config_selectorIajNS0_4plusIjEEEEZZNS1_33reduce_by_key_impl_wrapped_configILNS1_25lookback_scan_determinismE0ES3_S7_PKaNS0_17constant_iteratorIjlEEPaPlSF_S6_NS0_8equal_toIaEEEE10hipError_tPvRmT2_T3_mT4_T5_T6_T7_T8_P12ihipStream_tbENKUlT_T0_E_clISt17integral_constantIbLb0EESY_IbLb1EEEEDaSU_SV_EUlSU_E_NS1_11comp_targetILNS1_3genE4ELNS1_11target_archE910ELNS1_3gpuE8ELNS1_3repE0EEENS1_30default_config_static_selectorELNS0_4arch9wavefront6targetE1EEEvT1_: ; @_ZN7rocprim17ROCPRIM_400000_NS6detail17trampoline_kernelINS0_14default_configENS1_33run_length_encode_config_selectorIajNS0_4plusIjEEEEZZNS1_33reduce_by_key_impl_wrapped_configILNS1_25lookback_scan_determinismE0ES3_S7_PKaNS0_17constant_iteratorIjlEEPaPlSF_S6_NS0_8equal_toIaEEEE10hipError_tPvRmT2_T3_mT4_T5_T6_T7_T8_P12ihipStream_tbENKUlT_T0_E_clISt17integral_constantIbLb0EESY_IbLb1EEEEDaSU_SV_EUlSU_E_NS1_11comp_targetILNS1_3genE4ELNS1_11target_archE910ELNS1_3gpuE8ELNS1_3repE0EEENS1_30default_config_static_selectorELNS0_4arch9wavefront6targetE1EEEvT1_
; %bb.0:
	s_load_dword s12, s[4:5], 0x10
	s_load_dwordx4 s[44:47], s[4:5], 0x20
	s_load_dwordx2 s[52:53], s[4:5], 0x30
	s_load_dwordx2 s[34:35], s[4:5], 0x70
	s_load_dwordx4 s[48:51], s[4:5], 0x60
	s_load_dwordx8 s[36:43], s[4:5], 0x40
	v_cmp_ne_u32_e64 s[2:3], 0, v0
	v_cmp_eq_u32_e64 s[0:1], 0, v0
	s_and_saveexec_b64 s[6:7], s[0:1]
	s_cbranch_execz .LBB264_4
; %bb.1:
	s_mov_b64 s[10:11], exec
	v_mbcnt_lo_u32_b32 v1, s10, 0
	v_mbcnt_hi_u32_b32 v1, s11, v1
	v_cmp_eq_u32_e32 vcc, 0, v1
                                        ; implicit-def: $vgpr2
	s_and_saveexec_b64 s[8:9], vcc
	s_cbranch_execz .LBB264_3
; %bb.2:
	s_load_dwordx2 s[14:15], s[4:5], 0x78
	s_bcnt1_i32_b64 s10, s[10:11]
	v_mov_b32_e32 v2, 0
	v_mov_b32_e32 v3, s10
	s_waitcnt lgkmcnt(0)
	global_atomic_add v2, v2, v3, s[14:15] glc
.LBB264_3:
	s_or_b64 exec, exec, s[8:9]
	s_waitcnt vmcnt(0)
	v_readfirstlane_b32 s8, v2
	v_add_u32_e32 v1, s8, v1
	v_mov_b32_e32 v2, 0
	ds_write_b32 v2, v1
.LBB264_4:
	s_or_b64 exec, exec, s[6:7]
	s_load_dwordx4 s[4:7], s[4:5], 0x0
	v_mov_b32_e32 v1, 0
	s_waitcnt lgkmcnt(0)
	s_barrier
	ds_read_b32 v1, v1
	s_mul_i32 s8, s40, s39
	s_mul_hi_u32 s9, s40, s38
	s_add_i32 s8, s9, s8
	s_mul_i32 s9, s41, s38
	s_add_i32 s8, s8, s9
	s_add_u32 s4, s4, s6
	s_movk_i32 s6, 0xf00
	s_mul_i32 s9, s40, s38
	s_addc_u32 s5, s5, s7
	s_waitcnt lgkmcnt(0)
	v_readfirstlane_b32 s60, v1
	v_mul_lo_u32 v1, v1, s6
	v_add_co_u32_e32 v2, vcc, s4, v1
	s_add_u32 s4, s9, s60
	v_mov_b32_e32 v3, s5
	s_addc_u32 s5, s8, 0
	s_add_u32 s6, s42, -1
	s_addc_u32 s7, s43, -1
	s_cmp_eq_u64 s[4:5], s[6:7]
	v_addc_co_u32_e32 v3, vcc, 0, v3, vcc
	s_cselect_b64 s[40:41], -1, 0
	s_cmp_lg_u64 s[4:5], s[6:7]
	s_mov_b64 s[10:11], -1
	s_cselect_b64 s[8:9], -1, 0
	s_mul_i32 s33, s6, 0xfffff100
	s_and_b64 vcc, exec, s[40:41]
	v_mad_u32_u24 v4, v0, 14, v0
	s_barrier
	s_cbranch_vccnz .LBB264_6
; %bb.5:
	v_readfirstlane_b32 s6, v2
	v_readfirstlane_b32 s7, v3
	s_nop 4
	global_load_ubyte v1, v0, s[6:7]
	global_load_ubyte v5, v0, s[6:7] offset:256
	global_load_ubyte v6, v0, s[6:7] offset:512
	;; [unrolled: 1-line block ×14, first 2 shown]
	s_mov_b64 s[6:7], -1
	s_waitcnt vmcnt(14)
	ds_write_b8 v0, v1
	s_waitcnt vmcnt(13)
	ds_write_b8 v0, v5 offset:256
	s_waitcnt vmcnt(12)
	ds_write_b8 v0, v6 offset:512
	;; [unrolled: 2-line block ×14, first 2 shown]
	s_waitcnt lgkmcnt(0)
	s_barrier
	ds_read_b96 v[8:10], v4
	ds_read_u8 v55, v4 offset:12
	ds_read_u8 v11, v4 offset:13
	;; [unrolled: 1-line block ×3, first 2 shown]
	s_waitcnt lgkmcnt(3)
	v_lshrrev_b32_e32 v67, 8, v8
	v_lshrrev_b32_e32 v65, 16, v8
	;; [unrolled: 1-line block ×9, first 2 shown]
	s_add_i32 s33, s33, s48
	s_cbranch_execz .LBB264_7
	s_branch .LBB264_38
.LBB264_6:
	s_mov_b64 s[6:7], 0
                                        ; implicit-def: $vgpr8
                                        ; implicit-def: $vgpr67
                                        ; implicit-def: $vgpr65
                                        ; implicit-def: $vgpr64
                                        ; implicit-def: $vgpr61
                                        ; implicit-def: $vgpr60
                                        ; implicit-def: $vgpr59
                                        ; implicit-def: $vgpr58
                                        ; implicit-def: $vgpr57
                                        ; implicit-def: $vgpr56
                                        ; implicit-def: $vgpr55
                                        ; implicit-def: $vgpr11
                                        ; implicit-def: $vgpr1
	s_add_i32 s33, s33, s48
	s_andn2_b64 vcc, exec, s[10:11]
	s_cbranch_vccnz .LBB264_38
.LBB264_7:
	v_cmp_gt_u32_e32 vcc, s33, v0
                                        ; implicit-def: $vgpr1
	s_and_saveexec_b64 s[6:7], vcc
	s_cbranch_execz .LBB264_9
; %bb.8:
	v_readfirstlane_b32 s10, v2
	v_readfirstlane_b32 s11, v3
	s_waitcnt lgkmcnt(0)
	s_nop 3
	global_load_ubyte v1, v0, s[10:11]
.LBB264_9:
	s_or_b64 exec, exec, s[6:7]
	v_or_b32_e32 v5, 0x100, v0
	v_cmp_gt_u32_e32 vcc, s33, v5
                                        ; implicit-def: $vgpr5
	s_and_saveexec_b64 s[6:7], vcc
	s_cbranch_execz .LBB264_11
; %bb.10:
	v_readfirstlane_b32 s10, v2
	v_readfirstlane_b32 s11, v3
	s_nop 4
	global_load_ubyte v5, v0, s[10:11] offset:256
.LBB264_11:
	s_or_b64 exec, exec, s[6:7]
	v_or_b32_e32 v6, 0x200, v0
	v_cmp_gt_u32_e32 vcc, s33, v6
                                        ; implicit-def: $vgpr6
	s_and_saveexec_b64 s[6:7], vcc
	s_cbranch_execz .LBB264_13
; %bb.12:
	v_readfirstlane_b32 s10, v2
	v_readfirstlane_b32 s11, v3
	s_nop 4
	global_load_ubyte v6, v0, s[10:11] offset:512
.LBB264_13:
	s_or_b64 exec, exec, s[6:7]
	v_or_b32_e32 v7, 0x300, v0
	v_cmp_gt_u32_e32 vcc, s33, v7
                                        ; implicit-def: $vgpr7
	s_and_saveexec_b64 s[6:7], vcc
	s_cbranch_execz .LBB264_15
; %bb.14:
	v_readfirstlane_b32 s10, v2
	v_readfirstlane_b32 s11, v3
	s_nop 4
	global_load_ubyte v7, v0, s[10:11] offset:768
.LBB264_15:
	s_or_b64 exec, exec, s[6:7]
	v_or_b32_e32 v8, 0x400, v0
	v_cmp_gt_u32_e32 vcc, s33, v8
                                        ; implicit-def: $vgpr8
	s_and_saveexec_b64 s[6:7], vcc
	s_cbranch_execz .LBB264_17
; %bb.16:
	v_readfirstlane_b32 s10, v2
	v_readfirstlane_b32 s11, v3
	s_nop 4
	global_load_ubyte v8, v0, s[10:11] offset:1024
.LBB264_17:
	s_or_b64 exec, exec, s[6:7]
	v_or_b32_e32 v9, 0x500, v0
	v_cmp_gt_u32_e32 vcc, s33, v9
                                        ; implicit-def: $vgpr9
	s_and_saveexec_b64 s[6:7], vcc
	s_cbranch_execz .LBB264_19
; %bb.18:
	v_readfirstlane_b32 s10, v2
	v_readfirstlane_b32 s11, v3
	s_nop 4
	global_load_ubyte v9, v0, s[10:11] offset:1280
.LBB264_19:
	s_or_b64 exec, exec, s[6:7]
	v_or_b32_e32 v10, 0x600, v0
	v_cmp_gt_u32_e32 vcc, s33, v10
                                        ; implicit-def: $vgpr10
	s_and_saveexec_b64 s[6:7], vcc
	s_cbranch_execz .LBB264_21
; %bb.20:
	v_readfirstlane_b32 s10, v2
	v_readfirstlane_b32 s11, v3
	s_nop 4
	global_load_ubyte v10, v0, s[10:11] offset:1536
.LBB264_21:
	s_or_b64 exec, exec, s[6:7]
	s_waitcnt lgkmcnt(1)
	v_or_b32_e32 v11, 0x700, v0
	v_cmp_gt_u32_e32 vcc, s33, v11
                                        ; implicit-def: $vgpr11
	s_and_saveexec_b64 s[6:7], vcc
	s_cbranch_execz .LBB264_23
; %bb.22:
	v_readfirstlane_b32 s10, v2
	v_readfirstlane_b32 s11, v3
	s_nop 4
	global_load_ubyte v11, v0, s[10:11] offset:1792
.LBB264_23:
	s_or_b64 exec, exec, s[6:7]
	v_or_b32_e32 v12, 0x800, v0
	v_cmp_gt_u32_e32 vcc, s33, v12
                                        ; implicit-def: $vgpr12
	s_and_saveexec_b64 s[6:7], vcc
	s_cbranch_execz .LBB264_25
; %bb.24:
	v_readfirstlane_b32 s10, v2
	v_readfirstlane_b32 s11, v3
	s_nop 4
	global_load_ubyte v12, v0, s[10:11] offset:2048
.LBB264_25:
	s_or_b64 exec, exec, s[6:7]
	v_or_b32_e32 v13, 0x900, v0
	v_cmp_gt_u32_e32 vcc, s33, v13
                                        ; implicit-def: $vgpr13
	s_and_saveexec_b64 s[6:7], vcc
	s_cbranch_execz .LBB264_27
; %bb.26:
	v_readfirstlane_b32 s10, v2
	v_readfirstlane_b32 s11, v3
	s_nop 4
	global_load_ubyte v13, v0, s[10:11] offset:2304
.LBB264_27:
	s_or_b64 exec, exec, s[6:7]
	v_or_b32_e32 v14, 0xa00, v0
	v_cmp_gt_u32_e32 vcc, s33, v14
                                        ; implicit-def: $vgpr14
	s_and_saveexec_b64 s[6:7], vcc
	s_cbranch_execz .LBB264_29
; %bb.28:
	v_readfirstlane_b32 s10, v2
	v_readfirstlane_b32 s11, v3
	s_nop 4
	global_load_ubyte v14, v0, s[10:11] offset:2560
.LBB264_29:
	s_or_b64 exec, exec, s[6:7]
	v_or_b32_e32 v15, 0xb00, v0
	v_cmp_gt_u32_e32 vcc, s33, v15
                                        ; implicit-def: $vgpr15
	s_and_saveexec_b64 s[6:7], vcc
	s_cbranch_execz .LBB264_31
; %bb.30:
	v_readfirstlane_b32 s10, v2
	v_readfirstlane_b32 s11, v3
	s_nop 4
	global_load_ubyte v15, v0, s[10:11] offset:2816
.LBB264_31:
	s_or_b64 exec, exec, s[6:7]
	v_or_b32_e32 v16, 0xc00, v0
	v_cmp_gt_u32_e32 vcc, s33, v16
                                        ; implicit-def: $vgpr16
	s_and_saveexec_b64 s[6:7], vcc
	s_cbranch_execz .LBB264_33
; %bb.32:
	v_readfirstlane_b32 s10, v2
	v_readfirstlane_b32 s11, v3
	s_nop 4
	global_load_ubyte v16, v0, s[10:11] offset:3072
.LBB264_33:
	s_or_b64 exec, exec, s[6:7]
	v_or_b32_e32 v17, 0xd00, v0
	v_cmp_gt_u32_e32 vcc, s33, v17
                                        ; implicit-def: $vgpr17
	s_and_saveexec_b64 s[6:7], vcc
	s_cbranch_execz .LBB264_35
; %bb.34:
	v_readfirstlane_b32 s10, v2
	v_readfirstlane_b32 s11, v3
	s_nop 4
	global_load_ubyte v17, v0, s[10:11] offset:3328
.LBB264_35:
	s_or_b64 exec, exec, s[6:7]
	v_or_b32_e32 v18, 0xe00, v0
	v_cmp_gt_u32_e32 vcc, s33, v18
                                        ; implicit-def: $vgpr18
	s_and_saveexec_b64 s[6:7], vcc
	s_cbranch_execz .LBB264_37
; %bb.36:
	v_readfirstlane_b32 s10, v2
	v_readfirstlane_b32 s11, v3
	s_nop 4
	global_load_ubyte v18, v0, s[10:11] offset:3584
.LBB264_37:
	s_or_b64 exec, exec, s[6:7]
	s_waitcnt vmcnt(0) lgkmcnt(0)
	ds_write_b8 v0, v1
	ds_write_b8 v0, v5 offset:256
	ds_write_b8 v0, v6 offset:512
	;; [unrolled: 1-line block ×14, first 2 shown]
	s_waitcnt lgkmcnt(0)
	s_barrier
	ds_read_b96 v[8:10], v4
	ds_read_u8 v55, v4 offset:12
	ds_read_u8 v11, v4 offset:13
	;; [unrolled: 1-line block ×3, first 2 shown]
	v_mad_u32_u24 v4, v0, 15, 14
	s_waitcnt lgkmcnt(3)
	v_lshrrev_b32_e32 v67, 8, v8
	v_lshrrev_b32_e32 v65, 16, v8
	;; [unrolled: 1-line block ×9, first 2 shown]
	v_cmp_gt_u32_e64 s[6:7], s33, v4
.LBB264_38:
	v_mov_b32_e32 v52, s12
                                        ; implicit-def: $vgpr53
	s_and_saveexec_b64 s[10:11], s[6:7]
; %bb.39:
	v_mov_b32_e32 v53, s12
; %bb.40:
	s_or_b64 exec, exec, s[10:11]
	s_cmp_eq_u64 s[4:5], 0
	s_cselect_b64 s[42:43], -1, 0
	s_cmp_lg_u64 s[4:5], 0
	s_mov_b64 s[6:7], 0
	s_cselect_b64 s[10:11], -1, 0
	s_and_b64 vcc, exec, s[8:9]
	s_waitcnt lgkmcnt(0)
	s_barrier
	s_cbranch_vccz .LBB264_46
; %bb.41:
	s_and_b64 vcc, exec, s[10:11]
	s_cbranch_vccz .LBB264_47
; %bb.42:
	global_load_ubyte v4, v[2:3], off offset:-1
	v_cmp_ne_u16_sdwa s[6:7], v11, v1 src0_sel:BYTE_0 src1_sel:BYTE_0
	v_cmp_ne_u16_sdwa s[8:9], v55, v11 src0_sel:BYTE_0 src1_sel:BYTE_0
	;; [unrolled: 1-line block ×14, first 2 shown]
	ds_write_b8 v0, v1
	s_waitcnt lgkmcnt(0)
	s_barrier
	s_and_saveexec_b64 s[58:59], s[2:3]
	s_cbranch_execz .LBB264_44
; %bb.43:
	s_waitcnt vmcnt(0)
	v_add_u32_e32 v4, -1, v0
	ds_read_u8 v4, v4
.LBB264_44:
	s_or_b64 exec, exec, s[58:59]
	s_waitcnt vmcnt(0) lgkmcnt(0)
	v_and_b32_e32 v4, 0xff, v4
	v_cndmask_b32_e64 v62, 0, 1, s[6:7]
	v_cndmask_b32_e64 v63, 0, 1, s[8:9]
	;; [unrolled: 1-line block ×14, first 2 shown]
	v_cmp_ne_u16_sdwa s[8:9], v4, v8 src0_sel:DWORD src1_sel:BYTE_0
	s_mov_b64 s[6:7], -1
.LBB264_45:
                                        ; implicit-def: $sgpr14
	s_branch .LBB264_59
.LBB264_46:
                                        ; implicit-def: $sgpr8_sgpr9
                                        ; implicit-def: $vgpr62
                                        ; implicit-def: $vgpr63
                                        ; implicit-def: $vgpr66
                                        ; implicit-def: $vgpr68
                                        ; implicit-def: $vgpr69
                                        ; implicit-def: $vgpr70
                                        ; implicit-def: $vgpr71
                                        ; implicit-def: $vgpr72
                                        ; implicit-def: $vgpr21
                                        ; implicit-def: $vgpr73
                                        ; implicit-def: $vgpr74
                                        ; implicit-def: $vgpr75
                                        ; implicit-def: $vgpr76
                                        ; implicit-def: $vgpr77
                                        ; implicit-def: $sgpr14
	s_cbranch_execnz .LBB264_51
	s_branch .LBB264_59
.LBB264_47:
                                        ; implicit-def: $sgpr8_sgpr9
                                        ; implicit-def: $vgpr62
                                        ; implicit-def: $vgpr63
                                        ; implicit-def: $vgpr66
                                        ; implicit-def: $vgpr68
                                        ; implicit-def: $vgpr69
                                        ; implicit-def: $vgpr70
                                        ; implicit-def: $vgpr71
                                        ; implicit-def: $vgpr72
                                        ; implicit-def: $vgpr21
                                        ; implicit-def: $vgpr73
                                        ; implicit-def: $vgpr74
                                        ; implicit-def: $vgpr75
                                        ; implicit-def: $vgpr76
                                        ; implicit-def: $vgpr77
	s_cbranch_execz .LBB264_45
; %bb.48:
	v_cmp_ne_u16_sdwa s[8:9], v11, v1 src0_sel:BYTE_0 src1_sel:BYTE_0
	v_cndmask_b32_e64 v62, 0, 1, s[8:9]
	v_cmp_ne_u16_sdwa s[8:9], v55, v11 src0_sel:BYTE_0 src1_sel:BYTE_0
	v_cndmask_b32_e64 v63, 0, 1, s[8:9]
	;; [unrolled: 2-line block ×14, first 2 shown]
	ds_write_b8 v0, v1
	s_waitcnt lgkmcnt(0)
	s_barrier
	s_waitcnt lgkmcnt(0)
                                        ; implicit-def: $sgpr8_sgpr9
	s_and_saveexec_b64 s[12:13], s[2:3]
	s_xor_b64 s[12:13], exec, s[12:13]
	s_cbranch_execz .LBB264_50
; %bb.49:
	v_add_u32_e32 v4, -1, v0
	ds_read_u8 v4, v4
	s_or_b64 s[6:7], s[6:7], exec
	s_waitcnt lgkmcnt(0)
	v_cmp_ne_u16_sdwa s[8:9], v4, v8 src0_sel:DWORD src1_sel:BYTE_0
	s_and_b64 s[8:9], s[8:9], exec
.LBB264_50:
	s_or_b64 exec, exec, s[12:13]
	s_mov_b32 s14, 1
	s_branch .LBB264_59
.LBB264_51:
	s_mul_hi_u32 s8, s4, 0xfffff100
	s_mulk_i32 s5, 0xf100
	s_sub_i32 s8, s8, s4
	s_add_i32 s8, s8, s5
	s_mulk_i32 s4, 0xf100
	s_add_u32 s4, s4, s48
	s_addc_u32 s5, s8, s49
	s_and_b64 vcc, exec, s[10:11]
	v_mad_u32_u24 v4, v0, 15, 14
	v_cmp_ne_u16_sdwa s[54:55], v11, v1 src0_sel:BYTE_0 src1_sel:BYTE_0
	v_mad_u32_u24 v34, v0, 15, 13
	v_cmp_ne_u16_sdwa s[8:9], v55, v11 src0_sel:BYTE_0 src1_sel:BYTE_0
	;; [unrolled: 2-line block ×14, first 2 shown]
	s_cbranch_vccz .LBB264_56
; %bb.52:
	global_load_ubyte v36, v[2:3], off offset:-1
	v_mov_b32_e32 v5, 0
	v_cmp_gt_u64_e32 vcc, s[4:5], v[4:5]
	v_mov_b32_e32 v35, v5
	s_and_b64 s[6:7], vcc, s[54:55]
	v_cmp_gt_u64_e32 vcc, s[4:5], v[34:35]
	v_mov_b32_e32 v33, v5
	s_and_b64 s[8:9], vcc, s[8:9]
	;; [unrolled: 3-line block ×13, first 2 shown]
	v_cmp_gt_u64_e32 vcc, s[4:5], v[6:7]
	v_mul_u32_u24_e32 v2, 15, v0
	s_and_b64 s[12:13], vcc, s[12:13]
	ds_write_b8 v0, v1
	s_waitcnt lgkmcnt(0)
	s_barrier
	s_and_saveexec_b64 s[54:55], s[2:3]
	s_cbranch_execz .LBB264_54
; %bb.53:
	v_add_u32_e32 v3, -1, v0
	s_waitcnt vmcnt(0)
	ds_read_u8 v36, v3
.LBB264_54:
	s_or_b64 exec, exec, s[54:55]
	v_mov_b32_e32 v3, v5
	v_cmp_gt_u64_e32 vcc, s[4:5], v[2:3]
	s_waitcnt vmcnt(0) lgkmcnt(0)
	v_and_b32_e32 v2, 0xff, v36
	v_cndmask_b32_e64 v62, 0, 1, s[6:7]
	v_cmp_ne_u16_sdwa s[6:7], v2, v8 src0_sel:DWORD src1_sel:BYTE_0
	v_cndmask_b32_e64 v63, 0, 1, s[8:9]
	v_cndmask_b32_e64 v66, 0, 1, s[10:11]
	;; [unrolled: 1-line block ×13, first 2 shown]
	s_and_b64 s[8:9], vcc, s[6:7]
	s_mov_b64 s[6:7], -1
.LBB264_55:
                                        ; implicit-def: $sgpr14
	v_mov_b32_e32 v78, s14
	s_and_saveexec_b64 s[2:3], s[6:7]
	s_cbranch_execnz .LBB264_60
	s_branch .LBB264_61
.LBB264_56:
                                        ; implicit-def: $sgpr8_sgpr9
                                        ; implicit-def: $vgpr62
                                        ; implicit-def: $vgpr63
                                        ; implicit-def: $vgpr66
                                        ; implicit-def: $vgpr68
                                        ; implicit-def: $vgpr69
                                        ; implicit-def: $vgpr70
                                        ; implicit-def: $vgpr71
                                        ; implicit-def: $vgpr72
                                        ; implicit-def: $vgpr21
                                        ; implicit-def: $vgpr73
                                        ; implicit-def: $vgpr74
                                        ; implicit-def: $vgpr75
                                        ; implicit-def: $vgpr76
                                        ; implicit-def: $vgpr77
	s_cbranch_execz .LBB264_55
; %bb.57:
	v_mov_b32_e32 v5, 0
	v_cmp_gt_u64_e32 vcc, s[4:5], v[4:5]
	v_cmp_ne_u16_sdwa s[8:9], v11, v1 src0_sel:BYTE_0 src1_sel:BYTE_0
	s_and_b64 s[8:9], vcc, s[8:9]
	v_mov_b32_e32 v35, v5
	v_cndmask_b32_e64 v62, 0, 1, s[8:9]
	v_cmp_gt_u64_e32 vcc, s[4:5], v[34:35]
	v_cmp_ne_u16_sdwa s[8:9], v55, v11 src0_sel:BYTE_0 src1_sel:BYTE_0
	s_and_b64 s[8:9], vcc, s[8:9]
	v_mov_b32_e32 v33, v5
	v_cndmask_b32_e64 v63, 0, 1, s[8:9]
	;; [unrolled: 5-line block ×13, first 2 shown]
	v_cmp_gt_u64_e32 vcc, s[4:5], v[6:7]
	v_cmp_ne_u16_sdwa s[8:9], v8, v67 src0_sel:BYTE_0 src1_sel:BYTE_0
	s_and_b64 s[8:9], vcc, s[8:9]
	s_mov_b32 s14, 1
	v_cndmask_b32_e64 v77, 0, 1, s[8:9]
	ds_write_b8 v0, v1
	s_waitcnt lgkmcnt(0)
	s_barrier
	s_waitcnt lgkmcnt(0)
                                        ; implicit-def: $sgpr8_sgpr9
	s_and_saveexec_b64 s[10:11], s[2:3]
	s_cbranch_execz .LBB264_151
; %bb.58:
	v_add_u32_e32 v2, -1, v0
	ds_read_u8 v2, v2
	v_mul_u32_u24_e32 v4, 15, v0
	v_cmp_gt_u64_e32 vcc, s[4:5], v[4:5]
	s_or_b64 s[6:7], s[6:7], exec
	s_waitcnt lgkmcnt(0)
	v_and_b32_e32 v2, 0xff, v2
	v_cmp_ne_u16_sdwa s[2:3], v2, v8 src0_sel:DWORD src1_sel:BYTE_0
	s_and_b64 s[2:3], vcc, s[2:3]
	s_and_b64 s[8:9], s[2:3], exec
	s_or_b64 exec, exec, s[10:11]
.LBB264_59:
	v_mov_b32_e32 v78, s14
	s_and_saveexec_b64 s[2:3], s[6:7]
.LBB264_60:
	v_cndmask_b32_e64 v78, 0, 1, s[8:9]
.LBB264_61:
	s_or_b64 exec, exec, s[2:3]
	s_cmp_eq_u64 s[38:39], 0
	v_add3_u32 v2, v77, v78, v76
	s_cselect_b64 s[38:39], -1, 0
	s_cmp_lg_u32 s60, 0
	v_cmp_eq_u32_e64 s[26:27], 0, v77
	v_cmp_eq_u32_e64 s[24:25], 0, v76
	v_cmp_eq_u32_e64 s[22:23], 0, v75
	v_add3_u32 v81, v2, v75, v74
	v_cmp_eq_u32_e64 s[20:21], 0, v74
	v_cmp_eq_u32_e64 s[18:19], 0, v73
	;; [unrolled: 1-line block ×10, first 2 shown]
	v_cmp_eq_u32_e32 vcc, 0, v62
	v_mbcnt_lo_u32_b32 v80, -1, 0
	v_lshrrev_b32_e32 v54, 6, v0
	v_or_b32_e32 v79, 63, v0
	s_cbranch_scc0 .LBB264_88
; %bb.62:
	v_cndmask_b32_e64 v2, 0, v52, s[26:27]
	v_add_u32_e32 v2, v2, v52
	v_cndmask_b32_e64 v2, 0, v2, s[24:25]
	v_add_u32_e32 v2, v2, v52
	;; [unrolled: 2-line block ×11, first 2 shown]
	v_cndmask_b32_e64 v2, 0, v2, s[4:5]
	v_add3_u32 v3, v81, v73, v21
	v_add_u32_e32 v2, v2, v52
	v_add3_u32 v3, v3, v72, v71
	v_cndmask_b32_e64 v2, 0, v2, s[2:3]
	v_add3_u32 v3, v3, v70, v69
	v_add_u32_e32 v2, v2, v52
	v_add3_u32 v3, v3, v68, v66
	v_cndmask_b32_e32 v2, 0, v2, vcc
	v_add3_u32 v3, v3, v63, v62
	v_add_u32_e32 v2, v2, v53
	v_mbcnt_hi_u32_b32 v15, -1, v80
	v_and_b32_e32 v4, 15, v15
	v_mov_b32_dpp v6, v2 row_shr:1 row_mask:0xf bank_mask:0xf
	v_cmp_eq_u32_e32 vcc, 0, v3
	v_mov_b32_dpp v5, v3 row_shr:1 row_mask:0xf bank_mask:0xf
	v_cndmask_b32_e32 v6, 0, v6, vcc
	v_cmp_eq_u32_e32 vcc, 0, v4
	v_cndmask_b32_e64 v5, v5, 0, vcc
	v_add_u32_e32 v3, v5, v3
	v_cndmask_b32_e64 v5, v6, 0, vcc
	v_add_u32_e32 v2, v5, v2
	v_cmp_eq_u32_e32 vcc, 0, v3
	v_mov_b32_dpp v5, v3 row_shr:2 row_mask:0xf bank_mask:0xf
	v_cmp_lt_u32_e64 s[28:29], 1, v4
	v_mov_b32_dpp v6, v2 row_shr:2 row_mask:0xf bank_mask:0xf
	v_cndmask_b32_e64 v5, 0, v5, s[28:29]
	s_and_b64 vcc, s[28:29], vcc
	v_cndmask_b32_e32 v6, 0, v6, vcc
	v_add_u32_e32 v3, v3, v5
	v_add_u32_e32 v2, v6, v2
	v_cmp_eq_u32_e32 vcc, 0, v3
	v_mov_b32_dpp v5, v3 row_shr:4 row_mask:0xf bank_mask:0xf
	v_cmp_lt_u32_e64 s[28:29], 3, v4
	v_mov_b32_dpp v6, v2 row_shr:4 row_mask:0xf bank_mask:0xf
	v_cndmask_b32_e64 v5, 0, v5, s[28:29]
	s_and_b64 vcc, s[28:29], vcc
	v_cndmask_b32_e32 v6, 0, v6, vcc
	v_add_u32_e32 v3, v5, v3
	v_add_u32_e32 v2, v2, v6
	v_cmp_eq_u32_e32 vcc, 0, v3
	v_cmp_lt_u32_e64 s[28:29], 7, v4
	v_mov_b32_dpp v5, v3 row_shr:8 row_mask:0xf bank_mask:0xf
	v_mov_b32_dpp v6, v2 row_shr:8 row_mask:0xf bank_mask:0xf
	s_and_b64 vcc, s[28:29], vcc
	v_cndmask_b32_e64 v4, 0, v5, s[28:29]
	v_cndmask_b32_e32 v5, 0, v6, vcc
	v_add_u32_e32 v2, v5, v2
	v_add_u32_e32 v3, v4, v3
	v_bfe_i32 v6, v15, 4, 1
	v_mov_b32_dpp v5, v2 row_bcast:15 row_mask:0xf bank_mask:0xf
	v_mov_b32_dpp v4, v3 row_bcast:15 row_mask:0xf bank_mask:0xf
	v_cmp_eq_u32_e32 vcc, 0, v3
	v_cndmask_b32_e32 v5, 0, v5, vcc
	v_and_b32_e32 v4, v6, v4
	v_add_u32_e32 v3, v4, v3
	v_and_b32_e32 v4, v6, v5
	v_add_u32_e32 v4, v4, v2
	v_mov_b32_dpp v2, v3 row_bcast:31 row_mask:0xf bank_mask:0xf
	v_cmp_eq_u32_e32 vcc, 0, v3
	v_cmp_lt_u32_e64 s[28:29], 31, v15
	v_mov_b32_dpp v5, v4 row_bcast:31 row_mask:0xf bank_mask:0xf
	v_cndmask_b32_e64 v2, 0, v2, s[28:29]
	s_and_b64 vcc, s[28:29], vcc
	v_add_u32_e32 v2, v2, v3
	v_cndmask_b32_e32 v3, 0, v5, vcc
	v_add_u32_e32 v3, v3, v4
	v_cmp_eq_u32_e32 vcc, v79, v0
	v_lshlrev_b32_e32 v4, 3, v54
	s_and_saveexec_b64 s[28:29], vcc
	s_cbranch_execz .LBB264_64
; %bb.63:
	ds_write_b64 v4, v[2:3] offset:528
.LBB264_64:
	s_or_b64 exec, exec, s[28:29]
	v_cmp_gt_u32_e32 vcc, 4, v0
	s_waitcnt lgkmcnt(0)
	s_barrier
	s_and_saveexec_b64 s[30:31], vcc
	s_cbranch_execz .LBB264_66
; %bb.65:
	v_lshlrev_b32_e32 v5, 3, v0
	ds_read_b64 v[6:7], v5 offset:528
	v_and_b32_e32 v12, 3, v15
	v_cmp_lt_u32_e64 s[28:29], 1, v12
	s_waitcnt lgkmcnt(0)
	v_mov_b32_dpp v14, v7 row_shr:1 row_mask:0xf bank_mask:0xf
	v_cmp_eq_u32_e32 vcc, 0, v6
	v_mov_b32_dpp v13, v6 row_shr:1 row_mask:0xf bank_mask:0xf
	v_cndmask_b32_e32 v14, 0, v14, vcc
	v_cmp_eq_u32_e32 vcc, 0, v12
	v_cndmask_b32_e64 v13, v13, 0, vcc
	v_add_u32_e32 v6, v13, v6
	v_cndmask_b32_e64 v13, v14, 0, vcc
	v_add_u32_e32 v7, v13, v7
	v_cmp_eq_u32_e32 vcc, 0, v6
	v_mov_b32_dpp v13, v6 row_shr:2 row_mask:0xf bank_mask:0xf
	v_mov_b32_dpp v14, v7 row_shr:2 row_mask:0xf bank_mask:0xf
	v_cndmask_b32_e64 v12, 0, v13, s[28:29]
	s_and_b64 vcc, s[28:29], vcc
	v_add_u32_e32 v6, v12, v6
	v_cndmask_b32_e32 v12, 0, v14, vcc
	v_add_u32_e32 v7, v12, v7
	ds_write_b64 v5, v[6:7] offset:528
.LBB264_66:
	s_or_b64 exec, exec, s[30:31]
	v_cmp_gt_u32_e32 vcc, 64, v0
	v_cmp_lt_u32_e64 s[28:29], 63, v0
	v_mov_b32_e32 v12, 0
	v_mov_b32_e32 v13, 0
	s_waitcnt lgkmcnt(0)
	s_barrier
	s_and_saveexec_b64 s[30:31], s[28:29]
	s_cbranch_execz .LBB264_68
; %bb.67:
	ds_read_b64 v[12:13], v4 offset:520
	v_cmp_eq_u32_e64 s[28:29], 0, v2
	s_waitcnt lgkmcnt(0)
	v_add_u32_e32 v4, v12, v2
	v_cndmask_b32_e64 v2, 0, v13, s[28:29]
	v_add_u32_e32 v3, v2, v3
	v_mov_b32_e32 v2, v4
.LBB264_68:
	s_or_b64 exec, exec, s[30:31]
	v_add_u32_e32 v4, -1, v15
	v_and_b32_e32 v5, 64, v15
	v_cmp_lt_i32_e64 s[28:29], v4, v5
	v_cndmask_b32_e64 v4, v4, v15, s[28:29]
	v_lshlrev_b32_e32 v4, 2, v4
	ds_bpermute_b32 v20, v4, v2
	ds_bpermute_b32 v22, v4, v3
	v_cmp_eq_u32_e64 s[28:29], 0, v15
	s_and_saveexec_b64 s[48:49], vcc
	s_cbranch_execz .LBB264_87
; %bb.69:
	v_mov_b32_e32 v7, 0
	ds_read_b64 v[2:3], v7 offset:552
	s_waitcnt lgkmcnt(0)
	v_readfirstlane_b32 s56, v2
	v_readfirstlane_b32 s57, v3
	s_and_saveexec_b64 s[30:31], s[28:29]
	s_cbranch_execz .LBB264_71
; %bb.70:
	s_add_i32 s54, s60, 64
	s_mov_b32 s55, 0
	s_lshl_b64 s[58:59], s[54:55], 4
	s_add_u32 s58, s36, s58
	s_addc_u32 s59, s37, s59
	s_and_b32 s63, s57, 0xff000000
	s_mov_b32 s62, s55
	s_and_b32 s65, s57, 0xff0000
	s_mov_b32 s64, s55
	s_or_b64 s[62:63], s[64:65], s[62:63]
	s_and_b32 s65, s57, 0xff00
	s_or_b64 s[62:63], s[62:63], s[64:65]
	s_and_b32 s65, s57, 0xff
	s_or_b64 s[54:55], s[62:63], s[64:65]
	v_mov_b32_e32 v4, s56
	v_mov_b32_e32 v5, s55
	;; [unrolled: 1-line block ×3, first 2 shown]
	v_pk_mov_b32 v[2:3], s[58:59], s[58:59] op_sel:[0,1]
	;;#ASMSTART
	global_store_dwordx4 v[2:3], v[4:7] off	
s_waitcnt vmcnt(0)
	;;#ASMEND
.LBB264_71:
	s_or_b64 exec, exec, s[30:31]
	v_xad_u32 v14, v15, -1, s60
	v_add_u32_e32 v6, 64, v14
	v_lshlrev_b64 v[2:3], 4, v[6:7]
	v_mov_b32_e32 v4, s37
	v_add_co_u32_e32 v16, vcc, s36, v2
	v_addc_co_u32_e32 v17, vcc, v4, v3, vcc
	;;#ASMSTART
	global_load_dwordx4 v[2:5], v[16:17] off glc	
s_waitcnt vmcnt(0)
	;;#ASMEND
	v_and_b32_e32 v5, 0xff, v3
	v_and_b32_e32 v6, 0xff00, v3
	v_or3_b32 v5, 0, v5, v6
	v_or3_b32 v2, v2, 0, 0
	v_and_b32_e32 v6, 0xff000000, v3
	v_and_b32_e32 v3, 0xff0000, v3
	v_or3_b32 v3, v5, v3, v6
	v_or3_b32 v2, v2, 0, 0
	v_cmp_eq_u16_sdwa s[54:55], v4, v7 src0_sel:BYTE_0 src1_sel:DWORD
	s_and_saveexec_b64 s[30:31], s[54:55]
	s_cbranch_execz .LBB264_75
; %bb.72:
	s_mov_b64 s[54:55], 0
	v_mov_b32_e32 v6, 0
.LBB264_73:                             ; =>This Inner Loop Header: Depth=1
	;;#ASMSTART
	global_load_dwordx4 v[2:5], v[16:17] off glc	
s_waitcnt vmcnt(0)
	;;#ASMEND
	v_cmp_ne_u16_sdwa s[58:59], v4, v6 src0_sel:BYTE_0 src1_sel:DWORD
	s_or_b64 s[54:55], s[58:59], s[54:55]
	s_andn2_b64 exec, exec, s[54:55]
	s_cbranch_execnz .LBB264_73
; %bb.74:
	s_or_b64 exec, exec, s[54:55]
.LBB264_75:
	s_or_b64 exec, exec, s[30:31]
	v_mov_b32_e32 v23, 2
	v_cmp_eq_u16_sdwa s[30:31], v4, v23 src0_sel:BYTE_0 src1_sel:DWORD
	v_lshlrev_b64 v[16:17], v15, -1
	v_and_b32_e32 v5, s31, v17
	v_and_b32_e32 v24, 63, v15
	v_or_b32_e32 v5, 0x80000000, v5
	v_cmp_ne_u32_e32 vcc, 63, v24
	v_and_b32_e32 v6, s30, v16
	v_ffbl_b32_e32 v5, v5
	v_addc_co_u32_e32 v7, vcc, 0, v15, vcc
	v_add_u32_e32 v5, 32, v5
	v_ffbl_b32_e32 v6, v6
	v_lshlrev_b32_e32 v25, 2, v7
	v_min_u32_e32 v5, v6, v5
	ds_bpermute_b32 v6, v25, v3
	v_cmp_eq_u32_e32 vcc, 0, v2
	v_cmp_lt_u32_e64 s[30:31], v24, v5
	ds_bpermute_b32 v7, v25, v2
	s_and_b64 vcc, s[30:31], vcc
	s_waitcnt lgkmcnt(1)
	v_cndmask_b32_e32 v6, 0, v6, vcc
	v_cmp_gt_u32_e32 vcc, 62, v24
	v_add_u32_e32 v3, v6, v3
	v_cndmask_b32_e64 v6, 0, 1, vcc
	v_lshlrev_b32_e32 v6, 1, v6
	v_add_lshl_u32 v26, v6, v15, 2
	s_waitcnt lgkmcnt(0)
	v_cndmask_b32_e64 v7, 0, v7, s[30:31]
	ds_bpermute_b32 v6, v26, v3
	v_add_u32_e32 v2, v7, v2
	ds_bpermute_b32 v7, v26, v2
	v_add_u32_e32 v27, 2, v24
	v_cmp_eq_u32_e32 vcc, 0, v2
	s_waitcnt lgkmcnt(1)
	v_cndmask_b32_e32 v6, 0, v6, vcc
	v_cmp_gt_u32_e32 vcc, v27, v5
	v_cndmask_b32_e64 v6, v6, 0, vcc
	v_add_u32_e32 v3, v6, v3
	s_waitcnt lgkmcnt(0)
	v_cndmask_b32_e64 v6, v7, 0, vcc
	v_cmp_gt_u32_e32 vcc, 60, v24
	v_cndmask_b32_e64 v7, 0, 1, vcc
	v_lshlrev_b32_e32 v7, 2, v7
	v_add_lshl_u32 v28, v7, v15, 2
	ds_bpermute_b32 v7, v28, v3
	v_add_u32_e32 v2, v2, v6
	ds_bpermute_b32 v6, v28, v2
	v_add_u32_e32 v29, 4, v24
	v_cmp_eq_u32_e32 vcc, 0, v2
	s_waitcnt lgkmcnt(1)
	v_cndmask_b32_e32 v7, 0, v7, vcc
	v_cmp_gt_u32_e32 vcc, v29, v5
	v_cndmask_b32_e64 v7, v7, 0, vcc
	s_waitcnt lgkmcnt(0)
	v_cndmask_b32_e64 v6, v6, 0, vcc
	v_cmp_gt_u32_e32 vcc, 56, v24
	v_add_u32_e32 v3, v3, v7
	v_cndmask_b32_e64 v7, 0, 1, vcc
	v_lshlrev_b32_e32 v7, 3, v7
	v_add_lshl_u32 v30, v7, v15, 2
	ds_bpermute_b32 v7, v30, v3
	v_add_u32_e32 v2, v2, v6
	ds_bpermute_b32 v6, v30, v2
	v_add_u32_e32 v31, 8, v24
	v_cmp_eq_u32_e32 vcc, 0, v2
	s_waitcnt lgkmcnt(1)
	v_cndmask_b32_e32 v7, 0, v7, vcc
	v_cmp_gt_u32_e32 vcc, v31, v5
	v_cndmask_b32_e64 v7, v7, 0, vcc
	s_waitcnt lgkmcnt(0)
	v_cndmask_b32_e64 v6, v6, 0, vcc
	v_cmp_gt_u32_e32 vcc, 48, v24
	v_add_u32_e32 v3, v3, v7
	;; [unrolled: 16-line block ×3, first 2 shown]
	v_cndmask_b32_e64 v7, 0, 1, vcc
	v_lshlrev_b32_e32 v7, 5, v7
	v_add_lshl_u32 v34, v7, v15, 2
	ds_bpermute_b32 v7, v34, v3
	v_add_u32_e32 v2, v2, v6
	ds_bpermute_b32 v6, v34, v2
	v_add_u32_e32 v35, 32, v24
	v_cmp_eq_u32_e32 vcc, 0, v2
	s_waitcnt lgkmcnt(1)
	v_cndmask_b32_e32 v7, 0, v7, vcc
	v_cmp_gt_u32_e32 vcc, v35, v5
	v_cndmask_b32_e64 v5, v7, 0, vcc
	v_add_u32_e32 v3, v5, v3
	s_waitcnt lgkmcnt(0)
	v_cndmask_b32_e64 v5, v6, 0, vcc
	v_add_u32_e32 v2, v5, v2
	v_mov_b32_e32 v15, 0
	s_branch .LBB264_77
.LBB264_76:                             ;   in Loop: Header=BB264_77 Depth=1
	s_or_b64 exec, exec, s[30:31]
	v_cmp_eq_u16_sdwa s[30:31], v4, v23 src0_sel:BYTE_0 src1_sel:DWORD
	v_and_b32_e32 v5, s31, v17
	v_or_b32_e32 v5, 0x80000000, v5
	v_and_b32_e32 v18, s30, v16
	v_ffbl_b32_e32 v5, v5
	v_add_u32_e32 v5, 32, v5
	v_ffbl_b32_e32 v18, v18
	v_min_u32_e32 v5, v18, v5
	ds_bpermute_b32 v18, v25, v3
	v_cmp_eq_u32_e32 vcc, 0, v2
	v_cmp_lt_u32_e64 s[30:31], v24, v5
	ds_bpermute_b32 v19, v25, v2
	s_and_b64 vcc, s[30:31], vcc
	s_waitcnt lgkmcnt(1)
	v_cndmask_b32_e32 v18, 0, v18, vcc
	v_add_u32_e32 v3, v18, v3
	ds_bpermute_b32 v18, v26, v3
	s_waitcnt lgkmcnt(1)
	v_cndmask_b32_e64 v19, 0, v19, s[30:31]
	v_add_u32_e32 v2, v19, v2
	v_cmp_eq_u32_e32 vcc, 0, v2
	ds_bpermute_b32 v19, v26, v2
	s_waitcnt lgkmcnt(1)
	v_cndmask_b32_e32 v18, 0, v18, vcc
	v_cmp_gt_u32_e32 vcc, v27, v5
	v_cndmask_b32_e64 v18, v18, 0, vcc
	v_add_u32_e32 v3, v18, v3
	ds_bpermute_b32 v18, v28, v3
	s_waitcnt lgkmcnt(1)
	v_cndmask_b32_e64 v19, v19, 0, vcc
	v_add_u32_e32 v2, v2, v19
	v_cmp_eq_u32_e32 vcc, 0, v2
	ds_bpermute_b32 v19, v28, v2
	s_waitcnt lgkmcnt(1)
	v_cndmask_b32_e32 v18, 0, v18, vcc
	v_cmp_gt_u32_e32 vcc, v29, v5
	v_cndmask_b32_e64 v18, v18, 0, vcc
	v_add_u32_e32 v3, v3, v18
	ds_bpermute_b32 v18, v30, v3
	s_waitcnt lgkmcnt(1)
	v_cndmask_b32_e64 v19, v19, 0, vcc
	v_add_u32_e32 v2, v2, v19
	ds_bpermute_b32 v19, v30, v2
	v_cmp_eq_u32_e32 vcc, 0, v2
	s_waitcnt lgkmcnt(1)
	v_cndmask_b32_e32 v18, 0, v18, vcc
	v_cmp_gt_u32_e32 vcc, v31, v5
	v_cndmask_b32_e64 v18, v18, 0, vcc
	v_add_u32_e32 v3, v3, v18
	ds_bpermute_b32 v18, v32, v3
	s_waitcnt lgkmcnt(1)
	v_cndmask_b32_e64 v19, v19, 0, vcc
	v_add_u32_e32 v2, v2, v19
	ds_bpermute_b32 v19, v32, v2
	v_cmp_eq_u32_e32 vcc, 0, v2
	;; [unrolled: 11-line block ×3, first 2 shown]
	s_waitcnt lgkmcnt(1)
	v_cndmask_b32_e32 v18, 0, v18, vcc
	v_cmp_gt_u32_e32 vcc, v35, v5
	v_cndmask_b32_e64 v5, v18, 0, vcc
	v_add_u32_e32 v3, v5, v3
	s_waitcnt lgkmcnt(0)
	v_cndmask_b32_e64 v5, v19, 0, vcc
	v_cmp_eq_u32_e32 vcc, 0, v6
	v_cndmask_b32_e32 v3, 0, v3, vcc
	v_subrev_u32_e32 v14, 64, v14
	v_add3_u32 v2, v2, v6, v5
	v_add_u32_e32 v3, v3, v7
.LBB264_77:                             ; =>This Loop Header: Depth=1
                                        ;     Child Loop BB264_80 Depth 2
	v_cmp_ne_u16_sdwa s[30:31], v4, v23 src0_sel:BYTE_0 src1_sel:DWORD
	v_mov_b32_e32 v7, v3
	v_cndmask_b32_e64 v3, 0, 1, s[30:31]
	;;#ASMSTART
	;;#ASMEND
	v_cmp_ne_u32_e32 vcc, 0, v3
	s_cmp_lg_u64 vcc, exec
	v_mov_b32_e32 v6, v2
	s_cbranch_scc1 .LBB264_82
; %bb.78:                               ;   in Loop: Header=BB264_77 Depth=1
	v_lshlrev_b64 v[2:3], 4, v[14:15]
	v_mov_b32_e32 v4, s37
	v_add_co_u32_e32 v18, vcc, s36, v2
	v_addc_co_u32_e32 v19, vcc, v4, v3, vcc
	;;#ASMSTART
	global_load_dwordx4 v[2:5], v[18:19] off glc	
s_waitcnt vmcnt(0)
	;;#ASMEND
	v_and_b32_e32 v5, 0xff, v3
	v_and_b32_e32 v36, 0xff00, v3
	v_or3_b32 v5, 0, v5, v36
	v_or3_b32 v2, v2, 0, 0
	v_and_b32_e32 v36, 0xff000000, v3
	v_and_b32_e32 v3, 0xff0000, v3
	v_or3_b32 v3, v5, v3, v36
	v_or3_b32 v2, v2, 0, 0
	v_cmp_eq_u16_sdwa s[54:55], v4, v15 src0_sel:BYTE_0 src1_sel:DWORD
	s_and_saveexec_b64 s[30:31], s[54:55]
	s_cbranch_execz .LBB264_76
; %bb.79:                               ;   in Loop: Header=BB264_77 Depth=1
	s_mov_b64 s[54:55], 0
.LBB264_80:                             ;   Parent Loop BB264_77 Depth=1
                                        ; =>  This Inner Loop Header: Depth=2
	;;#ASMSTART
	global_load_dwordx4 v[2:5], v[18:19] off glc	
s_waitcnt vmcnt(0)
	;;#ASMEND
	v_cmp_ne_u16_sdwa s[58:59], v4, v15 src0_sel:BYTE_0 src1_sel:DWORD
	s_or_b64 s[54:55], s[58:59], s[54:55]
	s_andn2_b64 exec, exec, s[54:55]
	s_cbranch_execnz .LBB264_80
; %bb.81:                               ;   in Loop: Header=BB264_77 Depth=1
	s_or_b64 exec, exec, s[54:55]
	s_branch .LBB264_76
.LBB264_82:                             ;   in Loop: Header=BB264_77 Depth=1
                                        ; implicit-def: $vgpr3
                                        ; implicit-def: $vgpr2
                                        ; implicit-def: $vgpr4
	s_cbranch_execz .LBB264_77
; %bb.83:
	s_and_saveexec_b64 s[30:31], s[28:29]
	s_cbranch_execz .LBB264_85
; %bb.84:
	s_cmp_eq_u32 s56, 0
	s_cselect_b64 vcc, -1, 0
	s_mov_b32 s55, 0
	v_cndmask_b32_e32 v2, 0, v7, vcc
	s_add_i32 s54, s60, 64
	v_add_u32_e32 v2, s57, v2
	s_lshl_b64 s[54:55], s[54:55], 4
	s_add_u32 s54, s36, s54
	v_and_b32_e32 v3, 0xff000000, v2
	v_and_b32_e32 v4, 0xff0000, v2
	s_addc_u32 s55, s37, s55
	v_or_b32_e32 v3, v4, v3
	v_and_b32_e32 v4, 0xff00, v2
	v_and_b32_e32 v2, 0xff, v2
	v_add_u32_e32 v14, s56, v6
	v_mov_b32_e32 v17, 0
	v_or3_b32 v15, v3, v4, v2
	v_mov_b32_e32 v16, 2
	v_pk_mov_b32 v[2:3], s[54:55], s[54:55] op_sel:[0,1]
	;;#ASMSTART
	global_store_dwordx4 v[2:3], v[14:17] off	
s_waitcnt vmcnt(0)
	;;#ASMEND
	v_mov_b32_e32 v4, s56
	v_mov_b32_e32 v5, s57
	ds_write_b128 v17, v[4:7] offset:512
.LBB264_85:
	s_or_b64 exec, exec, s[30:31]
	s_and_b64 exec, exec, s[0:1]
	s_cbranch_execz .LBB264_87
; %bb.86:
	v_mov_b32_e32 v2, 0
	ds_write_b64 v2, v[6:7] offset:552
.LBB264_87:
	s_or_b64 exec, exec, s[48:49]
	v_mov_b32_e32 v4, 0
	s_waitcnt lgkmcnt(0)
	s_barrier
	ds_read_b64 v[2:3], v4 offset:552
	v_cndmask_b32_e64 v6, v20, v12, s[28:29]
	v_cmp_eq_u32_e32 vcc, 0, v6
	v_cndmask_b32_e64 v5, v22, v13, s[28:29]
	s_waitcnt lgkmcnt(0)
	v_cndmask_b32_e32 v7, 0, v3, vcc
	v_add_u32_e32 v5, v7, v5
	v_cndmask_b32_e64 v51, v5, v3, s[0:1]
	v_cndmask_b32_e64 v3, v6, 0, s[0:1]
	v_cmp_eq_u32_e32 vcc, 0, v78
	v_add_u32_e32 v50, v2, v3
	v_cndmask_b32_e32 v2, 0, v51, vcc
	v_add_u32_e32 v49, v2, v52
	v_cndmask_b32_e64 v2, 0, v49, s[26:27]
	v_add_u32_e32 v47, v2, v52
	v_cndmask_b32_e64 v2, 0, v47, s[24:25]
	;; [unrolled: 2-line block ×7, first 2 shown]
	v_add_u32_e32 v48, v50, v78
	v_add_u32_e32 v35, v2, v52
	v_add_u32_e32 v46, v48, v77
	v_cndmask_b32_e64 v2, 0, v35, s[12:13]
	v_add_u32_e32 v44, v46, v76
	v_add_u32_e32 v33, v2, v52
	v_add_u32_e32 v42, v44, v75
	v_cndmask_b32_e64 v2, 0, v33, s[10:11]
	;; [unrolled: 4-line block ×3, first 2 shown]
	v_add_u32_e32 v36, v38, v21
	v_add_u32_e32 v29, v2, v52
	s_barrier
	ds_read_b128 v[16:19], v4 offset:512
	v_add_u32_e32 v34, v36, v72
	v_cndmask_b32_e64 v2, 0, v29, s[6:7]
	v_add_u32_e32 v32, v34, v71
	v_add_u32_e32 v27, v2, v52
	;; [unrolled: 1-line block ×3, first 2 shown]
	v_cndmask_b32_e64 v2, 0, v27, s[4:5]
	v_add_u32_e32 v28, v30, v69
	v_add_u32_e32 v23, v2, v52
	;; [unrolled: 1-line block ×3, first 2 shown]
	v_cndmask_b32_e64 v2, 0, v23, s[2:3]
	s_waitcnt lgkmcnt(0)
	v_cmp_eq_u32_e32 vcc, 0, v16
	v_add_u32_e32 v22, v26, v66
	v_add_u32_e32 v25, v2, v52
	v_cndmask_b32_e32 v2, 0, v19, vcc
	v_add_u32_e32 v24, v22, v63
	v_add_u32_e32 v20, v2, v17
	s_branch .LBB264_100
.LBB264_88:
                                        ; implicit-def: $vgpr16
                                        ; implicit-def: $vgpr20
                                        ; implicit-def: $vgpr24_vgpr25
                                        ; implicit-def: $vgpr22_vgpr23
                                        ; implicit-def: $vgpr26_vgpr27
                                        ; implicit-def: $vgpr28_vgpr29
                                        ; implicit-def: $vgpr50_vgpr51
                                        ; implicit-def: $vgpr48_vgpr49
                                        ; implicit-def: $vgpr46_vgpr47
                                        ; implicit-def: $vgpr44_vgpr45
                                        ; implicit-def: $vgpr42_vgpr43
                                        ; implicit-def: $vgpr40_vgpr41
                                        ; implicit-def: $vgpr38_vgpr39
                                        ; implicit-def: $vgpr36_vgpr37
                                        ; implicit-def: $vgpr34_vgpr35
                                        ; implicit-def: $vgpr32_vgpr33
                                        ; implicit-def: $vgpr30_vgpr31
	s_cbranch_execz .LBB264_100
; %bb.89:
	s_and_b64 s[2:3], s[38:39], exec
	s_cselect_b32 s3, 0, s35
	s_cselect_b32 s2, 0, s34
	s_cmp_eq_u64 s[2:3], 0
	v_mov_b32_e32 v6, v52
	s_cbranch_scc1 .LBB264_91
; %bb.90:
	v_mov_b32_e32 v2, 0
	global_load_dword v6, v2, s[2:3]
.LBB264_91:
	v_cmp_eq_u32_e64 s[2:3], 0, v77
	v_cndmask_b32_e64 v2, 0, v52, s[2:3]
	v_add_u32_e32 v2, v2, v52
	v_cmp_eq_u32_e64 s[4:5], 0, v76
	v_cndmask_b32_e64 v2, 0, v2, s[4:5]
	v_add_u32_e32 v2, v2, v52
	;; [unrolled: 3-line block ×11, first 2 shown]
	v_cmp_eq_u32_e64 s[24:25], 0, v66
	v_cndmask_b32_e64 v2, 0, v2, s[24:25]
	v_add3_u32 v3, v81, v73, v21
	v_add_u32_e32 v2, v2, v52
	v_cmp_eq_u32_e32 vcc, 0, v63
	v_add3_u32 v3, v3, v72, v71
	v_cndmask_b32_e32 v2, 0, v2, vcc
	v_add3_u32 v3, v3, v70, v69
	v_add_u32_e32 v2, v2, v52
	v_cmp_eq_u32_e64 s[26:27], 0, v62
	v_add3_u32 v3, v3, v68, v66
	v_cndmask_b32_e64 v2, 0, v2, s[26:27]
	v_add3_u32 v3, v3, v63, v62
	v_add_u32_e32 v2, v2, v53
	v_mbcnt_hi_u32_b32 v7, -1, v80
	v_and_b32_e32 v4, 15, v7
	v_mov_b32_dpp v12, v2 row_shr:1 row_mask:0xf bank_mask:0xf
	v_cmp_eq_u32_e64 s[26:27], 0, v3
	v_mov_b32_dpp v5, v3 row_shr:1 row_mask:0xf bank_mask:0xf
	v_cndmask_b32_e64 v12, 0, v12, s[26:27]
	v_cmp_eq_u32_e64 s[26:27], 0, v4
	v_cndmask_b32_e64 v5, v5, 0, s[26:27]
	v_add_u32_e32 v3, v5, v3
	v_cndmask_b32_e64 v5, v12, 0, s[26:27]
	v_add_u32_e32 v2, v5, v2
	v_cmp_eq_u32_e64 s[26:27], 0, v3
	v_mov_b32_dpp v5, v3 row_shr:2 row_mask:0xf bank_mask:0xf
	v_cmp_lt_u32_e64 s[28:29], 1, v4
	v_mov_b32_dpp v12, v2 row_shr:2 row_mask:0xf bank_mask:0xf
	v_cndmask_b32_e64 v5, 0, v5, s[28:29]
	s_and_b64 s[26:27], s[28:29], s[26:27]
	v_cndmask_b32_e64 v12, 0, v12, s[26:27]
	v_add_u32_e32 v3, v3, v5
	v_add_u32_e32 v2, v12, v2
	v_cmp_eq_u32_e64 s[26:27], 0, v3
	v_mov_b32_dpp v5, v3 row_shr:4 row_mask:0xf bank_mask:0xf
	v_cmp_lt_u32_e64 s[28:29], 3, v4
	v_mov_b32_dpp v12, v2 row_shr:4 row_mask:0xf bank_mask:0xf
	v_cndmask_b32_e64 v5, 0, v5, s[28:29]
	s_and_b64 s[26:27], s[28:29], s[26:27]
	v_cndmask_b32_e64 v12, 0, v12, s[26:27]
	v_add_u32_e32 v3, v5, v3
	v_add_u32_e32 v2, v2, v12
	v_cmp_eq_u32_e64 s[26:27], 0, v3
	v_cmp_lt_u32_e64 s[28:29], 7, v4
	v_mov_b32_dpp v5, v3 row_shr:8 row_mask:0xf bank_mask:0xf
	v_mov_b32_dpp v12, v2 row_shr:8 row_mask:0xf bank_mask:0xf
	s_and_b64 s[26:27], s[28:29], s[26:27]
	v_cndmask_b32_e64 v4, 0, v5, s[28:29]
	v_cndmask_b32_e64 v5, 0, v12, s[26:27]
	v_add_u32_e32 v2, v5, v2
	v_add_u32_e32 v3, v4, v3
	v_bfe_i32 v12, v7, 4, 1
	v_mov_b32_dpp v5, v2 row_bcast:15 row_mask:0xf bank_mask:0xf
	v_mov_b32_dpp v4, v3 row_bcast:15 row_mask:0xf bank_mask:0xf
	v_cmp_eq_u32_e64 s[26:27], 0, v3
	v_cndmask_b32_e64 v5, 0, v5, s[26:27]
	v_and_b32_e32 v4, v12, v4
	v_add_u32_e32 v3, v4, v3
	v_and_b32_e32 v4, v12, v5
	v_add_u32_e32 v4, v4, v2
	v_mov_b32_dpp v2, v3 row_bcast:31 row_mask:0xf bank_mask:0xf
	v_cmp_eq_u32_e64 s[26:27], 0, v3
	v_cmp_lt_u32_e64 s[28:29], 31, v7
	v_mov_b32_dpp v5, v4 row_bcast:31 row_mask:0xf bank_mask:0xf
	v_cndmask_b32_e64 v2, 0, v2, s[28:29]
	s_and_b64 s[26:27], s[28:29], s[26:27]
	v_add_u32_e32 v2, v2, v3
	v_cndmask_b32_e64 v3, 0, v5, s[26:27]
	v_add_u32_e32 v3, v3, v4
	v_cmp_eq_u32_e64 s[26:27], v79, v0
	v_lshlrev_b32_e32 v5, 3, v54
	s_and_saveexec_b64 s[28:29], s[26:27]
	s_cbranch_execz .LBB264_93
; %bb.92:
	ds_write_b64 v5, v[2:3] offset:528
.LBB264_93:
	s_or_b64 exec, exec, s[28:29]
	v_cmp_gt_u32_e64 s[26:27], 4, v0
	s_waitcnt lgkmcnt(0)
	s_barrier
	s_and_saveexec_b64 s[30:31], s[26:27]
	s_cbranch_execz .LBB264_95
; %bb.94:
	v_lshlrev_b32_e32 v4, 3, v0
	ds_read_b64 v[12:13], v4 offset:528
	v_and_b32_e32 v14, 3, v7
	v_cmp_lt_u32_e64 s[28:29], 1, v14
	s_waitcnt lgkmcnt(0)
	v_mov_b32_dpp v16, v13 row_shr:1 row_mask:0xf bank_mask:0xf
	v_cmp_eq_u32_e64 s[26:27], 0, v12
	v_mov_b32_dpp v15, v12 row_shr:1 row_mask:0xf bank_mask:0xf
	v_cndmask_b32_e64 v16, 0, v16, s[26:27]
	v_cmp_eq_u32_e64 s[26:27], 0, v14
	v_cndmask_b32_e64 v15, v15, 0, s[26:27]
	v_add_u32_e32 v12, v15, v12
	v_cndmask_b32_e64 v15, v16, 0, s[26:27]
	v_add_u32_e32 v13, v15, v13
	v_cmp_eq_u32_e64 s[26:27], 0, v12
	v_mov_b32_dpp v15, v12 row_shr:2 row_mask:0xf bank_mask:0xf
	v_mov_b32_dpp v16, v13 row_shr:2 row_mask:0xf bank_mask:0xf
	v_cndmask_b32_e64 v14, 0, v15, s[28:29]
	s_and_b64 s[26:27], s[28:29], s[26:27]
	v_add_u32_e32 v12, v14, v12
	v_cndmask_b32_e64 v14, 0, v16, s[26:27]
	v_add_u32_e32 v13, v14, v13
	ds_write_b64 v4, v[12:13] offset:528
.LBB264_95:
	s_or_b64 exec, exec, s[30:31]
	v_cmp_lt_u32_e64 s[26:27], 63, v0
	v_mov_b32_e32 v12, 0
	v_mov_b32_e32 v4, 0
	s_waitcnt vmcnt(0)
	v_mov_b32_e32 v13, v6
	s_waitcnt lgkmcnt(0)
	s_barrier
	s_and_saveexec_b64 s[28:29], s[26:27]
	s_cbranch_execz .LBB264_97
; %bb.96:
	ds_read_b64 v[4:5], v5 offset:520
	s_waitcnt lgkmcnt(0)
	v_cmp_eq_u32_e64 s[26:27], 0, v4
	v_cndmask_b32_e64 v13, 0, v6, s[26:27]
	v_add_u32_e32 v13, v13, v5
.LBB264_97:
	s_or_b64 exec, exec, s[28:29]
	v_cmp_eq_u32_e64 s[26:27], 0, v2
	v_add_u32_e32 v5, v4, v2
	v_cndmask_b32_e64 v2, 0, v13, s[26:27]
	v_add_u32_e32 v2, v2, v3
	v_add_u32_e32 v3, -1, v7
	v_and_b32_e32 v14, 64, v7
	v_cmp_lt_i32_e64 s[26:27], v3, v14
	v_cndmask_b32_e64 v3, v3, v7, s[26:27]
	v_lshlrev_b32_e32 v3, 2, v3
	ds_bpermute_b32 v2, v3, v2
	ds_bpermute_b32 v5, v3, v5
	v_cmp_eq_u32_e64 s[26:27], 0, v7
	ds_read_b64 v[16:17], v12 offset:552
	s_waitcnt lgkmcnt(2)
	v_cndmask_b32_e64 v2, v2, v13, s[26:27]
	s_waitcnt lgkmcnt(1)
	v_cndmask_b32_e64 v3, v5, v4, s[26:27]
	v_cndmask_b32_e64 v51, v2, v6, s[0:1]
	v_cmp_eq_u32_e64 s[26:27], 0, v78
	v_cndmask_b32_e64 v2, 0, v51, s[26:27]
	v_add_u32_e32 v49, v2, v52
	v_cndmask_b32_e64 v2, 0, v49, s[2:3]
	v_add_u32_e32 v47, v2, v52
	;; [unrolled: 2-line block ×7, first 2 shown]
	v_cndmask_b32_e64 v50, v3, 0, s[0:1]
	v_cndmask_b32_e64 v2, 0, v37, s[14:15]
	v_add_u32_e32 v48, v50, v78
	v_add_u32_e32 v35, v2, v52
	v_add_u32_e32 v46, v48, v77
	v_cndmask_b32_e64 v2, 0, v35, s[16:17]
	v_add_u32_e32 v44, v46, v76
	v_add_u32_e32 v33, v2, v52
	v_add_u32_e32 v42, v44, v75
	;; [unrolled: 4-line block ×6, first 2 shown]
	v_cndmask_b32_e32 v2, 0, v23, vcc
	s_waitcnt lgkmcnt(0)
	v_cmp_eq_u32_e32 vcc, 0, v16
	v_add_u32_e32 v22, v26, v66
	v_add_u32_e32 v25, v2, v52
	v_cndmask_b32_e32 v2, 0, v6, vcc
	v_add_u32_e32 v24, v22, v63
	v_add_u32_e32 v20, v2, v17
	s_and_saveexec_b64 s[2:3], s[0:1]
	s_cbranch_execz .LBB264_99
; %bb.98:
	s_add_u32 s4, s36, 0x400
	v_and_b32_e32 v2, 0xff000000, v20
	v_and_b32_e32 v3, 0xff0000, v20
	s_addc_u32 s5, s37, 0
	v_or_b32_e32 v2, v3, v2
	v_and_b32_e32 v3, 0xff00, v20
	v_and_b32_e32 v4, 0xff, v20
	v_mov_b32_e32 v19, 0
	v_or3_b32 v17, v2, v3, v4
	v_mov_b32_e32 v18, 2
	v_pk_mov_b32 v[2:3], s[4:5], s[4:5] op_sel:[0,1]
	;;#ASMSTART
	global_store_dwordx4 v[2:3], v[16:19] off	
s_waitcnt vmcnt(0)
	;;#ASMEND
.LBB264_99:
	s_or_b64 exec, exec, s[2:3]
	v_mov_b32_e32 v18, 0
.LBB264_100:
	s_and_b64 s[2:3], s[38:39], exec
	s_cselect_b32 s3, 0, s51
	s_cselect_b32 s2, 0, s50
	s_cmp_eq_u64 s[2:3], 0
	v_pk_mov_b32 v[52:53], 0, 0
	s_barrier
	s_cbranch_scc1 .LBB264_102
; %bb.101:
	v_mov_b32_e32 v2, 0
	global_load_dwordx2 v[52:53], v2, s[2:3]
.LBB264_102:
	v_mov_b32_e32 v2, s45
	s_waitcnt vmcnt(0)
	v_add_co_u32_e32 v3, vcc, s44, v52
	v_addc_co_u32_e32 v2, vcc, v2, v53, vcc
	v_add_co_u32_e32 v54, vcc, v3, v18
	v_addc_co_u32_e32 v17, vcc, 0, v2, vcc
	v_cmp_eq_u32_e32 vcc, 0, v78
	v_cndmask_b32_e64 v2, 1, 2, vcc
	v_cmp_eq_u32_e32 vcc, 0, v77
	v_cndmask_b32_e64 v3, 1, 2, vcc
	v_cmp_eq_u32_e32 vcc, 0, v76
	v_and_b32_e32 v2, v3, v2
	v_cndmask_b32_e64 v3, 1, 2, vcc
	v_cmp_eq_u32_e32 vcc, 0, v75
	v_and_b32_e32 v2, v2, v3
	;; [unrolled: 3-line block ×13, first 2 shown]
	v_cndmask_b32_e64 v3, 1, 2, vcc
	s_movk_i32 s34, 0x100
	v_and_b32_e32 v2, v2, v3
	v_cmp_gt_u32_e32 vcc, s34, v16
	v_mov_b32_e32 v19, 0
	v_cmp_ne_u32_e64 s[30:31], 0, v78
	v_cmp_ne_u32_e64 s[28:29], 0, v77
	;; [unrolled: 1-line block ×15, first 2 shown]
	s_mov_b64 s[36:37], -1
	v_cmp_gt_i16_e64 s[34:35], 2, v2
	s_cbranch_vccz .LBB264_109
; %bb.103:
	s_and_saveexec_b64 s[36:37], s[34:35]
	s_cbranch_execz .LBB264_108
; %bb.104:
	v_cmp_ne_u16_e32 vcc, 1, v2
	s_mov_b64 s[38:39], 0
	s_and_saveexec_b64 s[34:35], vcc
	s_xor_b64 s[34:35], exec, s[34:35]
	s_cbranch_execnz .LBB264_152
; %bb.105:
	s_andn2_saveexec_b64 s[34:35], s[34:35]
	s_cbranch_execnz .LBB264_168
.LBB264_106:
	s_or_b64 exec, exec, s[34:35]
	s_and_b64 exec, exec, s[38:39]
	s_cbranch_execz .LBB264_108
.LBB264_107:
	v_sub_u32_e32 v3, v24, v18
	v_readfirstlane_b32 s34, v54
	v_readfirstlane_b32 s35, v17
	s_nop 4
	global_store_byte v3, v1, s[34:35]
.LBB264_108:
	s_or_b64 exec, exec, s[36:37]
	s_mov_b64 s[36:37], 0
.LBB264_109:
	s_and_b64 vcc, exec, s[36:37]
	s_cbranch_vccz .LBB264_130
; %bb.110:
	v_cmp_gt_i16_e32 vcc, 2, v2
	s_and_saveexec_b64 s[34:35], vcc
	s_cbranch_execz .LBB264_115
; %bb.111:
	v_cmp_ne_u16_e32 vcc, 1, v2
	s_mov_b64 s[38:39], 0
	s_and_saveexec_b64 s[36:37], vcc
	s_xor_b64 s[36:37], exec, s[36:37]
	s_cbranch_execnz .LBB264_169
; %bb.112:
	s_andn2_saveexec_b64 s[2:3], s[36:37]
	s_cbranch_execnz .LBB264_185
.LBB264_113:
	s_or_b64 exec, exec, s[2:3]
	s_and_b64 exec, exec, s[38:39]
	s_cbranch_execz .LBB264_115
.LBB264_114:
	v_sub_u32_e32 v2, v24, v18
	ds_write_b8 v2, v1
.LBB264_115:
	s_or_b64 exec, exec, s[34:35]
	v_cmp_lt_u32_e32 vcc, v0, v16
	s_waitcnt lgkmcnt(0)
	s_barrier
	s_and_saveexec_b64 s[2:3], vcc
	s_cbranch_execz .LBB264_129
; %bb.116:
	v_xad_u32 v2, v0, -1, v16
	s_movk_i32 s4, 0x1700
	s_movk_i32 s6, 0x16ff
	v_cmp_gt_u32_e64 s[4:5], s4, v2
	v_cmp_lt_u32_e32 vcc, s6, v2
	v_mov_b32_e32 v1, v0
	s_and_saveexec_b64 s[6:7], vcc
	s_cbranch_execz .LBB264_126
; %bb.117:
	v_sub_u32_e32 v1, v0, v16
	v_or_b32_e32 v1, 0xff, v1
	v_cmp_ge_u32_e32 vcc, v1, v0
	s_mov_b64 s[10:11], -1
	v_mov_b32_e32 v1, v0
	s_and_saveexec_b64 s[8:9], vcc
	s_cbranch_execz .LBB264_125
; %bb.118:
	v_lshrrev_b32_e32 v55, 8, v2
	v_or_b32_e32 v7, 0x700, v0
	v_or_b32_e32 v6, 0x600, v0
	;; [unrolled: 1-line block ×7, first 2 shown]
	v_add_u32_e32 v56, -7, v55
	v_pk_mov_b32 v[14:15], v[6:7], v[6:7] op_sel:[0,1]
	v_cmp_lt_u32_e32 vcc, 7, v56
	v_mov_b32_e32 v59, 0
	v_pk_mov_b32 v[12:13], v[4:5], v[4:5] op_sel:[0,1]
	v_pk_mov_b32 v[10:11], v[2:3], v[2:3] op_sel:[0,1]
	;; [unrolled: 1-line block ×3, first 2 shown]
	s_and_saveexec_b64 s[10:11], vcc
	s_cbranch_execz .LBB264_122
; %bb.119:
	v_lshrrev_b32_e32 v8, 3, v56
	v_add_u32_e32 v8, 1, v8
	v_and_b32_e32 v57, 0x3ffffffe, v8
	v_pk_mov_b32 v[14:15], v[6:7], v[6:7] op_sel:[0,1]
	s_mov_b32 s14, 0
	s_mov_b64 s[12:13], 0
	v_mov_b32_e32 v58, v0
	v_pk_mov_b32 v[12:13], v[4:5], v[4:5] op_sel:[0,1]
	v_pk_mov_b32 v[10:11], v[2:3], v[2:3] op_sel:[0,1]
	;; [unrolled: 1-line block ×3, first 2 shown]
.LBB264_120:                            ; =>This Inner Loop Header: Depth=1
	v_add_co_u32_e32 v2, vcc, v54, v8
	v_addc_co_u32_e32 v3, vcc, 0, v17, vcc
	v_add_co_u32_e32 v4, vcc, v54, v9
	v_addc_co_u32_e32 v5, vcc, 0, v17, vcc
	;; [unrolled: 2-line block ×8, first 2 shown]
	v_add_u32_e32 v86, 0x800, v8
	v_add_co_u32_e32 v86, vcc, v54, v86
	v_add_u32_e32 v88, 0x800, v9
	v_addc_co_u32_e32 v87, vcc, 0, v17, vcc
	v_add_co_u32_e32 v88, vcc, v54, v88
	v_add_u32_e32 v90, 0x800, v10
	v_addc_co_u32_e32 v89, vcc, 0, v17, vcc
	;; [unrolled: 3-line block ×6, first 2 shown]
	v_add_co_u32_e32 v98, vcc, v54, v98
	ds_read_u8 v1, v58
	ds_read_u8 v67, v58 offset:256
	ds_read_u8 v79, v58 offset:512
	;; [unrolled: 1-line block ×7, first 2 shown]
	v_add_u32_e32 v59, 0x800, v15
	ds_read_u8 v107, v58 offset:2048
	ds_read_u8 v108, v58 offset:2304
	;; [unrolled: 1-line block ×8, first 2 shown]
	v_addc_co_u32_e32 v99, vcc, 0, v17, vcc
	v_add_co_u32_e32 v100, vcc, v54, v59
	v_add_u32_e32 v57, -2, v57
	v_addc_co_u32_e32 v101, vcc, 0, v17, vcc
	s_add_i32 s14, s14, 16
	v_cmp_eq_u32_e32 vcc, 0, v57
	v_add_u32_e32 v15, 0x1000, v15
	v_add_u32_e32 v14, 0x1000, v14
	;; [unrolled: 1-line block ×9, first 2 shown]
	v_mov_b32_e32 v59, s14
	s_or_b64 s[12:13], vcc, s[12:13]
	s_waitcnt lgkmcnt(14)
	global_store_byte v[2:3], v1, off
	global_store_byte v[4:5], v67, off
	s_waitcnt lgkmcnt(13)
	global_store_byte v[6:7], v79, off
	s_waitcnt lgkmcnt(12)
	;; [unrolled: 2-line block ×14, first 2 shown]
	global_store_byte v[100:101], v114, off
	s_andn2_b64 exec, exec, s[12:13]
	s_cbranch_execnz .LBB264_120
; %bb.121:
	s_or_b64 exec, exec, s[12:13]
.LBB264_122:
	s_or_b64 exec, exec, s[10:11]
	v_and_b32_e32 v1, 8, v56
	v_cmp_eq_u32_e32 vcc, 0, v1
	s_and_saveexec_b64 s[10:11], vcc
	s_cbranch_execz .LBB264_124
; %bb.123:
	v_add_co_u32_e32 v2, vcc, v54, v8
	v_addc_co_u32_e32 v3, vcc, 0, v17, vcc
	v_add_co_u32_e32 v4, vcc, v54, v9
	v_addc_co_u32_e32 v5, vcc, 0, v17, vcc
	;; [unrolled: 2-line block ×4, first 2 shown]
	v_add_co_u32_e32 v10, vcc, v54, v12
	v_lshl_or_b32 v1, v59, 8, v0
	v_addc_co_u32_e32 v11, vcc, 0, v17, vcc
	ds_read_u8 v58, v1
	ds_read_u8 v59, v1 offset:256
	ds_read_u8 v60, v1 offset:512
	;; [unrolled: 1-line block ×7, first 2 shown]
	v_add_co_u32_e32 v12, vcc, v54, v13
	v_addc_co_u32_e32 v13, vcc, 0, v17, vcc
	v_add_co_u32_e32 v56, vcc, v54, v14
	v_addc_co_u32_e32 v57, vcc, 0, v17, vcc
	;; [unrolled: 2-line block ×3, first 2 shown]
	s_waitcnt lgkmcnt(7)
	global_store_byte v[2:3], v58, off
	s_waitcnt lgkmcnt(6)
	global_store_byte v[4:5], v59, off
	;; [unrolled: 2-line block ×8, first 2 shown]
.LBB264_124:
	s_or_b64 exec, exec, s[10:11]
	v_add_u32_e32 v2, 1, v55
	v_and_b32_e32 v3, 0x1fffff8, v2
	v_cmp_ne_u32_e32 vcc, v2, v3
	v_lshl_or_b32 v1, v3, 8, v0
	s_orn2_b64 s[10:11], vcc, exec
.LBB264_125:
	s_or_b64 exec, exec, s[8:9]
	s_andn2_b64 s[4:5], s[4:5], exec
	s_and_b64 s[8:9], s[10:11], exec
	s_or_b64 s[4:5], s[4:5], s[8:9]
.LBB264_126:
	s_or_b64 exec, exec, s[6:7]
	s_and_b64 exec, exec, s[4:5]
	s_cbranch_execz .LBB264_129
; %bb.127:
	s_mov_b64 s[4:5], 0
.LBB264_128:                            ; =>This Inner Loop Header: Depth=1
	ds_read_u8 v2, v1
	v_readfirstlane_b32 s6, v54
	v_readfirstlane_b32 s7, v17
	s_waitcnt lgkmcnt(0)
	s_nop 3
	global_store_byte v1, v2, s[6:7]
	v_add_u32_e32 v1, 0x100, v1
	v_cmp_ge_u32_e32 vcc, v1, v16
	s_or_b64 s[4:5], vcc, s[4:5]
	s_andn2_b64 exec, exec, s[4:5]
	s_cbranch_execnz .LBB264_128
.LBB264_129:
	s_or_b64 exec, exec, s[2:3]
.LBB264_130:
	s_cmpk_lg_i32 s33, 0xf00
	s_cselect_b64 s[2:3], -1, 0
	v_cndmask_b32_e64 v8, 0, 1, s[42:43]
	s_and_b64 s[2:3], s[2:3], s[40:41]
	v_sub_u32_e32 v1, v16, v8
	v_cndmask_b32_e64 v2, 0, 1, s[2:3]
	s_and_b64 s[0:1], s[0:1], s[42:43]
	v_add_u32_e32 v1, v1, v2
	v_cndmask_b32_e64 v2, v78, 0, s[0:1]
	s_mul_hi_u32 s0, s33, 0x88888889
	s_lshr_b32 s0, s0, 3
	v_mad_i32_i24 v3, v0, -15, s33
	v_cmp_eq_u32_e32 vcc, s0, v0
	v_cmp_ne_u32_e64 s[0:1], 0, v3
	v_cndmask_b32_e64 v4, 1, v2, s[0:1]
	v_cmp_ne_u32_e64 s[0:1], 1, v3
	v_cndmask_b32_e64 v5, 1, v77, s[0:1]
	;; [unrolled: 2-line block ×15, first 2 shown]
	s_and_b64 vcc, vcc, s[40:41]
	v_cndmask_b32_e32 v56, v62, v3, vcc
	v_cndmask_b32_e32 v59, v2, v4, vcc
	v_lshlrev_b64 v[2:3], 3, v[52:53]
	v_cndmask_b32_e32 v55, v63, v55, vcc
	v_cndmask_b32_e32 v54, v66, v54, vcc
	;; [unrolled: 1-line block ×13, first 2 shown]
	v_mov_b32_e32 v4, s47
	v_add_co_u32_e32 v5, vcc, s46, v2
	v_addc_co_u32_e32 v6, vcc, v4, v3, vcc
	v_lshlrev_b64 v[2:3], 3, v[18:19]
	v_add_co_u32_e32 v4, vcc, v5, v2
	v_addc_co_u32_e32 v5, vcc, v6, v3, vcc
	v_lshlrev_b32_e32 v2, 3, v8
	v_add_co_u32_e32 v2, vcc, v2, v4
	v_addc_co_u32_e32 v3, vcc, 0, v5, vcc
	v_add_co_u32_e32 v6, vcc, -8, v2
	v_addc_co_u32_e32 v7, vcc, -1, v3, vcc
	v_cmp_eq_u32_e32 vcc, 0, v59
	v_cndmask_b32_e64 v3, 1, 2, vcc
	v_cmp_eq_u32_e32 vcc, 0, v58
	v_add_u32_e32 v2, v18, v8
	v_cndmask_b32_e64 v8, 1, 2, vcc
	v_cmp_eq_u32_e32 vcc, 0, v57
	v_and_b32_e32 v3, v8, v3
	v_cndmask_b32_e64 v8, 1, 2, vcc
	v_cmp_eq_u32_e32 vcc, 0, v21
	v_and_b32_e32 v3, v3, v8
	;; [unrolled: 3-line block ×13, first 2 shown]
	v_cndmask_b32_e64 v8, 1, 2, vcc
	s_movk_i32 s30, 0x100
	v_and_b32_e32 v3, v3, v8
	v_cmp_gt_u32_e32 vcc, s30, v1
	v_cmp_ne_u32_e64 s[28:29], 0, v59
	v_cmp_ne_u32_e64 s[26:27], 0, v58
	;; [unrolled: 1-line block ×15, first 2 shown]
	s_mov_b64 s[34:35], -1
	v_cmp_gt_i16_e64 s[30:31], 2, v3
	s_barrier
	s_cbranch_vccz .LBB264_137
; %bb.131:
	s_and_saveexec_b64 s[34:35], s[30:31]
	s_cbranch_execz .LBB264_136
; %bb.132:
	v_cmp_ne_u16_e32 vcc, 1, v3
	s_mov_b64 s[36:37], 0
	s_and_saveexec_b64 s[30:31], vcc
	s_xor_b64 s[30:31], exec, s[30:31]
	s_cbranch_execnz .LBB264_186
; %bb.133:
	s_andn2_saveexec_b64 s[30:31], s[30:31]
	s_cbranch_execnz .LBB264_202
.LBB264_134:
	s_or_b64 exec, exec, s[30:31]
	s_and_b64 exec, exec, s[36:37]
	s_cbranch_execz .LBB264_136
.LBB264_135:
	v_mov_b32_e32 v9, 0
	v_sub_u32_e32 v10, v24, v2
	v_mov_b32_e32 v11, v9
	v_lshlrev_b64 v[10:11], 3, v[10:11]
	v_add_co_u32_e32 v10, vcc, v6, v10
	v_mov_b32_e32 v8, v25
	v_addc_co_u32_e32 v11, vcc, v7, v11, vcc
	global_store_dwordx2 v[10:11], v[8:9], off
.LBB264_136:
	s_or_b64 exec, exec, s[34:35]
	s_mov_b64 s[34:35], 0
.LBB264_137:
	s_and_b64 vcc, exec, s[34:35]
	s_cbranch_vccz .LBB264_147
; %bb.138:
	v_cmp_gt_i16_e32 vcc, 2, v3
	s_and_saveexec_b64 s[30:31], vcc
	s_cbranch_execz .LBB264_143
; %bb.139:
	v_cmp_ne_u16_e32 vcc, 1, v3
	s_mov_b64 s[36:37], 0
	s_and_saveexec_b64 s[34:35], vcc
	s_xor_b64 s[34:35], exec, s[34:35]
	s_cbranch_execnz .LBB264_203
; %bb.140:
	s_andn2_saveexec_b64 s[0:1], s[34:35]
	s_cbranch_execnz .LBB264_219
.LBB264_141:
	s_or_b64 exec, exec, s[0:1]
	s_and_b64 exec, exec, s[36:37]
	s_cbranch_execz .LBB264_143
.LBB264_142:
	v_sub_u32_e32 v2, v24, v2
	v_lshlrev_b32_e32 v2, 2, v2
	ds_write_b32 v2, v25
.LBB264_143:
	s_or_b64 exec, exec, s[30:31]
	v_cmp_lt_u32_e32 vcc, v0, v1
	s_waitcnt lgkmcnt(0)
	s_barrier
	s_and_saveexec_b64 s[0:1], vcc
	s_cbranch_execz .LBB264_146
; %bb.144:
	v_lshlrev_b32_e32 v8, 2, v0
	s_mov_b64 s[2:3], 0
	v_mov_b32_e32 v3, 0
	v_mov_b32_e32 v2, v0
.LBB264_145:                            ; =>This Inner Loop Header: Depth=1
	ds_read_b32 v10, v8
	v_lshlrev_b64 v[12:13], 3, v[2:3]
	v_add_co_u32_e32 v12, vcc, v6, v12
	v_add_u32_e32 v2, 0x100, v2
	v_addc_co_u32_e32 v13, vcc, v7, v13, vcc
	v_cmp_ge_u32_e32 vcc, v2, v1
	v_mov_b32_e32 v11, v3
	v_add_u32_e32 v8, 0x400, v8
	s_or_b64 s[2:3], vcc, s[2:3]
	s_waitcnt lgkmcnt(0)
	global_store_dwordx2 v[12:13], v[10:11], off
	s_andn2_b64 exec, exec, s[2:3]
	s_cbranch_execnz .LBB264_145
.LBB264_146:
	s_or_b64 exec, exec, s[0:1]
.LBB264_147:
	s_movk_i32 s0, 0xff
	v_cmp_eq_u32_e32 vcc, s0, v0
	s_and_b64 s[0:1], vcc, s[40:41]
	s_and_saveexec_b64 s[2:3], s[0:1]
	s_cbranch_execz .LBB264_150
; %bb.148:
	v_add_co_u32_e32 v0, vcc, v16, v18
	v_addc_co_u32_e64 v1, s[0:1], 0, 0, vcc
	v_add_co_u32_e32 v0, vcc, v0, v52
	v_mov_b32_e32 v17, 0
	v_addc_co_u32_e32 v1, vcc, v1, v53, vcc
	s_cmpk_lg_i32 s33, 0xf00
	global_store_dwordx2 v17, v[0:1], s[52:53]
	s_cbranch_scc1 .LBB264_150
; %bb.149:
	v_lshlrev_b64 v[0:1], 3, v[16:17]
	v_add_co_u32_e32 v0, vcc, v4, v0
	v_mov_b32_e32 v21, v17
	v_addc_co_u32_e32 v1, vcc, v5, v1, vcc
	global_store_dwordx2 v[0:1], v[20:21], off offset:-8
.LBB264_150:
	s_endpgm
.LBB264_151:
	s_or_b64 exec, exec, s[10:11]
	v_mov_b32_e32 v78, s14
	s_and_saveexec_b64 s[2:3], s[6:7]
	s_cbranch_execnz .LBB264_60
	s_branch .LBB264_61
.LBB264_152:
	s_and_saveexec_b64 s[38:39], s[30:31]
	s_cbranch_execnz .LBB264_220
; %bb.153:
	s_or_b64 exec, exec, s[38:39]
	s_and_saveexec_b64 s[38:39], s[28:29]
	s_cbranch_execnz .LBB264_221
.LBB264_154:
	s_or_b64 exec, exec, s[38:39]
	s_and_saveexec_b64 s[38:39], s[26:27]
	s_cbranch_execnz .LBB264_222
.LBB264_155:
	s_or_b64 exec, exec, s[38:39]
	s_and_saveexec_b64 s[38:39], s[24:25]
	s_cbranch_execnz .LBB264_223
.LBB264_156:
	s_or_b64 exec, exec, s[38:39]
	s_and_saveexec_b64 s[38:39], s[22:23]
	s_cbranch_execnz .LBB264_224
.LBB264_157:
	s_or_b64 exec, exec, s[38:39]
	s_and_saveexec_b64 s[38:39], s[20:21]
	s_cbranch_execnz .LBB264_225
.LBB264_158:
	s_or_b64 exec, exec, s[38:39]
	s_and_saveexec_b64 s[38:39], s[18:19]
	s_cbranch_execnz .LBB264_226
.LBB264_159:
	s_or_b64 exec, exec, s[38:39]
	s_and_saveexec_b64 s[38:39], s[16:17]
	s_cbranch_execnz .LBB264_227
.LBB264_160:
	s_or_b64 exec, exec, s[38:39]
	s_and_saveexec_b64 s[38:39], s[14:15]
	s_cbranch_execnz .LBB264_228
.LBB264_161:
	s_or_b64 exec, exec, s[38:39]
	s_and_saveexec_b64 s[38:39], s[12:13]
	s_cbranch_execnz .LBB264_229
.LBB264_162:
	s_or_b64 exec, exec, s[38:39]
	s_and_saveexec_b64 s[38:39], s[10:11]
	s_cbranch_execnz .LBB264_230
.LBB264_163:
	s_or_b64 exec, exec, s[38:39]
	s_and_saveexec_b64 s[38:39], s[8:9]
	s_cbranch_execnz .LBB264_231
.LBB264_164:
	s_or_b64 exec, exec, s[38:39]
	s_and_saveexec_b64 s[38:39], s[6:7]
	s_cbranch_execnz .LBB264_232
.LBB264_165:
	s_or_b64 exec, exec, s[38:39]
	s_and_saveexec_b64 s[38:39], s[4:5]
	s_cbranch_execz .LBB264_167
.LBB264_166:
	v_sub_u32_e32 v3, v22, v18
	v_readfirstlane_b32 s44, v54
	v_readfirstlane_b32 s45, v17
	s_nop 4
	global_store_byte v3, v11, s[44:45]
.LBB264_167:
	s_or_b64 exec, exec, s[38:39]
	s_and_b64 s[38:39], s[2:3], exec
	s_andn2_saveexec_b64 s[34:35], s[34:35]
	s_cbranch_execz .LBB264_106
.LBB264_168:
	v_sub_u32_e32 v3, v50, v18
	v_readfirstlane_b32 s44, v54
	v_readfirstlane_b32 s45, v17
	s_or_b64 s[38:39], s[38:39], exec
	s_nop 3
	global_store_byte v3, v8, s[44:45]
	v_sub_u32_e32 v3, v48, v18
	global_store_byte v3, v67, s[44:45]
	v_sub_u32_e32 v3, v46, v18
	global_store_byte v3, v65, s[44:45]
	v_sub_u32_e32 v3, v44, v18
	global_store_byte v3, v64, s[44:45]
	v_sub_u32_e32 v3, v42, v18
	global_store_byte v3, v9, s[44:45]
	v_sub_u32_e32 v3, v40, v18
	global_store_byte v3, v61, s[44:45]
	v_sub_u32_e32 v3, v38, v18
	global_store_byte v3, v60, s[44:45]
	v_sub_u32_e32 v3, v36, v18
	global_store_byte v3, v59, s[44:45]
	v_sub_u32_e32 v3, v34, v18
	global_store_byte v3, v10, s[44:45]
	v_sub_u32_e32 v3, v32, v18
	global_store_byte v3, v58, s[44:45]
	v_sub_u32_e32 v3, v30, v18
	global_store_byte v3, v57, s[44:45]
	v_sub_u32_e32 v3, v28, v18
	global_store_byte v3, v56, s[44:45]
	v_sub_u32_e32 v3, v26, v18
	global_store_byte v3, v55, s[44:45]
	v_sub_u32_e32 v3, v22, v18
	global_store_byte v3, v11, s[44:45]
	s_or_b64 exec, exec, s[34:35]
	s_and_b64 exec, exec, s[38:39]
	s_cbranch_execnz .LBB264_107
	s_branch .LBB264_108
.LBB264_169:
	s_and_saveexec_b64 s[38:39], s[30:31]
	s_cbranch_execnz .LBB264_233
; %bb.170:
	s_or_b64 exec, exec, s[38:39]
	s_and_saveexec_b64 s[30:31], s[28:29]
	s_cbranch_execnz .LBB264_234
.LBB264_171:
	s_or_b64 exec, exec, s[30:31]
	s_and_saveexec_b64 s[28:29], s[26:27]
	s_cbranch_execnz .LBB264_235
.LBB264_172:
	s_or_b64 exec, exec, s[28:29]
	s_and_saveexec_b64 s[26:27], s[24:25]
	s_cbranch_execnz .LBB264_236
.LBB264_173:
	s_or_b64 exec, exec, s[26:27]
	s_and_saveexec_b64 s[24:25], s[22:23]
	s_cbranch_execnz .LBB264_237
.LBB264_174:
	s_or_b64 exec, exec, s[24:25]
	s_and_saveexec_b64 s[22:23], s[20:21]
	s_cbranch_execnz .LBB264_238
.LBB264_175:
	s_or_b64 exec, exec, s[22:23]
	s_and_saveexec_b64 s[20:21], s[18:19]
	s_cbranch_execnz .LBB264_239
.LBB264_176:
	s_or_b64 exec, exec, s[20:21]
	s_and_saveexec_b64 s[18:19], s[16:17]
	s_cbranch_execnz .LBB264_240
.LBB264_177:
	s_or_b64 exec, exec, s[18:19]
	s_and_saveexec_b64 s[16:17], s[14:15]
	s_cbranch_execnz .LBB264_241
.LBB264_178:
	s_or_b64 exec, exec, s[16:17]
	s_and_saveexec_b64 s[14:15], s[12:13]
	s_cbranch_execnz .LBB264_242
.LBB264_179:
	s_or_b64 exec, exec, s[14:15]
	s_and_saveexec_b64 s[12:13], s[10:11]
	s_cbranch_execnz .LBB264_243
.LBB264_180:
	s_or_b64 exec, exec, s[12:13]
	s_and_saveexec_b64 s[10:11], s[8:9]
	s_cbranch_execnz .LBB264_244
.LBB264_181:
	s_or_b64 exec, exec, s[10:11]
	s_and_saveexec_b64 s[8:9], s[6:7]
	s_cbranch_execnz .LBB264_245
.LBB264_182:
	s_or_b64 exec, exec, s[8:9]
	s_and_saveexec_b64 s[6:7], s[4:5]
	s_cbranch_execz .LBB264_184
.LBB264_183:
	v_sub_u32_e32 v2, v22, v18
	ds_write_b8 v2, v11
.LBB264_184:
	s_or_b64 exec, exec, s[6:7]
	s_and_b64 s[38:39], s[2:3], exec
                                        ; implicit-def: $vgpr11
                                        ; implicit-def: $vgpr55
                                        ; implicit-def: $vgpr56
                                        ; implicit-def: $vgpr57
                                        ; implicit-def: $vgpr58
                                        ; implicit-def: $vgpr10
                                        ; implicit-def: $vgpr59
                                        ; implicit-def: $vgpr60
                                        ; implicit-def: $vgpr61
                                        ; implicit-def: $vgpr64
                                        ; implicit-def: $vgpr65
                                        ; implicit-def: $vgpr67
	s_andn2_saveexec_b64 s[2:3], s[36:37]
	s_cbranch_execz .LBB264_113
.LBB264_185:
	v_sub_u32_e32 v2, v50, v18
	ds_write_b8 v2, v8
	v_sub_u32_e32 v2, v48, v18
	ds_write_b8 v2, v67
	;; [unrolled: 2-line block ×13, first 2 shown]
	v_sub_u32_e32 v2, v22, v18
	s_or_b64 s[38:39], s[38:39], exec
	ds_write_b8 v2, v11
	s_or_b64 exec, exec, s[2:3]
	s_and_b64 exec, exec, s[38:39]
	s_cbranch_execnz .LBB264_114
	s_branch .LBB264_115
.LBB264_186:
	s_and_saveexec_b64 s[36:37], s[28:29]
	s_cbranch_execnz .LBB264_246
; %bb.187:
	s_or_b64 exec, exec, s[36:37]
	s_and_saveexec_b64 s[36:37], s[26:27]
	s_cbranch_execnz .LBB264_247
.LBB264_188:
	s_or_b64 exec, exec, s[36:37]
	s_and_saveexec_b64 s[36:37], s[24:25]
	s_cbranch_execnz .LBB264_248
.LBB264_189:
	s_or_b64 exec, exec, s[36:37]
	s_and_saveexec_b64 s[36:37], s[22:23]
	s_cbranch_execnz .LBB264_249
.LBB264_190:
	s_or_b64 exec, exec, s[36:37]
	s_and_saveexec_b64 s[36:37], s[20:21]
	s_cbranch_execnz .LBB264_250
.LBB264_191:
	s_or_b64 exec, exec, s[36:37]
	s_and_saveexec_b64 s[36:37], s[18:19]
	s_cbranch_execnz .LBB264_251
.LBB264_192:
	s_or_b64 exec, exec, s[36:37]
	s_and_saveexec_b64 s[36:37], s[16:17]
	s_cbranch_execnz .LBB264_252
.LBB264_193:
	s_or_b64 exec, exec, s[36:37]
	s_and_saveexec_b64 s[36:37], s[14:15]
	s_cbranch_execnz .LBB264_253
.LBB264_194:
	s_or_b64 exec, exec, s[36:37]
	s_and_saveexec_b64 s[36:37], s[12:13]
	s_cbranch_execnz .LBB264_254
.LBB264_195:
	s_or_b64 exec, exec, s[36:37]
	s_and_saveexec_b64 s[36:37], s[10:11]
	s_cbranch_execnz .LBB264_255
.LBB264_196:
	s_or_b64 exec, exec, s[36:37]
	s_and_saveexec_b64 s[36:37], s[8:9]
	s_cbranch_execnz .LBB264_256
.LBB264_197:
	s_or_b64 exec, exec, s[36:37]
	s_and_saveexec_b64 s[36:37], s[6:7]
	s_cbranch_execnz .LBB264_257
.LBB264_198:
	s_or_b64 exec, exec, s[36:37]
	s_and_saveexec_b64 s[36:37], s[4:5]
	s_cbranch_execnz .LBB264_258
.LBB264_199:
	s_or_b64 exec, exec, s[36:37]
	s_and_saveexec_b64 s[36:37], s[2:3]
	s_cbranch_execz .LBB264_201
.LBB264_200:
	v_sub_u32_e32 v8, v22, v2
	v_mov_b32_e32 v9, 0
	v_lshlrev_b64 v[10:11], 3, v[8:9]
	v_add_co_u32_e32 v10, vcc, v6, v10
	v_addc_co_u32_e32 v11, vcc, v7, v11, vcc
	v_mov_b32_e32 v8, v23
	global_store_dwordx2 v[10:11], v[8:9], off
.LBB264_201:
	s_or_b64 exec, exec, s[36:37]
	s_and_b64 s[36:37], s[0:1], exec
	s_andn2_saveexec_b64 s[30:31], s[30:31]
	s_cbranch_execz .LBB264_134
.LBB264_202:
	v_mov_b32_e32 v9, 0
	v_sub_u32_e32 v10, v50, v2
	v_mov_b32_e32 v11, v9
	v_lshlrev_b64 v[10:11], 3, v[10:11]
	v_add_co_u32_e32 v10, vcc, v6, v10
	v_mov_b32_e32 v8, v51
	v_addc_co_u32_e32 v11, vcc, v7, v11, vcc
	global_store_dwordx2 v[10:11], v[8:9], off
	v_sub_u32_e32 v10, v48, v2
	v_mov_b32_e32 v11, v9
	v_lshlrev_b64 v[10:11], 3, v[10:11]
	v_add_co_u32_e32 v10, vcc, v6, v10
	v_mov_b32_e32 v8, v49
	v_addc_co_u32_e32 v11, vcc, v7, v11, vcc
	global_store_dwordx2 v[10:11], v[8:9], off
	;; [unrolled: 7-line block ×13, first 2 shown]
	v_sub_u32_e32 v10, v22, v2
	v_mov_b32_e32 v11, v9
	v_lshlrev_b64 v[10:11], 3, v[10:11]
	v_add_co_u32_e32 v10, vcc, v6, v10
	v_mov_b32_e32 v8, v23
	v_addc_co_u32_e32 v11, vcc, v7, v11, vcc
	s_or_b64 s[36:37], s[36:37], exec
	global_store_dwordx2 v[10:11], v[8:9], off
	s_or_b64 exec, exec, s[30:31]
	s_and_b64 exec, exec, s[36:37]
	s_cbranch_execnz .LBB264_135
	s_branch .LBB264_136
.LBB264_203:
	s_and_saveexec_b64 s[36:37], s[28:29]
	s_cbranch_execnz .LBB264_259
; %bb.204:
	s_or_b64 exec, exec, s[36:37]
	s_and_saveexec_b64 s[28:29], s[26:27]
	s_cbranch_execnz .LBB264_260
.LBB264_205:
	s_or_b64 exec, exec, s[28:29]
	s_and_saveexec_b64 s[26:27], s[24:25]
	s_cbranch_execnz .LBB264_261
.LBB264_206:
	s_or_b64 exec, exec, s[26:27]
	s_and_saveexec_b64 s[24:25], s[22:23]
	s_cbranch_execnz .LBB264_262
.LBB264_207:
	s_or_b64 exec, exec, s[24:25]
	s_and_saveexec_b64 s[22:23], s[20:21]
	s_cbranch_execnz .LBB264_263
.LBB264_208:
	s_or_b64 exec, exec, s[22:23]
	s_and_saveexec_b64 s[20:21], s[18:19]
	s_cbranch_execnz .LBB264_264
.LBB264_209:
	s_or_b64 exec, exec, s[20:21]
	s_and_saveexec_b64 s[18:19], s[16:17]
	s_cbranch_execnz .LBB264_265
.LBB264_210:
	s_or_b64 exec, exec, s[18:19]
	s_and_saveexec_b64 s[16:17], s[14:15]
	s_cbranch_execnz .LBB264_266
.LBB264_211:
	s_or_b64 exec, exec, s[16:17]
	s_and_saveexec_b64 s[14:15], s[12:13]
	s_cbranch_execnz .LBB264_267
.LBB264_212:
	s_or_b64 exec, exec, s[14:15]
	s_and_saveexec_b64 s[12:13], s[10:11]
	s_cbranch_execnz .LBB264_268
.LBB264_213:
	s_or_b64 exec, exec, s[12:13]
	s_and_saveexec_b64 s[10:11], s[8:9]
	s_cbranch_execnz .LBB264_269
.LBB264_214:
	s_or_b64 exec, exec, s[10:11]
	s_and_saveexec_b64 s[8:9], s[6:7]
	s_cbranch_execnz .LBB264_270
.LBB264_215:
	s_or_b64 exec, exec, s[8:9]
	s_and_saveexec_b64 s[6:7], s[4:5]
	s_cbranch_execnz .LBB264_271
.LBB264_216:
	s_or_b64 exec, exec, s[6:7]
	s_and_saveexec_b64 s[4:5], s[2:3]
	s_cbranch_execz .LBB264_218
.LBB264_217:
	v_sub_u32_e32 v3, v22, v2
	v_lshlrev_b32_e32 v3, 2, v3
	ds_write_b32 v3, v23
.LBB264_218:
	s_or_b64 exec, exec, s[4:5]
	s_and_b64 s[36:37], s[0:1], exec
                                        ; implicit-def: $vgpr22_vgpr23
                                        ; implicit-def: $vgpr26_vgpr27
                                        ; implicit-def: $vgpr28_vgpr29
                                        ; implicit-def: $vgpr50_vgpr51
                                        ; implicit-def: $vgpr48_vgpr49
                                        ; implicit-def: $vgpr46_vgpr47
                                        ; implicit-def: $vgpr44_vgpr45
                                        ; implicit-def: $vgpr42_vgpr43
                                        ; implicit-def: $vgpr40_vgpr41
                                        ; implicit-def: $vgpr38_vgpr39
                                        ; implicit-def: $vgpr36_vgpr37
                                        ; implicit-def: $vgpr34_vgpr35
                                        ; implicit-def: $vgpr32_vgpr33
                                        ; implicit-def: $vgpr30_vgpr31
	s_andn2_saveexec_b64 s[0:1], s[34:35]
	s_cbranch_execz .LBB264_141
.LBB264_219:
	v_sub_u32_e32 v3, v50, v2
	v_lshlrev_b32_e32 v3, 2, v3
	ds_write_b32 v3, v51
	v_sub_u32_e32 v3, v48, v2
	v_lshlrev_b32_e32 v3, 2, v3
	ds_write_b32 v3, v49
	;; [unrolled: 3-line block ×13, first 2 shown]
	v_sub_u32_e32 v3, v22, v2
	v_lshlrev_b32_e32 v3, 2, v3
	s_or_b64 s[36:37], s[36:37], exec
	ds_write_b32 v3, v23
	s_or_b64 exec, exec, s[0:1]
	s_and_b64 exec, exec, s[36:37]
	s_cbranch_execnz .LBB264_142
	s_branch .LBB264_143
.LBB264_220:
	v_sub_u32_e32 v3, v50, v18
	v_readfirstlane_b32 s44, v54
	v_readfirstlane_b32 s45, v17
	s_nop 4
	global_store_byte v3, v8, s[44:45]
	s_or_b64 exec, exec, s[38:39]
	s_and_saveexec_b64 s[38:39], s[28:29]
	s_cbranch_execz .LBB264_154
.LBB264_221:
	v_sub_u32_e32 v3, v48, v18
	v_readfirstlane_b32 s44, v54
	v_readfirstlane_b32 s45, v17
	s_nop 4
	global_store_byte v3, v67, s[44:45]
	s_or_b64 exec, exec, s[38:39]
	s_and_saveexec_b64 s[38:39], s[26:27]
	s_cbranch_execz .LBB264_155
.LBB264_222:
	v_sub_u32_e32 v3, v46, v18
	v_readfirstlane_b32 s44, v54
	v_readfirstlane_b32 s45, v17
	s_nop 4
	global_store_byte v3, v65, s[44:45]
	s_or_b64 exec, exec, s[38:39]
	s_and_saveexec_b64 s[38:39], s[24:25]
	s_cbranch_execz .LBB264_156
.LBB264_223:
	v_sub_u32_e32 v3, v44, v18
	v_readfirstlane_b32 s44, v54
	v_readfirstlane_b32 s45, v17
	s_nop 4
	global_store_byte v3, v64, s[44:45]
	s_or_b64 exec, exec, s[38:39]
	s_and_saveexec_b64 s[38:39], s[22:23]
	s_cbranch_execz .LBB264_157
.LBB264_224:
	v_sub_u32_e32 v3, v42, v18
	v_readfirstlane_b32 s44, v54
	v_readfirstlane_b32 s45, v17
	s_nop 4
	global_store_byte v3, v9, s[44:45]
	s_or_b64 exec, exec, s[38:39]
	s_and_saveexec_b64 s[38:39], s[20:21]
	s_cbranch_execz .LBB264_158
.LBB264_225:
	v_sub_u32_e32 v3, v40, v18
	v_readfirstlane_b32 s44, v54
	v_readfirstlane_b32 s45, v17
	s_nop 4
	global_store_byte v3, v61, s[44:45]
	s_or_b64 exec, exec, s[38:39]
	s_and_saveexec_b64 s[38:39], s[18:19]
	s_cbranch_execz .LBB264_159
.LBB264_226:
	v_sub_u32_e32 v3, v38, v18
	v_readfirstlane_b32 s44, v54
	v_readfirstlane_b32 s45, v17
	s_nop 4
	global_store_byte v3, v60, s[44:45]
	s_or_b64 exec, exec, s[38:39]
	s_and_saveexec_b64 s[38:39], s[16:17]
	s_cbranch_execz .LBB264_160
.LBB264_227:
	v_sub_u32_e32 v3, v36, v18
	v_readfirstlane_b32 s44, v54
	v_readfirstlane_b32 s45, v17
	s_nop 4
	global_store_byte v3, v59, s[44:45]
	s_or_b64 exec, exec, s[38:39]
	s_and_saveexec_b64 s[38:39], s[14:15]
	s_cbranch_execz .LBB264_161
.LBB264_228:
	v_sub_u32_e32 v3, v34, v18
	v_readfirstlane_b32 s44, v54
	v_readfirstlane_b32 s45, v17
	s_nop 4
	global_store_byte v3, v10, s[44:45]
	s_or_b64 exec, exec, s[38:39]
	s_and_saveexec_b64 s[38:39], s[12:13]
	s_cbranch_execz .LBB264_162
.LBB264_229:
	v_sub_u32_e32 v3, v32, v18
	v_readfirstlane_b32 s44, v54
	v_readfirstlane_b32 s45, v17
	s_nop 4
	global_store_byte v3, v58, s[44:45]
	s_or_b64 exec, exec, s[38:39]
	s_and_saveexec_b64 s[38:39], s[10:11]
	s_cbranch_execz .LBB264_163
.LBB264_230:
	v_sub_u32_e32 v3, v30, v18
	v_readfirstlane_b32 s44, v54
	v_readfirstlane_b32 s45, v17
	s_nop 4
	global_store_byte v3, v57, s[44:45]
	s_or_b64 exec, exec, s[38:39]
	s_and_saveexec_b64 s[38:39], s[8:9]
	s_cbranch_execz .LBB264_164
.LBB264_231:
	v_sub_u32_e32 v3, v28, v18
	v_readfirstlane_b32 s44, v54
	v_readfirstlane_b32 s45, v17
	s_nop 4
	global_store_byte v3, v56, s[44:45]
	s_or_b64 exec, exec, s[38:39]
	s_and_saveexec_b64 s[38:39], s[6:7]
	s_cbranch_execz .LBB264_165
.LBB264_232:
	v_sub_u32_e32 v3, v26, v18
	v_readfirstlane_b32 s44, v54
	v_readfirstlane_b32 s45, v17
	s_nop 4
	global_store_byte v3, v55, s[44:45]
	s_or_b64 exec, exec, s[38:39]
	s_and_saveexec_b64 s[38:39], s[4:5]
	s_cbranch_execnz .LBB264_166
	s_branch .LBB264_167
.LBB264_233:
	v_sub_u32_e32 v2, v50, v18
	ds_write_b8 v2, v8
	s_or_b64 exec, exec, s[38:39]
	s_and_saveexec_b64 s[30:31], s[28:29]
	s_cbranch_execz .LBB264_171
.LBB264_234:
	v_sub_u32_e32 v2, v48, v18
	ds_write_b8 v2, v67
	s_or_b64 exec, exec, s[30:31]
	s_and_saveexec_b64 s[28:29], s[26:27]
	s_cbranch_execz .LBB264_172
.LBB264_235:
	v_sub_u32_e32 v2, v46, v18
	ds_write_b8 v2, v65
	s_or_b64 exec, exec, s[28:29]
	s_and_saveexec_b64 s[26:27], s[24:25]
	s_cbranch_execz .LBB264_173
.LBB264_236:
	v_sub_u32_e32 v2, v44, v18
	ds_write_b8 v2, v64
	s_or_b64 exec, exec, s[26:27]
	s_and_saveexec_b64 s[24:25], s[22:23]
	s_cbranch_execz .LBB264_174
.LBB264_237:
	v_sub_u32_e32 v2, v42, v18
	ds_write_b8 v2, v9
	s_or_b64 exec, exec, s[24:25]
	s_and_saveexec_b64 s[22:23], s[20:21]
	s_cbranch_execz .LBB264_175
.LBB264_238:
	v_sub_u32_e32 v2, v40, v18
	ds_write_b8 v2, v61
	s_or_b64 exec, exec, s[22:23]
	s_and_saveexec_b64 s[20:21], s[18:19]
	s_cbranch_execz .LBB264_176
.LBB264_239:
	v_sub_u32_e32 v2, v38, v18
	ds_write_b8 v2, v60
	s_or_b64 exec, exec, s[20:21]
	s_and_saveexec_b64 s[18:19], s[16:17]
	s_cbranch_execz .LBB264_177
.LBB264_240:
	v_sub_u32_e32 v2, v36, v18
	ds_write_b8 v2, v59
	s_or_b64 exec, exec, s[18:19]
	s_and_saveexec_b64 s[16:17], s[14:15]
	s_cbranch_execz .LBB264_178
.LBB264_241:
	v_sub_u32_e32 v2, v34, v18
	ds_write_b8 v2, v10
	s_or_b64 exec, exec, s[16:17]
	s_and_saveexec_b64 s[14:15], s[12:13]
	s_cbranch_execz .LBB264_179
.LBB264_242:
	v_sub_u32_e32 v2, v32, v18
	ds_write_b8 v2, v58
	s_or_b64 exec, exec, s[14:15]
	s_and_saveexec_b64 s[12:13], s[10:11]
	s_cbranch_execz .LBB264_180
.LBB264_243:
	v_sub_u32_e32 v2, v30, v18
	ds_write_b8 v2, v57
	s_or_b64 exec, exec, s[12:13]
	s_and_saveexec_b64 s[10:11], s[8:9]
	s_cbranch_execz .LBB264_181
.LBB264_244:
	v_sub_u32_e32 v2, v28, v18
	ds_write_b8 v2, v56
	s_or_b64 exec, exec, s[10:11]
	s_and_saveexec_b64 s[8:9], s[6:7]
	s_cbranch_execz .LBB264_182
.LBB264_245:
	v_sub_u32_e32 v2, v26, v18
	ds_write_b8 v2, v55
	s_or_b64 exec, exec, s[8:9]
	s_and_saveexec_b64 s[6:7], s[4:5]
	s_cbranch_execnz .LBB264_183
	s_branch .LBB264_184
.LBB264_246:
	v_sub_u32_e32 v8, v50, v2
	v_mov_b32_e32 v9, 0
	v_lshlrev_b64 v[10:11], 3, v[8:9]
	v_add_co_u32_e32 v10, vcc, v6, v10
	v_addc_co_u32_e32 v11, vcc, v7, v11, vcc
	v_mov_b32_e32 v8, v51
	global_store_dwordx2 v[10:11], v[8:9], off
	s_or_b64 exec, exec, s[36:37]
	s_and_saveexec_b64 s[36:37], s[26:27]
	s_cbranch_execz .LBB264_188
.LBB264_247:
	v_sub_u32_e32 v8, v48, v2
	v_mov_b32_e32 v9, 0
	v_lshlrev_b64 v[10:11], 3, v[8:9]
	v_add_co_u32_e32 v10, vcc, v6, v10
	v_addc_co_u32_e32 v11, vcc, v7, v11, vcc
	v_mov_b32_e32 v8, v49
	global_store_dwordx2 v[10:11], v[8:9], off
	s_or_b64 exec, exec, s[36:37]
	s_and_saveexec_b64 s[36:37], s[24:25]
	s_cbranch_execz .LBB264_189
.LBB264_248:
	v_sub_u32_e32 v8, v46, v2
	v_mov_b32_e32 v9, 0
	v_lshlrev_b64 v[10:11], 3, v[8:9]
	v_add_co_u32_e32 v10, vcc, v6, v10
	v_addc_co_u32_e32 v11, vcc, v7, v11, vcc
	v_mov_b32_e32 v8, v47
	global_store_dwordx2 v[10:11], v[8:9], off
	s_or_b64 exec, exec, s[36:37]
	s_and_saveexec_b64 s[36:37], s[22:23]
	s_cbranch_execz .LBB264_190
.LBB264_249:
	v_sub_u32_e32 v8, v44, v2
	v_mov_b32_e32 v9, 0
	v_lshlrev_b64 v[10:11], 3, v[8:9]
	v_add_co_u32_e32 v10, vcc, v6, v10
	v_addc_co_u32_e32 v11, vcc, v7, v11, vcc
	v_mov_b32_e32 v8, v45
	global_store_dwordx2 v[10:11], v[8:9], off
	s_or_b64 exec, exec, s[36:37]
	s_and_saveexec_b64 s[36:37], s[20:21]
	s_cbranch_execz .LBB264_191
.LBB264_250:
	v_sub_u32_e32 v8, v42, v2
	v_mov_b32_e32 v9, 0
	v_lshlrev_b64 v[10:11], 3, v[8:9]
	v_add_co_u32_e32 v10, vcc, v6, v10
	v_addc_co_u32_e32 v11, vcc, v7, v11, vcc
	v_mov_b32_e32 v8, v43
	global_store_dwordx2 v[10:11], v[8:9], off
	s_or_b64 exec, exec, s[36:37]
	s_and_saveexec_b64 s[36:37], s[18:19]
	s_cbranch_execz .LBB264_192
.LBB264_251:
	v_sub_u32_e32 v8, v40, v2
	v_mov_b32_e32 v9, 0
	v_lshlrev_b64 v[10:11], 3, v[8:9]
	v_add_co_u32_e32 v10, vcc, v6, v10
	v_addc_co_u32_e32 v11, vcc, v7, v11, vcc
	v_mov_b32_e32 v8, v41
	global_store_dwordx2 v[10:11], v[8:9], off
	s_or_b64 exec, exec, s[36:37]
	s_and_saveexec_b64 s[36:37], s[16:17]
	s_cbranch_execz .LBB264_193
.LBB264_252:
	v_sub_u32_e32 v8, v38, v2
	v_mov_b32_e32 v9, 0
	v_lshlrev_b64 v[10:11], 3, v[8:9]
	v_add_co_u32_e32 v10, vcc, v6, v10
	v_addc_co_u32_e32 v11, vcc, v7, v11, vcc
	v_mov_b32_e32 v8, v39
	global_store_dwordx2 v[10:11], v[8:9], off
	s_or_b64 exec, exec, s[36:37]
	s_and_saveexec_b64 s[36:37], s[14:15]
	s_cbranch_execz .LBB264_194
.LBB264_253:
	v_sub_u32_e32 v8, v36, v2
	v_mov_b32_e32 v9, 0
	v_lshlrev_b64 v[10:11], 3, v[8:9]
	v_add_co_u32_e32 v10, vcc, v6, v10
	v_addc_co_u32_e32 v11, vcc, v7, v11, vcc
	v_mov_b32_e32 v8, v37
	global_store_dwordx2 v[10:11], v[8:9], off
	s_or_b64 exec, exec, s[36:37]
	s_and_saveexec_b64 s[36:37], s[12:13]
	s_cbranch_execz .LBB264_195
.LBB264_254:
	v_sub_u32_e32 v8, v34, v2
	v_mov_b32_e32 v9, 0
	v_lshlrev_b64 v[10:11], 3, v[8:9]
	v_add_co_u32_e32 v10, vcc, v6, v10
	v_addc_co_u32_e32 v11, vcc, v7, v11, vcc
	v_mov_b32_e32 v8, v35
	global_store_dwordx2 v[10:11], v[8:9], off
	s_or_b64 exec, exec, s[36:37]
	s_and_saveexec_b64 s[36:37], s[10:11]
	s_cbranch_execz .LBB264_196
.LBB264_255:
	v_sub_u32_e32 v8, v32, v2
	v_mov_b32_e32 v9, 0
	v_lshlrev_b64 v[10:11], 3, v[8:9]
	v_add_co_u32_e32 v10, vcc, v6, v10
	v_addc_co_u32_e32 v11, vcc, v7, v11, vcc
	v_mov_b32_e32 v8, v33
	global_store_dwordx2 v[10:11], v[8:9], off
	s_or_b64 exec, exec, s[36:37]
	s_and_saveexec_b64 s[36:37], s[8:9]
	s_cbranch_execz .LBB264_197
.LBB264_256:
	v_sub_u32_e32 v8, v30, v2
	v_mov_b32_e32 v9, 0
	v_lshlrev_b64 v[10:11], 3, v[8:9]
	v_add_co_u32_e32 v10, vcc, v6, v10
	v_addc_co_u32_e32 v11, vcc, v7, v11, vcc
	v_mov_b32_e32 v8, v31
	global_store_dwordx2 v[10:11], v[8:9], off
	s_or_b64 exec, exec, s[36:37]
	s_and_saveexec_b64 s[36:37], s[6:7]
	s_cbranch_execz .LBB264_198
.LBB264_257:
	v_sub_u32_e32 v8, v28, v2
	v_mov_b32_e32 v9, 0
	v_lshlrev_b64 v[10:11], 3, v[8:9]
	v_add_co_u32_e32 v10, vcc, v6, v10
	v_addc_co_u32_e32 v11, vcc, v7, v11, vcc
	v_mov_b32_e32 v8, v29
	global_store_dwordx2 v[10:11], v[8:9], off
	s_or_b64 exec, exec, s[36:37]
	s_and_saveexec_b64 s[36:37], s[4:5]
	s_cbranch_execz .LBB264_199
.LBB264_258:
	v_sub_u32_e32 v8, v26, v2
	v_mov_b32_e32 v9, 0
	v_lshlrev_b64 v[10:11], 3, v[8:9]
	v_add_co_u32_e32 v10, vcc, v6, v10
	v_addc_co_u32_e32 v11, vcc, v7, v11, vcc
	v_mov_b32_e32 v8, v27
	global_store_dwordx2 v[10:11], v[8:9], off
	s_or_b64 exec, exec, s[36:37]
	s_and_saveexec_b64 s[36:37], s[2:3]
	s_cbranch_execnz .LBB264_200
	s_branch .LBB264_201
.LBB264_259:
	v_sub_u32_e32 v3, v50, v2
	v_lshlrev_b32_e32 v3, 2, v3
	ds_write_b32 v3, v51
	s_or_b64 exec, exec, s[36:37]
	s_and_saveexec_b64 s[28:29], s[26:27]
	s_cbranch_execz .LBB264_205
.LBB264_260:
	v_sub_u32_e32 v3, v48, v2
	v_lshlrev_b32_e32 v3, 2, v3
	ds_write_b32 v3, v49
	s_or_b64 exec, exec, s[28:29]
	s_and_saveexec_b64 s[26:27], s[24:25]
	s_cbranch_execz .LBB264_206
.LBB264_261:
	v_sub_u32_e32 v3, v46, v2
	v_lshlrev_b32_e32 v3, 2, v3
	ds_write_b32 v3, v47
	s_or_b64 exec, exec, s[26:27]
	s_and_saveexec_b64 s[24:25], s[22:23]
	s_cbranch_execz .LBB264_207
.LBB264_262:
	v_sub_u32_e32 v3, v44, v2
	v_lshlrev_b32_e32 v3, 2, v3
	ds_write_b32 v3, v45
	s_or_b64 exec, exec, s[24:25]
	s_and_saveexec_b64 s[22:23], s[20:21]
	s_cbranch_execz .LBB264_208
.LBB264_263:
	v_sub_u32_e32 v3, v42, v2
	v_lshlrev_b32_e32 v3, 2, v3
	ds_write_b32 v3, v43
	s_or_b64 exec, exec, s[22:23]
	s_and_saveexec_b64 s[20:21], s[18:19]
	s_cbranch_execz .LBB264_209
.LBB264_264:
	v_sub_u32_e32 v3, v40, v2
	v_lshlrev_b32_e32 v3, 2, v3
	ds_write_b32 v3, v41
	s_or_b64 exec, exec, s[20:21]
	s_and_saveexec_b64 s[18:19], s[16:17]
	s_cbranch_execz .LBB264_210
.LBB264_265:
	v_sub_u32_e32 v3, v38, v2
	v_lshlrev_b32_e32 v3, 2, v3
	ds_write_b32 v3, v39
	s_or_b64 exec, exec, s[18:19]
	s_and_saveexec_b64 s[16:17], s[14:15]
	s_cbranch_execz .LBB264_211
.LBB264_266:
	v_sub_u32_e32 v3, v36, v2
	v_lshlrev_b32_e32 v3, 2, v3
	ds_write_b32 v3, v37
	s_or_b64 exec, exec, s[16:17]
	s_and_saveexec_b64 s[14:15], s[12:13]
	s_cbranch_execz .LBB264_212
.LBB264_267:
	v_sub_u32_e32 v3, v34, v2
	v_lshlrev_b32_e32 v3, 2, v3
	ds_write_b32 v3, v35
	s_or_b64 exec, exec, s[14:15]
	s_and_saveexec_b64 s[12:13], s[10:11]
	s_cbranch_execz .LBB264_213
.LBB264_268:
	v_sub_u32_e32 v3, v32, v2
	v_lshlrev_b32_e32 v3, 2, v3
	ds_write_b32 v3, v33
	s_or_b64 exec, exec, s[12:13]
	s_and_saveexec_b64 s[10:11], s[8:9]
	s_cbranch_execz .LBB264_214
.LBB264_269:
	v_sub_u32_e32 v3, v30, v2
	v_lshlrev_b32_e32 v3, 2, v3
	ds_write_b32 v3, v31
	s_or_b64 exec, exec, s[10:11]
	s_and_saveexec_b64 s[8:9], s[6:7]
	s_cbranch_execz .LBB264_215
.LBB264_270:
	v_sub_u32_e32 v3, v28, v2
	v_lshlrev_b32_e32 v3, 2, v3
	ds_write_b32 v3, v29
	s_or_b64 exec, exec, s[8:9]
	s_and_saveexec_b64 s[6:7], s[4:5]
	s_cbranch_execz .LBB264_216
.LBB264_271:
	v_sub_u32_e32 v3, v26, v2
	v_lshlrev_b32_e32 v3, 2, v3
	ds_write_b32 v3, v27
	s_or_b64 exec, exec, s[6:7]
	s_and_saveexec_b64 s[4:5], s[2:3]
	s_cbranch_execnz .LBB264_217
	s_branch .LBB264_218
	.section	.rodata,"a",@progbits
	.p2align	6, 0x0
	.amdhsa_kernel _ZN7rocprim17ROCPRIM_400000_NS6detail17trampoline_kernelINS0_14default_configENS1_33run_length_encode_config_selectorIajNS0_4plusIjEEEEZZNS1_33reduce_by_key_impl_wrapped_configILNS1_25lookback_scan_determinismE0ES3_S7_PKaNS0_17constant_iteratorIjlEEPaPlSF_S6_NS0_8equal_toIaEEEE10hipError_tPvRmT2_T3_mT4_T5_T6_T7_T8_P12ihipStream_tbENKUlT_T0_E_clISt17integral_constantIbLb0EESY_IbLb1EEEEDaSU_SV_EUlSU_E_NS1_11comp_targetILNS1_3genE4ELNS1_11target_archE910ELNS1_3gpuE8ELNS1_3repE0EEENS1_30default_config_static_selectorELNS0_4arch9wavefront6targetE1EEEvT1_
		.amdhsa_group_segment_fixed_size 15360
		.amdhsa_private_segment_fixed_size 0
		.amdhsa_kernarg_size 128
		.amdhsa_user_sgpr_count 6
		.amdhsa_user_sgpr_private_segment_buffer 1
		.amdhsa_user_sgpr_dispatch_ptr 0
		.amdhsa_user_sgpr_queue_ptr 0
		.amdhsa_user_sgpr_kernarg_segment_ptr 1
		.amdhsa_user_sgpr_dispatch_id 0
		.amdhsa_user_sgpr_flat_scratch_init 0
		.amdhsa_user_sgpr_kernarg_preload_length 0
		.amdhsa_user_sgpr_kernarg_preload_offset 0
		.amdhsa_user_sgpr_private_segment_size 0
		.amdhsa_uses_dynamic_stack 0
		.amdhsa_system_sgpr_private_segment_wavefront_offset 0
		.amdhsa_system_sgpr_workgroup_id_x 1
		.amdhsa_system_sgpr_workgroup_id_y 0
		.amdhsa_system_sgpr_workgroup_id_z 0
		.amdhsa_system_sgpr_workgroup_info 0
		.amdhsa_system_vgpr_workitem_id 0
		.amdhsa_next_free_vgpr 115
		.amdhsa_next_free_sgpr 66
		.amdhsa_accum_offset 116
		.amdhsa_reserve_vcc 1
		.amdhsa_reserve_flat_scratch 0
		.amdhsa_float_round_mode_32 0
		.amdhsa_float_round_mode_16_64 0
		.amdhsa_float_denorm_mode_32 3
		.amdhsa_float_denorm_mode_16_64 3
		.amdhsa_dx10_clamp 1
		.amdhsa_ieee_mode 1
		.amdhsa_fp16_overflow 0
		.amdhsa_tg_split 0
		.amdhsa_exception_fp_ieee_invalid_op 0
		.amdhsa_exception_fp_denorm_src 0
		.amdhsa_exception_fp_ieee_div_zero 0
		.amdhsa_exception_fp_ieee_overflow 0
		.amdhsa_exception_fp_ieee_underflow 0
		.amdhsa_exception_fp_ieee_inexact 0
		.amdhsa_exception_int_div_zero 0
	.end_amdhsa_kernel
	.section	.text._ZN7rocprim17ROCPRIM_400000_NS6detail17trampoline_kernelINS0_14default_configENS1_33run_length_encode_config_selectorIajNS0_4plusIjEEEEZZNS1_33reduce_by_key_impl_wrapped_configILNS1_25lookback_scan_determinismE0ES3_S7_PKaNS0_17constant_iteratorIjlEEPaPlSF_S6_NS0_8equal_toIaEEEE10hipError_tPvRmT2_T3_mT4_T5_T6_T7_T8_P12ihipStream_tbENKUlT_T0_E_clISt17integral_constantIbLb0EESY_IbLb1EEEEDaSU_SV_EUlSU_E_NS1_11comp_targetILNS1_3genE4ELNS1_11target_archE910ELNS1_3gpuE8ELNS1_3repE0EEENS1_30default_config_static_selectorELNS0_4arch9wavefront6targetE1EEEvT1_,"axG",@progbits,_ZN7rocprim17ROCPRIM_400000_NS6detail17trampoline_kernelINS0_14default_configENS1_33run_length_encode_config_selectorIajNS0_4plusIjEEEEZZNS1_33reduce_by_key_impl_wrapped_configILNS1_25lookback_scan_determinismE0ES3_S7_PKaNS0_17constant_iteratorIjlEEPaPlSF_S6_NS0_8equal_toIaEEEE10hipError_tPvRmT2_T3_mT4_T5_T6_T7_T8_P12ihipStream_tbENKUlT_T0_E_clISt17integral_constantIbLb0EESY_IbLb1EEEEDaSU_SV_EUlSU_E_NS1_11comp_targetILNS1_3genE4ELNS1_11target_archE910ELNS1_3gpuE8ELNS1_3repE0EEENS1_30default_config_static_selectorELNS0_4arch9wavefront6targetE1EEEvT1_,comdat
.Lfunc_end264:
	.size	_ZN7rocprim17ROCPRIM_400000_NS6detail17trampoline_kernelINS0_14default_configENS1_33run_length_encode_config_selectorIajNS0_4plusIjEEEEZZNS1_33reduce_by_key_impl_wrapped_configILNS1_25lookback_scan_determinismE0ES3_S7_PKaNS0_17constant_iteratorIjlEEPaPlSF_S6_NS0_8equal_toIaEEEE10hipError_tPvRmT2_T3_mT4_T5_T6_T7_T8_P12ihipStream_tbENKUlT_T0_E_clISt17integral_constantIbLb0EESY_IbLb1EEEEDaSU_SV_EUlSU_E_NS1_11comp_targetILNS1_3genE4ELNS1_11target_archE910ELNS1_3gpuE8ELNS1_3repE0EEENS1_30default_config_static_selectorELNS0_4arch9wavefront6targetE1EEEvT1_, .Lfunc_end264-_ZN7rocprim17ROCPRIM_400000_NS6detail17trampoline_kernelINS0_14default_configENS1_33run_length_encode_config_selectorIajNS0_4plusIjEEEEZZNS1_33reduce_by_key_impl_wrapped_configILNS1_25lookback_scan_determinismE0ES3_S7_PKaNS0_17constant_iteratorIjlEEPaPlSF_S6_NS0_8equal_toIaEEEE10hipError_tPvRmT2_T3_mT4_T5_T6_T7_T8_P12ihipStream_tbENKUlT_T0_E_clISt17integral_constantIbLb0EESY_IbLb1EEEEDaSU_SV_EUlSU_E_NS1_11comp_targetILNS1_3genE4ELNS1_11target_archE910ELNS1_3gpuE8ELNS1_3repE0EEENS1_30default_config_static_selectorELNS0_4arch9wavefront6targetE1EEEvT1_
                                        ; -- End function
	.section	.AMDGPU.csdata,"",@progbits
; Kernel info:
; codeLenInByte = 14804
; NumSgprs: 70
; NumVgprs: 115
; NumAgprs: 0
; TotalNumVgprs: 115
; ScratchSize: 0
; MemoryBound: 0
; FloatMode: 240
; IeeeMode: 1
; LDSByteSize: 15360 bytes/workgroup (compile time only)
; SGPRBlocks: 8
; VGPRBlocks: 14
; NumSGPRsForWavesPerEU: 70
; NumVGPRsForWavesPerEU: 115
; AccumOffset: 116
; Occupancy: 4
; WaveLimiterHint : 1
; COMPUTE_PGM_RSRC2:SCRATCH_EN: 0
; COMPUTE_PGM_RSRC2:USER_SGPR: 6
; COMPUTE_PGM_RSRC2:TRAP_HANDLER: 0
; COMPUTE_PGM_RSRC2:TGID_X_EN: 1
; COMPUTE_PGM_RSRC2:TGID_Y_EN: 0
; COMPUTE_PGM_RSRC2:TGID_Z_EN: 0
; COMPUTE_PGM_RSRC2:TIDIG_COMP_CNT: 0
; COMPUTE_PGM_RSRC3_GFX90A:ACCUM_OFFSET: 28
; COMPUTE_PGM_RSRC3_GFX90A:TG_SPLIT: 0
	.section	.text._ZN7rocprim17ROCPRIM_400000_NS6detail17trampoline_kernelINS0_14default_configENS1_33run_length_encode_config_selectorIajNS0_4plusIjEEEEZZNS1_33reduce_by_key_impl_wrapped_configILNS1_25lookback_scan_determinismE0ES3_S7_PKaNS0_17constant_iteratorIjlEEPaPlSF_S6_NS0_8equal_toIaEEEE10hipError_tPvRmT2_T3_mT4_T5_T6_T7_T8_P12ihipStream_tbENKUlT_T0_E_clISt17integral_constantIbLb0EESY_IbLb1EEEEDaSU_SV_EUlSU_E_NS1_11comp_targetILNS1_3genE3ELNS1_11target_archE908ELNS1_3gpuE7ELNS1_3repE0EEENS1_30default_config_static_selectorELNS0_4arch9wavefront6targetE1EEEvT1_,"axG",@progbits,_ZN7rocprim17ROCPRIM_400000_NS6detail17trampoline_kernelINS0_14default_configENS1_33run_length_encode_config_selectorIajNS0_4plusIjEEEEZZNS1_33reduce_by_key_impl_wrapped_configILNS1_25lookback_scan_determinismE0ES3_S7_PKaNS0_17constant_iteratorIjlEEPaPlSF_S6_NS0_8equal_toIaEEEE10hipError_tPvRmT2_T3_mT4_T5_T6_T7_T8_P12ihipStream_tbENKUlT_T0_E_clISt17integral_constantIbLb0EESY_IbLb1EEEEDaSU_SV_EUlSU_E_NS1_11comp_targetILNS1_3genE3ELNS1_11target_archE908ELNS1_3gpuE7ELNS1_3repE0EEENS1_30default_config_static_selectorELNS0_4arch9wavefront6targetE1EEEvT1_,comdat
	.protected	_ZN7rocprim17ROCPRIM_400000_NS6detail17trampoline_kernelINS0_14default_configENS1_33run_length_encode_config_selectorIajNS0_4plusIjEEEEZZNS1_33reduce_by_key_impl_wrapped_configILNS1_25lookback_scan_determinismE0ES3_S7_PKaNS0_17constant_iteratorIjlEEPaPlSF_S6_NS0_8equal_toIaEEEE10hipError_tPvRmT2_T3_mT4_T5_T6_T7_T8_P12ihipStream_tbENKUlT_T0_E_clISt17integral_constantIbLb0EESY_IbLb1EEEEDaSU_SV_EUlSU_E_NS1_11comp_targetILNS1_3genE3ELNS1_11target_archE908ELNS1_3gpuE7ELNS1_3repE0EEENS1_30default_config_static_selectorELNS0_4arch9wavefront6targetE1EEEvT1_ ; -- Begin function _ZN7rocprim17ROCPRIM_400000_NS6detail17trampoline_kernelINS0_14default_configENS1_33run_length_encode_config_selectorIajNS0_4plusIjEEEEZZNS1_33reduce_by_key_impl_wrapped_configILNS1_25lookback_scan_determinismE0ES3_S7_PKaNS0_17constant_iteratorIjlEEPaPlSF_S6_NS0_8equal_toIaEEEE10hipError_tPvRmT2_T3_mT4_T5_T6_T7_T8_P12ihipStream_tbENKUlT_T0_E_clISt17integral_constantIbLb0EESY_IbLb1EEEEDaSU_SV_EUlSU_E_NS1_11comp_targetILNS1_3genE3ELNS1_11target_archE908ELNS1_3gpuE7ELNS1_3repE0EEENS1_30default_config_static_selectorELNS0_4arch9wavefront6targetE1EEEvT1_
	.globl	_ZN7rocprim17ROCPRIM_400000_NS6detail17trampoline_kernelINS0_14default_configENS1_33run_length_encode_config_selectorIajNS0_4plusIjEEEEZZNS1_33reduce_by_key_impl_wrapped_configILNS1_25lookback_scan_determinismE0ES3_S7_PKaNS0_17constant_iteratorIjlEEPaPlSF_S6_NS0_8equal_toIaEEEE10hipError_tPvRmT2_T3_mT4_T5_T6_T7_T8_P12ihipStream_tbENKUlT_T0_E_clISt17integral_constantIbLb0EESY_IbLb1EEEEDaSU_SV_EUlSU_E_NS1_11comp_targetILNS1_3genE3ELNS1_11target_archE908ELNS1_3gpuE7ELNS1_3repE0EEENS1_30default_config_static_selectorELNS0_4arch9wavefront6targetE1EEEvT1_
	.p2align	8
	.type	_ZN7rocprim17ROCPRIM_400000_NS6detail17trampoline_kernelINS0_14default_configENS1_33run_length_encode_config_selectorIajNS0_4plusIjEEEEZZNS1_33reduce_by_key_impl_wrapped_configILNS1_25lookback_scan_determinismE0ES3_S7_PKaNS0_17constant_iteratorIjlEEPaPlSF_S6_NS0_8equal_toIaEEEE10hipError_tPvRmT2_T3_mT4_T5_T6_T7_T8_P12ihipStream_tbENKUlT_T0_E_clISt17integral_constantIbLb0EESY_IbLb1EEEEDaSU_SV_EUlSU_E_NS1_11comp_targetILNS1_3genE3ELNS1_11target_archE908ELNS1_3gpuE7ELNS1_3repE0EEENS1_30default_config_static_selectorELNS0_4arch9wavefront6targetE1EEEvT1_,@function
_ZN7rocprim17ROCPRIM_400000_NS6detail17trampoline_kernelINS0_14default_configENS1_33run_length_encode_config_selectorIajNS0_4plusIjEEEEZZNS1_33reduce_by_key_impl_wrapped_configILNS1_25lookback_scan_determinismE0ES3_S7_PKaNS0_17constant_iteratorIjlEEPaPlSF_S6_NS0_8equal_toIaEEEE10hipError_tPvRmT2_T3_mT4_T5_T6_T7_T8_P12ihipStream_tbENKUlT_T0_E_clISt17integral_constantIbLb0EESY_IbLb1EEEEDaSU_SV_EUlSU_E_NS1_11comp_targetILNS1_3genE3ELNS1_11target_archE908ELNS1_3gpuE7ELNS1_3repE0EEENS1_30default_config_static_selectorELNS0_4arch9wavefront6targetE1EEEvT1_: ; @_ZN7rocprim17ROCPRIM_400000_NS6detail17trampoline_kernelINS0_14default_configENS1_33run_length_encode_config_selectorIajNS0_4plusIjEEEEZZNS1_33reduce_by_key_impl_wrapped_configILNS1_25lookback_scan_determinismE0ES3_S7_PKaNS0_17constant_iteratorIjlEEPaPlSF_S6_NS0_8equal_toIaEEEE10hipError_tPvRmT2_T3_mT4_T5_T6_T7_T8_P12ihipStream_tbENKUlT_T0_E_clISt17integral_constantIbLb0EESY_IbLb1EEEEDaSU_SV_EUlSU_E_NS1_11comp_targetILNS1_3genE3ELNS1_11target_archE908ELNS1_3gpuE7ELNS1_3repE0EEENS1_30default_config_static_selectorELNS0_4arch9wavefront6targetE1EEEvT1_
; %bb.0:
	.section	.rodata,"a",@progbits
	.p2align	6, 0x0
	.amdhsa_kernel _ZN7rocprim17ROCPRIM_400000_NS6detail17trampoline_kernelINS0_14default_configENS1_33run_length_encode_config_selectorIajNS0_4plusIjEEEEZZNS1_33reduce_by_key_impl_wrapped_configILNS1_25lookback_scan_determinismE0ES3_S7_PKaNS0_17constant_iteratorIjlEEPaPlSF_S6_NS0_8equal_toIaEEEE10hipError_tPvRmT2_T3_mT4_T5_T6_T7_T8_P12ihipStream_tbENKUlT_T0_E_clISt17integral_constantIbLb0EESY_IbLb1EEEEDaSU_SV_EUlSU_E_NS1_11comp_targetILNS1_3genE3ELNS1_11target_archE908ELNS1_3gpuE7ELNS1_3repE0EEENS1_30default_config_static_selectorELNS0_4arch9wavefront6targetE1EEEvT1_
		.amdhsa_group_segment_fixed_size 0
		.amdhsa_private_segment_fixed_size 0
		.amdhsa_kernarg_size 128
		.amdhsa_user_sgpr_count 6
		.amdhsa_user_sgpr_private_segment_buffer 1
		.amdhsa_user_sgpr_dispatch_ptr 0
		.amdhsa_user_sgpr_queue_ptr 0
		.amdhsa_user_sgpr_kernarg_segment_ptr 1
		.amdhsa_user_sgpr_dispatch_id 0
		.amdhsa_user_sgpr_flat_scratch_init 0
		.amdhsa_user_sgpr_kernarg_preload_length 0
		.amdhsa_user_sgpr_kernarg_preload_offset 0
		.amdhsa_user_sgpr_private_segment_size 0
		.amdhsa_uses_dynamic_stack 0
		.amdhsa_system_sgpr_private_segment_wavefront_offset 0
		.amdhsa_system_sgpr_workgroup_id_x 1
		.amdhsa_system_sgpr_workgroup_id_y 0
		.amdhsa_system_sgpr_workgroup_id_z 0
		.amdhsa_system_sgpr_workgroup_info 0
		.amdhsa_system_vgpr_workitem_id 0
		.amdhsa_next_free_vgpr 1
		.amdhsa_next_free_sgpr 0
		.amdhsa_accum_offset 4
		.amdhsa_reserve_vcc 0
		.amdhsa_reserve_flat_scratch 0
		.amdhsa_float_round_mode_32 0
		.amdhsa_float_round_mode_16_64 0
		.amdhsa_float_denorm_mode_32 3
		.amdhsa_float_denorm_mode_16_64 3
		.amdhsa_dx10_clamp 1
		.amdhsa_ieee_mode 1
		.amdhsa_fp16_overflow 0
		.amdhsa_tg_split 0
		.amdhsa_exception_fp_ieee_invalid_op 0
		.amdhsa_exception_fp_denorm_src 0
		.amdhsa_exception_fp_ieee_div_zero 0
		.amdhsa_exception_fp_ieee_overflow 0
		.amdhsa_exception_fp_ieee_underflow 0
		.amdhsa_exception_fp_ieee_inexact 0
		.amdhsa_exception_int_div_zero 0
	.end_amdhsa_kernel
	.section	.text._ZN7rocprim17ROCPRIM_400000_NS6detail17trampoline_kernelINS0_14default_configENS1_33run_length_encode_config_selectorIajNS0_4plusIjEEEEZZNS1_33reduce_by_key_impl_wrapped_configILNS1_25lookback_scan_determinismE0ES3_S7_PKaNS0_17constant_iteratorIjlEEPaPlSF_S6_NS0_8equal_toIaEEEE10hipError_tPvRmT2_T3_mT4_T5_T6_T7_T8_P12ihipStream_tbENKUlT_T0_E_clISt17integral_constantIbLb0EESY_IbLb1EEEEDaSU_SV_EUlSU_E_NS1_11comp_targetILNS1_3genE3ELNS1_11target_archE908ELNS1_3gpuE7ELNS1_3repE0EEENS1_30default_config_static_selectorELNS0_4arch9wavefront6targetE1EEEvT1_,"axG",@progbits,_ZN7rocprim17ROCPRIM_400000_NS6detail17trampoline_kernelINS0_14default_configENS1_33run_length_encode_config_selectorIajNS0_4plusIjEEEEZZNS1_33reduce_by_key_impl_wrapped_configILNS1_25lookback_scan_determinismE0ES3_S7_PKaNS0_17constant_iteratorIjlEEPaPlSF_S6_NS0_8equal_toIaEEEE10hipError_tPvRmT2_T3_mT4_T5_T6_T7_T8_P12ihipStream_tbENKUlT_T0_E_clISt17integral_constantIbLb0EESY_IbLb1EEEEDaSU_SV_EUlSU_E_NS1_11comp_targetILNS1_3genE3ELNS1_11target_archE908ELNS1_3gpuE7ELNS1_3repE0EEENS1_30default_config_static_selectorELNS0_4arch9wavefront6targetE1EEEvT1_,comdat
.Lfunc_end265:
	.size	_ZN7rocprim17ROCPRIM_400000_NS6detail17trampoline_kernelINS0_14default_configENS1_33run_length_encode_config_selectorIajNS0_4plusIjEEEEZZNS1_33reduce_by_key_impl_wrapped_configILNS1_25lookback_scan_determinismE0ES3_S7_PKaNS0_17constant_iteratorIjlEEPaPlSF_S6_NS0_8equal_toIaEEEE10hipError_tPvRmT2_T3_mT4_T5_T6_T7_T8_P12ihipStream_tbENKUlT_T0_E_clISt17integral_constantIbLb0EESY_IbLb1EEEEDaSU_SV_EUlSU_E_NS1_11comp_targetILNS1_3genE3ELNS1_11target_archE908ELNS1_3gpuE7ELNS1_3repE0EEENS1_30default_config_static_selectorELNS0_4arch9wavefront6targetE1EEEvT1_, .Lfunc_end265-_ZN7rocprim17ROCPRIM_400000_NS6detail17trampoline_kernelINS0_14default_configENS1_33run_length_encode_config_selectorIajNS0_4plusIjEEEEZZNS1_33reduce_by_key_impl_wrapped_configILNS1_25lookback_scan_determinismE0ES3_S7_PKaNS0_17constant_iteratorIjlEEPaPlSF_S6_NS0_8equal_toIaEEEE10hipError_tPvRmT2_T3_mT4_T5_T6_T7_T8_P12ihipStream_tbENKUlT_T0_E_clISt17integral_constantIbLb0EESY_IbLb1EEEEDaSU_SV_EUlSU_E_NS1_11comp_targetILNS1_3genE3ELNS1_11target_archE908ELNS1_3gpuE7ELNS1_3repE0EEENS1_30default_config_static_selectorELNS0_4arch9wavefront6targetE1EEEvT1_
                                        ; -- End function
	.section	.AMDGPU.csdata,"",@progbits
; Kernel info:
; codeLenInByte = 0
; NumSgprs: 4
; NumVgprs: 0
; NumAgprs: 0
; TotalNumVgprs: 0
; ScratchSize: 0
; MemoryBound: 0
; FloatMode: 240
; IeeeMode: 1
; LDSByteSize: 0 bytes/workgroup (compile time only)
; SGPRBlocks: 0
; VGPRBlocks: 0
; NumSGPRsForWavesPerEU: 4
; NumVGPRsForWavesPerEU: 1
; AccumOffset: 4
; Occupancy: 8
; WaveLimiterHint : 0
; COMPUTE_PGM_RSRC2:SCRATCH_EN: 0
; COMPUTE_PGM_RSRC2:USER_SGPR: 6
; COMPUTE_PGM_RSRC2:TRAP_HANDLER: 0
; COMPUTE_PGM_RSRC2:TGID_X_EN: 1
; COMPUTE_PGM_RSRC2:TGID_Y_EN: 0
; COMPUTE_PGM_RSRC2:TGID_Z_EN: 0
; COMPUTE_PGM_RSRC2:TIDIG_COMP_CNT: 0
; COMPUTE_PGM_RSRC3_GFX90A:ACCUM_OFFSET: 0
; COMPUTE_PGM_RSRC3_GFX90A:TG_SPLIT: 0
	.section	.text._ZN7rocprim17ROCPRIM_400000_NS6detail17trampoline_kernelINS0_14default_configENS1_33run_length_encode_config_selectorIajNS0_4plusIjEEEEZZNS1_33reduce_by_key_impl_wrapped_configILNS1_25lookback_scan_determinismE0ES3_S7_PKaNS0_17constant_iteratorIjlEEPaPlSF_S6_NS0_8equal_toIaEEEE10hipError_tPvRmT2_T3_mT4_T5_T6_T7_T8_P12ihipStream_tbENKUlT_T0_E_clISt17integral_constantIbLb0EESY_IbLb1EEEEDaSU_SV_EUlSU_E_NS1_11comp_targetILNS1_3genE2ELNS1_11target_archE906ELNS1_3gpuE6ELNS1_3repE0EEENS1_30default_config_static_selectorELNS0_4arch9wavefront6targetE1EEEvT1_,"axG",@progbits,_ZN7rocprim17ROCPRIM_400000_NS6detail17trampoline_kernelINS0_14default_configENS1_33run_length_encode_config_selectorIajNS0_4plusIjEEEEZZNS1_33reduce_by_key_impl_wrapped_configILNS1_25lookback_scan_determinismE0ES3_S7_PKaNS0_17constant_iteratorIjlEEPaPlSF_S6_NS0_8equal_toIaEEEE10hipError_tPvRmT2_T3_mT4_T5_T6_T7_T8_P12ihipStream_tbENKUlT_T0_E_clISt17integral_constantIbLb0EESY_IbLb1EEEEDaSU_SV_EUlSU_E_NS1_11comp_targetILNS1_3genE2ELNS1_11target_archE906ELNS1_3gpuE6ELNS1_3repE0EEENS1_30default_config_static_selectorELNS0_4arch9wavefront6targetE1EEEvT1_,comdat
	.protected	_ZN7rocprim17ROCPRIM_400000_NS6detail17trampoline_kernelINS0_14default_configENS1_33run_length_encode_config_selectorIajNS0_4plusIjEEEEZZNS1_33reduce_by_key_impl_wrapped_configILNS1_25lookback_scan_determinismE0ES3_S7_PKaNS0_17constant_iteratorIjlEEPaPlSF_S6_NS0_8equal_toIaEEEE10hipError_tPvRmT2_T3_mT4_T5_T6_T7_T8_P12ihipStream_tbENKUlT_T0_E_clISt17integral_constantIbLb0EESY_IbLb1EEEEDaSU_SV_EUlSU_E_NS1_11comp_targetILNS1_3genE2ELNS1_11target_archE906ELNS1_3gpuE6ELNS1_3repE0EEENS1_30default_config_static_selectorELNS0_4arch9wavefront6targetE1EEEvT1_ ; -- Begin function _ZN7rocprim17ROCPRIM_400000_NS6detail17trampoline_kernelINS0_14default_configENS1_33run_length_encode_config_selectorIajNS0_4plusIjEEEEZZNS1_33reduce_by_key_impl_wrapped_configILNS1_25lookback_scan_determinismE0ES3_S7_PKaNS0_17constant_iteratorIjlEEPaPlSF_S6_NS0_8equal_toIaEEEE10hipError_tPvRmT2_T3_mT4_T5_T6_T7_T8_P12ihipStream_tbENKUlT_T0_E_clISt17integral_constantIbLb0EESY_IbLb1EEEEDaSU_SV_EUlSU_E_NS1_11comp_targetILNS1_3genE2ELNS1_11target_archE906ELNS1_3gpuE6ELNS1_3repE0EEENS1_30default_config_static_selectorELNS0_4arch9wavefront6targetE1EEEvT1_
	.globl	_ZN7rocprim17ROCPRIM_400000_NS6detail17trampoline_kernelINS0_14default_configENS1_33run_length_encode_config_selectorIajNS0_4plusIjEEEEZZNS1_33reduce_by_key_impl_wrapped_configILNS1_25lookback_scan_determinismE0ES3_S7_PKaNS0_17constant_iteratorIjlEEPaPlSF_S6_NS0_8equal_toIaEEEE10hipError_tPvRmT2_T3_mT4_T5_T6_T7_T8_P12ihipStream_tbENKUlT_T0_E_clISt17integral_constantIbLb0EESY_IbLb1EEEEDaSU_SV_EUlSU_E_NS1_11comp_targetILNS1_3genE2ELNS1_11target_archE906ELNS1_3gpuE6ELNS1_3repE0EEENS1_30default_config_static_selectorELNS0_4arch9wavefront6targetE1EEEvT1_
	.p2align	8
	.type	_ZN7rocprim17ROCPRIM_400000_NS6detail17trampoline_kernelINS0_14default_configENS1_33run_length_encode_config_selectorIajNS0_4plusIjEEEEZZNS1_33reduce_by_key_impl_wrapped_configILNS1_25lookback_scan_determinismE0ES3_S7_PKaNS0_17constant_iteratorIjlEEPaPlSF_S6_NS0_8equal_toIaEEEE10hipError_tPvRmT2_T3_mT4_T5_T6_T7_T8_P12ihipStream_tbENKUlT_T0_E_clISt17integral_constantIbLb0EESY_IbLb1EEEEDaSU_SV_EUlSU_E_NS1_11comp_targetILNS1_3genE2ELNS1_11target_archE906ELNS1_3gpuE6ELNS1_3repE0EEENS1_30default_config_static_selectorELNS0_4arch9wavefront6targetE1EEEvT1_,@function
_ZN7rocprim17ROCPRIM_400000_NS6detail17trampoline_kernelINS0_14default_configENS1_33run_length_encode_config_selectorIajNS0_4plusIjEEEEZZNS1_33reduce_by_key_impl_wrapped_configILNS1_25lookback_scan_determinismE0ES3_S7_PKaNS0_17constant_iteratorIjlEEPaPlSF_S6_NS0_8equal_toIaEEEE10hipError_tPvRmT2_T3_mT4_T5_T6_T7_T8_P12ihipStream_tbENKUlT_T0_E_clISt17integral_constantIbLb0EESY_IbLb1EEEEDaSU_SV_EUlSU_E_NS1_11comp_targetILNS1_3genE2ELNS1_11target_archE906ELNS1_3gpuE6ELNS1_3repE0EEENS1_30default_config_static_selectorELNS0_4arch9wavefront6targetE1EEEvT1_: ; @_ZN7rocprim17ROCPRIM_400000_NS6detail17trampoline_kernelINS0_14default_configENS1_33run_length_encode_config_selectorIajNS0_4plusIjEEEEZZNS1_33reduce_by_key_impl_wrapped_configILNS1_25lookback_scan_determinismE0ES3_S7_PKaNS0_17constant_iteratorIjlEEPaPlSF_S6_NS0_8equal_toIaEEEE10hipError_tPvRmT2_T3_mT4_T5_T6_T7_T8_P12ihipStream_tbENKUlT_T0_E_clISt17integral_constantIbLb0EESY_IbLb1EEEEDaSU_SV_EUlSU_E_NS1_11comp_targetILNS1_3genE2ELNS1_11target_archE906ELNS1_3gpuE6ELNS1_3repE0EEENS1_30default_config_static_selectorELNS0_4arch9wavefront6targetE1EEEvT1_
; %bb.0:
	.section	.rodata,"a",@progbits
	.p2align	6, 0x0
	.amdhsa_kernel _ZN7rocprim17ROCPRIM_400000_NS6detail17trampoline_kernelINS0_14default_configENS1_33run_length_encode_config_selectorIajNS0_4plusIjEEEEZZNS1_33reduce_by_key_impl_wrapped_configILNS1_25lookback_scan_determinismE0ES3_S7_PKaNS0_17constant_iteratorIjlEEPaPlSF_S6_NS0_8equal_toIaEEEE10hipError_tPvRmT2_T3_mT4_T5_T6_T7_T8_P12ihipStream_tbENKUlT_T0_E_clISt17integral_constantIbLb0EESY_IbLb1EEEEDaSU_SV_EUlSU_E_NS1_11comp_targetILNS1_3genE2ELNS1_11target_archE906ELNS1_3gpuE6ELNS1_3repE0EEENS1_30default_config_static_selectorELNS0_4arch9wavefront6targetE1EEEvT1_
		.amdhsa_group_segment_fixed_size 0
		.amdhsa_private_segment_fixed_size 0
		.amdhsa_kernarg_size 128
		.amdhsa_user_sgpr_count 6
		.amdhsa_user_sgpr_private_segment_buffer 1
		.amdhsa_user_sgpr_dispatch_ptr 0
		.amdhsa_user_sgpr_queue_ptr 0
		.amdhsa_user_sgpr_kernarg_segment_ptr 1
		.amdhsa_user_sgpr_dispatch_id 0
		.amdhsa_user_sgpr_flat_scratch_init 0
		.amdhsa_user_sgpr_kernarg_preload_length 0
		.amdhsa_user_sgpr_kernarg_preload_offset 0
		.amdhsa_user_sgpr_private_segment_size 0
		.amdhsa_uses_dynamic_stack 0
		.amdhsa_system_sgpr_private_segment_wavefront_offset 0
		.amdhsa_system_sgpr_workgroup_id_x 1
		.amdhsa_system_sgpr_workgroup_id_y 0
		.amdhsa_system_sgpr_workgroup_id_z 0
		.amdhsa_system_sgpr_workgroup_info 0
		.amdhsa_system_vgpr_workitem_id 0
		.amdhsa_next_free_vgpr 1
		.amdhsa_next_free_sgpr 0
		.amdhsa_accum_offset 4
		.amdhsa_reserve_vcc 0
		.amdhsa_reserve_flat_scratch 0
		.amdhsa_float_round_mode_32 0
		.amdhsa_float_round_mode_16_64 0
		.amdhsa_float_denorm_mode_32 3
		.amdhsa_float_denorm_mode_16_64 3
		.amdhsa_dx10_clamp 1
		.amdhsa_ieee_mode 1
		.amdhsa_fp16_overflow 0
		.amdhsa_tg_split 0
		.amdhsa_exception_fp_ieee_invalid_op 0
		.amdhsa_exception_fp_denorm_src 0
		.amdhsa_exception_fp_ieee_div_zero 0
		.amdhsa_exception_fp_ieee_overflow 0
		.amdhsa_exception_fp_ieee_underflow 0
		.amdhsa_exception_fp_ieee_inexact 0
		.amdhsa_exception_int_div_zero 0
	.end_amdhsa_kernel
	.section	.text._ZN7rocprim17ROCPRIM_400000_NS6detail17trampoline_kernelINS0_14default_configENS1_33run_length_encode_config_selectorIajNS0_4plusIjEEEEZZNS1_33reduce_by_key_impl_wrapped_configILNS1_25lookback_scan_determinismE0ES3_S7_PKaNS0_17constant_iteratorIjlEEPaPlSF_S6_NS0_8equal_toIaEEEE10hipError_tPvRmT2_T3_mT4_T5_T6_T7_T8_P12ihipStream_tbENKUlT_T0_E_clISt17integral_constantIbLb0EESY_IbLb1EEEEDaSU_SV_EUlSU_E_NS1_11comp_targetILNS1_3genE2ELNS1_11target_archE906ELNS1_3gpuE6ELNS1_3repE0EEENS1_30default_config_static_selectorELNS0_4arch9wavefront6targetE1EEEvT1_,"axG",@progbits,_ZN7rocprim17ROCPRIM_400000_NS6detail17trampoline_kernelINS0_14default_configENS1_33run_length_encode_config_selectorIajNS0_4plusIjEEEEZZNS1_33reduce_by_key_impl_wrapped_configILNS1_25lookback_scan_determinismE0ES3_S7_PKaNS0_17constant_iteratorIjlEEPaPlSF_S6_NS0_8equal_toIaEEEE10hipError_tPvRmT2_T3_mT4_T5_T6_T7_T8_P12ihipStream_tbENKUlT_T0_E_clISt17integral_constantIbLb0EESY_IbLb1EEEEDaSU_SV_EUlSU_E_NS1_11comp_targetILNS1_3genE2ELNS1_11target_archE906ELNS1_3gpuE6ELNS1_3repE0EEENS1_30default_config_static_selectorELNS0_4arch9wavefront6targetE1EEEvT1_,comdat
.Lfunc_end266:
	.size	_ZN7rocprim17ROCPRIM_400000_NS6detail17trampoline_kernelINS0_14default_configENS1_33run_length_encode_config_selectorIajNS0_4plusIjEEEEZZNS1_33reduce_by_key_impl_wrapped_configILNS1_25lookback_scan_determinismE0ES3_S7_PKaNS0_17constant_iteratorIjlEEPaPlSF_S6_NS0_8equal_toIaEEEE10hipError_tPvRmT2_T3_mT4_T5_T6_T7_T8_P12ihipStream_tbENKUlT_T0_E_clISt17integral_constantIbLb0EESY_IbLb1EEEEDaSU_SV_EUlSU_E_NS1_11comp_targetILNS1_3genE2ELNS1_11target_archE906ELNS1_3gpuE6ELNS1_3repE0EEENS1_30default_config_static_selectorELNS0_4arch9wavefront6targetE1EEEvT1_, .Lfunc_end266-_ZN7rocprim17ROCPRIM_400000_NS6detail17trampoline_kernelINS0_14default_configENS1_33run_length_encode_config_selectorIajNS0_4plusIjEEEEZZNS1_33reduce_by_key_impl_wrapped_configILNS1_25lookback_scan_determinismE0ES3_S7_PKaNS0_17constant_iteratorIjlEEPaPlSF_S6_NS0_8equal_toIaEEEE10hipError_tPvRmT2_T3_mT4_T5_T6_T7_T8_P12ihipStream_tbENKUlT_T0_E_clISt17integral_constantIbLb0EESY_IbLb1EEEEDaSU_SV_EUlSU_E_NS1_11comp_targetILNS1_3genE2ELNS1_11target_archE906ELNS1_3gpuE6ELNS1_3repE0EEENS1_30default_config_static_selectorELNS0_4arch9wavefront6targetE1EEEvT1_
                                        ; -- End function
	.section	.AMDGPU.csdata,"",@progbits
; Kernel info:
; codeLenInByte = 0
; NumSgprs: 4
; NumVgprs: 0
; NumAgprs: 0
; TotalNumVgprs: 0
; ScratchSize: 0
; MemoryBound: 0
; FloatMode: 240
; IeeeMode: 1
; LDSByteSize: 0 bytes/workgroup (compile time only)
; SGPRBlocks: 0
; VGPRBlocks: 0
; NumSGPRsForWavesPerEU: 4
; NumVGPRsForWavesPerEU: 1
; AccumOffset: 4
; Occupancy: 8
; WaveLimiterHint : 0
; COMPUTE_PGM_RSRC2:SCRATCH_EN: 0
; COMPUTE_PGM_RSRC2:USER_SGPR: 6
; COMPUTE_PGM_RSRC2:TRAP_HANDLER: 0
; COMPUTE_PGM_RSRC2:TGID_X_EN: 1
; COMPUTE_PGM_RSRC2:TGID_Y_EN: 0
; COMPUTE_PGM_RSRC2:TGID_Z_EN: 0
; COMPUTE_PGM_RSRC2:TIDIG_COMP_CNT: 0
; COMPUTE_PGM_RSRC3_GFX90A:ACCUM_OFFSET: 0
; COMPUTE_PGM_RSRC3_GFX90A:TG_SPLIT: 0
	.section	.text._ZN7rocprim17ROCPRIM_400000_NS6detail17trampoline_kernelINS0_14default_configENS1_33run_length_encode_config_selectorIajNS0_4plusIjEEEEZZNS1_33reduce_by_key_impl_wrapped_configILNS1_25lookback_scan_determinismE0ES3_S7_PKaNS0_17constant_iteratorIjlEEPaPlSF_S6_NS0_8equal_toIaEEEE10hipError_tPvRmT2_T3_mT4_T5_T6_T7_T8_P12ihipStream_tbENKUlT_T0_E_clISt17integral_constantIbLb0EESY_IbLb1EEEEDaSU_SV_EUlSU_E_NS1_11comp_targetILNS1_3genE10ELNS1_11target_archE1201ELNS1_3gpuE5ELNS1_3repE0EEENS1_30default_config_static_selectorELNS0_4arch9wavefront6targetE1EEEvT1_,"axG",@progbits,_ZN7rocprim17ROCPRIM_400000_NS6detail17trampoline_kernelINS0_14default_configENS1_33run_length_encode_config_selectorIajNS0_4plusIjEEEEZZNS1_33reduce_by_key_impl_wrapped_configILNS1_25lookback_scan_determinismE0ES3_S7_PKaNS0_17constant_iteratorIjlEEPaPlSF_S6_NS0_8equal_toIaEEEE10hipError_tPvRmT2_T3_mT4_T5_T6_T7_T8_P12ihipStream_tbENKUlT_T0_E_clISt17integral_constantIbLb0EESY_IbLb1EEEEDaSU_SV_EUlSU_E_NS1_11comp_targetILNS1_3genE10ELNS1_11target_archE1201ELNS1_3gpuE5ELNS1_3repE0EEENS1_30default_config_static_selectorELNS0_4arch9wavefront6targetE1EEEvT1_,comdat
	.protected	_ZN7rocprim17ROCPRIM_400000_NS6detail17trampoline_kernelINS0_14default_configENS1_33run_length_encode_config_selectorIajNS0_4plusIjEEEEZZNS1_33reduce_by_key_impl_wrapped_configILNS1_25lookback_scan_determinismE0ES3_S7_PKaNS0_17constant_iteratorIjlEEPaPlSF_S6_NS0_8equal_toIaEEEE10hipError_tPvRmT2_T3_mT4_T5_T6_T7_T8_P12ihipStream_tbENKUlT_T0_E_clISt17integral_constantIbLb0EESY_IbLb1EEEEDaSU_SV_EUlSU_E_NS1_11comp_targetILNS1_3genE10ELNS1_11target_archE1201ELNS1_3gpuE5ELNS1_3repE0EEENS1_30default_config_static_selectorELNS0_4arch9wavefront6targetE1EEEvT1_ ; -- Begin function _ZN7rocprim17ROCPRIM_400000_NS6detail17trampoline_kernelINS0_14default_configENS1_33run_length_encode_config_selectorIajNS0_4plusIjEEEEZZNS1_33reduce_by_key_impl_wrapped_configILNS1_25lookback_scan_determinismE0ES3_S7_PKaNS0_17constant_iteratorIjlEEPaPlSF_S6_NS0_8equal_toIaEEEE10hipError_tPvRmT2_T3_mT4_T5_T6_T7_T8_P12ihipStream_tbENKUlT_T0_E_clISt17integral_constantIbLb0EESY_IbLb1EEEEDaSU_SV_EUlSU_E_NS1_11comp_targetILNS1_3genE10ELNS1_11target_archE1201ELNS1_3gpuE5ELNS1_3repE0EEENS1_30default_config_static_selectorELNS0_4arch9wavefront6targetE1EEEvT1_
	.globl	_ZN7rocprim17ROCPRIM_400000_NS6detail17trampoline_kernelINS0_14default_configENS1_33run_length_encode_config_selectorIajNS0_4plusIjEEEEZZNS1_33reduce_by_key_impl_wrapped_configILNS1_25lookback_scan_determinismE0ES3_S7_PKaNS0_17constant_iteratorIjlEEPaPlSF_S6_NS0_8equal_toIaEEEE10hipError_tPvRmT2_T3_mT4_T5_T6_T7_T8_P12ihipStream_tbENKUlT_T0_E_clISt17integral_constantIbLb0EESY_IbLb1EEEEDaSU_SV_EUlSU_E_NS1_11comp_targetILNS1_3genE10ELNS1_11target_archE1201ELNS1_3gpuE5ELNS1_3repE0EEENS1_30default_config_static_selectorELNS0_4arch9wavefront6targetE1EEEvT1_
	.p2align	8
	.type	_ZN7rocprim17ROCPRIM_400000_NS6detail17trampoline_kernelINS0_14default_configENS1_33run_length_encode_config_selectorIajNS0_4plusIjEEEEZZNS1_33reduce_by_key_impl_wrapped_configILNS1_25lookback_scan_determinismE0ES3_S7_PKaNS0_17constant_iteratorIjlEEPaPlSF_S6_NS0_8equal_toIaEEEE10hipError_tPvRmT2_T3_mT4_T5_T6_T7_T8_P12ihipStream_tbENKUlT_T0_E_clISt17integral_constantIbLb0EESY_IbLb1EEEEDaSU_SV_EUlSU_E_NS1_11comp_targetILNS1_3genE10ELNS1_11target_archE1201ELNS1_3gpuE5ELNS1_3repE0EEENS1_30default_config_static_selectorELNS0_4arch9wavefront6targetE1EEEvT1_,@function
_ZN7rocprim17ROCPRIM_400000_NS6detail17trampoline_kernelINS0_14default_configENS1_33run_length_encode_config_selectorIajNS0_4plusIjEEEEZZNS1_33reduce_by_key_impl_wrapped_configILNS1_25lookback_scan_determinismE0ES3_S7_PKaNS0_17constant_iteratorIjlEEPaPlSF_S6_NS0_8equal_toIaEEEE10hipError_tPvRmT2_T3_mT4_T5_T6_T7_T8_P12ihipStream_tbENKUlT_T0_E_clISt17integral_constantIbLb0EESY_IbLb1EEEEDaSU_SV_EUlSU_E_NS1_11comp_targetILNS1_3genE10ELNS1_11target_archE1201ELNS1_3gpuE5ELNS1_3repE0EEENS1_30default_config_static_selectorELNS0_4arch9wavefront6targetE1EEEvT1_: ; @_ZN7rocprim17ROCPRIM_400000_NS6detail17trampoline_kernelINS0_14default_configENS1_33run_length_encode_config_selectorIajNS0_4plusIjEEEEZZNS1_33reduce_by_key_impl_wrapped_configILNS1_25lookback_scan_determinismE0ES3_S7_PKaNS0_17constant_iteratorIjlEEPaPlSF_S6_NS0_8equal_toIaEEEE10hipError_tPvRmT2_T3_mT4_T5_T6_T7_T8_P12ihipStream_tbENKUlT_T0_E_clISt17integral_constantIbLb0EESY_IbLb1EEEEDaSU_SV_EUlSU_E_NS1_11comp_targetILNS1_3genE10ELNS1_11target_archE1201ELNS1_3gpuE5ELNS1_3repE0EEENS1_30default_config_static_selectorELNS0_4arch9wavefront6targetE1EEEvT1_
; %bb.0:
	.section	.rodata,"a",@progbits
	.p2align	6, 0x0
	.amdhsa_kernel _ZN7rocprim17ROCPRIM_400000_NS6detail17trampoline_kernelINS0_14default_configENS1_33run_length_encode_config_selectorIajNS0_4plusIjEEEEZZNS1_33reduce_by_key_impl_wrapped_configILNS1_25lookback_scan_determinismE0ES3_S7_PKaNS0_17constant_iteratorIjlEEPaPlSF_S6_NS0_8equal_toIaEEEE10hipError_tPvRmT2_T3_mT4_T5_T6_T7_T8_P12ihipStream_tbENKUlT_T0_E_clISt17integral_constantIbLb0EESY_IbLb1EEEEDaSU_SV_EUlSU_E_NS1_11comp_targetILNS1_3genE10ELNS1_11target_archE1201ELNS1_3gpuE5ELNS1_3repE0EEENS1_30default_config_static_selectorELNS0_4arch9wavefront6targetE1EEEvT1_
		.amdhsa_group_segment_fixed_size 0
		.amdhsa_private_segment_fixed_size 0
		.amdhsa_kernarg_size 128
		.amdhsa_user_sgpr_count 6
		.amdhsa_user_sgpr_private_segment_buffer 1
		.amdhsa_user_sgpr_dispatch_ptr 0
		.amdhsa_user_sgpr_queue_ptr 0
		.amdhsa_user_sgpr_kernarg_segment_ptr 1
		.amdhsa_user_sgpr_dispatch_id 0
		.amdhsa_user_sgpr_flat_scratch_init 0
		.amdhsa_user_sgpr_kernarg_preload_length 0
		.amdhsa_user_sgpr_kernarg_preload_offset 0
		.amdhsa_user_sgpr_private_segment_size 0
		.amdhsa_uses_dynamic_stack 0
		.amdhsa_system_sgpr_private_segment_wavefront_offset 0
		.amdhsa_system_sgpr_workgroup_id_x 1
		.amdhsa_system_sgpr_workgroup_id_y 0
		.amdhsa_system_sgpr_workgroup_id_z 0
		.amdhsa_system_sgpr_workgroup_info 0
		.amdhsa_system_vgpr_workitem_id 0
		.amdhsa_next_free_vgpr 1
		.amdhsa_next_free_sgpr 0
		.amdhsa_accum_offset 4
		.amdhsa_reserve_vcc 0
		.amdhsa_reserve_flat_scratch 0
		.amdhsa_float_round_mode_32 0
		.amdhsa_float_round_mode_16_64 0
		.amdhsa_float_denorm_mode_32 3
		.amdhsa_float_denorm_mode_16_64 3
		.amdhsa_dx10_clamp 1
		.amdhsa_ieee_mode 1
		.amdhsa_fp16_overflow 0
		.amdhsa_tg_split 0
		.amdhsa_exception_fp_ieee_invalid_op 0
		.amdhsa_exception_fp_denorm_src 0
		.amdhsa_exception_fp_ieee_div_zero 0
		.amdhsa_exception_fp_ieee_overflow 0
		.amdhsa_exception_fp_ieee_underflow 0
		.amdhsa_exception_fp_ieee_inexact 0
		.amdhsa_exception_int_div_zero 0
	.end_amdhsa_kernel
	.section	.text._ZN7rocprim17ROCPRIM_400000_NS6detail17trampoline_kernelINS0_14default_configENS1_33run_length_encode_config_selectorIajNS0_4plusIjEEEEZZNS1_33reduce_by_key_impl_wrapped_configILNS1_25lookback_scan_determinismE0ES3_S7_PKaNS0_17constant_iteratorIjlEEPaPlSF_S6_NS0_8equal_toIaEEEE10hipError_tPvRmT2_T3_mT4_T5_T6_T7_T8_P12ihipStream_tbENKUlT_T0_E_clISt17integral_constantIbLb0EESY_IbLb1EEEEDaSU_SV_EUlSU_E_NS1_11comp_targetILNS1_3genE10ELNS1_11target_archE1201ELNS1_3gpuE5ELNS1_3repE0EEENS1_30default_config_static_selectorELNS0_4arch9wavefront6targetE1EEEvT1_,"axG",@progbits,_ZN7rocprim17ROCPRIM_400000_NS6detail17trampoline_kernelINS0_14default_configENS1_33run_length_encode_config_selectorIajNS0_4plusIjEEEEZZNS1_33reduce_by_key_impl_wrapped_configILNS1_25lookback_scan_determinismE0ES3_S7_PKaNS0_17constant_iteratorIjlEEPaPlSF_S6_NS0_8equal_toIaEEEE10hipError_tPvRmT2_T3_mT4_T5_T6_T7_T8_P12ihipStream_tbENKUlT_T0_E_clISt17integral_constantIbLb0EESY_IbLb1EEEEDaSU_SV_EUlSU_E_NS1_11comp_targetILNS1_3genE10ELNS1_11target_archE1201ELNS1_3gpuE5ELNS1_3repE0EEENS1_30default_config_static_selectorELNS0_4arch9wavefront6targetE1EEEvT1_,comdat
.Lfunc_end267:
	.size	_ZN7rocprim17ROCPRIM_400000_NS6detail17trampoline_kernelINS0_14default_configENS1_33run_length_encode_config_selectorIajNS0_4plusIjEEEEZZNS1_33reduce_by_key_impl_wrapped_configILNS1_25lookback_scan_determinismE0ES3_S7_PKaNS0_17constant_iteratorIjlEEPaPlSF_S6_NS0_8equal_toIaEEEE10hipError_tPvRmT2_T3_mT4_T5_T6_T7_T8_P12ihipStream_tbENKUlT_T0_E_clISt17integral_constantIbLb0EESY_IbLb1EEEEDaSU_SV_EUlSU_E_NS1_11comp_targetILNS1_3genE10ELNS1_11target_archE1201ELNS1_3gpuE5ELNS1_3repE0EEENS1_30default_config_static_selectorELNS0_4arch9wavefront6targetE1EEEvT1_, .Lfunc_end267-_ZN7rocprim17ROCPRIM_400000_NS6detail17trampoline_kernelINS0_14default_configENS1_33run_length_encode_config_selectorIajNS0_4plusIjEEEEZZNS1_33reduce_by_key_impl_wrapped_configILNS1_25lookback_scan_determinismE0ES3_S7_PKaNS0_17constant_iteratorIjlEEPaPlSF_S6_NS0_8equal_toIaEEEE10hipError_tPvRmT2_T3_mT4_T5_T6_T7_T8_P12ihipStream_tbENKUlT_T0_E_clISt17integral_constantIbLb0EESY_IbLb1EEEEDaSU_SV_EUlSU_E_NS1_11comp_targetILNS1_3genE10ELNS1_11target_archE1201ELNS1_3gpuE5ELNS1_3repE0EEENS1_30default_config_static_selectorELNS0_4arch9wavefront6targetE1EEEvT1_
                                        ; -- End function
	.section	.AMDGPU.csdata,"",@progbits
; Kernel info:
; codeLenInByte = 0
; NumSgprs: 4
; NumVgprs: 0
; NumAgprs: 0
; TotalNumVgprs: 0
; ScratchSize: 0
; MemoryBound: 0
; FloatMode: 240
; IeeeMode: 1
; LDSByteSize: 0 bytes/workgroup (compile time only)
; SGPRBlocks: 0
; VGPRBlocks: 0
; NumSGPRsForWavesPerEU: 4
; NumVGPRsForWavesPerEU: 1
; AccumOffset: 4
; Occupancy: 8
; WaveLimiterHint : 0
; COMPUTE_PGM_RSRC2:SCRATCH_EN: 0
; COMPUTE_PGM_RSRC2:USER_SGPR: 6
; COMPUTE_PGM_RSRC2:TRAP_HANDLER: 0
; COMPUTE_PGM_RSRC2:TGID_X_EN: 1
; COMPUTE_PGM_RSRC2:TGID_Y_EN: 0
; COMPUTE_PGM_RSRC2:TGID_Z_EN: 0
; COMPUTE_PGM_RSRC2:TIDIG_COMP_CNT: 0
; COMPUTE_PGM_RSRC3_GFX90A:ACCUM_OFFSET: 0
; COMPUTE_PGM_RSRC3_GFX90A:TG_SPLIT: 0
	.section	.text._ZN7rocprim17ROCPRIM_400000_NS6detail17trampoline_kernelINS0_14default_configENS1_33run_length_encode_config_selectorIajNS0_4plusIjEEEEZZNS1_33reduce_by_key_impl_wrapped_configILNS1_25lookback_scan_determinismE0ES3_S7_PKaNS0_17constant_iteratorIjlEEPaPlSF_S6_NS0_8equal_toIaEEEE10hipError_tPvRmT2_T3_mT4_T5_T6_T7_T8_P12ihipStream_tbENKUlT_T0_E_clISt17integral_constantIbLb0EESY_IbLb1EEEEDaSU_SV_EUlSU_E_NS1_11comp_targetILNS1_3genE10ELNS1_11target_archE1200ELNS1_3gpuE4ELNS1_3repE0EEENS1_30default_config_static_selectorELNS0_4arch9wavefront6targetE1EEEvT1_,"axG",@progbits,_ZN7rocprim17ROCPRIM_400000_NS6detail17trampoline_kernelINS0_14default_configENS1_33run_length_encode_config_selectorIajNS0_4plusIjEEEEZZNS1_33reduce_by_key_impl_wrapped_configILNS1_25lookback_scan_determinismE0ES3_S7_PKaNS0_17constant_iteratorIjlEEPaPlSF_S6_NS0_8equal_toIaEEEE10hipError_tPvRmT2_T3_mT4_T5_T6_T7_T8_P12ihipStream_tbENKUlT_T0_E_clISt17integral_constantIbLb0EESY_IbLb1EEEEDaSU_SV_EUlSU_E_NS1_11comp_targetILNS1_3genE10ELNS1_11target_archE1200ELNS1_3gpuE4ELNS1_3repE0EEENS1_30default_config_static_selectorELNS0_4arch9wavefront6targetE1EEEvT1_,comdat
	.protected	_ZN7rocprim17ROCPRIM_400000_NS6detail17trampoline_kernelINS0_14default_configENS1_33run_length_encode_config_selectorIajNS0_4plusIjEEEEZZNS1_33reduce_by_key_impl_wrapped_configILNS1_25lookback_scan_determinismE0ES3_S7_PKaNS0_17constant_iteratorIjlEEPaPlSF_S6_NS0_8equal_toIaEEEE10hipError_tPvRmT2_T3_mT4_T5_T6_T7_T8_P12ihipStream_tbENKUlT_T0_E_clISt17integral_constantIbLb0EESY_IbLb1EEEEDaSU_SV_EUlSU_E_NS1_11comp_targetILNS1_3genE10ELNS1_11target_archE1200ELNS1_3gpuE4ELNS1_3repE0EEENS1_30default_config_static_selectorELNS0_4arch9wavefront6targetE1EEEvT1_ ; -- Begin function _ZN7rocprim17ROCPRIM_400000_NS6detail17trampoline_kernelINS0_14default_configENS1_33run_length_encode_config_selectorIajNS0_4plusIjEEEEZZNS1_33reduce_by_key_impl_wrapped_configILNS1_25lookback_scan_determinismE0ES3_S7_PKaNS0_17constant_iteratorIjlEEPaPlSF_S6_NS0_8equal_toIaEEEE10hipError_tPvRmT2_T3_mT4_T5_T6_T7_T8_P12ihipStream_tbENKUlT_T0_E_clISt17integral_constantIbLb0EESY_IbLb1EEEEDaSU_SV_EUlSU_E_NS1_11comp_targetILNS1_3genE10ELNS1_11target_archE1200ELNS1_3gpuE4ELNS1_3repE0EEENS1_30default_config_static_selectorELNS0_4arch9wavefront6targetE1EEEvT1_
	.globl	_ZN7rocprim17ROCPRIM_400000_NS6detail17trampoline_kernelINS0_14default_configENS1_33run_length_encode_config_selectorIajNS0_4plusIjEEEEZZNS1_33reduce_by_key_impl_wrapped_configILNS1_25lookback_scan_determinismE0ES3_S7_PKaNS0_17constant_iteratorIjlEEPaPlSF_S6_NS0_8equal_toIaEEEE10hipError_tPvRmT2_T3_mT4_T5_T6_T7_T8_P12ihipStream_tbENKUlT_T0_E_clISt17integral_constantIbLb0EESY_IbLb1EEEEDaSU_SV_EUlSU_E_NS1_11comp_targetILNS1_3genE10ELNS1_11target_archE1200ELNS1_3gpuE4ELNS1_3repE0EEENS1_30default_config_static_selectorELNS0_4arch9wavefront6targetE1EEEvT1_
	.p2align	8
	.type	_ZN7rocprim17ROCPRIM_400000_NS6detail17trampoline_kernelINS0_14default_configENS1_33run_length_encode_config_selectorIajNS0_4plusIjEEEEZZNS1_33reduce_by_key_impl_wrapped_configILNS1_25lookback_scan_determinismE0ES3_S7_PKaNS0_17constant_iteratorIjlEEPaPlSF_S6_NS0_8equal_toIaEEEE10hipError_tPvRmT2_T3_mT4_T5_T6_T7_T8_P12ihipStream_tbENKUlT_T0_E_clISt17integral_constantIbLb0EESY_IbLb1EEEEDaSU_SV_EUlSU_E_NS1_11comp_targetILNS1_3genE10ELNS1_11target_archE1200ELNS1_3gpuE4ELNS1_3repE0EEENS1_30default_config_static_selectorELNS0_4arch9wavefront6targetE1EEEvT1_,@function
_ZN7rocprim17ROCPRIM_400000_NS6detail17trampoline_kernelINS0_14default_configENS1_33run_length_encode_config_selectorIajNS0_4plusIjEEEEZZNS1_33reduce_by_key_impl_wrapped_configILNS1_25lookback_scan_determinismE0ES3_S7_PKaNS0_17constant_iteratorIjlEEPaPlSF_S6_NS0_8equal_toIaEEEE10hipError_tPvRmT2_T3_mT4_T5_T6_T7_T8_P12ihipStream_tbENKUlT_T0_E_clISt17integral_constantIbLb0EESY_IbLb1EEEEDaSU_SV_EUlSU_E_NS1_11comp_targetILNS1_3genE10ELNS1_11target_archE1200ELNS1_3gpuE4ELNS1_3repE0EEENS1_30default_config_static_selectorELNS0_4arch9wavefront6targetE1EEEvT1_: ; @_ZN7rocprim17ROCPRIM_400000_NS6detail17trampoline_kernelINS0_14default_configENS1_33run_length_encode_config_selectorIajNS0_4plusIjEEEEZZNS1_33reduce_by_key_impl_wrapped_configILNS1_25lookback_scan_determinismE0ES3_S7_PKaNS0_17constant_iteratorIjlEEPaPlSF_S6_NS0_8equal_toIaEEEE10hipError_tPvRmT2_T3_mT4_T5_T6_T7_T8_P12ihipStream_tbENKUlT_T0_E_clISt17integral_constantIbLb0EESY_IbLb1EEEEDaSU_SV_EUlSU_E_NS1_11comp_targetILNS1_3genE10ELNS1_11target_archE1200ELNS1_3gpuE4ELNS1_3repE0EEENS1_30default_config_static_selectorELNS0_4arch9wavefront6targetE1EEEvT1_
; %bb.0:
	.section	.rodata,"a",@progbits
	.p2align	6, 0x0
	.amdhsa_kernel _ZN7rocprim17ROCPRIM_400000_NS6detail17trampoline_kernelINS0_14default_configENS1_33run_length_encode_config_selectorIajNS0_4plusIjEEEEZZNS1_33reduce_by_key_impl_wrapped_configILNS1_25lookback_scan_determinismE0ES3_S7_PKaNS0_17constant_iteratorIjlEEPaPlSF_S6_NS0_8equal_toIaEEEE10hipError_tPvRmT2_T3_mT4_T5_T6_T7_T8_P12ihipStream_tbENKUlT_T0_E_clISt17integral_constantIbLb0EESY_IbLb1EEEEDaSU_SV_EUlSU_E_NS1_11comp_targetILNS1_3genE10ELNS1_11target_archE1200ELNS1_3gpuE4ELNS1_3repE0EEENS1_30default_config_static_selectorELNS0_4arch9wavefront6targetE1EEEvT1_
		.amdhsa_group_segment_fixed_size 0
		.amdhsa_private_segment_fixed_size 0
		.amdhsa_kernarg_size 128
		.amdhsa_user_sgpr_count 6
		.amdhsa_user_sgpr_private_segment_buffer 1
		.amdhsa_user_sgpr_dispatch_ptr 0
		.amdhsa_user_sgpr_queue_ptr 0
		.amdhsa_user_sgpr_kernarg_segment_ptr 1
		.amdhsa_user_sgpr_dispatch_id 0
		.amdhsa_user_sgpr_flat_scratch_init 0
		.amdhsa_user_sgpr_kernarg_preload_length 0
		.amdhsa_user_sgpr_kernarg_preload_offset 0
		.amdhsa_user_sgpr_private_segment_size 0
		.amdhsa_uses_dynamic_stack 0
		.amdhsa_system_sgpr_private_segment_wavefront_offset 0
		.amdhsa_system_sgpr_workgroup_id_x 1
		.amdhsa_system_sgpr_workgroup_id_y 0
		.amdhsa_system_sgpr_workgroup_id_z 0
		.amdhsa_system_sgpr_workgroup_info 0
		.amdhsa_system_vgpr_workitem_id 0
		.amdhsa_next_free_vgpr 1
		.amdhsa_next_free_sgpr 0
		.amdhsa_accum_offset 4
		.amdhsa_reserve_vcc 0
		.amdhsa_reserve_flat_scratch 0
		.amdhsa_float_round_mode_32 0
		.amdhsa_float_round_mode_16_64 0
		.amdhsa_float_denorm_mode_32 3
		.amdhsa_float_denorm_mode_16_64 3
		.amdhsa_dx10_clamp 1
		.amdhsa_ieee_mode 1
		.amdhsa_fp16_overflow 0
		.amdhsa_tg_split 0
		.amdhsa_exception_fp_ieee_invalid_op 0
		.amdhsa_exception_fp_denorm_src 0
		.amdhsa_exception_fp_ieee_div_zero 0
		.amdhsa_exception_fp_ieee_overflow 0
		.amdhsa_exception_fp_ieee_underflow 0
		.amdhsa_exception_fp_ieee_inexact 0
		.amdhsa_exception_int_div_zero 0
	.end_amdhsa_kernel
	.section	.text._ZN7rocprim17ROCPRIM_400000_NS6detail17trampoline_kernelINS0_14default_configENS1_33run_length_encode_config_selectorIajNS0_4plusIjEEEEZZNS1_33reduce_by_key_impl_wrapped_configILNS1_25lookback_scan_determinismE0ES3_S7_PKaNS0_17constant_iteratorIjlEEPaPlSF_S6_NS0_8equal_toIaEEEE10hipError_tPvRmT2_T3_mT4_T5_T6_T7_T8_P12ihipStream_tbENKUlT_T0_E_clISt17integral_constantIbLb0EESY_IbLb1EEEEDaSU_SV_EUlSU_E_NS1_11comp_targetILNS1_3genE10ELNS1_11target_archE1200ELNS1_3gpuE4ELNS1_3repE0EEENS1_30default_config_static_selectorELNS0_4arch9wavefront6targetE1EEEvT1_,"axG",@progbits,_ZN7rocprim17ROCPRIM_400000_NS6detail17trampoline_kernelINS0_14default_configENS1_33run_length_encode_config_selectorIajNS0_4plusIjEEEEZZNS1_33reduce_by_key_impl_wrapped_configILNS1_25lookback_scan_determinismE0ES3_S7_PKaNS0_17constant_iteratorIjlEEPaPlSF_S6_NS0_8equal_toIaEEEE10hipError_tPvRmT2_T3_mT4_T5_T6_T7_T8_P12ihipStream_tbENKUlT_T0_E_clISt17integral_constantIbLb0EESY_IbLb1EEEEDaSU_SV_EUlSU_E_NS1_11comp_targetILNS1_3genE10ELNS1_11target_archE1200ELNS1_3gpuE4ELNS1_3repE0EEENS1_30default_config_static_selectorELNS0_4arch9wavefront6targetE1EEEvT1_,comdat
.Lfunc_end268:
	.size	_ZN7rocprim17ROCPRIM_400000_NS6detail17trampoline_kernelINS0_14default_configENS1_33run_length_encode_config_selectorIajNS0_4plusIjEEEEZZNS1_33reduce_by_key_impl_wrapped_configILNS1_25lookback_scan_determinismE0ES3_S7_PKaNS0_17constant_iteratorIjlEEPaPlSF_S6_NS0_8equal_toIaEEEE10hipError_tPvRmT2_T3_mT4_T5_T6_T7_T8_P12ihipStream_tbENKUlT_T0_E_clISt17integral_constantIbLb0EESY_IbLb1EEEEDaSU_SV_EUlSU_E_NS1_11comp_targetILNS1_3genE10ELNS1_11target_archE1200ELNS1_3gpuE4ELNS1_3repE0EEENS1_30default_config_static_selectorELNS0_4arch9wavefront6targetE1EEEvT1_, .Lfunc_end268-_ZN7rocprim17ROCPRIM_400000_NS6detail17trampoline_kernelINS0_14default_configENS1_33run_length_encode_config_selectorIajNS0_4plusIjEEEEZZNS1_33reduce_by_key_impl_wrapped_configILNS1_25lookback_scan_determinismE0ES3_S7_PKaNS0_17constant_iteratorIjlEEPaPlSF_S6_NS0_8equal_toIaEEEE10hipError_tPvRmT2_T3_mT4_T5_T6_T7_T8_P12ihipStream_tbENKUlT_T0_E_clISt17integral_constantIbLb0EESY_IbLb1EEEEDaSU_SV_EUlSU_E_NS1_11comp_targetILNS1_3genE10ELNS1_11target_archE1200ELNS1_3gpuE4ELNS1_3repE0EEENS1_30default_config_static_selectorELNS0_4arch9wavefront6targetE1EEEvT1_
                                        ; -- End function
	.section	.AMDGPU.csdata,"",@progbits
; Kernel info:
; codeLenInByte = 0
; NumSgprs: 4
; NumVgprs: 0
; NumAgprs: 0
; TotalNumVgprs: 0
; ScratchSize: 0
; MemoryBound: 0
; FloatMode: 240
; IeeeMode: 1
; LDSByteSize: 0 bytes/workgroup (compile time only)
; SGPRBlocks: 0
; VGPRBlocks: 0
; NumSGPRsForWavesPerEU: 4
; NumVGPRsForWavesPerEU: 1
; AccumOffset: 4
; Occupancy: 8
; WaveLimiterHint : 0
; COMPUTE_PGM_RSRC2:SCRATCH_EN: 0
; COMPUTE_PGM_RSRC2:USER_SGPR: 6
; COMPUTE_PGM_RSRC2:TRAP_HANDLER: 0
; COMPUTE_PGM_RSRC2:TGID_X_EN: 1
; COMPUTE_PGM_RSRC2:TGID_Y_EN: 0
; COMPUTE_PGM_RSRC2:TGID_Z_EN: 0
; COMPUTE_PGM_RSRC2:TIDIG_COMP_CNT: 0
; COMPUTE_PGM_RSRC3_GFX90A:ACCUM_OFFSET: 0
; COMPUTE_PGM_RSRC3_GFX90A:TG_SPLIT: 0
	.section	.text._ZN7rocprim17ROCPRIM_400000_NS6detail17trampoline_kernelINS0_14default_configENS1_33run_length_encode_config_selectorIajNS0_4plusIjEEEEZZNS1_33reduce_by_key_impl_wrapped_configILNS1_25lookback_scan_determinismE0ES3_S7_PKaNS0_17constant_iteratorIjlEEPaPlSF_S6_NS0_8equal_toIaEEEE10hipError_tPvRmT2_T3_mT4_T5_T6_T7_T8_P12ihipStream_tbENKUlT_T0_E_clISt17integral_constantIbLb0EESY_IbLb1EEEEDaSU_SV_EUlSU_E_NS1_11comp_targetILNS1_3genE9ELNS1_11target_archE1100ELNS1_3gpuE3ELNS1_3repE0EEENS1_30default_config_static_selectorELNS0_4arch9wavefront6targetE1EEEvT1_,"axG",@progbits,_ZN7rocprim17ROCPRIM_400000_NS6detail17trampoline_kernelINS0_14default_configENS1_33run_length_encode_config_selectorIajNS0_4plusIjEEEEZZNS1_33reduce_by_key_impl_wrapped_configILNS1_25lookback_scan_determinismE0ES3_S7_PKaNS0_17constant_iteratorIjlEEPaPlSF_S6_NS0_8equal_toIaEEEE10hipError_tPvRmT2_T3_mT4_T5_T6_T7_T8_P12ihipStream_tbENKUlT_T0_E_clISt17integral_constantIbLb0EESY_IbLb1EEEEDaSU_SV_EUlSU_E_NS1_11comp_targetILNS1_3genE9ELNS1_11target_archE1100ELNS1_3gpuE3ELNS1_3repE0EEENS1_30default_config_static_selectorELNS0_4arch9wavefront6targetE1EEEvT1_,comdat
	.protected	_ZN7rocprim17ROCPRIM_400000_NS6detail17trampoline_kernelINS0_14default_configENS1_33run_length_encode_config_selectorIajNS0_4plusIjEEEEZZNS1_33reduce_by_key_impl_wrapped_configILNS1_25lookback_scan_determinismE0ES3_S7_PKaNS0_17constant_iteratorIjlEEPaPlSF_S6_NS0_8equal_toIaEEEE10hipError_tPvRmT2_T3_mT4_T5_T6_T7_T8_P12ihipStream_tbENKUlT_T0_E_clISt17integral_constantIbLb0EESY_IbLb1EEEEDaSU_SV_EUlSU_E_NS1_11comp_targetILNS1_3genE9ELNS1_11target_archE1100ELNS1_3gpuE3ELNS1_3repE0EEENS1_30default_config_static_selectorELNS0_4arch9wavefront6targetE1EEEvT1_ ; -- Begin function _ZN7rocprim17ROCPRIM_400000_NS6detail17trampoline_kernelINS0_14default_configENS1_33run_length_encode_config_selectorIajNS0_4plusIjEEEEZZNS1_33reduce_by_key_impl_wrapped_configILNS1_25lookback_scan_determinismE0ES3_S7_PKaNS0_17constant_iteratorIjlEEPaPlSF_S6_NS0_8equal_toIaEEEE10hipError_tPvRmT2_T3_mT4_T5_T6_T7_T8_P12ihipStream_tbENKUlT_T0_E_clISt17integral_constantIbLb0EESY_IbLb1EEEEDaSU_SV_EUlSU_E_NS1_11comp_targetILNS1_3genE9ELNS1_11target_archE1100ELNS1_3gpuE3ELNS1_3repE0EEENS1_30default_config_static_selectorELNS0_4arch9wavefront6targetE1EEEvT1_
	.globl	_ZN7rocprim17ROCPRIM_400000_NS6detail17trampoline_kernelINS0_14default_configENS1_33run_length_encode_config_selectorIajNS0_4plusIjEEEEZZNS1_33reduce_by_key_impl_wrapped_configILNS1_25lookback_scan_determinismE0ES3_S7_PKaNS0_17constant_iteratorIjlEEPaPlSF_S6_NS0_8equal_toIaEEEE10hipError_tPvRmT2_T3_mT4_T5_T6_T7_T8_P12ihipStream_tbENKUlT_T0_E_clISt17integral_constantIbLb0EESY_IbLb1EEEEDaSU_SV_EUlSU_E_NS1_11comp_targetILNS1_3genE9ELNS1_11target_archE1100ELNS1_3gpuE3ELNS1_3repE0EEENS1_30default_config_static_selectorELNS0_4arch9wavefront6targetE1EEEvT1_
	.p2align	8
	.type	_ZN7rocprim17ROCPRIM_400000_NS6detail17trampoline_kernelINS0_14default_configENS1_33run_length_encode_config_selectorIajNS0_4plusIjEEEEZZNS1_33reduce_by_key_impl_wrapped_configILNS1_25lookback_scan_determinismE0ES3_S7_PKaNS0_17constant_iteratorIjlEEPaPlSF_S6_NS0_8equal_toIaEEEE10hipError_tPvRmT2_T3_mT4_T5_T6_T7_T8_P12ihipStream_tbENKUlT_T0_E_clISt17integral_constantIbLb0EESY_IbLb1EEEEDaSU_SV_EUlSU_E_NS1_11comp_targetILNS1_3genE9ELNS1_11target_archE1100ELNS1_3gpuE3ELNS1_3repE0EEENS1_30default_config_static_selectorELNS0_4arch9wavefront6targetE1EEEvT1_,@function
_ZN7rocprim17ROCPRIM_400000_NS6detail17trampoline_kernelINS0_14default_configENS1_33run_length_encode_config_selectorIajNS0_4plusIjEEEEZZNS1_33reduce_by_key_impl_wrapped_configILNS1_25lookback_scan_determinismE0ES3_S7_PKaNS0_17constant_iteratorIjlEEPaPlSF_S6_NS0_8equal_toIaEEEE10hipError_tPvRmT2_T3_mT4_T5_T6_T7_T8_P12ihipStream_tbENKUlT_T0_E_clISt17integral_constantIbLb0EESY_IbLb1EEEEDaSU_SV_EUlSU_E_NS1_11comp_targetILNS1_3genE9ELNS1_11target_archE1100ELNS1_3gpuE3ELNS1_3repE0EEENS1_30default_config_static_selectorELNS0_4arch9wavefront6targetE1EEEvT1_: ; @_ZN7rocprim17ROCPRIM_400000_NS6detail17trampoline_kernelINS0_14default_configENS1_33run_length_encode_config_selectorIajNS0_4plusIjEEEEZZNS1_33reduce_by_key_impl_wrapped_configILNS1_25lookback_scan_determinismE0ES3_S7_PKaNS0_17constant_iteratorIjlEEPaPlSF_S6_NS0_8equal_toIaEEEE10hipError_tPvRmT2_T3_mT4_T5_T6_T7_T8_P12ihipStream_tbENKUlT_T0_E_clISt17integral_constantIbLb0EESY_IbLb1EEEEDaSU_SV_EUlSU_E_NS1_11comp_targetILNS1_3genE9ELNS1_11target_archE1100ELNS1_3gpuE3ELNS1_3repE0EEENS1_30default_config_static_selectorELNS0_4arch9wavefront6targetE1EEEvT1_
; %bb.0:
	.section	.rodata,"a",@progbits
	.p2align	6, 0x0
	.amdhsa_kernel _ZN7rocprim17ROCPRIM_400000_NS6detail17trampoline_kernelINS0_14default_configENS1_33run_length_encode_config_selectorIajNS0_4plusIjEEEEZZNS1_33reduce_by_key_impl_wrapped_configILNS1_25lookback_scan_determinismE0ES3_S7_PKaNS0_17constant_iteratorIjlEEPaPlSF_S6_NS0_8equal_toIaEEEE10hipError_tPvRmT2_T3_mT4_T5_T6_T7_T8_P12ihipStream_tbENKUlT_T0_E_clISt17integral_constantIbLb0EESY_IbLb1EEEEDaSU_SV_EUlSU_E_NS1_11comp_targetILNS1_3genE9ELNS1_11target_archE1100ELNS1_3gpuE3ELNS1_3repE0EEENS1_30default_config_static_selectorELNS0_4arch9wavefront6targetE1EEEvT1_
		.amdhsa_group_segment_fixed_size 0
		.amdhsa_private_segment_fixed_size 0
		.amdhsa_kernarg_size 128
		.amdhsa_user_sgpr_count 6
		.amdhsa_user_sgpr_private_segment_buffer 1
		.amdhsa_user_sgpr_dispatch_ptr 0
		.amdhsa_user_sgpr_queue_ptr 0
		.amdhsa_user_sgpr_kernarg_segment_ptr 1
		.amdhsa_user_sgpr_dispatch_id 0
		.amdhsa_user_sgpr_flat_scratch_init 0
		.amdhsa_user_sgpr_kernarg_preload_length 0
		.amdhsa_user_sgpr_kernarg_preload_offset 0
		.amdhsa_user_sgpr_private_segment_size 0
		.amdhsa_uses_dynamic_stack 0
		.amdhsa_system_sgpr_private_segment_wavefront_offset 0
		.amdhsa_system_sgpr_workgroup_id_x 1
		.amdhsa_system_sgpr_workgroup_id_y 0
		.amdhsa_system_sgpr_workgroup_id_z 0
		.amdhsa_system_sgpr_workgroup_info 0
		.amdhsa_system_vgpr_workitem_id 0
		.amdhsa_next_free_vgpr 1
		.amdhsa_next_free_sgpr 0
		.amdhsa_accum_offset 4
		.amdhsa_reserve_vcc 0
		.amdhsa_reserve_flat_scratch 0
		.amdhsa_float_round_mode_32 0
		.amdhsa_float_round_mode_16_64 0
		.amdhsa_float_denorm_mode_32 3
		.amdhsa_float_denorm_mode_16_64 3
		.amdhsa_dx10_clamp 1
		.amdhsa_ieee_mode 1
		.amdhsa_fp16_overflow 0
		.amdhsa_tg_split 0
		.amdhsa_exception_fp_ieee_invalid_op 0
		.amdhsa_exception_fp_denorm_src 0
		.amdhsa_exception_fp_ieee_div_zero 0
		.amdhsa_exception_fp_ieee_overflow 0
		.amdhsa_exception_fp_ieee_underflow 0
		.amdhsa_exception_fp_ieee_inexact 0
		.amdhsa_exception_int_div_zero 0
	.end_amdhsa_kernel
	.section	.text._ZN7rocprim17ROCPRIM_400000_NS6detail17trampoline_kernelINS0_14default_configENS1_33run_length_encode_config_selectorIajNS0_4plusIjEEEEZZNS1_33reduce_by_key_impl_wrapped_configILNS1_25lookback_scan_determinismE0ES3_S7_PKaNS0_17constant_iteratorIjlEEPaPlSF_S6_NS0_8equal_toIaEEEE10hipError_tPvRmT2_T3_mT4_T5_T6_T7_T8_P12ihipStream_tbENKUlT_T0_E_clISt17integral_constantIbLb0EESY_IbLb1EEEEDaSU_SV_EUlSU_E_NS1_11comp_targetILNS1_3genE9ELNS1_11target_archE1100ELNS1_3gpuE3ELNS1_3repE0EEENS1_30default_config_static_selectorELNS0_4arch9wavefront6targetE1EEEvT1_,"axG",@progbits,_ZN7rocprim17ROCPRIM_400000_NS6detail17trampoline_kernelINS0_14default_configENS1_33run_length_encode_config_selectorIajNS0_4plusIjEEEEZZNS1_33reduce_by_key_impl_wrapped_configILNS1_25lookback_scan_determinismE0ES3_S7_PKaNS0_17constant_iteratorIjlEEPaPlSF_S6_NS0_8equal_toIaEEEE10hipError_tPvRmT2_T3_mT4_T5_T6_T7_T8_P12ihipStream_tbENKUlT_T0_E_clISt17integral_constantIbLb0EESY_IbLb1EEEEDaSU_SV_EUlSU_E_NS1_11comp_targetILNS1_3genE9ELNS1_11target_archE1100ELNS1_3gpuE3ELNS1_3repE0EEENS1_30default_config_static_selectorELNS0_4arch9wavefront6targetE1EEEvT1_,comdat
.Lfunc_end269:
	.size	_ZN7rocprim17ROCPRIM_400000_NS6detail17trampoline_kernelINS0_14default_configENS1_33run_length_encode_config_selectorIajNS0_4plusIjEEEEZZNS1_33reduce_by_key_impl_wrapped_configILNS1_25lookback_scan_determinismE0ES3_S7_PKaNS0_17constant_iteratorIjlEEPaPlSF_S6_NS0_8equal_toIaEEEE10hipError_tPvRmT2_T3_mT4_T5_T6_T7_T8_P12ihipStream_tbENKUlT_T0_E_clISt17integral_constantIbLb0EESY_IbLb1EEEEDaSU_SV_EUlSU_E_NS1_11comp_targetILNS1_3genE9ELNS1_11target_archE1100ELNS1_3gpuE3ELNS1_3repE0EEENS1_30default_config_static_selectorELNS0_4arch9wavefront6targetE1EEEvT1_, .Lfunc_end269-_ZN7rocprim17ROCPRIM_400000_NS6detail17trampoline_kernelINS0_14default_configENS1_33run_length_encode_config_selectorIajNS0_4plusIjEEEEZZNS1_33reduce_by_key_impl_wrapped_configILNS1_25lookback_scan_determinismE0ES3_S7_PKaNS0_17constant_iteratorIjlEEPaPlSF_S6_NS0_8equal_toIaEEEE10hipError_tPvRmT2_T3_mT4_T5_T6_T7_T8_P12ihipStream_tbENKUlT_T0_E_clISt17integral_constantIbLb0EESY_IbLb1EEEEDaSU_SV_EUlSU_E_NS1_11comp_targetILNS1_3genE9ELNS1_11target_archE1100ELNS1_3gpuE3ELNS1_3repE0EEENS1_30default_config_static_selectorELNS0_4arch9wavefront6targetE1EEEvT1_
                                        ; -- End function
	.section	.AMDGPU.csdata,"",@progbits
; Kernel info:
; codeLenInByte = 0
; NumSgprs: 4
; NumVgprs: 0
; NumAgprs: 0
; TotalNumVgprs: 0
; ScratchSize: 0
; MemoryBound: 0
; FloatMode: 240
; IeeeMode: 1
; LDSByteSize: 0 bytes/workgroup (compile time only)
; SGPRBlocks: 0
; VGPRBlocks: 0
; NumSGPRsForWavesPerEU: 4
; NumVGPRsForWavesPerEU: 1
; AccumOffset: 4
; Occupancy: 8
; WaveLimiterHint : 0
; COMPUTE_PGM_RSRC2:SCRATCH_EN: 0
; COMPUTE_PGM_RSRC2:USER_SGPR: 6
; COMPUTE_PGM_RSRC2:TRAP_HANDLER: 0
; COMPUTE_PGM_RSRC2:TGID_X_EN: 1
; COMPUTE_PGM_RSRC2:TGID_Y_EN: 0
; COMPUTE_PGM_RSRC2:TGID_Z_EN: 0
; COMPUTE_PGM_RSRC2:TIDIG_COMP_CNT: 0
; COMPUTE_PGM_RSRC3_GFX90A:ACCUM_OFFSET: 0
; COMPUTE_PGM_RSRC3_GFX90A:TG_SPLIT: 0
	.section	.text._ZN7rocprim17ROCPRIM_400000_NS6detail17trampoline_kernelINS0_14default_configENS1_33run_length_encode_config_selectorIajNS0_4plusIjEEEEZZNS1_33reduce_by_key_impl_wrapped_configILNS1_25lookback_scan_determinismE0ES3_S7_PKaNS0_17constant_iteratorIjlEEPaPlSF_S6_NS0_8equal_toIaEEEE10hipError_tPvRmT2_T3_mT4_T5_T6_T7_T8_P12ihipStream_tbENKUlT_T0_E_clISt17integral_constantIbLb0EESY_IbLb1EEEEDaSU_SV_EUlSU_E_NS1_11comp_targetILNS1_3genE8ELNS1_11target_archE1030ELNS1_3gpuE2ELNS1_3repE0EEENS1_30default_config_static_selectorELNS0_4arch9wavefront6targetE1EEEvT1_,"axG",@progbits,_ZN7rocprim17ROCPRIM_400000_NS6detail17trampoline_kernelINS0_14default_configENS1_33run_length_encode_config_selectorIajNS0_4plusIjEEEEZZNS1_33reduce_by_key_impl_wrapped_configILNS1_25lookback_scan_determinismE0ES3_S7_PKaNS0_17constant_iteratorIjlEEPaPlSF_S6_NS0_8equal_toIaEEEE10hipError_tPvRmT2_T3_mT4_T5_T6_T7_T8_P12ihipStream_tbENKUlT_T0_E_clISt17integral_constantIbLb0EESY_IbLb1EEEEDaSU_SV_EUlSU_E_NS1_11comp_targetILNS1_3genE8ELNS1_11target_archE1030ELNS1_3gpuE2ELNS1_3repE0EEENS1_30default_config_static_selectorELNS0_4arch9wavefront6targetE1EEEvT1_,comdat
	.protected	_ZN7rocprim17ROCPRIM_400000_NS6detail17trampoline_kernelINS0_14default_configENS1_33run_length_encode_config_selectorIajNS0_4plusIjEEEEZZNS1_33reduce_by_key_impl_wrapped_configILNS1_25lookback_scan_determinismE0ES3_S7_PKaNS0_17constant_iteratorIjlEEPaPlSF_S6_NS0_8equal_toIaEEEE10hipError_tPvRmT2_T3_mT4_T5_T6_T7_T8_P12ihipStream_tbENKUlT_T0_E_clISt17integral_constantIbLb0EESY_IbLb1EEEEDaSU_SV_EUlSU_E_NS1_11comp_targetILNS1_3genE8ELNS1_11target_archE1030ELNS1_3gpuE2ELNS1_3repE0EEENS1_30default_config_static_selectorELNS0_4arch9wavefront6targetE1EEEvT1_ ; -- Begin function _ZN7rocprim17ROCPRIM_400000_NS6detail17trampoline_kernelINS0_14default_configENS1_33run_length_encode_config_selectorIajNS0_4plusIjEEEEZZNS1_33reduce_by_key_impl_wrapped_configILNS1_25lookback_scan_determinismE0ES3_S7_PKaNS0_17constant_iteratorIjlEEPaPlSF_S6_NS0_8equal_toIaEEEE10hipError_tPvRmT2_T3_mT4_T5_T6_T7_T8_P12ihipStream_tbENKUlT_T0_E_clISt17integral_constantIbLb0EESY_IbLb1EEEEDaSU_SV_EUlSU_E_NS1_11comp_targetILNS1_3genE8ELNS1_11target_archE1030ELNS1_3gpuE2ELNS1_3repE0EEENS1_30default_config_static_selectorELNS0_4arch9wavefront6targetE1EEEvT1_
	.globl	_ZN7rocprim17ROCPRIM_400000_NS6detail17trampoline_kernelINS0_14default_configENS1_33run_length_encode_config_selectorIajNS0_4plusIjEEEEZZNS1_33reduce_by_key_impl_wrapped_configILNS1_25lookback_scan_determinismE0ES3_S7_PKaNS0_17constant_iteratorIjlEEPaPlSF_S6_NS0_8equal_toIaEEEE10hipError_tPvRmT2_T3_mT4_T5_T6_T7_T8_P12ihipStream_tbENKUlT_T0_E_clISt17integral_constantIbLb0EESY_IbLb1EEEEDaSU_SV_EUlSU_E_NS1_11comp_targetILNS1_3genE8ELNS1_11target_archE1030ELNS1_3gpuE2ELNS1_3repE0EEENS1_30default_config_static_selectorELNS0_4arch9wavefront6targetE1EEEvT1_
	.p2align	8
	.type	_ZN7rocprim17ROCPRIM_400000_NS6detail17trampoline_kernelINS0_14default_configENS1_33run_length_encode_config_selectorIajNS0_4plusIjEEEEZZNS1_33reduce_by_key_impl_wrapped_configILNS1_25lookback_scan_determinismE0ES3_S7_PKaNS0_17constant_iteratorIjlEEPaPlSF_S6_NS0_8equal_toIaEEEE10hipError_tPvRmT2_T3_mT4_T5_T6_T7_T8_P12ihipStream_tbENKUlT_T0_E_clISt17integral_constantIbLb0EESY_IbLb1EEEEDaSU_SV_EUlSU_E_NS1_11comp_targetILNS1_3genE8ELNS1_11target_archE1030ELNS1_3gpuE2ELNS1_3repE0EEENS1_30default_config_static_selectorELNS0_4arch9wavefront6targetE1EEEvT1_,@function
_ZN7rocprim17ROCPRIM_400000_NS6detail17trampoline_kernelINS0_14default_configENS1_33run_length_encode_config_selectorIajNS0_4plusIjEEEEZZNS1_33reduce_by_key_impl_wrapped_configILNS1_25lookback_scan_determinismE0ES3_S7_PKaNS0_17constant_iteratorIjlEEPaPlSF_S6_NS0_8equal_toIaEEEE10hipError_tPvRmT2_T3_mT4_T5_T6_T7_T8_P12ihipStream_tbENKUlT_T0_E_clISt17integral_constantIbLb0EESY_IbLb1EEEEDaSU_SV_EUlSU_E_NS1_11comp_targetILNS1_3genE8ELNS1_11target_archE1030ELNS1_3gpuE2ELNS1_3repE0EEENS1_30default_config_static_selectorELNS0_4arch9wavefront6targetE1EEEvT1_: ; @_ZN7rocprim17ROCPRIM_400000_NS6detail17trampoline_kernelINS0_14default_configENS1_33run_length_encode_config_selectorIajNS0_4plusIjEEEEZZNS1_33reduce_by_key_impl_wrapped_configILNS1_25lookback_scan_determinismE0ES3_S7_PKaNS0_17constant_iteratorIjlEEPaPlSF_S6_NS0_8equal_toIaEEEE10hipError_tPvRmT2_T3_mT4_T5_T6_T7_T8_P12ihipStream_tbENKUlT_T0_E_clISt17integral_constantIbLb0EESY_IbLb1EEEEDaSU_SV_EUlSU_E_NS1_11comp_targetILNS1_3genE8ELNS1_11target_archE1030ELNS1_3gpuE2ELNS1_3repE0EEENS1_30default_config_static_selectorELNS0_4arch9wavefront6targetE1EEEvT1_
; %bb.0:
	.section	.rodata,"a",@progbits
	.p2align	6, 0x0
	.amdhsa_kernel _ZN7rocprim17ROCPRIM_400000_NS6detail17trampoline_kernelINS0_14default_configENS1_33run_length_encode_config_selectorIajNS0_4plusIjEEEEZZNS1_33reduce_by_key_impl_wrapped_configILNS1_25lookback_scan_determinismE0ES3_S7_PKaNS0_17constant_iteratorIjlEEPaPlSF_S6_NS0_8equal_toIaEEEE10hipError_tPvRmT2_T3_mT4_T5_T6_T7_T8_P12ihipStream_tbENKUlT_T0_E_clISt17integral_constantIbLb0EESY_IbLb1EEEEDaSU_SV_EUlSU_E_NS1_11comp_targetILNS1_3genE8ELNS1_11target_archE1030ELNS1_3gpuE2ELNS1_3repE0EEENS1_30default_config_static_selectorELNS0_4arch9wavefront6targetE1EEEvT1_
		.amdhsa_group_segment_fixed_size 0
		.amdhsa_private_segment_fixed_size 0
		.amdhsa_kernarg_size 128
		.amdhsa_user_sgpr_count 6
		.amdhsa_user_sgpr_private_segment_buffer 1
		.amdhsa_user_sgpr_dispatch_ptr 0
		.amdhsa_user_sgpr_queue_ptr 0
		.amdhsa_user_sgpr_kernarg_segment_ptr 1
		.amdhsa_user_sgpr_dispatch_id 0
		.amdhsa_user_sgpr_flat_scratch_init 0
		.amdhsa_user_sgpr_kernarg_preload_length 0
		.amdhsa_user_sgpr_kernarg_preload_offset 0
		.amdhsa_user_sgpr_private_segment_size 0
		.amdhsa_uses_dynamic_stack 0
		.amdhsa_system_sgpr_private_segment_wavefront_offset 0
		.amdhsa_system_sgpr_workgroup_id_x 1
		.amdhsa_system_sgpr_workgroup_id_y 0
		.amdhsa_system_sgpr_workgroup_id_z 0
		.amdhsa_system_sgpr_workgroup_info 0
		.amdhsa_system_vgpr_workitem_id 0
		.amdhsa_next_free_vgpr 1
		.amdhsa_next_free_sgpr 0
		.amdhsa_accum_offset 4
		.amdhsa_reserve_vcc 0
		.amdhsa_reserve_flat_scratch 0
		.amdhsa_float_round_mode_32 0
		.amdhsa_float_round_mode_16_64 0
		.amdhsa_float_denorm_mode_32 3
		.amdhsa_float_denorm_mode_16_64 3
		.amdhsa_dx10_clamp 1
		.amdhsa_ieee_mode 1
		.amdhsa_fp16_overflow 0
		.amdhsa_tg_split 0
		.amdhsa_exception_fp_ieee_invalid_op 0
		.amdhsa_exception_fp_denorm_src 0
		.amdhsa_exception_fp_ieee_div_zero 0
		.amdhsa_exception_fp_ieee_overflow 0
		.amdhsa_exception_fp_ieee_underflow 0
		.amdhsa_exception_fp_ieee_inexact 0
		.amdhsa_exception_int_div_zero 0
	.end_amdhsa_kernel
	.section	.text._ZN7rocprim17ROCPRIM_400000_NS6detail17trampoline_kernelINS0_14default_configENS1_33run_length_encode_config_selectorIajNS0_4plusIjEEEEZZNS1_33reduce_by_key_impl_wrapped_configILNS1_25lookback_scan_determinismE0ES3_S7_PKaNS0_17constant_iteratorIjlEEPaPlSF_S6_NS0_8equal_toIaEEEE10hipError_tPvRmT2_T3_mT4_T5_T6_T7_T8_P12ihipStream_tbENKUlT_T0_E_clISt17integral_constantIbLb0EESY_IbLb1EEEEDaSU_SV_EUlSU_E_NS1_11comp_targetILNS1_3genE8ELNS1_11target_archE1030ELNS1_3gpuE2ELNS1_3repE0EEENS1_30default_config_static_selectorELNS0_4arch9wavefront6targetE1EEEvT1_,"axG",@progbits,_ZN7rocprim17ROCPRIM_400000_NS6detail17trampoline_kernelINS0_14default_configENS1_33run_length_encode_config_selectorIajNS0_4plusIjEEEEZZNS1_33reduce_by_key_impl_wrapped_configILNS1_25lookback_scan_determinismE0ES3_S7_PKaNS0_17constant_iteratorIjlEEPaPlSF_S6_NS0_8equal_toIaEEEE10hipError_tPvRmT2_T3_mT4_T5_T6_T7_T8_P12ihipStream_tbENKUlT_T0_E_clISt17integral_constantIbLb0EESY_IbLb1EEEEDaSU_SV_EUlSU_E_NS1_11comp_targetILNS1_3genE8ELNS1_11target_archE1030ELNS1_3gpuE2ELNS1_3repE0EEENS1_30default_config_static_selectorELNS0_4arch9wavefront6targetE1EEEvT1_,comdat
.Lfunc_end270:
	.size	_ZN7rocprim17ROCPRIM_400000_NS6detail17trampoline_kernelINS0_14default_configENS1_33run_length_encode_config_selectorIajNS0_4plusIjEEEEZZNS1_33reduce_by_key_impl_wrapped_configILNS1_25lookback_scan_determinismE0ES3_S7_PKaNS0_17constant_iteratorIjlEEPaPlSF_S6_NS0_8equal_toIaEEEE10hipError_tPvRmT2_T3_mT4_T5_T6_T7_T8_P12ihipStream_tbENKUlT_T0_E_clISt17integral_constantIbLb0EESY_IbLb1EEEEDaSU_SV_EUlSU_E_NS1_11comp_targetILNS1_3genE8ELNS1_11target_archE1030ELNS1_3gpuE2ELNS1_3repE0EEENS1_30default_config_static_selectorELNS0_4arch9wavefront6targetE1EEEvT1_, .Lfunc_end270-_ZN7rocprim17ROCPRIM_400000_NS6detail17trampoline_kernelINS0_14default_configENS1_33run_length_encode_config_selectorIajNS0_4plusIjEEEEZZNS1_33reduce_by_key_impl_wrapped_configILNS1_25lookback_scan_determinismE0ES3_S7_PKaNS0_17constant_iteratorIjlEEPaPlSF_S6_NS0_8equal_toIaEEEE10hipError_tPvRmT2_T3_mT4_T5_T6_T7_T8_P12ihipStream_tbENKUlT_T0_E_clISt17integral_constantIbLb0EESY_IbLb1EEEEDaSU_SV_EUlSU_E_NS1_11comp_targetILNS1_3genE8ELNS1_11target_archE1030ELNS1_3gpuE2ELNS1_3repE0EEENS1_30default_config_static_selectorELNS0_4arch9wavefront6targetE1EEEvT1_
                                        ; -- End function
	.section	.AMDGPU.csdata,"",@progbits
; Kernel info:
; codeLenInByte = 0
; NumSgprs: 4
; NumVgprs: 0
; NumAgprs: 0
; TotalNumVgprs: 0
; ScratchSize: 0
; MemoryBound: 0
; FloatMode: 240
; IeeeMode: 1
; LDSByteSize: 0 bytes/workgroup (compile time only)
; SGPRBlocks: 0
; VGPRBlocks: 0
; NumSGPRsForWavesPerEU: 4
; NumVGPRsForWavesPerEU: 1
; AccumOffset: 4
; Occupancy: 8
; WaveLimiterHint : 0
; COMPUTE_PGM_RSRC2:SCRATCH_EN: 0
; COMPUTE_PGM_RSRC2:USER_SGPR: 6
; COMPUTE_PGM_RSRC2:TRAP_HANDLER: 0
; COMPUTE_PGM_RSRC2:TGID_X_EN: 1
; COMPUTE_PGM_RSRC2:TGID_Y_EN: 0
; COMPUTE_PGM_RSRC2:TGID_Z_EN: 0
; COMPUTE_PGM_RSRC2:TIDIG_COMP_CNT: 0
; COMPUTE_PGM_RSRC3_GFX90A:ACCUM_OFFSET: 0
; COMPUTE_PGM_RSRC3_GFX90A:TG_SPLIT: 0
	.section	.text._ZN2at6native8internal12_GLOBAL__N_126adjacent_difference_kernelIPKdEEvlT_Pi,"axG",@progbits,_ZN2at6native8internal12_GLOBAL__N_126adjacent_difference_kernelIPKdEEvlT_Pi,comdat
	.globl	_ZN2at6native8internal12_GLOBAL__N_126adjacent_difference_kernelIPKdEEvlT_Pi ; -- Begin function _ZN2at6native8internal12_GLOBAL__N_126adjacent_difference_kernelIPKdEEvlT_Pi
	.p2align	8
	.type	_ZN2at6native8internal12_GLOBAL__N_126adjacent_difference_kernelIPKdEEvlT_Pi,@function
_ZN2at6native8internal12_GLOBAL__N_126adjacent_difference_kernelIPKdEEvlT_Pi: ; @_ZN2at6native8internal12_GLOBAL__N_126adjacent_difference_kernelIPKdEEvlT_Pi
; %bb.0:
	s_load_dword s7, s[4:5], 0x24
	s_load_dwordx4 s[0:3], s[4:5], 0x0
	s_add_u32 s10, s4, 24
	s_addc_u32 s11, s5, 0
	v_mov_b32_e32 v1, 0
	s_waitcnt lgkmcnt(0)
	s_and_b32 s7, s7, 0xffff
	v_mov_b32_e32 v2, s6
	v_mad_u64_u32 v[4:5], s[8:9], s7, v2, v[0:1]
	v_cmp_gt_i64_e32 vcc, s[0:1], v[4:5]
	s_and_saveexec_b64 s[8:9], vcc
	s_cbranch_execz .LBB271_5
; %bb.1:
	s_load_dword s12, s[10:11], 0x0
	s_load_dwordx2 s[8:9], s[4:5], 0x10
	s_mul_hi_u32 s13, s7, s6
	s_mul_i32 s10, s7, s6
	s_mov_b32 s6, 0
	s_waitcnt lgkmcnt(0)
	s_mul_i32 s11, s12, s7
	v_mov_b32_e32 v2, v1
	v_mov_b32_e32 v3, v4
	s_mov_b64 s[4:5], 0
	v_mov_b32_e32 v6, s9
	v_mov_b32_e32 v7, s6
	;; [unrolled: 1-line block ×4, first 2 shown]
	v_pk_mov_b32 v[4:5], v[0:1], v[0:1] op_sel:[0,1]
	s_branch .LBB271_3
.LBB271_2:                              ;   in Loop: Header=BB271_3 Depth=1
	s_or_b64 exec, exec, s[6:7]
	v_ashrrev_i64 v[10:11], 30, v[2:3]
	v_add_co_u32_e32 v10, vcc, s8, v10
	v_addc_co_u32_e32 v11, vcc, v6, v11, vcc
	v_add_co_u32_e32 v4, vcc, s11, v4
	v_addc_co_u32_e32 v5, vcc, v5, v7, vcc
	global_store_dword v[10:11], v0, off
	v_add_co_u32_e32 v10, vcc, s10, v4
	v_addc_co_u32_e32 v11, vcc, v8, v5, vcc
	v_cmp_le_i64_e32 vcc, s[0:1], v[10:11]
	s_or_b64 s[4:5], vcc, s[4:5]
	v_add_co_u32_e32 v2, vcc, 0, v2
	v_addc_co_u32_e32 v3, vcc, v3, v9, vcc
	s_andn2_b64 exec, exec, s[4:5]
	s_cbranch_execz .LBB271_5
.LBB271_3:                              ; =>This Inner Loop Header: Depth=1
	v_add_u32_e32 v0, s10, v4
	v_cmp_lt_i32_e32 vcc, 0, v0
	v_mov_b32_e32 v0, 0
	s_and_saveexec_b64 s[6:7], vcc
	s_cbranch_execz .LBB271_2
; %bb.4:                                ;   in Loop: Header=BB271_3 Depth=1
	v_add_u32_e32 v12, s10, v4
	v_and_b32_e32 v0, 0x7fffffff, v12
	v_lshlrev_b64 v[10:11], 3, v[0:1]
	v_mov_b32_e32 v14, s3
	v_add_co_u32_e32 v10, vcc, s2, v10
	v_add_u32_e32 v0, -1, v12
	v_addc_co_u32_e32 v11, vcc, v14, v11, vcc
	v_lshlrev_b64 v[12:13], 3, v[0:1]
	v_add_co_u32_e32 v12, vcc, s2, v12
	v_addc_co_u32_e32 v13, vcc, v14, v13, vcc
	global_load_dwordx2 v[14:15], v[10:11], off
	global_load_dwordx2 v[16:17], v[12:13], off
	s_waitcnt vmcnt(0)
	v_cmp_neq_f64_e32 vcc, v[14:15], v[16:17]
	v_cndmask_b32_e64 v0, 0, 1, vcc
	s_branch .LBB271_2
.LBB271_5:
	s_endpgm
	.section	.rodata,"a",@progbits
	.p2align	6, 0x0
	.amdhsa_kernel _ZN2at6native8internal12_GLOBAL__N_126adjacent_difference_kernelIPKdEEvlT_Pi
		.amdhsa_group_segment_fixed_size 0
		.amdhsa_private_segment_fixed_size 0
		.amdhsa_kernarg_size 280
		.amdhsa_user_sgpr_count 6
		.amdhsa_user_sgpr_private_segment_buffer 1
		.amdhsa_user_sgpr_dispatch_ptr 0
		.amdhsa_user_sgpr_queue_ptr 0
		.amdhsa_user_sgpr_kernarg_segment_ptr 1
		.amdhsa_user_sgpr_dispatch_id 0
		.amdhsa_user_sgpr_flat_scratch_init 0
		.amdhsa_user_sgpr_kernarg_preload_length 0
		.amdhsa_user_sgpr_kernarg_preload_offset 0
		.amdhsa_user_sgpr_private_segment_size 0
		.amdhsa_uses_dynamic_stack 0
		.amdhsa_system_sgpr_private_segment_wavefront_offset 0
		.amdhsa_system_sgpr_workgroup_id_x 1
		.amdhsa_system_sgpr_workgroup_id_y 0
		.amdhsa_system_sgpr_workgroup_id_z 0
		.amdhsa_system_sgpr_workgroup_info 0
		.amdhsa_system_vgpr_workitem_id 0
		.amdhsa_next_free_vgpr 18
		.amdhsa_next_free_sgpr 14
		.amdhsa_accum_offset 20
		.amdhsa_reserve_vcc 1
		.amdhsa_reserve_flat_scratch 0
		.amdhsa_float_round_mode_32 0
		.amdhsa_float_round_mode_16_64 0
		.amdhsa_float_denorm_mode_32 3
		.amdhsa_float_denorm_mode_16_64 3
		.amdhsa_dx10_clamp 1
		.amdhsa_ieee_mode 1
		.amdhsa_fp16_overflow 0
		.amdhsa_tg_split 0
		.amdhsa_exception_fp_ieee_invalid_op 0
		.amdhsa_exception_fp_denorm_src 0
		.amdhsa_exception_fp_ieee_div_zero 0
		.amdhsa_exception_fp_ieee_overflow 0
		.amdhsa_exception_fp_ieee_underflow 0
		.amdhsa_exception_fp_ieee_inexact 0
		.amdhsa_exception_int_div_zero 0
	.end_amdhsa_kernel
	.section	.text._ZN2at6native8internal12_GLOBAL__N_126adjacent_difference_kernelIPKdEEvlT_Pi,"axG",@progbits,_ZN2at6native8internal12_GLOBAL__N_126adjacent_difference_kernelIPKdEEvlT_Pi,comdat
.Lfunc_end271:
	.size	_ZN2at6native8internal12_GLOBAL__N_126adjacent_difference_kernelIPKdEEvlT_Pi, .Lfunc_end271-_ZN2at6native8internal12_GLOBAL__N_126adjacent_difference_kernelIPKdEEvlT_Pi
                                        ; -- End function
	.section	.AMDGPU.csdata,"",@progbits
; Kernel info:
; codeLenInByte = 320
; NumSgprs: 18
; NumVgprs: 18
; NumAgprs: 0
; TotalNumVgprs: 18
; ScratchSize: 0
; MemoryBound: 0
; FloatMode: 240
; IeeeMode: 1
; LDSByteSize: 0 bytes/workgroup (compile time only)
; SGPRBlocks: 2
; VGPRBlocks: 2
; NumSGPRsForWavesPerEU: 18
; NumVGPRsForWavesPerEU: 18
; AccumOffset: 20
; Occupancy: 8
; WaveLimiterHint : 0
; COMPUTE_PGM_RSRC2:SCRATCH_EN: 0
; COMPUTE_PGM_RSRC2:USER_SGPR: 6
; COMPUTE_PGM_RSRC2:TRAP_HANDLER: 0
; COMPUTE_PGM_RSRC2:TGID_X_EN: 1
; COMPUTE_PGM_RSRC2:TGID_Y_EN: 0
; COMPUTE_PGM_RSRC2:TGID_Z_EN: 0
; COMPUTE_PGM_RSRC2:TIDIG_COMP_CNT: 0
; COMPUTE_PGM_RSRC3_GFX90A:ACCUM_OFFSET: 4
; COMPUTE_PGM_RSRC3_GFX90A:TG_SPLIT: 0
	.section	.text._ZN7rocprim17ROCPRIM_400000_NS6detail17trampoline_kernelINS0_14default_configENS1_25partition_config_selectorILNS1_17partition_subalgoE8EdNS0_10empty_typeEbEEZZNS1_14partition_implILS5_8ELb0ES3_jPKdPS6_PKS6_NS0_5tupleIJPdS6_EEENSE_IJSB_SB_EEENS0_18inequality_wrapperIN6hipcub16HIPCUB_304000_NS8EqualityEEEPlJS6_EEE10hipError_tPvRmT3_T4_T5_T6_T7_T9_mT8_P12ihipStream_tbDpT10_ENKUlT_T0_E_clISt17integral_constantIbLb0EES17_EEDaS12_S13_EUlS12_E_NS1_11comp_targetILNS1_3genE0ELNS1_11target_archE4294967295ELNS1_3gpuE0ELNS1_3repE0EEENS1_30default_config_static_selectorELNS0_4arch9wavefront6targetE1EEEvT1_,"axG",@progbits,_ZN7rocprim17ROCPRIM_400000_NS6detail17trampoline_kernelINS0_14default_configENS1_25partition_config_selectorILNS1_17partition_subalgoE8EdNS0_10empty_typeEbEEZZNS1_14partition_implILS5_8ELb0ES3_jPKdPS6_PKS6_NS0_5tupleIJPdS6_EEENSE_IJSB_SB_EEENS0_18inequality_wrapperIN6hipcub16HIPCUB_304000_NS8EqualityEEEPlJS6_EEE10hipError_tPvRmT3_T4_T5_T6_T7_T9_mT8_P12ihipStream_tbDpT10_ENKUlT_T0_E_clISt17integral_constantIbLb0EES17_EEDaS12_S13_EUlS12_E_NS1_11comp_targetILNS1_3genE0ELNS1_11target_archE4294967295ELNS1_3gpuE0ELNS1_3repE0EEENS1_30default_config_static_selectorELNS0_4arch9wavefront6targetE1EEEvT1_,comdat
	.protected	_ZN7rocprim17ROCPRIM_400000_NS6detail17trampoline_kernelINS0_14default_configENS1_25partition_config_selectorILNS1_17partition_subalgoE8EdNS0_10empty_typeEbEEZZNS1_14partition_implILS5_8ELb0ES3_jPKdPS6_PKS6_NS0_5tupleIJPdS6_EEENSE_IJSB_SB_EEENS0_18inequality_wrapperIN6hipcub16HIPCUB_304000_NS8EqualityEEEPlJS6_EEE10hipError_tPvRmT3_T4_T5_T6_T7_T9_mT8_P12ihipStream_tbDpT10_ENKUlT_T0_E_clISt17integral_constantIbLb0EES17_EEDaS12_S13_EUlS12_E_NS1_11comp_targetILNS1_3genE0ELNS1_11target_archE4294967295ELNS1_3gpuE0ELNS1_3repE0EEENS1_30default_config_static_selectorELNS0_4arch9wavefront6targetE1EEEvT1_ ; -- Begin function _ZN7rocprim17ROCPRIM_400000_NS6detail17trampoline_kernelINS0_14default_configENS1_25partition_config_selectorILNS1_17partition_subalgoE8EdNS0_10empty_typeEbEEZZNS1_14partition_implILS5_8ELb0ES3_jPKdPS6_PKS6_NS0_5tupleIJPdS6_EEENSE_IJSB_SB_EEENS0_18inequality_wrapperIN6hipcub16HIPCUB_304000_NS8EqualityEEEPlJS6_EEE10hipError_tPvRmT3_T4_T5_T6_T7_T9_mT8_P12ihipStream_tbDpT10_ENKUlT_T0_E_clISt17integral_constantIbLb0EES17_EEDaS12_S13_EUlS12_E_NS1_11comp_targetILNS1_3genE0ELNS1_11target_archE4294967295ELNS1_3gpuE0ELNS1_3repE0EEENS1_30default_config_static_selectorELNS0_4arch9wavefront6targetE1EEEvT1_
	.globl	_ZN7rocprim17ROCPRIM_400000_NS6detail17trampoline_kernelINS0_14default_configENS1_25partition_config_selectorILNS1_17partition_subalgoE8EdNS0_10empty_typeEbEEZZNS1_14partition_implILS5_8ELb0ES3_jPKdPS6_PKS6_NS0_5tupleIJPdS6_EEENSE_IJSB_SB_EEENS0_18inequality_wrapperIN6hipcub16HIPCUB_304000_NS8EqualityEEEPlJS6_EEE10hipError_tPvRmT3_T4_T5_T6_T7_T9_mT8_P12ihipStream_tbDpT10_ENKUlT_T0_E_clISt17integral_constantIbLb0EES17_EEDaS12_S13_EUlS12_E_NS1_11comp_targetILNS1_3genE0ELNS1_11target_archE4294967295ELNS1_3gpuE0ELNS1_3repE0EEENS1_30default_config_static_selectorELNS0_4arch9wavefront6targetE1EEEvT1_
	.p2align	8
	.type	_ZN7rocprim17ROCPRIM_400000_NS6detail17trampoline_kernelINS0_14default_configENS1_25partition_config_selectorILNS1_17partition_subalgoE8EdNS0_10empty_typeEbEEZZNS1_14partition_implILS5_8ELb0ES3_jPKdPS6_PKS6_NS0_5tupleIJPdS6_EEENSE_IJSB_SB_EEENS0_18inequality_wrapperIN6hipcub16HIPCUB_304000_NS8EqualityEEEPlJS6_EEE10hipError_tPvRmT3_T4_T5_T6_T7_T9_mT8_P12ihipStream_tbDpT10_ENKUlT_T0_E_clISt17integral_constantIbLb0EES17_EEDaS12_S13_EUlS12_E_NS1_11comp_targetILNS1_3genE0ELNS1_11target_archE4294967295ELNS1_3gpuE0ELNS1_3repE0EEENS1_30default_config_static_selectorELNS0_4arch9wavefront6targetE1EEEvT1_,@function
_ZN7rocprim17ROCPRIM_400000_NS6detail17trampoline_kernelINS0_14default_configENS1_25partition_config_selectorILNS1_17partition_subalgoE8EdNS0_10empty_typeEbEEZZNS1_14partition_implILS5_8ELb0ES3_jPKdPS6_PKS6_NS0_5tupleIJPdS6_EEENSE_IJSB_SB_EEENS0_18inequality_wrapperIN6hipcub16HIPCUB_304000_NS8EqualityEEEPlJS6_EEE10hipError_tPvRmT3_T4_T5_T6_T7_T9_mT8_P12ihipStream_tbDpT10_ENKUlT_T0_E_clISt17integral_constantIbLb0EES17_EEDaS12_S13_EUlS12_E_NS1_11comp_targetILNS1_3genE0ELNS1_11target_archE4294967295ELNS1_3gpuE0ELNS1_3repE0EEENS1_30default_config_static_selectorELNS0_4arch9wavefront6targetE1EEEvT1_: ; @_ZN7rocprim17ROCPRIM_400000_NS6detail17trampoline_kernelINS0_14default_configENS1_25partition_config_selectorILNS1_17partition_subalgoE8EdNS0_10empty_typeEbEEZZNS1_14partition_implILS5_8ELb0ES3_jPKdPS6_PKS6_NS0_5tupleIJPdS6_EEENSE_IJSB_SB_EEENS0_18inequality_wrapperIN6hipcub16HIPCUB_304000_NS8EqualityEEEPlJS6_EEE10hipError_tPvRmT3_T4_T5_T6_T7_T9_mT8_P12ihipStream_tbDpT10_ENKUlT_T0_E_clISt17integral_constantIbLb0EES17_EEDaS12_S13_EUlS12_E_NS1_11comp_targetILNS1_3genE0ELNS1_11target_archE4294967295ELNS1_3gpuE0ELNS1_3repE0EEENS1_30default_config_static_selectorELNS0_4arch9wavefront6targetE1EEEvT1_
; %bb.0:
	.section	.rodata,"a",@progbits
	.p2align	6, 0x0
	.amdhsa_kernel _ZN7rocprim17ROCPRIM_400000_NS6detail17trampoline_kernelINS0_14default_configENS1_25partition_config_selectorILNS1_17partition_subalgoE8EdNS0_10empty_typeEbEEZZNS1_14partition_implILS5_8ELb0ES3_jPKdPS6_PKS6_NS0_5tupleIJPdS6_EEENSE_IJSB_SB_EEENS0_18inequality_wrapperIN6hipcub16HIPCUB_304000_NS8EqualityEEEPlJS6_EEE10hipError_tPvRmT3_T4_T5_T6_T7_T9_mT8_P12ihipStream_tbDpT10_ENKUlT_T0_E_clISt17integral_constantIbLb0EES17_EEDaS12_S13_EUlS12_E_NS1_11comp_targetILNS1_3genE0ELNS1_11target_archE4294967295ELNS1_3gpuE0ELNS1_3repE0EEENS1_30default_config_static_selectorELNS0_4arch9wavefront6targetE1EEEvT1_
		.amdhsa_group_segment_fixed_size 0
		.amdhsa_private_segment_fixed_size 0
		.amdhsa_kernarg_size 112
		.amdhsa_user_sgpr_count 6
		.amdhsa_user_sgpr_private_segment_buffer 1
		.amdhsa_user_sgpr_dispatch_ptr 0
		.amdhsa_user_sgpr_queue_ptr 0
		.amdhsa_user_sgpr_kernarg_segment_ptr 1
		.amdhsa_user_sgpr_dispatch_id 0
		.amdhsa_user_sgpr_flat_scratch_init 0
		.amdhsa_user_sgpr_kernarg_preload_length 0
		.amdhsa_user_sgpr_kernarg_preload_offset 0
		.amdhsa_user_sgpr_private_segment_size 0
		.amdhsa_uses_dynamic_stack 0
		.amdhsa_system_sgpr_private_segment_wavefront_offset 0
		.amdhsa_system_sgpr_workgroup_id_x 1
		.amdhsa_system_sgpr_workgroup_id_y 0
		.amdhsa_system_sgpr_workgroup_id_z 0
		.amdhsa_system_sgpr_workgroup_info 0
		.amdhsa_system_vgpr_workitem_id 0
		.amdhsa_next_free_vgpr 1
		.amdhsa_next_free_sgpr 0
		.amdhsa_accum_offset 4
		.amdhsa_reserve_vcc 0
		.amdhsa_reserve_flat_scratch 0
		.amdhsa_float_round_mode_32 0
		.amdhsa_float_round_mode_16_64 0
		.amdhsa_float_denorm_mode_32 3
		.amdhsa_float_denorm_mode_16_64 3
		.amdhsa_dx10_clamp 1
		.amdhsa_ieee_mode 1
		.amdhsa_fp16_overflow 0
		.amdhsa_tg_split 0
		.amdhsa_exception_fp_ieee_invalid_op 0
		.amdhsa_exception_fp_denorm_src 0
		.amdhsa_exception_fp_ieee_div_zero 0
		.amdhsa_exception_fp_ieee_overflow 0
		.amdhsa_exception_fp_ieee_underflow 0
		.amdhsa_exception_fp_ieee_inexact 0
		.amdhsa_exception_int_div_zero 0
	.end_amdhsa_kernel
	.section	.text._ZN7rocprim17ROCPRIM_400000_NS6detail17trampoline_kernelINS0_14default_configENS1_25partition_config_selectorILNS1_17partition_subalgoE8EdNS0_10empty_typeEbEEZZNS1_14partition_implILS5_8ELb0ES3_jPKdPS6_PKS6_NS0_5tupleIJPdS6_EEENSE_IJSB_SB_EEENS0_18inequality_wrapperIN6hipcub16HIPCUB_304000_NS8EqualityEEEPlJS6_EEE10hipError_tPvRmT3_T4_T5_T6_T7_T9_mT8_P12ihipStream_tbDpT10_ENKUlT_T0_E_clISt17integral_constantIbLb0EES17_EEDaS12_S13_EUlS12_E_NS1_11comp_targetILNS1_3genE0ELNS1_11target_archE4294967295ELNS1_3gpuE0ELNS1_3repE0EEENS1_30default_config_static_selectorELNS0_4arch9wavefront6targetE1EEEvT1_,"axG",@progbits,_ZN7rocprim17ROCPRIM_400000_NS6detail17trampoline_kernelINS0_14default_configENS1_25partition_config_selectorILNS1_17partition_subalgoE8EdNS0_10empty_typeEbEEZZNS1_14partition_implILS5_8ELb0ES3_jPKdPS6_PKS6_NS0_5tupleIJPdS6_EEENSE_IJSB_SB_EEENS0_18inequality_wrapperIN6hipcub16HIPCUB_304000_NS8EqualityEEEPlJS6_EEE10hipError_tPvRmT3_T4_T5_T6_T7_T9_mT8_P12ihipStream_tbDpT10_ENKUlT_T0_E_clISt17integral_constantIbLb0EES17_EEDaS12_S13_EUlS12_E_NS1_11comp_targetILNS1_3genE0ELNS1_11target_archE4294967295ELNS1_3gpuE0ELNS1_3repE0EEENS1_30default_config_static_selectorELNS0_4arch9wavefront6targetE1EEEvT1_,comdat
.Lfunc_end272:
	.size	_ZN7rocprim17ROCPRIM_400000_NS6detail17trampoline_kernelINS0_14default_configENS1_25partition_config_selectorILNS1_17partition_subalgoE8EdNS0_10empty_typeEbEEZZNS1_14partition_implILS5_8ELb0ES3_jPKdPS6_PKS6_NS0_5tupleIJPdS6_EEENSE_IJSB_SB_EEENS0_18inequality_wrapperIN6hipcub16HIPCUB_304000_NS8EqualityEEEPlJS6_EEE10hipError_tPvRmT3_T4_T5_T6_T7_T9_mT8_P12ihipStream_tbDpT10_ENKUlT_T0_E_clISt17integral_constantIbLb0EES17_EEDaS12_S13_EUlS12_E_NS1_11comp_targetILNS1_3genE0ELNS1_11target_archE4294967295ELNS1_3gpuE0ELNS1_3repE0EEENS1_30default_config_static_selectorELNS0_4arch9wavefront6targetE1EEEvT1_, .Lfunc_end272-_ZN7rocprim17ROCPRIM_400000_NS6detail17trampoline_kernelINS0_14default_configENS1_25partition_config_selectorILNS1_17partition_subalgoE8EdNS0_10empty_typeEbEEZZNS1_14partition_implILS5_8ELb0ES3_jPKdPS6_PKS6_NS0_5tupleIJPdS6_EEENSE_IJSB_SB_EEENS0_18inequality_wrapperIN6hipcub16HIPCUB_304000_NS8EqualityEEEPlJS6_EEE10hipError_tPvRmT3_T4_T5_T6_T7_T9_mT8_P12ihipStream_tbDpT10_ENKUlT_T0_E_clISt17integral_constantIbLb0EES17_EEDaS12_S13_EUlS12_E_NS1_11comp_targetILNS1_3genE0ELNS1_11target_archE4294967295ELNS1_3gpuE0ELNS1_3repE0EEENS1_30default_config_static_selectorELNS0_4arch9wavefront6targetE1EEEvT1_
                                        ; -- End function
	.section	.AMDGPU.csdata,"",@progbits
; Kernel info:
; codeLenInByte = 0
; NumSgprs: 4
; NumVgprs: 0
; NumAgprs: 0
; TotalNumVgprs: 0
; ScratchSize: 0
; MemoryBound: 0
; FloatMode: 240
; IeeeMode: 1
; LDSByteSize: 0 bytes/workgroup (compile time only)
; SGPRBlocks: 0
; VGPRBlocks: 0
; NumSGPRsForWavesPerEU: 4
; NumVGPRsForWavesPerEU: 1
; AccumOffset: 4
; Occupancy: 8
; WaveLimiterHint : 0
; COMPUTE_PGM_RSRC2:SCRATCH_EN: 0
; COMPUTE_PGM_RSRC2:USER_SGPR: 6
; COMPUTE_PGM_RSRC2:TRAP_HANDLER: 0
; COMPUTE_PGM_RSRC2:TGID_X_EN: 1
; COMPUTE_PGM_RSRC2:TGID_Y_EN: 0
; COMPUTE_PGM_RSRC2:TGID_Z_EN: 0
; COMPUTE_PGM_RSRC2:TIDIG_COMP_CNT: 0
; COMPUTE_PGM_RSRC3_GFX90A:ACCUM_OFFSET: 0
; COMPUTE_PGM_RSRC3_GFX90A:TG_SPLIT: 0
	.section	.text._ZN7rocprim17ROCPRIM_400000_NS6detail17trampoline_kernelINS0_14default_configENS1_25partition_config_selectorILNS1_17partition_subalgoE8EdNS0_10empty_typeEbEEZZNS1_14partition_implILS5_8ELb0ES3_jPKdPS6_PKS6_NS0_5tupleIJPdS6_EEENSE_IJSB_SB_EEENS0_18inequality_wrapperIN6hipcub16HIPCUB_304000_NS8EqualityEEEPlJS6_EEE10hipError_tPvRmT3_T4_T5_T6_T7_T9_mT8_P12ihipStream_tbDpT10_ENKUlT_T0_E_clISt17integral_constantIbLb0EES17_EEDaS12_S13_EUlS12_E_NS1_11comp_targetILNS1_3genE5ELNS1_11target_archE942ELNS1_3gpuE9ELNS1_3repE0EEENS1_30default_config_static_selectorELNS0_4arch9wavefront6targetE1EEEvT1_,"axG",@progbits,_ZN7rocprim17ROCPRIM_400000_NS6detail17trampoline_kernelINS0_14default_configENS1_25partition_config_selectorILNS1_17partition_subalgoE8EdNS0_10empty_typeEbEEZZNS1_14partition_implILS5_8ELb0ES3_jPKdPS6_PKS6_NS0_5tupleIJPdS6_EEENSE_IJSB_SB_EEENS0_18inequality_wrapperIN6hipcub16HIPCUB_304000_NS8EqualityEEEPlJS6_EEE10hipError_tPvRmT3_T4_T5_T6_T7_T9_mT8_P12ihipStream_tbDpT10_ENKUlT_T0_E_clISt17integral_constantIbLb0EES17_EEDaS12_S13_EUlS12_E_NS1_11comp_targetILNS1_3genE5ELNS1_11target_archE942ELNS1_3gpuE9ELNS1_3repE0EEENS1_30default_config_static_selectorELNS0_4arch9wavefront6targetE1EEEvT1_,comdat
	.protected	_ZN7rocprim17ROCPRIM_400000_NS6detail17trampoline_kernelINS0_14default_configENS1_25partition_config_selectorILNS1_17partition_subalgoE8EdNS0_10empty_typeEbEEZZNS1_14partition_implILS5_8ELb0ES3_jPKdPS6_PKS6_NS0_5tupleIJPdS6_EEENSE_IJSB_SB_EEENS0_18inequality_wrapperIN6hipcub16HIPCUB_304000_NS8EqualityEEEPlJS6_EEE10hipError_tPvRmT3_T4_T5_T6_T7_T9_mT8_P12ihipStream_tbDpT10_ENKUlT_T0_E_clISt17integral_constantIbLb0EES17_EEDaS12_S13_EUlS12_E_NS1_11comp_targetILNS1_3genE5ELNS1_11target_archE942ELNS1_3gpuE9ELNS1_3repE0EEENS1_30default_config_static_selectorELNS0_4arch9wavefront6targetE1EEEvT1_ ; -- Begin function _ZN7rocprim17ROCPRIM_400000_NS6detail17trampoline_kernelINS0_14default_configENS1_25partition_config_selectorILNS1_17partition_subalgoE8EdNS0_10empty_typeEbEEZZNS1_14partition_implILS5_8ELb0ES3_jPKdPS6_PKS6_NS0_5tupleIJPdS6_EEENSE_IJSB_SB_EEENS0_18inequality_wrapperIN6hipcub16HIPCUB_304000_NS8EqualityEEEPlJS6_EEE10hipError_tPvRmT3_T4_T5_T6_T7_T9_mT8_P12ihipStream_tbDpT10_ENKUlT_T0_E_clISt17integral_constantIbLb0EES17_EEDaS12_S13_EUlS12_E_NS1_11comp_targetILNS1_3genE5ELNS1_11target_archE942ELNS1_3gpuE9ELNS1_3repE0EEENS1_30default_config_static_selectorELNS0_4arch9wavefront6targetE1EEEvT1_
	.globl	_ZN7rocprim17ROCPRIM_400000_NS6detail17trampoline_kernelINS0_14default_configENS1_25partition_config_selectorILNS1_17partition_subalgoE8EdNS0_10empty_typeEbEEZZNS1_14partition_implILS5_8ELb0ES3_jPKdPS6_PKS6_NS0_5tupleIJPdS6_EEENSE_IJSB_SB_EEENS0_18inequality_wrapperIN6hipcub16HIPCUB_304000_NS8EqualityEEEPlJS6_EEE10hipError_tPvRmT3_T4_T5_T6_T7_T9_mT8_P12ihipStream_tbDpT10_ENKUlT_T0_E_clISt17integral_constantIbLb0EES17_EEDaS12_S13_EUlS12_E_NS1_11comp_targetILNS1_3genE5ELNS1_11target_archE942ELNS1_3gpuE9ELNS1_3repE0EEENS1_30default_config_static_selectorELNS0_4arch9wavefront6targetE1EEEvT1_
	.p2align	8
	.type	_ZN7rocprim17ROCPRIM_400000_NS6detail17trampoline_kernelINS0_14default_configENS1_25partition_config_selectorILNS1_17partition_subalgoE8EdNS0_10empty_typeEbEEZZNS1_14partition_implILS5_8ELb0ES3_jPKdPS6_PKS6_NS0_5tupleIJPdS6_EEENSE_IJSB_SB_EEENS0_18inequality_wrapperIN6hipcub16HIPCUB_304000_NS8EqualityEEEPlJS6_EEE10hipError_tPvRmT3_T4_T5_T6_T7_T9_mT8_P12ihipStream_tbDpT10_ENKUlT_T0_E_clISt17integral_constantIbLb0EES17_EEDaS12_S13_EUlS12_E_NS1_11comp_targetILNS1_3genE5ELNS1_11target_archE942ELNS1_3gpuE9ELNS1_3repE0EEENS1_30default_config_static_selectorELNS0_4arch9wavefront6targetE1EEEvT1_,@function
_ZN7rocprim17ROCPRIM_400000_NS6detail17trampoline_kernelINS0_14default_configENS1_25partition_config_selectorILNS1_17partition_subalgoE8EdNS0_10empty_typeEbEEZZNS1_14partition_implILS5_8ELb0ES3_jPKdPS6_PKS6_NS0_5tupleIJPdS6_EEENSE_IJSB_SB_EEENS0_18inequality_wrapperIN6hipcub16HIPCUB_304000_NS8EqualityEEEPlJS6_EEE10hipError_tPvRmT3_T4_T5_T6_T7_T9_mT8_P12ihipStream_tbDpT10_ENKUlT_T0_E_clISt17integral_constantIbLb0EES17_EEDaS12_S13_EUlS12_E_NS1_11comp_targetILNS1_3genE5ELNS1_11target_archE942ELNS1_3gpuE9ELNS1_3repE0EEENS1_30default_config_static_selectorELNS0_4arch9wavefront6targetE1EEEvT1_: ; @_ZN7rocprim17ROCPRIM_400000_NS6detail17trampoline_kernelINS0_14default_configENS1_25partition_config_selectorILNS1_17partition_subalgoE8EdNS0_10empty_typeEbEEZZNS1_14partition_implILS5_8ELb0ES3_jPKdPS6_PKS6_NS0_5tupleIJPdS6_EEENSE_IJSB_SB_EEENS0_18inequality_wrapperIN6hipcub16HIPCUB_304000_NS8EqualityEEEPlJS6_EEE10hipError_tPvRmT3_T4_T5_T6_T7_T9_mT8_P12ihipStream_tbDpT10_ENKUlT_T0_E_clISt17integral_constantIbLb0EES17_EEDaS12_S13_EUlS12_E_NS1_11comp_targetILNS1_3genE5ELNS1_11target_archE942ELNS1_3gpuE9ELNS1_3repE0EEENS1_30default_config_static_selectorELNS0_4arch9wavefront6targetE1EEEvT1_
; %bb.0:
	.section	.rodata,"a",@progbits
	.p2align	6, 0x0
	.amdhsa_kernel _ZN7rocprim17ROCPRIM_400000_NS6detail17trampoline_kernelINS0_14default_configENS1_25partition_config_selectorILNS1_17partition_subalgoE8EdNS0_10empty_typeEbEEZZNS1_14partition_implILS5_8ELb0ES3_jPKdPS6_PKS6_NS0_5tupleIJPdS6_EEENSE_IJSB_SB_EEENS0_18inequality_wrapperIN6hipcub16HIPCUB_304000_NS8EqualityEEEPlJS6_EEE10hipError_tPvRmT3_T4_T5_T6_T7_T9_mT8_P12ihipStream_tbDpT10_ENKUlT_T0_E_clISt17integral_constantIbLb0EES17_EEDaS12_S13_EUlS12_E_NS1_11comp_targetILNS1_3genE5ELNS1_11target_archE942ELNS1_3gpuE9ELNS1_3repE0EEENS1_30default_config_static_selectorELNS0_4arch9wavefront6targetE1EEEvT1_
		.amdhsa_group_segment_fixed_size 0
		.amdhsa_private_segment_fixed_size 0
		.amdhsa_kernarg_size 112
		.amdhsa_user_sgpr_count 6
		.amdhsa_user_sgpr_private_segment_buffer 1
		.amdhsa_user_sgpr_dispatch_ptr 0
		.amdhsa_user_sgpr_queue_ptr 0
		.amdhsa_user_sgpr_kernarg_segment_ptr 1
		.amdhsa_user_sgpr_dispatch_id 0
		.amdhsa_user_sgpr_flat_scratch_init 0
		.amdhsa_user_sgpr_kernarg_preload_length 0
		.amdhsa_user_sgpr_kernarg_preload_offset 0
		.amdhsa_user_sgpr_private_segment_size 0
		.amdhsa_uses_dynamic_stack 0
		.amdhsa_system_sgpr_private_segment_wavefront_offset 0
		.amdhsa_system_sgpr_workgroup_id_x 1
		.amdhsa_system_sgpr_workgroup_id_y 0
		.amdhsa_system_sgpr_workgroup_id_z 0
		.amdhsa_system_sgpr_workgroup_info 0
		.amdhsa_system_vgpr_workitem_id 0
		.amdhsa_next_free_vgpr 1
		.amdhsa_next_free_sgpr 0
		.amdhsa_accum_offset 4
		.amdhsa_reserve_vcc 0
		.amdhsa_reserve_flat_scratch 0
		.amdhsa_float_round_mode_32 0
		.amdhsa_float_round_mode_16_64 0
		.amdhsa_float_denorm_mode_32 3
		.amdhsa_float_denorm_mode_16_64 3
		.amdhsa_dx10_clamp 1
		.amdhsa_ieee_mode 1
		.amdhsa_fp16_overflow 0
		.amdhsa_tg_split 0
		.amdhsa_exception_fp_ieee_invalid_op 0
		.amdhsa_exception_fp_denorm_src 0
		.amdhsa_exception_fp_ieee_div_zero 0
		.amdhsa_exception_fp_ieee_overflow 0
		.amdhsa_exception_fp_ieee_underflow 0
		.amdhsa_exception_fp_ieee_inexact 0
		.amdhsa_exception_int_div_zero 0
	.end_amdhsa_kernel
	.section	.text._ZN7rocprim17ROCPRIM_400000_NS6detail17trampoline_kernelINS0_14default_configENS1_25partition_config_selectorILNS1_17partition_subalgoE8EdNS0_10empty_typeEbEEZZNS1_14partition_implILS5_8ELb0ES3_jPKdPS6_PKS6_NS0_5tupleIJPdS6_EEENSE_IJSB_SB_EEENS0_18inequality_wrapperIN6hipcub16HIPCUB_304000_NS8EqualityEEEPlJS6_EEE10hipError_tPvRmT3_T4_T5_T6_T7_T9_mT8_P12ihipStream_tbDpT10_ENKUlT_T0_E_clISt17integral_constantIbLb0EES17_EEDaS12_S13_EUlS12_E_NS1_11comp_targetILNS1_3genE5ELNS1_11target_archE942ELNS1_3gpuE9ELNS1_3repE0EEENS1_30default_config_static_selectorELNS0_4arch9wavefront6targetE1EEEvT1_,"axG",@progbits,_ZN7rocprim17ROCPRIM_400000_NS6detail17trampoline_kernelINS0_14default_configENS1_25partition_config_selectorILNS1_17partition_subalgoE8EdNS0_10empty_typeEbEEZZNS1_14partition_implILS5_8ELb0ES3_jPKdPS6_PKS6_NS0_5tupleIJPdS6_EEENSE_IJSB_SB_EEENS0_18inequality_wrapperIN6hipcub16HIPCUB_304000_NS8EqualityEEEPlJS6_EEE10hipError_tPvRmT3_T4_T5_T6_T7_T9_mT8_P12ihipStream_tbDpT10_ENKUlT_T0_E_clISt17integral_constantIbLb0EES17_EEDaS12_S13_EUlS12_E_NS1_11comp_targetILNS1_3genE5ELNS1_11target_archE942ELNS1_3gpuE9ELNS1_3repE0EEENS1_30default_config_static_selectorELNS0_4arch9wavefront6targetE1EEEvT1_,comdat
.Lfunc_end273:
	.size	_ZN7rocprim17ROCPRIM_400000_NS6detail17trampoline_kernelINS0_14default_configENS1_25partition_config_selectorILNS1_17partition_subalgoE8EdNS0_10empty_typeEbEEZZNS1_14partition_implILS5_8ELb0ES3_jPKdPS6_PKS6_NS0_5tupleIJPdS6_EEENSE_IJSB_SB_EEENS0_18inequality_wrapperIN6hipcub16HIPCUB_304000_NS8EqualityEEEPlJS6_EEE10hipError_tPvRmT3_T4_T5_T6_T7_T9_mT8_P12ihipStream_tbDpT10_ENKUlT_T0_E_clISt17integral_constantIbLb0EES17_EEDaS12_S13_EUlS12_E_NS1_11comp_targetILNS1_3genE5ELNS1_11target_archE942ELNS1_3gpuE9ELNS1_3repE0EEENS1_30default_config_static_selectorELNS0_4arch9wavefront6targetE1EEEvT1_, .Lfunc_end273-_ZN7rocprim17ROCPRIM_400000_NS6detail17trampoline_kernelINS0_14default_configENS1_25partition_config_selectorILNS1_17partition_subalgoE8EdNS0_10empty_typeEbEEZZNS1_14partition_implILS5_8ELb0ES3_jPKdPS6_PKS6_NS0_5tupleIJPdS6_EEENSE_IJSB_SB_EEENS0_18inequality_wrapperIN6hipcub16HIPCUB_304000_NS8EqualityEEEPlJS6_EEE10hipError_tPvRmT3_T4_T5_T6_T7_T9_mT8_P12ihipStream_tbDpT10_ENKUlT_T0_E_clISt17integral_constantIbLb0EES17_EEDaS12_S13_EUlS12_E_NS1_11comp_targetILNS1_3genE5ELNS1_11target_archE942ELNS1_3gpuE9ELNS1_3repE0EEENS1_30default_config_static_selectorELNS0_4arch9wavefront6targetE1EEEvT1_
                                        ; -- End function
	.section	.AMDGPU.csdata,"",@progbits
; Kernel info:
; codeLenInByte = 0
; NumSgprs: 4
; NumVgprs: 0
; NumAgprs: 0
; TotalNumVgprs: 0
; ScratchSize: 0
; MemoryBound: 0
; FloatMode: 240
; IeeeMode: 1
; LDSByteSize: 0 bytes/workgroup (compile time only)
; SGPRBlocks: 0
; VGPRBlocks: 0
; NumSGPRsForWavesPerEU: 4
; NumVGPRsForWavesPerEU: 1
; AccumOffset: 4
; Occupancy: 8
; WaveLimiterHint : 0
; COMPUTE_PGM_RSRC2:SCRATCH_EN: 0
; COMPUTE_PGM_RSRC2:USER_SGPR: 6
; COMPUTE_PGM_RSRC2:TRAP_HANDLER: 0
; COMPUTE_PGM_RSRC2:TGID_X_EN: 1
; COMPUTE_PGM_RSRC2:TGID_Y_EN: 0
; COMPUTE_PGM_RSRC2:TGID_Z_EN: 0
; COMPUTE_PGM_RSRC2:TIDIG_COMP_CNT: 0
; COMPUTE_PGM_RSRC3_GFX90A:ACCUM_OFFSET: 0
; COMPUTE_PGM_RSRC3_GFX90A:TG_SPLIT: 0
	.section	.text._ZN7rocprim17ROCPRIM_400000_NS6detail17trampoline_kernelINS0_14default_configENS1_25partition_config_selectorILNS1_17partition_subalgoE8EdNS0_10empty_typeEbEEZZNS1_14partition_implILS5_8ELb0ES3_jPKdPS6_PKS6_NS0_5tupleIJPdS6_EEENSE_IJSB_SB_EEENS0_18inequality_wrapperIN6hipcub16HIPCUB_304000_NS8EqualityEEEPlJS6_EEE10hipError_tPvRmT3_T4_T5_T6_T7_T9_mT8_P12ihipStream_tbDpT10_ENKUlT_T0_E_clISt17integral_constantIbLb0EES17_EEDaS12_S13_EUlS12_E_NS1_11comp_targetILNS1_3genE4ELNS1_11target_archE910ELNS1_3gpuE8ELNS1_3repE0EEENS1_30default_config_static_selectorELNS0_4arch9wavefront6targetE1EEEvT1_,"axG",@progbits,_ZN7rocprim17ROCPRIM_400000_NS6detail17trampoline_kernelINS0_14default_configENS1_25partition_config_selectorILNS1_17partition_subalgoE8EdNS0_10empty_typeEbEEZZNS1_14partition_implILS5_8ELb0ES3_jPKdPS6_PKS6_NS0_5tupleIJPdS6_EEENSE_IJSB_SB_EEENS0_18inequality_wrapperIN6hipcub16HIPCUB_304000_NS8EqualityEEEPlJS6_EEE10hipError_tPvRmT3_T4_T5_T6_T7_T9_mT8_P12ihipStream_tbDpT10_ENKUlT_T0_E_clISt17integral_constantIbLb0EES17_EEDaS12_S13_EUlS12_E_NS1_11comp_targetILNS1_3genE4ELNS1_11target_archE910ELNS1_3gpuE8ELNS1_3repE0EEENS1_30default_config_static_selectorELNS0_4arch9wavefront6targetE1EEEvT1_,comdat
	.protected	_ZN7rocprim17ROCPRIM_400000_NS6detail17trampoline_kernelINS0_14default_configENS1_25partition_config_selectorILNS1_17partition_subalgoE8EdNS0_10empty_typeEbEEZZNS1_14partition_implILS5_8ELb0ES3_jPKdPS6_PKS6_NS0_5tupleIJPdS6_EEENSE_IJSB_SB_EEENS0_18inequality_wrapperIN6hipcub16HIPCUB_304000_NS8EqualityEEEPlJS6_EEE10hipError_tPvRmT3_T4_T5_T6_T7_T9_mT8_P12ihipStream_tbDpT10_ENKUlT_T0_E_clISt17integral_constantIbLb0EES17_EEDaS12_S13_EUlS12_E_NS1_11comp_targetILNS1_3genE4ELNS1_11target_archE910ELNS1_3gpuE8ELNS1_3repE0EEENS1_30default_config_static_selectorELNS0_4arch9wavefront6targetE1EEEvT1_ ; -- Begin function _ZN7rocprim17ROCPRIM_400000_NS6detail17trampoline_kernelINS0_14default_configENS1_25partition_config_selectorILNS1_17partition_subalgoE8EdNS0_10empty_typeEbEEZZNS1_14partition_implILS5_8ELb0ES3_jPKdPS6_PKS6_NS0_5tupleIJPdS6_EEENSE_IJSB_SB_EEENS0_18inequality_wrapperIN6hipcub16HIPCUB_304000_NS8EqualityEEEPlJS6_EEE10hipError_tPvRmT3_T4_T5_T6_T7_T9_mT8_P12ihipStream_tbDpT10_ENKUlT_T0_E_clISt17integral_constantIbLb0EES17_EEDaS12_S13_EUlS12_E_NS1_11comp_targetILNS1_3genE4ELNS1_11target_archE910ELNS1_3gpuE8ELNS1_3repE0EEENS1_30default_config_static_selectorELNS0_4arch9wavefront6targetE1EEEvT1_
	.globl	_ZN7rocprim17ROCPRIM_400000_NS6detail17trampoline_kernelINS0_14default_configENS1_25partition_config_selectorILNS1_17partition_subalgoE8EdNS0_10empty_typeEbEEZZNS1_14partition_implILS5_8ELb0ES3_jPKdPS6_PKS6_NS0_5tupleIJPdS6_EEENSE_IJSB_SB_EEENS0_18inequality_wrapperIN6hipcub16HIPCUB_304000_NS8EqualityEEEPlJS6_EEE10hipError_tPvRmT3_T4_T5_T6_T7_T9_mT8_P12ihipStream_tbDpT10_ENKUlT_T0_E_clISt17integral_constantIbLb0EES17_EEDaS12_S13_EUlS12_E_NS1_11comp_targetILNS1_3genE4ELNS1_11target_archE910ELNS1_3gpuE8ELNS1_3repE0EEENS1_30default_config_static_selectorELNS0_4arch9wavefront6targetE1EEEvT1_
	.p2align	8
	.type	_ZN7rocprim17ROCPRIM_400000_NS6detail17trampoline_kernelINS0_14default_configENS1_25partition_config_selectorILNS1_17partition_subalgoE8EdNS0_10empty_typeEbEEZZNS1_14partition_implILS5_8ELb0ES3_jPKdPS6_PKS6_NS0_5tupleIJPdS6_EEENSE_IJSB_SB_EEENS0_18inequality_wrapperIN6hipcub16HIPCUB_304000_NS8EqualityEEEPlJS6_EEE10hipError_tPvRmT3_T4_T5_T6_T7_T9_mT8_P12ihipStream_tbDpT10_ENKUlT_T0_E_clISt17integral_constantIbLb0EES17_EEDaS12_S13_EUlS12_E_NS1_11comp_targetILNS1_3genE4ELNS1_11target_archE910ELNS1_3gpuE8ELNS1_3repE0EEENS1_30default_config_static_selectorELNS0_4arch9wavefront6targetE1EEEvT1_,@function
_ZN7rocprim17ROCPRIM_400000_NS6detail17trampoline_kernelINS0_14default_configENS1_25partition_config_selectorILNS1_17partition_subalgoE8EdNS0_10empty_typeEbEEZZNS1_14partition_implILS5_8ELb0ES3_jPKdPS6_PKS6_NS0_5tupleIJPdS6_EEENSE_IJSB_SB_EEENS0_18inequality_wrapperIN6hipcub16HIPCUB_304000_NS8EqualityEEEPlJS6_EEE10hipError_tPvRmT3_T4_T5_T6_T7_T9_mT8_P12ihipStream_tbDpT10_ENKUlT_T0_E_clISt17integral_constantIbLb0EES17_EEDaS12_S13_EUlS12_E_NS1_11comp_targetILNS1_3genE4ELNS1_11target_archE910ELNS1_3gpuE8ELNS1_3repE0EEENS1_30default_config_static_selectorELNS0_4arch9wavefront6targetE1EEEvT1_: ; @_ZN7rocprim17ROCPRIM_400000_NS6detail17trampoline_kernelINS0_14default_configENS1_25partition_config_selectorILNS1_17partition_subalgoE8EdNS0_10empty_typeEbEEZZNS1_14partition_implILS5_8ELb0ES3_jPKdPS6_PKS6_NS0_5tupleIJPdS6_EEENSE_IJSB_SB_EEENS0_18inequality_wrapperIN6hipcub16HIPCUB_304000_NS8EqualityEEEPlJS6_EEE10hipError_tPvRmT3_T4_T5_T6_T7_T9_mT8_P12ihipStream_tbDpT10_ENKUlT_T0_E_clISt17integral_constantIbLb0EES17_EEDaS12_S13_EUlS12_E_NS1_11comp_targetILNS1_3genE4ELNS1_11target_archE910ELNS1_3gpuE8ELNS1_3repE0EEENS1_30default_config_static_selectorELNS0_4arch9wavefront6targetE1EEEvT1_
; %bb.0:
	s_load_dwordx2 s[8:9], s[4:5], 0x50
	s_load_dwordx4 s[0:3], s[4:5], 0x8
	s_load_dwordx4 s[20:23], s[4:5], 0x40
	s_load_dword s7, s[4:5], 0x68
	s_waitcnt lgkmcnt(0)
	v_mov_b32_e32 v3, s9
	s_lshl_b64 s[10:11], s[2:3], 3
	s_add_u32 s10, s0, s10
	s_mul_i32 s9, s7, 0x500
	s_addc_u32 s11, s1, s11
	s_add_i32 s1, s9, s2
	s_add_i32 s12, s7, -1
	s_sub_i32 s7, s8, s1
	v_mov_b32_e32 v2, s8
	s_add_u32 s8, s2, s9
	s_addc_u32 s9, s3, 0
	s_cmp_eq_u32 s6, s12
	s_load_dwordx2 s[22:23], s[22:23], 0x0
	v_cmp_ge_u64_e32 vcc, s[8:9], v[2:3]
	s_cselect_b64 s[24:25], -1, 0
	s_mul_i32 s0, s6, 0x500
	s_mov_b32 s1, 0
	s_and_b64 s[12:13], s[24:25], vcc
	s_xor_b64 s[26:27], s[12:13], -1
	s_lshl_b64 s[0:1], s[0:1], 3
	s_add_u32 s0, s10, s0
	s_mov_b64 s[8:9], -1
	s_addc_u32 s1, s11, s1
	s_and_b64 vcc, exec, s[26:27]
	s_cbranch_vccz .LBB274_2
; %bb.1:
	v_lshlrev_b32_e32 v1, 3, v0
	v_mov_b32_e32 v2, s1
	v_add_co_u32_e32 v12, vcc, s0, v1
	v_addc_co_u32_e32 v13, vcc, 0, v2, vcc
	v_add_co_u32_e32 v2, vcc, 0x1000, v12
	v_addc_co_u32_e32 v3, vcc, 0, v13, vcc
	global_load_dwordx2 v[4:5], v1, s[0:1]
	global_load_dwordx2 v[6:7], v1, s[0:1] offset:2048
	global_load_dwordx2 v[8:9], v[2:3], off
	global_load_dwordx2 v[10:11], v[2:3], off offset:2048
	v_add_co_u32_e32 v2, vcc, 0x2000, v12
	v_addc_co_u32_e32 v3, vcc, 0, v13, vcc
	global_load_dwordx2 v[2:3], v[2:3], off
	s_mov_b64 s[8:9], 0
	s_waitcnt vmcnt(3)
	ds_write2st64_b64 v1, v[4:5], v[6:7] offset1:4
	s_waitcnt vmcnt(1)
	ds_write2st64_b64 v1, v[8:9], v[10:11] offset0:8 offset1:12
	s_waitcnt vmcnt(0)
	ds_write_b64 v1, v[2:3] offset:8192
	s_waitcnt lgkmcnt(0)
	s_barrier
.LBB274_2:
	s_andn2_b64 vcc, exec, s[8:9]
	s_addk_i32 s7, 0x500
	s_cbranch_vccnz .LBB274_14
; %bb.3:
	v_cmp_gt_u32_e32 vcc, s7, v0
                                        ; implicit-def: $vgpr2_vgpr3_vgpr4_vgpr5_vgpr6_vgpr7_vgpr8_vgpr9_vgpr10_vgpr11_vgpr12_vgpr13_vgpr14_vgpr15_vgpr16_vgpr17
	s_and_saveexec_b64 s[8:9], vcc
	s_cbranch_execz .LBB274_5
; %bb.4:
	v_lshlrev_b32_e32 v1, 3, v0
	global_load_dwordx2 v[2:3], v1, s[0:1]
.LBB274_5:
	s_or_b64 exec, exec, s[8:9]
	v_or_b32_e32 v1, 0x100, v0
	v_cmp_gt_u32_e32 vcc, s7, v1
	s_and_saveexec_b64 s[8:9], vcc
	s_cbranch_execz .LBB274_7
; %bb.6:
	v_lshlrev_b32_e32 v1, 3, v0
	global_load_dwordx2 v[4:5], v1, s[0:1] offset:2048
.LBB274_7:
	s_or_b64 exec, exec, s[8:9]
	v_or_b32_e32 v1, 0x200, v0
	v_cmp_gt_u32_e32 vcc, s7, v1
	s_and_saveexec_b64 s[8:9], vcc
	s_cbranch_execz .LBB274_9
; %bb.8:
	v_lshlrev_b32_e32 v1, 3, v1
	global_load_dwordx2 v[6:7], v1, s[0:1]
.LBB274_9:
	s_or_b64 exec, exec, s[8:9]
	v_or_b32_e32 v1, 0x300, v0
	v_cmp_gt_u32_e32 vcc, s7, v1
	s_and_saveexec_b64 s[8:9], vcc
	s_cbranch_execz .LBB274_11
; %bb.10:
	v_lshlrev_b32_e32 v1, 3, v1
	global_load_dwordx2 v[8:9], v1, s[0:1]
.LBB274_11:
	;; [unrolled: 9-line block ×3, first 2 shown]
	s_or_b64 exec, exec, s[8:9]
	v_lshlrev_b32_e32 v1, 3, v0
	s_waitcnt vmcnt(0)
	ds_write2st64_b64 v1, v[2:3], v[4:5] offset1:4
	ds_write2st64_b64 v1, v[6:7], v[8:9] offset0:8 offset1:12
	ds_write_b64 v1, v[10:11] offset:8192
	s_waitcnt lgkmcnt(0)
	s_barrier
.LBB274_14:
	v_mul_u32_u24_e32 v16, 5, v0
	v_lshlrev_b32_e32 v1, 3, v16
	s_waitcnt lgkmcnt(0)
	ds_read2_b64 v[6:9], v1 offset1:1
	ds_read2_b64 v[2:5], v1 offset0:2 offset1:3
	ds_read_b64 v[10:11], v1 offset:32
	s_cmp_lg_u32 s6, 0
	s_cselect_b64 s[16:17], -1, 0
	s_cmp_lg_u64 s[2:3], 0
	s_cselect_b64 s[2:3], -1, 0
	s_or_b64 s[2:3], s[16:17], s[2:3]
	v_mad_u32_u24 v19, v0, 5, 1
	v_mad_u32_u24 v17, v0, 5, 2
	;; [unrolled: 1-line block ×4, first 2 shown]
	s_mov_b64 s[14:15], 0
	s_and_b64 vcc, exec, s[2:3]
	s_waitcnt lgkmcnt(0)
	s_barrier
	s_cbranch_vccz .LBB274_19
; %bb.15:
	s_add_u32 s0, s0, -8
	s_addc_u32 s1, s1, -1
	s_load_dwordx2 s[2:3], s[0:1], 0x0
	v_lshlrev_b32_e32 v12, 3, v0
	s_and_b64 vcc, exec, s[26:27]
	ds_write_b64 v12, v[10:11]
	s_cbranch_vccz .LBB274_20
; %bb.16:
	v_cmp_ne_u32_e32 vcc, 0, v0
	s_waitcnt lgkmcnt(0)
	v_pk_mov_b32 v[14:15], s[2:3], s[2:3] op_sel:[0,1]
	s_barrier
	s_and_saveexec_b64 s[0:1], vcc
	s_cbranch_execz .LBB274_18
; %bb.17:
	v_add_u32_e32 v13, -8, v12
	ds_read_b64 v[14:15], v13
.LBB274_18:
	s_or_b64 exec, exec, s[0:1]
	v_cmp_neq_f64_e32 vcc, v[4:5], v[10:11]
	v_cndmask_b32_e64 v13, 0, 1, vcc
	v_cmp_neq_f64_e32 vcc, v[2:3], v[4:5]
	v_cndmask_b32_e64 v21, 0, 1, vcc
	;; [unrolled: 2-line block ×4, first 2 shown]
	s_waitcnt lgkmcnt(0)
	v_cmp_neq_f64_e64 s[0:1], v[14:15], v[6:7]
	v_lshlrev_b16_e32 v14, 8, v21
	v_or_b32_sdwa v14, v22, v14 dst_sel:WORD_1 dst_unused:UNUSED_PAD src0_sel:DWORD src1_sel:DWORD
	v_lshlrev_b16_e32 v15, 8, v23
	v_or_b32_e32 v14, v15, v14
	s_branch .LBB274_24
.LBB274_19:
                                        ; implicit-def: $sgpr0_sgpr1
                                        ; implicit-def: $vgpr13
                                        ; implicit-def: $vgpr14
	s_branch .LBB274_25
.LBB274_20:
                                        ; implicit-def: $sgpr0_sgpr1
                                        ; implicit-def: $vgpr13
                                        ; implicit-def: $vgpr14
	s_cbranch_execz .LBB274_24
; %bb.21:
	v_cmp_ne_u32_e32 vcc, 0, v0
	s_waitcnt lgkmcnt(0)
	v_pk_mov_b32 v[14:15], s[2:3], s[2:3] op_sel:[0,1]
	s_barrier
	s_and_saveexec_b64 s[0:1], vcc
	s_cbranch_execz .LBB274_23
; %bb.22:
	v_add_u32_e32 v12, -8, v12
	ds_read_b64 v[14:15], v12
.LBB274_23:
	s_or_b64 exec, exec, s[0:1]
	v_cmp_gt_u32_e32 vcc, s7, v18
	v_cmp_neq_f64_e64 s[0:1], v[4:5], v[10:11]
	s_and_b64 s[0:1], vcc, s[0:1]
	v_cndmask_b32_e64 v13, 0, 1, s[0:1]
	v_cmp_gt_u32_e32 vcc, s7, v20
	v_cmp_neq_f64_e64 s[0:1], v[2:3], v[4:5]
	s_and_b64 s[0:1], vcc, s[0:1]
	v_cndmask_b32_e64 v12, 0, 1, s[0:1]
	;; [unrolled: 4-line block ×4, first 2 shown]
	v_lshlrev_b16_e32 v12, 8, v12
	v_cmp_gt_u32_e32 vcc, s7, v16
	s_waitcnt lgkmcnt(0)
	v_cmp_neq_f64_e64 s[0:1], v[14:15], v[6:7]
	v_or_b32_sdwa v12, v21, v12 dst_sel:WORD_1 dst_unused:UNUSED_PAD src0_sel:DWORD src1_sel:DWORD
	v_lshlrev_b16_e32 v14, 8, v22
	s_and_b64 s[0:1], vcc, s[0:1]
	v_or_b32_e32 v14, v14, v12
.LBB274_24:
	s_waitcnt lgkmcnt(0)
	s_mov_b64 s[14:15], -1
	s_cbranch_execnz .LBB274_33
.LBB274_25:
	v_lshlrev_b32_e32 v12, 5, v0
	v_sub_u32_e32 v15, v1, v12
	s_and_b64 vcc, exec, s[26:27]
	v_cmp_neq_f64_e64 s[0:1], v[4:5], v[10:11]
	v_cmp_neq_f64_e64 s[2:3], v[2:3], v[4:5]
	;; [unrolled: 1-line block ×4, first 2 shown]
	ds_write_b64 v15, v[10:11]
	s_cbranch_vccz .LBB274_29
; %bb.26:
	v_cndmask_b32_e64 v12, 0, 1, s[2:3]
	v_cndmask_b32_e64 v13, 0, 1, s[10:11]
	;; [unrolled: 1-line block ×3, first 2 shown]
	v_lshlrev_b16_e32 v12, 8, v12
	v_or_b32_sdwa v12, v13, v12 dst_sel:WORD_1 dst_unused:UNUSED_PAD src0_sel:DWORD src1_sel:DWORD
	v_lshlrev_b16_e32 v13, 8, v14
	v_or_b32_e32 v13, 1, v13
	v_or_b32_sdwa v12, v13, v12 dst_sel:DWORD dst_unused:UNUSED_PAD src0_sel:WORD_0 src1_sel:DWORD
	v_cndmask_b32_e64 v13, 0, 1, s[0:1]
	v_cmp_ne_u32_e32 vcc, 0, v0
	s_waitcnt lgkmcnt(0)
	s_barrier
	s_waitcnt lgkmcnt(0)
                                        ; implicit-def: $sgpr0_sgpr1
                                        ; implicit-def: $vgpr14
	s_and_saveexec_b64 s[2:3], vcc
	s_xor_b64 s[2:3], exec, s[2:3]
	s_cbranch_execz .LBB274_28
; %bb.27:
	v_add_u32_e32 v14, -8, v15
	ds_read_b64 v[22:23], v14
	s_mov_b32 s0, 0x3020104
	v_perm_b32 v14, v12, v12, s0
	s_or_b64 s[14:15], s[14:15], exec
	s_waitcnt lgkmcnt(0)
	v_cmp_neq_f64_e32 vcc, v[22:23], v[6:7]
	s_and_b64 s[0:1], vcc, exec
.LBB274_28:
	s_or_b64 exec, exec, s[2:3]
	s_branch .LBB274_33
.LBB274_29:
                                        ; implicit-def: $sgpr0_sgpr1
                                        ; implicit-def: $vgpr13
                                        ; implicit-def: $vgpr14
	s_cbranch_execz .LBB274_33
; %bb.30:
	v_cmp_gt_u32_e64 s[2:3], s7, v20
	v_cmp_neq_f64_e64 s[8:9], v[2:3], v[4:5]
	s_and_b64 s[2:3], s[2:3], s[8:9]
	v_cndmask_b32_e64 v12, 0, 1, s[2:3]
	v_cmp_gt_u32_e64 s[2:3], s7, v17
	v_cmp_neq_f64_e64 s[8:9], v[8:9], v[2:3]
	s_and_b64 s[2:3], s[2:3], s[8:9]
	v_cndmask_b32_e64 v13, 0, 1, s[2:3]
	;; [unrolled: 4-line block ×3, first 2 shown]
	v_lshlrev_b16_e32 v12, 8, v12
	v_cmp_gt_u32_e32 vcc, s7, v18
	v_cmp_neq_f64_e64 s[0:1], v[4:5], v[10:11]
	v_or_b32_sdwa v12, v13, v12 dst_sel:WORD_1 dst_unused:UNUSED_PAD src0_sel:DWORD src1_sel:DWORD
	v_lshlrev_b16_e32 v13, 8, v14
	v_or_b32_e32 v13, 1, v13
	s_and_b64 s[0:1], vcc, s[0:1]
	v_or_b32_sdwa v12, v13, v12 dst_sel:DWORD dst_unused:UNUSED_PAD src0_sel:WORD_0 src1_sel:DWORD
	v_cndmask_b32_e64 v13, 0, 1, s[0:1]
	v_cmp_ne_u32_e32 vcc, 0, v0
	s_waitcnt lgkmcnt(0)
	s_barrier
	s_waitcnt lgkmcnt(0)
                                        ; implicit-def: $sgpr0_sgpr1
                                        ; implicit-def: $vgpr14
	s_and_saveexec_b64 s[2:3], vcc
	s_cbranch_execz .LBB274_32
; %bb.31:
	v_add_u32_e32 v14, -8, v15
	ds_read_b64 v[22:23], v14
	s_mov_b32 s0, 0x3020104
	v_cmp_gt_u32_e32 vcc, s7, v16
	v_perm_b32 v14, v12, v12, s0
	s_or_b64 s[14:15], s[14:15], exec
	s_waitcnt lgkmcnt(0)
	v_cmp_neq_f64_e64 s[0:1], v[22:23], v[6:7]
	s_and_b64 s[0:1], vcc, s[0:1]
	s_and_b64 s[0:1], s[0:1], exec
.LBB274_32:
	s_or_b64 exec, exec, s[2:3]
.LBB274_33:
	s_and_saveexec_b64 s[2:3], s[14:15]
	s_cbranch_execz .LBB274_35
; %bb.34:
	v_cndmask_b32_e64 v12, 0, 1, s[0:1]
	v_lshrrev_b32_e32 v15, 24, v14
	s_movk_i32 s0, 0xff
	v_lshlrev_b16_e32 v15, 8, v15
	v_and_b32_sdwa v21, v14, s0 dst_sel:DWORD dst_unused:UNUSED_PAD src0_sel:WORD_1 src1_sel:DWORD
	v_or_b32_sdwa v15, v21, v15 dst_sel:WORD_1 dst_unused:UNUSED_PAD src0_sel:DWORD src1_sel:DWORD
	v_mov_b32_e32 v21, 8
	v_lshrrev_b32_sdwa v14, v21, v14 dst_sel:BYTE_1 dst_unused:UNUSED_PAD src0_sel:DWORD src1_sel:DWORD
	v_or_b32_e32 v12, v12, v14
	s_mov_b32 s0, 0xffff
	v_or_b32_sdwa v12, v12, v15 dst_sel:DWORD dst_unused:UNUSED_PAD src0_sel:WORD_0 src1_sel:DWORD
	v_and_b32_sdwa v13, s0, v13 dst_sel:DWORD dst_unused:UNUSED_PAD src0_sel:DWORD src1_sel:BYTE_0
.LBB274_35:
	s_or_b64 exec, exec, s[2:3]
	s_load_dwordx2 s[28:29], s[4:5], 0x60
	s_andn2_b64 vcc, exec, s[12:13]
	s_cbranch_vccnz .LBB274_37
; %bb.36:
	v_cmp_gt_u32_e32 vcc, s7, v16
	v_cndmask_b32_e32 v14, 0, v12, vcc
	v_and_b32_e32 v14, 0xffff00ff, v14
	v_cmp_gt_u32_e64 s[0:1], s7, v19
	v_cndmask_b32_e64 v14, v14, v12, s[0:1]
	v_lshrrev_b32_e32 v15, 24, v14
	s_mov_b32 s2, 0x40c0100
	v_perm_b32 v14, v15, v14, s2
	v_cmp_gt_u32_e64 s[2:3], s7, v17
	v_cmp_gt_u32_e64 s[8:9], s7, v20
	v_cndmask_b32_e64 v14, v14, v12, s[2:3]
	s_or_b64 s[2:3], s[8:9], s[2:3]
	s_or_b64 s[0:1], s[2:3], s[0:1]
	s_or_b64 vcc, s[0:1], vcc
	v_and_b32_e32 v14, 0xffffff, v14
	v_cndmask_b32_e32 v15, 0, v13, vcc
	v_cndmask_b32_e64 v14, v14, v12, s[8:9]
	v_and_b32_e32 v15, 0xffffff00, v15
	v_cmp_gt_u32_e32 vcc, s7, v18
	v_cndmask_b32_e32 v12, v14, v12, vcc
	v_cndmask_b32_e32 v13, v15, v13, vcc
	s_mov_b32 s0, 0x3020104
	v_and_b32_e32 v13, 0xff, v13
	v_perm_b32 v12, v12, v12, s0
.LBB274_37:
	v_and_b32_e32 v25, 0xff, v12
	v_bfe_u32 v27, v12, 8, 8
	v_bfe_u32 v28, v12, 16, 8
	v_alignbit_b32 v14, v13, v12, 24
	v_and_b32_e32 v29, 0xff, v14
	v_and_b32_e32 v14, 0xff, v13
	v_add3_u32 v15, v27, v25, v28
	v_add3_u32 v32, v15, v29, v14
	v_mbcnt_lo_u32_b32 v14, -1, 0
	v_mbcnt_hi_u32_b32 v30, -1, v14
	v_and_b32_e32 v14, 15, v30
	v_cmp_eq_u32_e64 s[14:15], 0, v14
	v_cmp_lt_u32_e64 s[12:13], 1, v14
	v_cmp_lt_u32_e64 s[10:11], 3, v14
	;; [unrolled: 1-line block ×3, first 2 shown]
	v_and_b32_e32 v14, 16, v30
	v_cmp_eq_u32_e64 s[18:19], 0, v14
	v_or_b32_e32 v14, 63, v0
	v_cmp_lt_u32_e64 s[0:1], 31, v30
	v_lshrrev_b32_e32 v31, 6, v0
	v_cmp_eq_u32_e64 s[2:3], v14, v0
	s_and_b64 vcc, exec, s[16:17]
	s_waitcnt lgkmcnt(0)
	s_barrier
	s_cbranch_vccz .LBB274_64
; %bb.38:
	v_mov_b32_dpp v14, v32 row_shr:1 row_mask:0xf bank_mask:0xf
	v_cndmask_b32_e64 v14, v14, 0, s[14:15]
	v_add_u32_e32 v14, v14, v32
	s_nop 1
	v_mov_b32_dpp v15, v14 row_shr:2 row_mask:0xf bank_mask:0xf
	v_cndmask_b32_e64 v15, 0, v15, s[12:13]
	v_add_u32_e32 v14, v14, v15
	s_nop 1
	;; [unrolled: 4-line block ×4, first 2 shown]
	v_mov_b32_dpp v15, v14 row_bcast:15 row_mask:0xf bank_mask:0xf
	v_cndmask_b32_e64 v15, v15, 0, s[18:19]
	v_add_u32_e32 v14, v14, v15
	s_nop 1
	v_mov_b32_dpp v15, v14 row_bcast:31 row_mask:0xf bank_mask:0xf
	v_cndmask_b32_e64 v15, 0, v15, s[0:1]
	v_add_u32_e32 v14, v14, v15
	s_and_saveexec_b64 s[16:17], s[2:3]
	s_cbranch_execz .LBB274_40
; %bb.39:
	v_lshlrev_b32_e32 v15, 2, v31
	ds_write_b32 v15, v14
.LBB274_40:
	s_or_b64 exec, exec, s[16:17]
	v_cmp_gt_u32_e32 vcc, 4, v0
	s_waitcnt lgkmcnt(0)
	s_barrier
	s_and_saveexec_b64 s[16:17], vcc
	s_cbranch_execz .LBB274_42
; %bb.41:
	v_lshlrev_b32_e32 v15, 2, v0
	ds_read_b32 v16, v15
	v_and_b32_e32 v17, 3, v30
	v_cmp_ne_u32_e32 vcc, 0, v17
	s_waitcnt lgkmcnt(0)
	v_mov_b32_dpp v18, v16 row_shr:1 row_mask:0xf bank_mask:0xf
	v_cndmask_b32_e32 v18, 0, v18, vcc
	v_add_u32_e32 v16, v18, v16
	v_cmp_lt_u32_e32 vcc, 1, v17
	s_nop 0
	v_mov_b32_dpp v18, v16 row_shr:2 row_mask:0xf bank_mask:0xf
	v_cndmask_b32_e32 v17, 0, v18, vcc
	v_add_u32_e32 v16, v16, v17
	ds_write_b32 v15, v16
.LBB274_42:
	s_or_b64 exec, exec, s[16:17]
	v_cmp_gt_u32_e32 vcc, 64, v0
	v_cmp_lt_u32_e64 s[16:17], 63, v0
	s_waitcnt lgkmcnt(0)
	s_barrier
	s_waitcnt lgkmcnt(0)
                                        ; implicit-def: $vgpr24
	s_and_saveexec_b64 s[30:31], s[16:17]
	s_cbranch_execz .LBB274_44
; %bb.43:
	v_lshl_add_u32 v15, v31, 2, -4
	ds_read_b32 v24, v15
	s_waitcnt lgkmcnt(0)
	v_add_u32_e32 v14, v24, v14
.LBB274_44:
	s_or_b64 exec, exec, s[30:31]
	v_add_u32_e32 v15, -1, v30
	v_and_b32_e32 v16, 64, v30
	v_cmp_lt_i32_e64 s[16:17], v15, v16
	v_cndmask_b32_e64 v15, v15, v30, s[16:17]
	v_lshlrev_b32_e32 v15, 2, v15
	ds_bpermute_b32 v26, v15, v14
	v_cmp_eq_u32_e64 s[16:17], 0, v30
	s_and_saveexec_b64 s[30:31], vcc
	s_cbranch_execz .LBB274_63
; %bb.45:
	v_mov_b32_e32 v21, 0
	ds_read_b32 v14, v21 offset:12
	s_and_saveexec_b64 s[34:35], s[16:17]
	s_cbranch_execz .LBB274_47
; %bb.46:
	s_add_i32 s36, s6, 64
	s_mov_b32 s37, 0
	s_lshl_b64 s[36:37], s[36:37], 3
	s_add_u32 s36, s28, s36
	v_mov_b32_e32 v15, 1
	s_addc_u32 s37, s29, s37
	s_waitcnt lgkmcnt(0)
	global_store_dwordx2 v21, v[14:15], s[36:37]
.LBB274_47:
	s_or_b64 exec, exec, s[34:35]
	v_xad_u32 v16, v30, -1, s6
	v_add_u32_e32 v20, 64, v16
	v_lshlrev_b64 v[18:19], 3, v[20:21]
	v_mov_b32_e32 v15, s29
	v_add_co_u32_e32 v22, vcc, s28, v18
	v_addc_co_u32_e32 v23, vcc, v15, v19, vcc
	global_load_dwordx2 v[18:19], v[22:23], off glc
	s_waitcnt vmcnt(0)
	v_cmp_eq_u16_sdwa s[36:37], v19, v21 src0_sel:BYTE_0 src1_sel:DWORD
	s_and_saveexec_b64 s[34:35], s[36:37]
	s_cbranch_execz .LBB274_51
; %bb.48:
	s_mov_b64 s[36:37], 0
	v_mov_b32_e32 v15, 0
.LBB274_49:                             ; =>This Inner Loop Header: Depth=1
	global_load_dwordx2 v[18:19], v[22:23], off glc
	s_waitcnt vmcnt(0)
	v_cmp_ne_u16_sdwa s[38:39], v19, v15 src0_sel:BYTE_0 src1_sel:DWORD
	s_or_b64 s[36:37], s[38:39], s[36:37]
	s_andn2_b64 exec, exec, s[36:37]
	s_cbranch_execnz .LBB274_49
; %bb.50:
	s_or_b64 exec, exec, s[36:37]
.LBB274_51:
	s_or_b64 exec, exec, s[34:35]
	v_and_b32_e32 v34, 63, v30
	v_mov_b32_e32 v33, 2
	v_cmp_ne_u32_e32 vcc, 63, v34
	v_cmp_eq_u16_sdwa s[34:35], v19, v33 src0_sel:BYTE_0 src1_sel:DWORD
	v_lshlrev_b64 v[20:21], v30, -1
	v_addc_co_u32_e32 v22, vcc, 0, v30, vcc
	v_and_b32_e32 v15, s35, v21
	v_lshlrev_b32_e32 v35, 2, v22
	v_or_b32_e32 v15, 0x80000000, v15
	ds_bpermute_b32 v22, v35, v18
	v_and_b32_e32 v17, s34, v20
	v_ffbl_b32_e32 v15, v15
	v_add_u32_e32 v15, 32, v15
	v_ffbl_b32_e32 v17, v17
	v_min_u32_e32 v15, v17, v15
	v_cmp_lt_u32_e32 vcc, v34, v15
	s_waitcnt lgkmcnt(0)
	v_cndmask_b32_e32 v17, 0, v22, vcc
	v_cmp_gt_u32_e32 vcc, 62, v34
	v_add_u32_e32 v17, v17, v18
	v_cndmask_b32_e64 v18, 0, 1, vcc
	v_lshlrev_b32_e32 v18, 1, v18
	v_add_lshl_u32 v36, v18, v30, 2
	ds_bpermute_b32 v18, v36, v17
	v_add_u32_e32 v37, 2, v34
	v_cmp_le_u32_e32 vcc, v37, v15
	v_add_u32_e32 v39, 4, v34
	v_add_u32_e32 v41, 8, v34
	s_waitcnt lgkmcnt(0)
	v_cndmask_b32_e32 v18, 0, v18, vcc
	v_cmp_gt_u32_e32 vcc, 60, v34
	v_add_u32_e32 v17, v17, v18
	v_cndmask_b32_e64 v18, 0, 1, vcc
	v_lshlrev_b32_e32 v18, 2, v18
	v_add_lshl_u32 v38, v18, v30, 2
	ds_bpermute_b32 v18, v38, v17
	v_cmp_le_u32_e32 vcc, v39, v15
	v_add_u32_e32 v43, 16, v34
	v_add_u32_e32 v45, 32, v34
	s_waitcnt lgkmcnt(0)
	v_cndmask_b32_e32 v18, 0, v18, vcc
	v_cmp_gt_u32_e32 vcc, 56, v34
	v_add_u32_e32 v17, v17, v18
	v_cndmask_b32_e64 v18, 0, 1, vcc
	v_lshlrev_b32_e32 v18, 3, v18
	v_add_lshl_u32 v40, v18, v30, 2
	ds_bpermute_b32 v18, v40, v17
	v_cmp_le_u32_e32 vcc, v41, v15
	s_waitcnt lgkmcnt(0)
	v_cndmask_b32_e32 v18, 0, v18, vcc
	v_cmp_gt_u32_e32 vcc, 48, v34
	v_add_u32_e32 v17, v17, v18
	v_cndmask_b32_e64 v18, 0, 1, vcc
	v_lshlrev_b32_e32 v18, 4, v18
	v_add_lshl_u32 v42, v18, v30, 2
	ds_bpermute_b32 v18, v42, v17
	v_cmp_le_u32_e32 vcc, v43, v15
	;; [unrolled: 9-line block ×3, first 2 shown]
	s_waitcnt lgkmcnt(0)
	v_cndmask_b32_e32 v15, 0, v18, vcc
	v_add_u32_e32 v18, v17, v15
	v_mov_b32_e32 v17, 0
	s_branch .LBB274_53
.LBB274_52:                             ;   in Loop: Header=BB274_53 Depth=1
	s_or_b64 exec, exec, s[34:35]
	v_cmp_eq_u16_sdwa s[34:35], v19, v33 src0_sel:BYTE_0 src1_sel:DWORD
	v_and_b32_e32 v22, s35, v21
	v_or_b32_e32 v22, 0x80000000, v22
	ds_bpermute_b32 v46, v35, v18
	v_and_b32_e32 v23, s34, v20
	v_ffbl_b32_e32 v22, v22
	v_add_u32_e32 v22, 32, v22
	v_ffbl_b32_e32 v23, v23
	v_min_u32_e32 v22, v23, v22
	v_cmp_lt_u32_e32 vcc, v34, v22
	s_waitcnt lgkmcnt(0)
	v_cndmask_b32_e32 v23, 0, v46, vcc
	v_add_u32_e32 v18, v23, v18
	ds_bpermute_b32 v23, v36, v18
	v_cmp_le_u32_e32 vcc, v37, v22
	v_subrev_u32_e32 v16, 64, v16
	s_waitcnt lgkmcnt(0)
	v_cndmask_b32_e32 v23, 0, v23, vcc
	v_add_u32_e32 v18, v18, v23
	ds_bpermute_b32 v23, v38, v18
	v_cmp_le_u32_e32 vcc, v39, v22
	s_waitcnt lgkmcnt(0)
	v_cndmask_b32_e32 v23, 0, v23, vcc
	v_add_u32_e32 v18, v18, v23
	ds_bpermute_b32 v23, v40, v18
	v_cmp_le_u32_e32 vcc, v41, v22
	;; [unrolled: 5-line block ×4, first 2 shown]
	s_waitcnt lgkmcnt(0)
	v_cndmask_b32_e32 v22, 0, v23, vcc
	v_add3_u32 v18, v22, v15, v18
.LBB274_53:                             ; =>This Loop Header: Depth=1
                                        ;     Child Loop BB274_56 Depth 2
	v_cmp_ne_u16_sdwa s[34:35], v19, v33 src0_sel:BYTE_0 src1_sel:DWORD
	v_cndmask_b32_e64 v15, 0, 1, s[34:35]
	;;#ASMSTART
	;;#ASMEND
	v_cmp_ne_u32_e32 vcc, 0, v15
	s_cmp_lg_u64 vcc, exec
	v_mov_b32_e32 v15, v18
	s_cbranch_scc1 .LBB274_58
; %bb.54:                               ;   in Loop: Header=BB274_53 Depth=1
	v_lshlrev_b64 v[18:19], 3, v[16:17]
	v_mov_b32_e32 v23, s29
	v_add_co_u32_e32 v22, vcc, s28, v18
	v_addc_co_u32_e32 v23, vcc, v23, v19, vcc
	global_load_dwordx2 v[18:19], v[22:23], off glc
	s_waitcnt vmcnt(0)
	v_cmp_eq_u16_sdwa s[36:37], v19, v17 src0_sel:BYTE_0 src1_sel:DWORD
	s_and_saveexec_b64 s[34:35], s[36:37]
	s_cbranch_execz .LBB274_52
; %bb.55:                               ;   in Loop: Header=BB274_53 Depth=1
	s_mov_b64 s[36:37], 0
.LBB274_56:                             ;   Parent Loop BB274_53 Depth=1
                                        ; =>  This Inner Loop Header: Depth=2
	global_load_dwordx2 v[18:19], v[22:23], off glc
	s_waitcnt vmcnt(0)
	v_cmp_ne_u16_sdwa s[38:39], v19, v17 src0_sel:BYTE_0 src1_sel:DWORD
	s_or_b64 s[36:37], s[38:39], s[36:37]
	s_andn2_b64 exec, exec, s[36:37]
	s_cbranch_execnz .LBB274_56
; %bb.57:                               ;   in Loop: Header=BB274_53 Depth=1
	s_or_b64 exec, exec, s[36:37]
	s_branch .LBB274_52
.LBB274_58:                             ;   in Loop: Header=BB274_53 Depth=1
                                        ; implicit-def: $vgpr18
                                        ; implicit-def: $vgpr19
	s_cbranch_execz .LBB274_53
; %bb.59:
	s_and_saveexec_b64 s[34:35], s[16:17]
	s_cbranch_execz .LBB274_61
; %bb.60:
	s_add_i32 s6, s6, 64
	s_mov_b32 s7, 0
	s_lshl_b64 s[6:7], s[6:7], 3
	s_add_u32 s6, s28, s6
	v_add_u32_e32 v16, v15, v14
	v_mov_b32_e32 v17, 2
	s_addc_u32 s7, s29, s7
	v_mov_b32_e32 v18, 0
	global_store_dwordx2 v18, v[16:17], s[6:7]
	ds_write_b64 v18, v[14:15] offset:10240
.LBB274_61:
	s_or_b64 exec, exec, s[34:35]
	v_cmp_eq_u32_e32 vcc, 0, v0
	s_and_b64 exec, exec, vcc
	s_cbranch_execz .LBB274_63
; %bb.62:
	v_mov_b32_e32 v14, 0
	ds_write_b32 v14, v15 offset:12
.LBB274_63:
	s_or_b64 exec, exec, s[30:31]
	v_mov_b32_e32 v14, 0
	s_waitcnt lgkmcnt(0)
	s_barrier
	ds_read_b32 v15, v14 offset:12
	v_cndmask_b32_e64 v16, v26, v24, s[16:17]
	v_cmp_ne_u32_e32 vcc, 0, v0
	v_cndmask_b32_e32 v16, 0, v16, vcc
	s_waitcnt lgkmcnt(0)
	v_add_u32_e32 v26, v15, v16
	s_barrier
	ds_read_b64 v[14:15], v14 offset:10240
	v_add_u32_e32 v24, v26, v25
	v_add_u32_e32 v22, v24, v27
	v_add_u32_e32 v20, v22, v28
	v_add_u32_e32 v18, v20, v29
	s_load_dwordx2 s[4:5], s[4:5], 0x28
	v_lshrrev_b64 v[16:17], 24, v[12:13]
	s_branch .LBB274_74
.LBB274_64:
                                        ; implicit-def: $vgpr15
                                        ; implicit-def: $vgpr18
                                        ; implicit-def: $vgpr20
                                        ; implicit-def: $vgpr22
                                        ; implicit-def: $vgpr24
                                        ; implicit-def: $vgpr26
	s_load_dwordx2 s[4:5], s[4:5], 0x28
	v_lshrrev_b64 v[16:17], 24, v[12:13]
	s_cbranch_execz .LBB274_74
; %bb.65:
	s_waitcnt lgkmcnt(0)
	v_mov_b32_dpp v14, v32 row_shr:1 row_mask:0xf bank_mask:0xf
	v_cndmask_b32_e64 v14, v14, 0, s[14:15]
	v_add_u32_e32 v14, v14, v32
	s_nop 1
	v_mov_b32_dpp v15, v14 row_shr:2 row_mask:0xf bank_mask:0xf
	v_cndmask_b32_e64 v15, 0, v15, s[12:13]
	v_add_u32_e32 v14, v14, v15
	s_nop 1
	;; [unrolled: 4-line block ×4, first 2 shown]
	v_mov_b32_dpp v15, v14 row_bcast:15 row_mask:0xf bank_mask:0xf
	v_cndmask_b32_e64 v15, v15, 0, s[18:19]
	v_add_u32_e32 v14, v14, v15
	s_nop 1
	v_mov_b32_dpp v15, v14 row_bcast:31 row_mask:0xf bank_mask:0xf
	v_cndmask_b32_e64 v15, 0, v15, s[0:1]
	v_add_u32_e32 v14, v14, v15
	s_and_saveexec_b64 s[0:1], s[2:3]
	s_cbranch_execz .LBB274_67
; %bb.66:
	v_lshlrev_b32_e32 v15, 2, v31
	ds_write_b32 v15, v14
.LBB274_67:
	s_or_b64 exec, exec, s[0:1]
	v_cmp_gt_u32_e32 vcc, 4, v0
	s_waitcnt lgkmcnt(0)
	s_barrier
	s_and_saveexec_b64 s[0:1], vcc
	s_cbranch_execz .LBB274_69
; %bb.68:
	s_movk_i32 s2, 0xffdc
	v_mad_i32_i24 v1, v0, s2, v1
	ds_read_b32 v15, v1
	v_and_b32_e32 v17, 3, v30
	v_cmp_ne_u32_e32 vcc, 0, v17
	s_waitcnt lgkmcnt(0)
	v_mov_b32_dpp v18, v15 row_shr:1 row_mask:0xf bank_mask:0xf
	v_cndmask_b32_e32 v18, 0, v18, vcc
	v_add_u32_e32 v15, v18, v15
	v_cmp_lt_u32_e32 vcc, 1, v17
	s_nop 0
	v_mov_b32_dpp v18, v15 row_shr:2 row_mask:0xf bank_mask:0xf
	v_cndmask_b32_e32 v17, 0, v18, vcc
	v_add_u32_e32 v15, v15, v17
	ds_write_b32 v1, v15
.LBB274_69:
	s_or_b64 exec, exec, s[0:1]
	v_cmp_lt_u32_e32 vcc, 63, v0
	v_mov_b32_e32 v15, 0
	v_mov_b32_e32 v1, 0
	s_waitcnt lgkmcnt(0)
	s_barrier
	s_and_saveexec_b64 s[0:1], vcc
	s_cbranch_execz .LBB274_71
; %bb.70:
	v_lshl_add_u32 v1, v31, 2, -4
	ds_read_b32 v1, v1
.LBB274_71:
	s_or_b64 exec, exec, s[0:1]
	v_add_u32_e32 v17, -1, v30
	v_and_b32_e32 v18, 64, v30
	v_cmp_lt_i32_e32 vcc, v17, v18
	v_cndmask_b32_e32 v17, v17, v30, vcc
	s_waitcnt lgkmcnt(0)
	v_add_u32_e32 v14, v1, v14
	v_lshlrev_b32_e32 v17, 2, v17
	ds_bpermute_b32 v17, v17, v14
	ds_read_b32 v14, v15 offset:12
	v_cmp_eq_u32_e32 vcc, 0, v0
	s_and_saveexec_b64 s[0:1], vcc
	s_cbranch_execz .LBB274_73
; %bb.72:
	v_mov_b32_e32 v18, 0
	v_mov_b32_e32 v15, 2
	s_waitcnt lgkmcnt(0)
	global_store_dwordx2 v18, v[14:15], s[28:29] offset:512
.LBB274_73:
	s_or_b64 exec, exec, s[0:1]
	v_cmp_eq_u32_e64 s[0:1], 0, v30
	s_waitcnt lgkmcnt(1)
	v_cndmask_b32_e64 v1, v17, v1, s[0:1]
	v_cndmask_b32_e64 v26, v1, 0, vcc
	v_add_u32_e32 v24, v26, v25
	v_add_u32_e32 v22, v24, v27
	;; [unrolled: 1-line block ×3, first 2 shown]
	v_mov_b32_e32 v15, 0
	v_add_u32_e32 v18, v20, v29
	s_waitcnt lgkmcnt(0)
	s_barrier
.LBB274_74:
	s_movk_i32 s0, 0x101
	s_waitcnt lgkmcnt(0)
	v_cmp_gt_u32_e32 vcc, s0, v14
	v_lshrrev_b32_e32 v1, 8, v12
	s_mov_b64 s[0:1], -1
	s_cbranch_vccnz .LBB274_78
; %bb.75:
	s_and_b64 vcc, exec, s[0:1]
	s_cbranch_vccnz .LBB274_94
.LBB274_76:
	v_cmp_eq_u32_e32 vcc, 0, v0
	s_and_b64 s[0:1], vcc, s[24:25]
	s_and_saveexec_b64 s[2:3], s[0:1]
	s_cbranch_execnz .LBB274_108
.LBB274_77:
	s_endpgm
.LBB274_78:
	v_add_u32_e32 v17, v15, v14
	s_lshl_b64 s[0:1], s[22:23], 3
	s_add_u32 s2, s4, s0
	v_cmp_lt_u32_e32 vcc, v26, v17
	s_addc_u32 s3, s5, s1
	s_or_b64 s[6:7], s[26:27], vcc
	s_and_saveexec_b64 s[0:1], s[6:7]
	s_cbranch_execz .LBB274_81
; %bb.79:
	v_and_b32_e32 v19, 1, v12
	v_cmp_eq_u32_e32 vcc, 1, v19
	s_and_b64 exec, exec, vcc
	s_cbranch_execz .LBB274_81
; %bb.80:
	v_mov_b32_e32 v27, 0
	v_lshlrev_b64 v[28:29], 3, v[26:27]
	v_mov_b32_e32 v19, s3
	v_add_co_u32_e32 v28, vcc, s2, v28
	v_addc_co_u32_e32 v29, vcc, v19, v29, vcc
	global_store_dwordx2 v[28:29], v[6:7], off
.LBB274_81:
	s_or_b64 exec, exec, s[0:1]
	v_cmp_lt_u32_e32 vcc, v24, v17
	s_or_b64 s[6:7], s[26:27], vcc
	s_and_saveexec_b64 s[0:1], s[6:7]
	s_cbranch_execz .LBB274_84
; %bb.82:
	v_and_b32_e32 v19, 1, v1
	v_cmp_eq_u32_e32 vcc, 1, v19
	s_and_b64 exec, exec, vcc
	s_cbranch_execz .LBB274_84
; %bb.83:
	v_mov_b32_e32 v25, 0
	v_lshlrev_b64 v[28:29], 3, v[24:25]
	v_mov_b32_e32 v19, s3
	v_add_co_u32_e32 v28, vcc, s2, v28
	v_addc_co_u32_e32 v29, vcc, v19, v29, vcc
	global_store_dwordx2 v[28:29], v[8:9], off
.LBB274_84:
	s_or_b64 exec, exec, s[0:1]
	v_cmp_lt_u32_e32 vcc, v22, v17
	s_or_b64 s[6:7], s[26:27], vcc
	s_and_saveexec_b64 s[0:1], s[6:7]
	s_cbranch_execz .LBB274_87
; %bb.85:
	v_mov_b32_e32 v19, 1
	v_and_b32_sdwa v19, v19, v12 dst_sel:DWORD dst_unused:UNUSED_PAD src0_sel:DWORD src1_sel:WORD_1
	v_cmp_eq_u32_e32 vcc, 1, v19
	s_and_b64 exec, exec, vcc
	s_cbranch_execz .LBB274_87
; %bb.86:
	v_mov_b32_e32 v23, 0
	v_lshlrev_b64 v[28:29], 3, v[22:23]
	v_mov_b32_e32 v19, s3
	v_add_co_u32_e32 v28, vcc, s2, v28
	v_addc_co_u32_e32 v29, vcc, v19, v29, vcc
	global_store_dwordx2 v[28:29], v[2:3], off
.LBB274_87:
	s_or_b64 exec, exec, s[0:1]
	v_cmp_lt_u32_e32 vcc, v20, v17
	s_or_b64 s[6:7], s[26:27], vcc
	s_and_saveexec_b64 s[0:1], s[6:7]
	s_cbranch_execz .LBB274_90
; %bb.88:
	v_and_b32_e32 v19, 1, v16
	v_cmp_eq_u32_e32 vcc, 1, v19
	s_and_b64 exec, exec, vcc
	s_cbranch_execz .LBB274_90
; %bb.89:
	v_mov_b32_e32 v21, 0
	v_lshlrev_b64 v[28:29], 3, v[20:21]
	v_mov_b32_e32 v19, s3
	v_add_co_u32_e32 v28, vcc, s2, v28
	v_addc_co_u32_e32 v29, vcc, v19, v29, vcc
	global_store_dwordx2 v[28:29], v[4:5], off
.LBB274_90:
	s_or_b64 exec, exec, s[0:1]
	v_cmp_lt_u32_e32 vcc, v18, v17
	s_or_b64 s[6:7], s[26:27], vcc
	s_and_saveexec_b64 s[0:1], s[6:7]
	s_cbranch_execz .LBB274_93
; %bb.91:
	v_and_b32_e32 v17, 1, v13
	v_cmp_eq_u32_e32 vcc, 1, v17
	s_and_b64 exec, exec, vcc
	s_cbranch_execz .LBB274_93
; %bb.92:
	v_mov_b32_e32 v19, 0
	v_lshlrev_b64 v[28:29], 3, v[18:19]
	v_mov_b32_e32 v17, s3
	v_add_co_u32_e32 v28, vcc, s2, v28
	v_addc_co_u32_e32 v29, vcc, v17, v29, vcc
	global_store_dwordx2 v[28:29], v[10:11], off
.LBB274_93:
	s_or_b64 exec, exec, s[0:1]
	s_branch .LBB274_76
.LBB274_94:
	v_and_b32_e32 v17, 1, v12
	v_cmp_eq_u32_e32 vcc, 1, v17
	s_and_saveexec_b64 s[0:1], vcc
	s_cbranch_execz .LBB274_96
; %bb.95:
	v_sub_u32_e32 v17, v26, v15
	v_lshlrev_b32_e32 v17, 3, v17
	ds_write_b64 v17, v[6:7]
.LBB274_96:
	s_or_b64 exec, exec, s[0:1]
	v_and_b32_e32 v1, 1, v1
	v_cmp_eq_u32_e32 vcc, 1, v1
	s_and_saveexec_b64 s[0:1], vcc
	s_cbranch_execz .LBB274_98
; %bb.97:
	v_sub_u32_e32 v1, v24, v15
	v_lshlrev_b32_e32 v1, 3, v1
	ds_write_b64 v1, v[8:9]
.LBB274_98:
	s_or_b64 exec, exec, s[0:1]
	v_mov_b32_e32 v1, 1
	v_and_b32_sdwa v1, v1, v12 dst_sel:DWORD dst_unused:UNUSED_PAD src0_sel:DWORD src1_sel:WORD_1
	v_cmp_eq_u32_e32 vcc, 1, v1
	s_and_saveexec_b64 s[0:1], vcc
	s_cbranch_execz .LBB274_100
; %bb.99:
	v_sub_u32_e32 v1, v22, v15
	v_lshlrev_b32_e32 v1, 3, v1
	ds_write_b64 v1, v[2:3]
.LBB274_100:
	s_or_b64 exec, exec, s[0:1]
	v_and_b32_e32 v1, 1, v16
	v_cmp_eq_u32_e32 vcc, 1, v1
	s_and_saveexec_b64 s[0:1], vcc
	s_cbranch_execz .LBB274_102
; %bb.101:
	v_sub_u32_e32 v1, v20, v15
	v_lshlrev_b32_e32 v1, 3, v1
	ds_write_b64 v1, v[4:5]
.LBB274_102:
	s_or_b64 exec, exec, s[0:1]
	v_and_b32_e32 v1, 1, v13
	v_cmp_eq_u32_e32 vcc, 1, v1
	s_and_saveexec_b64 s[0:1], vcc
	s_cbranch_execz .LBB274_104
; %bb.103:
	v_sub_u32_e32 v1, v18, v15
	v_lshlrev_b32_e32 v1, 3, v1
	ds_write_b64 v1, v[10:11]
.LBB274_104:
	s_or_b64 exec, exec, s[0:1]
	v_cmp_lt_u32_e32 vcc, v0, v14
	s_waitcnt lgkmcnt(0)
	s_barrier
	s_and_saveexec_b64 s[0:1], vcc
	s_cbranch_execz .LBB274_107
; %bb.105:
	s_lshl_b64 s[2:3], s[22:23], 3
	v_mov_b32_e32 v3, 0
	v_mov_b32_e32 v2, v15
	s_add_u32 s2, s4, s2
	s_addc_u32 s3, s5, s3
	v_lshlrev_b64 v[4:5], 3, v[2:3]
	v_mov_b32_e32 v2, s3
	v_add_co_u32_e32 v1, vcc, s2, v4
	v_addc_co_u32_e32 v4, vcc, v2, v5, vcc
	v_lshlrev_b32_e32 v5, 3, v0
	s_mov_b64 s[2:3], 0
	v_mov_b32_e32 v2, v0
.LBB274_106:                            ; =>This Inner Loop Header: Depth=1
	ds_read_b64 v[6:7], v5
	v_lshlrev_b64 v[8:9], 3, v[2:3]
	v_add_co_u32_e32 v8, vcc, v1, v8
	v_add_u32_e32 v2, 0x100, v2
	v_addc_co_u32_e32 v9, vcc, v4, v9, vcc
	v_cmp_ge_u32_e32 vcc, v2, v14
	v_add_u32_e32 v5, 0x800, v5
	s_or_b64 s[2:3], vcc, s[2:3]
	s_waitcnt lgkmcnt(0)
	global_store_dwordx2 v[8:9], v[6:7], off
	s_andn2_b64 exec, exec, s[2:3]
	s_cbranch_execnz .LBB274_106
.LBB274_107:
	s_or_b64 exec, exec, s[0:1]
	v_cmp_eq_u32_e32 vcc, 0, v0
	s_and_b64 s[0:1], vcc, s[24:25]
	s_and_saveexec_b64 s[2:3], s[0:1]
	s_cbranch_execz .LBB274_77
.LBB274_108:
	v_mov_b32_e32 v0, s23
	v_add_co_u32_e32 v1, vcc, s22, v14
	v_addc_co_u32_e32 v3, vcc, 0, v0, vcc
	v_add_co_u32_e32 v0, vcc, v1, v15
	v_mov_b32_e32 v2, 0
	v_addc_co_u32_e32 v1, vcc, 0, v3, vcc
	global_store_dwordx2 v2, v[0:1], s[20:21]
	s_endpgm
	.section	.rodata,"a",@progbits
	.p2align	6, 0x0
	.amdhsa_kernel _ZN7rocprim17ROCPRIM_400000_NS6detail17trampoline_kernelINS0_14default_configENS1_25partition_config_selectorILNS1_17partition_subalgoE8EdNS0_10empty_typeEbEEZZNS1_14partition_implILS5_8ELb0ES3_jPKdPS6_PKS6_NS0_5tupleIJPdS6_EEENSE_IJSB_SB_EEENS0_18inequality_wrapperIN6hipcub16HIPCUB_304000_NS8EqualityEEEPlJS6_EEE10hipError_tPvRmT3_T4_T5_T6_T7_T9_mT8_P12ihipStream_tbDpT10_ENKUlT_T0_E_clISt17integral_constantIbLb0EES17_EEDaS12_S13_EUlS12_E_NS1_11comp_targetILNS1_3genE4ELNS1_11target_archE910ELNS1_3gpuE8ELNS1_3repE0EEENS1_30default_config_static_selectorELNS0_4arch9wavefront6targetE1EEEvT1_
		.amdhsa_group_segment_fixed_size 10248
		.amdhsa_private_segment_fixed_size 0
		.amdhsa_kernarg_size 112
		.amdhsa_user_sgpr_count 6
		.amdhsa_user_sgpr_private_segment_buffer 1
		.amdhsa_user_sgpr_dispatch_ptr 0
		.amdhsa_user_sgpr_queue_ptr 0
		.amdhsa_user_sgpr_kernarg_segment_ptr 1
		.amdhsa_user_sgpr_dispatch_id 0
		.amdhsa_user_sgpr_flat_scratch_init 0
		.amdhsa_user_sgpr_kernarg_preload_length 0
		.amdhsa_user_sgpr_kernarg_preload_offset 0
		.amdhsa_user_sgpr_private_segment_size 0
		.amdhsa_uses_dynamic_stack 0
		.amdhsa_system_sgpr_private_segment_wavefront_offset 0
		.amdhsa_system_sgpr_workgroup_id_x 1
		.amdhsa_system_sgpr_workgroup_id_y 0
		.amdhsa_system_sgpr_workgroup_id_z 0
		.amdhsa_system_sgpr_workgroup_info 0
		.amdhsa_system_vgpr_workitem_id 0
		.amdhsa_next_free_vgpr 47
		.amdhsa_next_free_sgpr 40
		.amdhsa_accum_offset 48
		.amdhsa_reserve_vcc 1
		.amdhsa_reserve_flat_scratch 0
		.amdhsa_float_round_mode_32 0
		.amdhsa_float_round_mode_16_64 0
		.amdhsa_float_denorm_mode_32 3
		.amdhsa_float_denorm_mode_16_64 3
		.amdhsa_dx10_clamp 1
		.amdhsa_ieee_mode 1
		.amdhsa_fp16_overflow 0
		.amdhsa_tg_split 0
		.amdhsa_exception_fp_ieee_invalid_op 0
		.amdhsa_exception_fp_denorm_src 0
		.amdhsa_exception_fp_ieee_div_zero 0
		.amdhsa_exception_fp_ieee_overflow 0
		.amdhsa_exception_fp_ieee_underflow 0
		.amdhsa_exception_fp_ieee_inexact 0
		.amdhsa_exception_int_div_zero 0
	.end_amdhsa_kernel
	.section	.text._ZN7rocprim17ROCPRIM_400000_NS6detail17trampoline_kernelINS0_14default_configENS1_25partition_config_selectorILNS1_17partition_subalgoE8EdNS0_10empty_typeEbEEZZNS1_14partition_implILS5_8ELb0ES3_jPKdPS6_PKS6_NS0_5tupleIJPdS6_EEENSE_IJSB_SB_EEENS0_18inequality_wrapperIN6hipcub16HIPCUB_304000_NS8EqualityEEEPlJS6_EEE10hipError_tPvRmT3_T4_T5_T6_T7_T9_mT8_P12ihipStream_tbDpT10_ENKUlT_T0_E_clISt17integral_constantIbLb0EES17_EEDaS12_S13_EUlS12_E_NS1_11comp_targetILNS1_3genE4ELNS1_11target_archE910ELNS1_3gpuE8ELNS1_3repE0EEENS1_30default_config_static_selectorELNS0_4arch9wavefront6targetE1EEEvT1_,"axG",@progbits,_ZN7rocprim17ROCPRIM_400000_NS6detail17trampoline_kernelINS0_14default_configENS1_25partition_config_selectorILNS1_17partition_subalgoE8EdNS0_10empty_typeEbEEZZNS1_14partition_implILS5_8ELb0ES3_jPKdPS6_PKS6_NS0_5tupleIJPdS6_EEENSE_IJSB_SB_EEENS0_18inequality_wrapperIN6hipcub16HIPCUB_304000_NS8EqualityEEEPlJS6_EEE10hipError_tPvRmT3_T4_T5_T6_T7_T9_mT8_P12ihipStream_tbDpT10_ENKUlT_T0_E_clISt17integral_constantIbLb0EES17_EEDaS12_S13_EUlS12_E_NS1_11comp_targetILNS1_3genE4ELNS1_11target_archE910ELNS1_3gpuE8ELNS1_3repE0EEENS1_30default_config_static_selectorELNS0_4arch9wavefront6targetE1EEEvT1_,comdat
.Lfunc_end274:
	.size	_ZN7rocprim17ROCPRIM_400000_NS6detail17trampoline_kernelINS0_14default_configENS1_25partition_config_selectorILNS1_17partition_subalgoE8EdNS0_10empty_typeEbEEZZNS1_14partition_implILS5_8ELb0ES3_jPKdPS6_PKS6_NS0_5tupleIJPdS6_EEENSE_IJSB_SB_EEENS0_18inequality_wrapperIN6hipcub16HIPCUB_304000_NS8EqualityEEEPlJS6_EEE10hipError_tPvRmT3_T4_T5_T6_T7_T9_mT8_P12ihipStream_tbDpT10_ENKUlT_T0_E_clISt17integral_constantIbLb0EES17_EEDaS12_S13_EUlS12_E_NS1_11comp_targetILNS1_3genE4ELNS1_11target_archE910ELNS1_3gpuE8ELNS1_3repE0EEENS1_30default_config_static_selectorELNS0_4arch9wavefront6targetE1EEEvT1_, .Lfunc_end274-_ZN7rocprim17ROCPRIM_400000_NS6detail17trampoline_kernelINS0_14default_configENS1_25partition_config_selectorILNS1_17partition_subalgoE8EdNS0_10empty_typeEbEEZZNS1_14partition_implILS5_8ELb0ES3_jPKdPS6_PKS6_NS0_5tupleIJPdS6_EEENSE_IJSB_SB_EEENS0_18inequality_wrapperIN6hipcub16HIPCUB_304000_NS8EqualityEEEPlJS6_EEE10hipError_tPvRmT3_T4_T5_T6_T7_T9_mT8_P12ihipStream_tbDpT10_ENKUlT_T0_E_clISt17integral_constantIbLb0EES17_EEDaS12_S13_EUlS12_E_NS1_11comp_targetILNS1_3genE4ELNS1_11target_archE910ELNS1_3gpuE8ELNS1_3repE0EEENS1_30default_config_static_selectorELNS0_4arch9wavefront6targetE1EEEvT1_
                                        ; -- End function
	.section	.AMDGPU.csdata,"",@progbits
; Kernel info:
; codeLenInByte = 4500
; NumSgprs: 44
; NumVgprs: 47
; NumAgprs: 0
; TotalNumVgprs: 47
; ScratchSize: 0
; MemoryBound: 0
; FloatMode: 240
; IeeeMode: 1
; LDSByteSize: 10248 bytes/workgroup (compile time only)
; SGPRBlocks: 5
; VGPRBlocks: 5
; NumSGPRsForWavesPerEU: 44
; NumVGPRsForWavesPerEU: 47
; AccumOffset: 48
; Occupancy: 6
; WaveLimiterHint : 1
; COMPUTE_PGM_RSRC2:SCRATCH_EN: 0
; COMPUTE_PGM_RSRC2:USER_SGPR: 6
; COMPUTE_PGM_RSRC2:TRAP_HANDLER: 0
; COMPUTE_PGM_RSRC2:TGID_X_EN: 1
; COMPUTE_PGM_RSRC2:TGID_Y_EN: 0
; COMPUTE_PGM_RSRC2:TGID_Z_EN: 0
; COMPUTE_PGM_RSRC2:TIDIG_COMP_CNT: 0
; COMPUTE_PGM_RSRC3_GFX90A:ACCUM_OFFSET: 11
; COMPUTE_PGM_RSRC3_GFX90A:TG_SPLIT: 0
	.section	.text._ZN7rocprim17ROCPRIM_400000_NS6detail17trampoline_kernelINS0_14default_configENS1_25partition_config_selectorILNS1_17partition_subalgoE8EdNS0_10empty_typeEbEEZZNS1_14partition_implILS5_8ELb0ES3_jPKdPS6_PKS6_NS0_5tupleIJPdS6_EEENSE_IJSB_SB_EEENS0_18inequality_wrapperIN6hipcub16HIPCUB_304000_NS8EqualityEEEPlJS6_EEE10hipError_tPvRmT3_T4_T5_T6_T7_T9_mT8_P12ihipStream_tbDpT10_ENKUlT_T0_E_clISt17integral_constantIbLb0EES17_EEDaS12_S13_EUlS12_E_NS1_11comp_targetILNS1_3genE3ELNS1_11target_archE908ELNS1_3gpuE7ELNS1_3repE0EEENS1_30default_config_static_selectorELNS0_4arch9wavefront6targetE1EEEvT1_,"axG",@progbits,_ZN7rocprim17ROCPRIM_400000_NS6detail17trampoline_kernelINS0_14default_configENS1_25partition_config_selectorILNS1_17partition_subalgoE8EdNS0_10empty_typeEbEEZZNS1_14partition_implILS5_8ELb0ES3_jPKdPS6_PKS6_NS0_5tupleIJPdS6_EEENSE_IJSB_SB_EEENS0_18inequality_wrapperIN6hipcub16HIPCUB_304000_NS8EqualityEEEPlJS6_EEE10hipError_tPvRmT3_T4_T5_T6_T7_T9_mT8_P12ihipStream_tbDpT10_ENKUlT_T0_E_clISt17integral_constantIbLb0EES17_EEDaS12_S13_EUlS12_E_NS1_11comp_targetILNS1_3genE3ELNS1_11target_archE908ELNS1_3gpuE7ELNS1_3repE0EEENS1_30default_config_static_selectorELNS0_4arch9wavefront6targetE1EEEvT1_,comdat
	.protected	_ZN7rocprim17ROCPRIM_400000_NS6detail17trampoline_kernelINS0_14default_configENS1_25partition_config_selectorILNS1_17partition_subalgoE8EdNS0_10empty_typeEbEEZZNS1_14partition_implILS5_8ELb0ES3_jPKdPS6_PKS6_NS0_5tupleIJPdS6_EEENSE_IJSB_SB_EEENS0_18inequality_wrapperIN6hipcub16HIPCUB_304000_NS8EqualityEEEPlJS6_EEE10hipError_tPvRmT3_T4_T5_T6_T7_T9_mT8_P12ihipStream_tbDpT10_ENKUlT_T0_E_clISt17integral_constantIbLb0EES17_EEDaS12_S13_EUlS12_E_NS1_11comp_targetILNS1_3genE3ELNS1_11target_archE908ELNS1_3gpuE7ELNS1_3repE0EEENS1_30default_config_static_selectorELNS0_4arch9wavefront6targetE1EEEvT1_ ; -- Begin function _ZN7rocprim17ROCPRIM_400000_NS6detail17trampoline_kernelINS0_14default_configENS1_25partition_config_selectorILNS1_17partition_subalgoE8EdNS0_10empty_typeEbEEZZNS1_14partition_implILS5_8ELb0ES3_jPKdPS6_PKS6_NS0_5tupleIJPdS6_EEENSE_IJSB_SB_EEENS0_18inequality_wrapperIN6hipcub16HIPCUB_304000_NS8EqualityEEEPlJS6_EEE10hipError_tPvRmT3_T4_T5_T6_T7_T9_mT8_P12ihipStream_tbDpT10_ENKUlT_T0_E_clISt17integral_constantIbLb0EES17_EEDaS12_S13_EUlS12_E_NS1_11comp_targetILNS1_3genE3ELNS1_11target_archE908ELNS1_3gpuE7ELNS1_3repE0EEENS1_30default_config_static_selectorELNS0_4arch9wavefront6targetE1EEEvT1_
	.globl	_ZN7rocprim17ROCPRIM_400000_NS6detail17trampoline_kernelINS0_14default_configENS1_25partition_config_selectorILNS1_17partition_subalgoE8EdNS0_10empty_typeEbEEZZNS1_14partition_implILS5_8ELb0ES3_jPKdPS6_PKS6_NS0_5tupleIJPdS6_EEENSE_IJSB_SB_EEENS0_18inequality_wrapperIN6hipcub16HIPCUB_304000_NS8EqualityEEEPlJS6_EEE10hipError_tPvRmT3_T4_T5_T6_T7_T9_mT8_P12ihipStream_tbDpT10_ENKUlT_T0_E_clISt17integral_constantIbLb0EES17_EEDaS12_S13_EUlS12_E_NS1_11comp_targetILNS1_3genE3ELNS1_11target_archE908ELNS1_3gpuE7ELNS1_3repE0EEENS1_30default_config_static_selectorELNS0_4arch9wavefront6targetE1EEEvT1_
	.p2align	8
	.type	_ZN7rocprim17ROCPRIM_400000_NS6detail17trampoline_kernelINS0_14default_configENS1_25partition_config_selectorILNS1_17partition_subalgoE8EdNS0_10empty_typeEbEEZZNS1_14partition_implILS5_8ELb0ES3_jPKdPS6_PKS6_NS0_5tupleIJPdS6_EEENSE_IJSB_SB_EEENS0_18inequality_wrapperIN6hipcub16HIPCUB_304000_NS8EqualityEEEPlJS6_EEE10hipError_tPvRmT3_T4_T5_T6_T7_T9_mT8_P12ihipStream_tbDpT10_ENKUlT_T0_E_clISt17integral_constantIbLb0EES17_EEDaS12_S13_EUlS12_E_NS1_11comp_targetILNS1_3genE3ELNS1_11target_archE908ELNS1_3gpuE7ELNS1_3repE0EEENS1_30default_config_static_selectorELNS0_4arch9wavefront6targetE1EEEvT1_,@function
_ZN7rocprim17ROCPRIM_400000_NS6detail17trampoline_kernelINS0_14default_configENS1_25partition_config_selectorILNS1_17partition_subalgoE8EdNS0_10empty_typeEbEEZZNS1_14partition_implILS5_8ELb0ES3_jPKdPS6_PKS6_NS0_5tupleIJPdS6_EEENSE_IJSB_SB_EEENS0_18inequality_wrapperIN6hipcub16HIPCUB_304000_NS8EqualityEEEPlJS6_EEE10hipError_tPvRmT3_T4_T5_T6_T7_T9_mT8_P12ihipStream_tbDpT10_ENKUlT_T0_E_clISt17integral_constantIbLb0EES17_EEDaS12_S13_EUlS12_E_NS1_11comp_targetILNS1_3genE3ELNS1_11target_archE908ELNS1_3gpuE7ELNS1_3repE0EEENS1_30default_config_static_selectorELNS0_4arch9wavefront6targetE1EEEvT1_: ; @_ZN7rocprim17ROCPRIM_400000_NS6detail17trampoline_kernelINS0_14default_configENS1_25partition_config_selectorILNS1_17partition_subalgoE8EdNS0_10empty_typeEbEEZZNS1_14partition_implILS5_8ELb0ES3_jPKdPS6_PKS6_NS0_5tupleIJPdS6_EEENSE_IJSB_SB_EEENS0_18inequality_wrapperIN6hipcub16HIPCUB_304000_NS8EqualityEEEPlJS6_EEE10hipError_tPvRmT3_T4_T5_T6_T7_T9_mT8_P12ihipStream_tbDpT10_ENKUlT_T0_E_clISt17integral_constantIbLb0EES17_EEDaS12_S13_EUlS12_E_NS1_11comp_targetILNS1_3genE3ELNS1_11target_archE908ELNS1_3gpuE7ELNS1_3repE0EEENS1_30default_config_static_selectorELNS0_4arch9wavefront6targetE1EEEvT1_
; %bb.0:
	.section	.rodata,"a",@progbits
	.p2align	6, 0x0
	.amdhsa_kernel _ZN7rocprim17ROCPRIM_400000_NS6detail17trampoline_kernelINS0_14default_configENS1_25partition_config_selectorILNS1_17partition_subalgoE8EdNS0_10empty_typeEbEEZZNS1_14partition_implILS5_8ELb0ES3_jPKdPS6_PKS6_NS0_5tupleIJPdS6_EEENSE_IJSB_SB_EEENS0_18inequality_wrapperIN6hipcub16HIPCUB_304000_NS8EqualityEEEPlJS6_EEE10hipError_tPvRmT3_T4_T5_T6_T7_T9_mT8_P12ihipStream_tbDpT10_ENKUlT_T0_E_clISt17integral_constantIbLb0EES17_EEDaS12_S13_EUlS12_E_NS1_11comp_targetILNS1_3genE3ELNS1_11target_archE908ELNS1_3gpuE7ELNS1_3repE0EEENS1_30default_config_static_selectorELNS0_4arch9wavefront6targetE1EEEvT1_
		.amdhsa_group_segment_fixed_size 0
		.amdhsa_private_segment_fixed_size 0
		.amdhsa_kernarg_size 112
		.amdhsa_user_sgpr_count 6
		.amdhsa_user_sgpr_private_segment_buffer 1
		.amdhsa_user_sgpr_dispatch_ptr 0
		.amdhsa_user_sgpr_queue_ptr 0
		.amdhsa_user_sgpr_kernarg_segment_ptr 1
		.amdhsa_user_sgpr_dispatch_id 0
		.amdhsa_user_sgpr_flat_scratch_init 0
		.amdhsa_user_sgpr_kernarg_preload_length 0
		.amdhsa_user_sgpr_kernarg_preload_offset 0
		.amdhsa_user_sgpr_private_segment_size 0
		.amdhsa_uses_dynamic_stack 0
		.amdhsa_system_sgpr_private_segment_wavefront_offset 0
		.amdhsa_system_sgpr_workgroup_id_x 1
		.amdhsa_system_sgpr_workgroup_id_y 0
		.amdhsa_system_sgpr_workgroup_id_z 0
		.amdhsa_system_sgpr_workgroup_info 0
		.amdhsa_system_vgpr_workitem_id 0
		.amdhsa_next_free_vgpr 1
		.amdhsa_next_free_sgpr 0
		.amdhsa_accum_offset 4
		.amdhsa_reserve_vcc 0
		.amdhsa_reserve_flat_scratch 0
		.amdhsa_float_round_mode_32 0
		.amdhsa_float_round_mode_16_64 0
		.amdhsa_float_denorm_mode_32 3
		.amdhsa_float_denorm_mode_16_64 3
		.amdhsa_dx10_clamp 1
		.amdhsa_ieee_mode 1
		.amdhsa_fp16_overflow 0
		.amdhsa_tg_split 0
		.amdhsa_exception_fp_ieee_invalid_op 0
		.amdhsa_exception_fp_denorm_src 0
		.amdhsa_exception_fp_ieee_div_zero 0
		.amdhsa_exception_fp_ieee_overflow 0
		.amdhsa_exception_fp_ieee_underflow 0
		.amdhsa_exception_fp_ieee_inexact 0
		.amdhsa_exception_int_div_zero 0
	.end_amdhsa_kernel
	.section	.text._ZN7rocprim17ROCPRIM_400000_NS6detail17trampoline_kernelINS0_14default_configENS1_25partition_config_selectorILNS1_17partition_subalgoE8EdNS0_10empty_typeEbEEZZNS1_14partition_implILS5_8ELb0ES3_jPKdPS6_PKS6_NS0_5tupleIJPdS6_EEENSE_IJSB_SB_EEENS0_18inequality_wrapperIN6hipcub16HIPCUB_304000_NS8EqualityEEEPlJS6_EEE10hipError_tPvRmT3_T4_T5_T6_T7_T9_mT8_P12ihipStream_tbDpT10_ENKUlT_T0_E_clISt17integral_constantIbLb0EES17_EEDaS12_S13_EUlS12_E_NS1_11comp_targetILNS1_3genE3ELNS1_11target_archE908ELNS1_3gpuE7ELNS1_3repE0EEENS1_30default_config_static_selectorELNS0_4arch9wavefront6targetE1EEEvT1_,"axG",@progbits,_ZN7rocprim17ROCPRIM_400000_NS6detail17trampoline_kernelINS0_14default_configENS1_25partition_config_selectorILNS1_17partition_subalgoE8EdNS0_10empty_typeEbEEZZNS1_14partition_implILS5_8ELb0ES3_jPKdPS6_PKS6_NS0_5tupleIJPdS6_EEENSE_IJSB_SB_EEENS0_18inequality_wrapperIN6hipcub16HIPCUB_304000_NS8EqualityEEEPlJS6_EEE10hipError_tPvRmT3_T4_T5_T6_T7_T9_mT8_P12ihipStream_tbDpT10_ENKUlT_T0_E_clISt17integral_constantIbLb0EES17_EEDaS12_S13_EUlS12_E_NS1_11comp_targetILNS1_3genE3ELNS1_11target_archE908ELNS1_3gpuE7ELNS1_3repE0EEENS1_30default_config_static_selectorELNS0_4arch9wavefront6targetE1EEEvT1_,comdat
.Lfunc_end275:
	.size	_ZN7rocprim17ROCPRIM_400000_NS6detail17trampoline_kernelINS0_14default_configENS1_25partition_config_selectorILNS1_17partition_subalgoE8EdNS0_10empty_typeEbEEZZNS1_14partition_implILS5_8ELb0ES3_jPKdPS6_PKS6_NS0_5tupleIJPdS6_EEENSE_IJSB_SB_EEENS0_18inequality_wrapperIN6hipcub16HIPCUB_304000_NS8EqualityEEEPlJS6_EEE10hipError_tPvRmT3_T4_T5_T6_T7_T9_mT8_P12ihipStream_tbDpT10_ENKUlT_T0_E_clISt17integral_constantIbLb0EES17_EEDaS12_S13_EUlS12_E_NS1_11comp_targetILNS1_3genE3ELNS1_11target_archE908ELNS1_3gpuE7ELNS1_3repE0EEENS1_30default_config_static_selectorELNS0_4arch9wavefront6targetE1EEEvT1_, .Lfunc_end275-_ZN7rocprim17ROCPRIM_400000_NS6detail17trampoline_kernelINS0_14default_configENS1_25partition_config_selectorILNS1_17partition_subalgoE8EdNS0_10empty_typeEbEEZZNS1_14partition_implILS5_8ELb0ES3_jPKdPS6_PKS6_NS0_5tupleIJPdS6_EEENSE_IJSB_SB_EEENS0_18inequality_wrapperIN6hipcub16HIPCUB_304000_NS8EqualityEEEPlJS6_EEE10hipError_tPvRmT3_T4_T5_T6_T7_T9_mT8_P12ihipStream_tbDpT10_ENKUlT_T0_E_clISt17integral_constantIbLb0EES17_EEDaS12_S13_EUlS12_E_NS1_11comp_targetILNS1_3genE3ELNS1_11target_archE908ELNS1_3gpuE7ELNS1_3repE0EEENS1_30default_config_static_selectorELNS0_4arch9wavefront6targetE1EEEvT1_
                                        ; -- End function
	.section	.AMDGPU.csdata,"",@progbits
; Kernel info:
; codeLenInByte = 0
; NumSgprs: 4
; NumVgprs: 0
; NumAgprs: 0
; TotalNumVgprs: 0
; ScratchSize: 0
; MemoryBound: 0
; FloatMode: 240
; IeeeMode: 1
; LDSByteSize: 0 bytes/workgroup (compile time only)
; SGPRBlocks: 0
; VGPRBlocks: 0
; NumSGPRsForWavesPerEU: 4
; NumVGPRsForWavesPerEU: 1
; AccumOffset: 4
; Occupancy: 8
; WaveLimiterHint : 0
; COMPUTE_PGM_RSRC2:SCRATCH_EN: 0
; COMPUTE_PGM_RSRC2:USER_SGPR: 6
; COMPUTE_PGM_RSRC2:TRAP_HANDLER: 0
; COMPUTE_PGM_RSRC2:TGID_X_EN: 1
; COMPUTE_PGM_RSRC2:TGID_Y_EN: 0
; COMPUTE_PGM_RSRC2:TGID_Z_EN: 0
; COMPUTE_PGM_RSRC2:TIDIG_COMP_CNT: 0
; COMPUTE_PGM_RSRC3_GFX90A:ACCUM_OFFSET: 0
; COMPUTE_PGM_RSRC3_GFX90A:TG_SPLIT: 0
	.section	.text._ZN7rocprim17ROCPRIM_400000_NS6detail17trampoline_kernelINS0_14default_configENS1_25partition_config_selectorILNS1_17partition_subalgoE8EdNS0_10empty_typeEbEEZZNS1_14partition_implILS5_8ELb0ES3_jPKdPS6_PKS6_NS0_5tupleIJPdS6_EEENSE_IJSB_SB_EEENS0_18inequality_wrapperIN6hipcub16HIPCUB_304000_NS8EqualityEEEPlJS6_EEE10hipError_tPvRmT3_T4_T5_T6_T7_T9_mT8_P12ihipStream_tbDpT10_ENKUlT_T0_E_clISt17integral_constantIbLb0EES17_EEDaS12_S13_EUlS12_E_NS1_11comp_targetILNS1_3genE2ELNS1_11target_archE906ELNS1_3gpuE6ELNS1_3repE0EEENS1_30default_config_static_selectorELNS0_4arch9wavefront6targetE1EEEvT1_,"axG",@progbits,_ZN7rocprim17ROCPRIM_400000_NS6detail17trampoline_kernelINS0_14default_configENS1_25partition_config_selectorILNS1_17partition_subalgoE8EdNS0_10empty_typeEbEEZZNS1_14partition_implILS5_8ELb0ES3_jPKdPS6_PKS6_NS0_5tupleIJPdS6_EEENSE_IJSB_SB_EEENS0_18inequality_wrapperIN6hipcub16HIPCUB_304000_NS8EqualityEEEPlJS6_EEE10hipError_tPvRmT3_T4_T5_T6_T7_T9_mT8_P12ihipStream_tbDpT10_ENKUlT_T0_E_clISt17integral_constantIbLb0EES17_EEDaS12_S13_EUlS12_E_NS1_11comp_targetILNS1_3genE2ELNS1_11target_archE906ELNS1_3gpuE6ELNS1_3repE0EEENS1_30default_config_static_selectorELNS0_4arch9wavefront6targetE1EEEvT1_,comdat
	.protected	_ZN7rocprim17ROCPRIM_400000_NS6detail17trampoline_kernelINS0_14default_configENS1_25partition_config_selectorILNS1_17partition_subalgoE8EdNS0_10empty_typeEbEEZZNS1_14partition_implILS5_8ELb0ES3_jPKdPS6_PKS6_NS0_5tupleIJPdS6_EEENSE_IJSB_SB_EEENS0_18inequality_wrapperIN6hipcub16HIPCUB_304000_NS8EqualityEEEPlJS6_EEE10hipError_tPvRmT3_T4_T5_T6_T7_T9_mT8_P12ihipStream_tbDpT10_ENKUlT_T0_E_clISt17integral_constantIbLb0EES17_EEDaS12_S13_EUlS12_E_NS1_11comp_targetILNS1_3genE2ELNS1_11target_archE906ELNS1_3gpuE6ELNS1_3repE0EEENS1_30default_config_static_selectorELNS0_4arch9wavefront6targetE1EEEvT1_ ; -- Begin function _ZN7rocprim17ROCPRIM_400000_NS6detail17trampoline_kernelINS0_14default_configENS1_25partition_config_selectorILNS1_17partition_subalgoE8EdNS0_10empty_typeEbEEZZNS1_14partition_implILS5_8ELb0ES3_jPKdPS6_PKS6_NS0_5tupleIJPdS6_EEENSE_IJSB_SB_EEENS0_18inequality_wrapperIN6hipcub16HIPCUB_304000_NS8EqualityEEEPlJS6_EEE10hipError_tPvRmT3_T4_T5_T6_T7_T9_mT8_P12ihipStream_tbDpT10_ENKUlT_T0_E_clISt17integral_constantIbLb0EES17_EEDaS12_S13_EUlS12_E_NS1_11comp_targetILNS1_3genE2ELNS1_11target_archE906ELNS1_3gpuE6ELNS1_3repE0EEENS1_30default_config_static_selectorELNS0_4arch9wavefront6targetE1EEEvT1_
	.globl	_ZN7rocprim17ROCPRIM_400000_NS6detail17trampoline_kernelINS0_14default_configENS1_25partition_config_selectorILNS1_17partition_subalgoE8EdNS0_10empty_typeEbEEZZNS1_14partition_implILS5_8ELb0ES3_jPKdPS6_PKS6_NS0_5tupleIJPdS6_EEENSE_IJSB_SB_EEENS0_18inequality_wrapperIN6hipcub16HIPCUB_304000_NS8EqualityEEEPlJS6_EEE10hipError_tPvRmT3_T4_T5_T6_T7_T9_mT8_P12ihipStream_tbDpT10_ENKUlT_T0_E_clISt17integral_constantIbLb0EES17_EEDaS12_S13_EUlS12_E_NS1_11comp_targetILNS1_3genE2ELNS1_11target_archE906ELNS1_3gpuE6ELNS1_3repE0EEENS1_30default_config_static_selectorELNS0_4arch9wavefront6targetE1EEEvT1_
	.p2align	8
	.type	_ZN7rocprim17ROCPRIM_400000_NS6detail17trampoline_kernelINS0_14default_configENS1_25partition_config_selectorILNS1_17partition_subalgoE8EdNS0_10empty_typeEbEEZZNS1_14partition_implILS5_8ELb0ES3_jPKdPS6_PKS6_NS0_5tupleIJPdS6_EEENSE_IJSB_SB_EEENS0_18inequality_wrapperIN6hipcub16HIPCUB_304000_NS8EqualityEEEPlJS6_EEE10hipError_tPvRmT3_T4_T5_T6_T7_T9_mT8_P12ihipStream_tbDpT10_ENKUlT_T0_E_clISt17integral_constantIbLb0EES17_EEDaS12_S13_EUlS12_E_NS1_11comp_targetILNS1_3genE2ELNS1_11target_archE906ELNS1_3gpuE6ELNS1_3repE0EEENS1_30default_config_static_selectorELNS0_4arch9wavefront6targetE1EEEvT1_,@function
_ZN7rocprim17ROCPRIM_400000_NS6detail17trampoline_kernelINS0_14default_configENS1_25partition_config_selectorILNS1_17partition_subalgoE8EdNS0_10empty_typeEbEEZZNS1_14partition_implILS5_8ELb0ES3_jPKdPS6_PKS6_NS0_5tupleIJPdS6_EEENSE_IJSB_SB_EEENS0_18inequality_wrapperIN6hipcub16HIPCUB_304000_NS8EqualityEEEPlJS6_EEE10hipError_tPvRmT3_T4_T5_T6_T7_T9_mT8_P12ihipStream_tbDpT10_ENKUlT_T0_E_clISt17integral_constantIbLb0EES17_EEDaS12_S13_EUlS12_E_NS1_11comp_targetILNS1_3genE2ELNS1_11target_archE906ELNS1_3gpuE6ELNS1_3repE0EEENS1_30default_config_static_selectorELNS0_4arch9wavefront6targetE1EEEvT1_: ; @_ZN7rocprim17ROCPRIM_400000_NS6detail17trampoline_kernelINS0_14default_configENS1_25partition_config_selectorILNS1_17partition_subalgoE8EdNS0_10empty_typeEbEEZZNS1_14partition_implILS5_8ELb0ES3_jPKdPS6_PKS6_NS0_5tupleIJPdS6_EEENSE_IJSB_SB_EEENS0_18inequality_wrapperIN6hipcub16HIPCUB_304000_NS8EqualityEEEPlJS6_EEE10hipError_tPvRmT3_T4_T5_T6_T7_T9_mT8_P12ihipStream_tbDpT10_ENKUlT_T0_E_clISt17integral_constantIbLb0EES17_EEDaS12_S13_EUlS12_E_NS1_11comp_targetILNS1_3genE2ELNS1_11target_archE906ELNS1_3gpuE6ELNS1_3repE0EEENS1_30default_config_static_selectorELNS0_4arch9wavefront6targetE1EEEvT1_
; %bb.0:
	.section	.rodata,"a",@progbits
	.p2align	6, 0x0
	.amdhsa_kernel _ZN7rocprim17ROCPRIM_400000_NS6detail17trampoline_kernelINS0_14default_configENS1_25partition_config_selectorILNS1_17partition_subalgoE8EdNS0_10empty_typeEbEEZZNS1_14partition_implILS5_8ELb0ES3_jPKdPS6_PKS6_NS0_5tupleIJPdS6_EEENSE_IJSB_SB_EEENS0_18inequality_wrapperIN6hipcub16HIPCUB_304000_NS8EqualityEEEPlJS6_EEE10hipError_tPvRmT3_T4_T5_T6_T7_T9_mT8_P12ihipStream_tbDpT10_ENKUlT_T0_E_clISt17integral_constantIbLb0EES17_EEDaS12_S13_EUlS12_E_NS1_11comp_targetILNS1_3genE2ELNS1_11target_archE906ELNS1_3gpuE6ELNS1_3repE0EEENS1_30default_config_static_selectorELNS0_4arch9wavefront6targetE1EEEvT1_
		.amdhsa_group_segment_fixed_size 0
		.amdhsa_private_segment_fixed_size 0
		.amdhsa_kernarg_size 112
		.amdhsa_user_sgpr_count 6
		.amdhsa_user_sgpr_private_segment_buffer 1
		.amdhsa_user_sgpr_dispatch_ptr 0
		.amdhsa_user_sgpr_queue_ptr 0
		.amdhsa_user_sgpr_kernarg_segment_ptr 1
		.amdhsa_user_sgpr_dispatch_id 0
		.amdhsa_user_sgpr_flat_scratch_init 0
		.amdhsa_user_sgpr_kernarg_preload_length 0
		.amdhsa_user_sgpr_kernarg_preload_offset 0
		.amdhsa_user_sgpr_private_segment_size 0
		.amdhsa_uses_dynamic_stack 0
		.amdhsa_system_sgpr_private_segment_wavefront_offset 0
		.amdhsa_system_sgpr_workgroup_id_x 1
		.amdhsa_system_sgpr_workgroup_id_y 0
		.amdhsa_system_sgpr_workgroup_id_z 0
		.amdhsa_system_sgpr_workgroup_info 0
		.amdhsa_system_vgpr_workitem_id 0
		.amdhsa_next_free_vgpr 1
		.amdhsa_next_free_sgpr 0
		.amdhsa_accum_offset 4
		.amdhsa_reserve_vcc 0
		.amdhsa_reserve_flat_scratch 0
		.amdhsa_float_round_mode_32 0
		.amdhsa_float_round_mode_16_64 0
		.amdhsa_float_denorm_mode_32 3
		.amdhsa_float_denorm_mode_16_64 3
		.amdhsa_dx10_clamp 1
		.amdhsa_ieee_mode 1
		.amdhsa_fp16_overflow 0
		.amdhsa_tg_split 0
		.amdhsa_exception_fp_ieee_invalid_op 0
		.amdhsa_exception_fp_denorm_src 0
		.amdhsa_exception_fp_ieee_div_zero 0
		.amdhsa_exception_fp_ieee_overflow 0
		.amdhsa_exception_fp_ieee_underflow 0
		.amdhsa_exception_fp_ieee_inexact 0
		.amdhsa_exception_int_div_zero 0
	.end_amdhsa_kernel
	.section	.text._ZN7rocprim17ROCPRIM_400000_NS6detail17trampoline_kernelINS0_14default_configENS1_25partition_config_selectorILNS1_17partition_subalgoE8EdNS0_10empty_typeEbEEZZNS1_14partition_implILS5_8ELb0ES3_jPKdPS6_PKS6_NS0_5tupleIJPdS6_EEENSE_IJSB_SB_EEENS0_18inequality_wrapperIN6hipcub16HIPCUB_304000_NS8EqualityEEEPlJS6_EEE10hipError_tPvRmT3_T4_T5_T6_T7_T9_mT8_P12ihipStream_tbDpT10_ENKUlT_T0_E_clISt17integral_constantIbLb0EES17_EEDaS12_S13_EUlS12_E_NS1_11comp_targetILNS1_3genE2ELNS1_11target_archE906ELNS1_3gpuE6ELNS1_3repE0EEENS1_30default_config_static_selectorELNS0_4arch9wavefront6targetE1EEEvT1_,"axG",@progbits,_ZN7rocprim17ROCPRIM_400000_NS6detail17trampoline_kernelINS0_14default_configENS1_25partition_config_selectorILNS1_17partition_subalgoE8EdNS0_10empty_typeEbEEZZNS1_14partition_implILS5_8ELb0ES3_jPKdPS6_PKS6_NS0_5tupleIJPdS6_EEENSE_IJSB_SB_EEENS0_18inequality_wrapperIN6hipcub16HIPCUB_304000_NS8EqualityEEEPlJS6_EEE10hipError_tPvRmT3_T4_T5_T6_T7_T9_mT8_P12ihipStream_tbDpT10_ENKUlT_T0_E_clISt17integral_constantIbLb0EES17_EEDaS12_S13_EUlS12_E_NS1_11comp_targetILNS1_3genE2ELNS1_11target_archE906ELNS1_3gpuE6ELNS1_3repE0EEENS1_30default_config_static_selectorELNS0_4arch9wavefront6targetE1EEEvT1_,comdat
.Lfunc_end276:
	.size	_ZN7rocprim17ROCPRIM_400000_NS6detail17trampoline_kernelINS0_14default_configENS1_25partition_config_selectorILNS1_17partition_subalgoE8EdNS0_10empty_typeEbEEZZNS1_14partition_implILS5_8ELb0ES3_jPKdPS6_PKS6_NS0_5tupleIJPdS6_EEENSE_IJSB_SB_EEENS0_18inequality_wrapperIN6hipcub16HIPCUB_304000_NS8EqualityEEEPlJS6_EEE10hipError_tPvRmT3_T4_T5_T6_T7_T9_mT8_P12ihipStream_tbDpT10_ENKUlT_T0_E_clISt17integral_constantIbLb0EES17_EEDaS12_S13_EUlS12_E_NS1_11comp_targetILNS1_3genE2ELNS1_11target_archE906ELNS1_3gpuE6ELNS1_3repE0EEENS1_30default_config_static_selectorELNS0_4arch9wavefront6targetE1EEEvT1_, .Lfunc_end276-_ZN7rocprim17ROCPRIM_400000_NS6detail17trampoline_kernelINS0_14default_configENS1_25partition_config_selectorILNS1_17partition_subalgoE8EdNS0_10empty_typeEbEEZZNS1_14partition_implILS5_8ELb0ES3_jPKdPS6_PKS6_NS0_5tupleIJPdS6_EEENSE_IJSB_SB_EEENS0_18inequality_wrapperIN6hipcub16HIPCUB_304000_NS8EqualityEEEPlJS6_EEE10hipError_tPvRmT3_T4_T5_T6_T7_T9_mT8_P12ihipStream_tbDpT10_ENKUlT_T0_E_clISt17integral_constantIbLb0EES17_EEDaS12_S13_EUlS12_E_NS1_11comp_targetILNS1_3genE2ELNS1_11target_archE906ELNS1_3gpuE6ELNS1_3repE0EEENS1_30default_config_static_selectorELNS0_4arch9wavefront6targetE1EEEvT1_
                                        ; -- End function
	.section	.AMDGPU.csdata,"",@progbits
; Kernel info:
; codeLenInByte = 0
; NumSgprs: 4
; NumVgprs: 0
; NumAgprs: 0
; TotalNumVgprs: 0
; ScratchSize: 0
; MemoryBound: 0
; FloatMode: 240
; IeeeMode: 1
; LDSByteSize: 0 bytes/workgroup (compile time only)
; SGPRBlocks: 0
; VGPRBlocks: 0
; NumSGPRsForWavesPerEU: 4
; NumVGPRsForWavesPerEU: 1
; AccumOffset: 4
; Occupancy: 8
; WaveLimiterHint : 0
; COMPUTE_PGM_RSRC2:SCRATCH_EN: 0
; COMPUTE_PGM_RSRC2:USER_SGPR: 6
; COMPUTE_PGM_RSRC2:TRAP_HANDLER: 0
; COMPUTE_PGM_RSRC2:TGID_X_EN: 1
; COMPUTE_PGM_RSRC2:TGID_Y_EN: 0
; COMPUTE_PGM_RSRC2:TGID_Z_EN: 0
; COMPUTE_PGM_RSRC2:TIDIG_COMP_CNT: 0
; COMPUTE_PGM_RSRC3_GFX90A:ACCUM_OFFSET: 0
; COMPUTE_PGM_RSRC3_GFX90A:TG_SPLIT: 0
	.section	.text._ZN7rocprim17ROCPRIM_400000_NS6detail17trampoline_kernelINS0_14default_configENS1_25partition_config_selectorILNS1_17partition_subalgoE8EdNS0_10empty_typeEbEEZZNS1_14partition_implILS5_8ELb0ES3_jPKdPS6_PKS6_NS0_5tupleIJPdS6_EEENSE_IJSB_SB_EEENS0_18inequality_wrapperIN6hipcub16HIPCUB_304000_NS8EqualityEEEPlJS6_EEE10hipError_tPvRmT3_T4_T5_T6_T7_T9_mT8_P12ihipStream_tbDpT10_ENKUlT_T0_E_clISt17integral_constantIbLb0EES17_EEDaS12_S13_EUlS12_E_NS1_11comp_targetILNS1_3genE10ELNS1_11target_archE1200ELNS1_3gpuE4ELNS1_3repE0EEENS1_30default_config_static_selectorELNS0_4arch9wavefront6targetE1EEEvT1_,"axG",@progbits,_ZN7rocprim17ROCPRIM_400000_NS6detail17trampoline_kernelINS0_14default_configENS1_25partition_config_selectorILNS1_17partition_subalgoE8EdNS0_10empty_typeEbEEZZNS1_14partition_implILS5_8ELb0ES3_jPKdPS6_PKS6_NS0_5tupleIJPdS6_EEENSE_IJSB_SB_EEENS0_18inequality_wrapperIN6hipcub16HIPCUB_304000_NS8EqualityEEEPlJS6_EEE10hipError_tPvRmT3_T4_T5_T6_T7_T9_mT8_P12ihipStream_tbDpT10_ENKUlT_T0_E_clISt17integral_constantIbLb0EES17_EEDaS12_S13_EUlS12_E_NS1_11comp_targetILNS1_3genE10ELNS1_11target_archE1200ELNS1_3gpuE4ELNS1_3repE0EEENS1_30default_config_static_selectorELNS0_4arch9wavefront6targetE1EEEvT1_,comdat
	.protected	_ZN7rocprim17ROCPRIM_400000_NS6detail17trampoline_kernelINS0_14default_configENS1_25partition_config_selectorILNS1_17partition_subalgoE8EdNS0_10empty_typeEbEEZZNS1_14partition_implILS5_8ELb0ES3_jPKdPS6_PKS6_NS0_5tupleIJPdS6_EEENSE_IJSB_SB_EEENS0_18inequality_wrapperIN6hipcub16HIPCUB_304000_NS8EqualityEEEPlJS6_EEE10hipError_tPvRmT3_T4_T5_T6_T7_T9_mT8_P12ihipStream_tbDpT10_ENKUlT_T0_E_clISt17integral_constantIbLb0EES17_EEDaS12_S13_EUlS12_E_NS1_11comp_targetILNS1_3genE10ELNS1_11target_archE1200ELNS1_3gpuE4ELNS1_3repE0EEENS1_30default_config_static_selectorELNS0_4arch9wavefront6targetE1EEEvT1_ ; -- Begin function _ZN7rocprim17ROCPRIM_400000_NS6detail17trampoline_kernelINS0_14default_configENS1_25partition_config_selectorILNS1_17partition_subalgoE8EdNS0_10empty_typeEbEEZZNS1_14partition_implILS5_8ELb0ES3_jPKdPS6_PKS6_NS0_5tupleIJPdS6_EEENSE_IJSB_SB_EEENS0_18inequality_wrapperIN6hipcub16HIPCUB_304000_NS8EqualityEEEPlJS6_EEE10hipError_tPvRmT3_T4_T5_T6_T7_T9_mT8_P12ihipStream_tbDpT10_ENKUlT_T0_E_clISt17integral_constantIbLb0EES17_EEDaS12_S13_EUlS12_E_NS1_11comp_targetILNS1_3genE10ELNS1_11target_archE1200ELNS1_3gpuE4ELNS1_3repE0EEENS1_30default_config_static_selectorELNS0_4arch9wavefront6targetE1EEEvT1_
	.globl	_ZN7rocprim17ROCPRIM_400000_NS6detail17trampoline_kernelINS0_14default_configENS1_25partition_config_selectorILNS1_17partition_subalgoE8EdNS0_10empty_typeEbEEZZNS1_14partition_implILS5_8ELb0ES3_jPKdPS6_PKS6_NS0_5tupleIJPdS6_EEENSE_IJSB_SB_EEENS0_18inequality_wrapperIN6hipcub16HIPCUB_304000_NS8EqualityEEEPlJS6_EEE10hipError_tPvRmT3_T4_T5_T6_T7_T9_mT8_P12ihipStream_tbDpT10_ENKUlT_T0_E_clISt17integral_constantIbLb0EES17_EEDaS12_S13_EUlS12_E_NS1_11comp_targetILNS1_3genE10ELNS1_11target_archE1200ELNS1_3gpuE4ELNS1_3repE0EEENS1_30default_config_static_selectorELNS0_4arch9wavefront6targetE1EEEvT1_
	.p2align	8
	.type	_ZN7rocprim17ROCPRIM_400000_NS6detail17trampoline_kernelINS0_14default_configENS1_25partition_config_selectorILNS1_17partition_subalgoE8EdNS0_10empty_typeEbEEZZNS1_14partition_implILS5_8ELb0ES3_jPKdPS6_PKS6_NS0_5tupleIJPdS6_EEENSE_IJSB_SB_EEENS0_18inequality_wrapperIN6hipcub16HIPCUB_304000_NS8EqualityEEEPlJS6_EEE10hipError_tPvRmT3_T4_T5_T6_T7_T9_mT8_P12ihipStream_tbDpT10_ENKUlT_T0_E_clISt17integral_constantIbLb0EES17_EEDaS12_S13_EUlS12_E_NS1_11comp_targetILNS1_3genE10ELNS1_11target_archE1200ELNS1_3gpuE4ELNS1_3repE0EEENS1_30default_config_static_selectorELNS0_4arch9wavefront6targetE1EEEvT1_,@function
_ZN7rocprim17ROCPRIM_400000_NS6detail17trampoline_kernelINS0_14default_configENS1_25partition_config_selectorILNS1_17partition_subalgoE8EdNS0_10empty_typeEbEEZZNS1_14partition_implILS5_8ELb0ES3_jPKdPS6_PKS6_NS0_5tupleIJPdS6_EEENSE_IJSB_SB_EEENS0_18inequality_wrapperIN6hipcub16HIPCUB_304000_NS8EqualityEEEPlJS6_EEE10hipError_tPvRmT3_T4_T5_T6_T7_T9_mT8_P12ihipStream_tbDpT10_ENKUlT_T0_E_clISt17integral_constantIbLb0EES17_EEDaS12_S13_EUlS12_E_NS1_11comp_targetILNS1_3genE10ELNS1_11target_archE1200ELNS1_3gpuE4ELNS1_3repE0EEENS1_30default_config_static_selectorELNS0_4arch9wavefront6targetE1EEEvT1_: ; @_ZN7rocprim17ROCPRIM_400000_NS6detail17trampoline_kernelINS0_14default_configENS1_25partition_config_selectorILNS1_17partition_subalgoE8EdNS0_10empty_typeEbEEZZNS1_14partition_implILS5_8ELb0ES3_jPKdPS6_PKS6_NS0_5tupleIJPdS6_EEENSE_IJSB_SB_EEENS0_18inequality_wrapperIN6hipcub16HIPCUB_304000_NS8EqualityEEEPlJS6_EEE10hipError_tPvRmT3_T4_T5_T6_T7_T9_mT8_P12ihipStream_tbDpT10_ENKUlT_T0_E_clISt17integral_constantIbLb0EES17_EEDaS12_S13_EUlS12_E_NS1_11comp_targetILNS1_3genE10ELNS1_11target_archE1200ELNS1_3gpuE4ELNS1_3repE0EEENS1_30default_config_static_selectorELNS0_4arch9wavefront6targetE1EEEvT1_
; %bb.0:
	.section	.rodata,"a",@progbits
	.p2align	6, 0x0
	.amdhsa_kernel _ZN7rocprim17ROCPRIM_400000_NS6detail17trampoline_kernelINS0_14default_configENS1_25partition_config_selectorILNS1_17partition_subalgoE8EdNS0_10empty_typeEbEEZZNS1_14partition_implILS5_8ELb0ES3_jPKdPS6_PKS6_NS0_5tupleIJPdS6_EEENSE_IJSB_SB_EEENS0_18inequality_wrapperIN6hipcub16HIPCUB_304000_NS8EqualityEEEPlJS6_EEE10hipError_tPvRmT3_T4_T5_T6_T7_T9_mT8_P12ihipStream_tbDpT10_ENKUlT_T0_E_clISt17integral_constantIbLb0EES17_EEDaS12_S13_EUlS12_E_NS1_11comp_targetILNS1_3genE10ELNS1_11target_archE1200ELNS1_3gpuE4ELNS1_3repE0EEENS1_30default_config_static_selectorELNS0_4arch9wavefront6targetE1EEEvT1_
		.amdhsa_group_segment_fixed_size 0
		.amdhsa_private_segment_fixed_size 0
		.amdhsa_kernarg_size 112
		.amdhsa_user_sgpr_count 6
		.amdhsa_user_sgpr_private_segment_buffer 1
		.amdhsa_user_sgpr_dispatch_ptr 0
		.amdhsa_user_sgpr_queue_ptr 0
		.amdhsa_user_sgpr_kernarg_segment_ptr 1
		.amdhsa_user_sgpr_dispatch_id 0
		.amdhsa_user_sgpr_flat_scratch_init 0
		.amdhsa_user_sgpr_kernarg_preload_length 0
		.amdhsa_user_sgpr_kernarg_preload_offset 0
		.amdhsa_user_sgpr_private_segment_size 0
		.amdhsa_uses_dynamic_stack 0
		.amdhsa_system_sgpr_private_segment_wavefront_offset 0
		.amdhsa_system_sgpr_workgroup_id_x 1
		.amdhsa_system_sgpr_workgroup_id_y 0
		.amdhsa_system_sgpr_workgroup_id_z 0
		.amdhsa_system_sgpr_workgroup_info 0
		.amdhsa_system_vgpr_workitem_id 0
		.amdhsa_next_free_vgpr 1
		.amdhsa_next_free_sgpr 0
		.amdhsa_accum_offset 4
		.amdhsa_reserve_vcc 0
		.amdhsa_reserve_flat_scratch 0
		.amdhsa_float_round_mode_32 0
		.amdhsa_float_round_mode_16_64 0
		.amdhsa_float_denorm_mode_32 3
		.amdhsa_float_denorm_mode_16_64 3
		.amdhsa_dx10_clamp 1
		.amdhsa_ieee_mode 1
		.amdhsa_fp16_overflow 0
		.amdhsa_tg_split 0
		.amdhsa_exception_fp_ieee_invalid_op 0
		.amdhsa_exception_fp_denorm_src 0
		.amdhsa_exception_fp_ieee_div_zero 0
		.amdhsa_exception_fp_ieee_overflow 0
		.amdhsa_exception_fp_ieee_underflow 0
		.amdhsa_exception_fp_ieee_inexact 0
		.amdhsa_exception_int_div_zero 0
	.end_amdhsa_kernel
	.section	.text._ZN7rocprim17ROCPRIM_400000_NS6detail17trampoline_kernelINS0_14default_configENS1_25partition_config_selectorILNS1_17partition_subalgoE8EdNS0_10empty_typeEbEEZZNS1_14partition_implILS5_8ELb0ES3_jPKdPS6_PKS6_NS0_5tupleIJPdS6_EEENSE_IJSB_SB_EEENS0_18inequality_wrapperIN6hipcub16HIPCUB_304000_NS8EqualityEEEPlJS6_EEE10hipError_tPvRmT3_T4_T5_T6_T7_T9_mT8_P12ihipStream_tbDpT10_ENKUlT_T0_E_clISt17integral_constantIbLb0EES17_EEDaS12_S13_EUlS12_E_NS1_11comp_targetILNS1_3genE10ELNS1_11target_archE1200ELNS1_3gpuE4ELNS1_3repE0EEENS1_30default_config_static_selectorELNS0_4arch9wavefront6targetE1EEEvT1_,"axG",@progbits,_ZN7rocprim17ROCPRIM_400000_NS6detail17trampoline_kernelINS0_14default_configENS1_25partition_config_selectorILNS1_17partition_subalgoE8EdNS0_10empty_typeEbEEZZNS1_14partition_implILS5_8ELb0ES3_jPKdPS6_PKS6_NS0_5tupleIJPdS6_EEENSE_IJSB_SB_EEENS0_18inequality_wrapperIN6hipcub16HIPCUB_304000_NS8EqualityEEEPlJS6_EEE10hipError_tPvRmT3_T4_T5_T6_T7_T9_mT8_P12ihipStream_tbDpT10_ENKUlT_T0_E_clISt17integral_constantIbLb0EES17_EEDaS12_S13_EUlS12_E_NS1_11comp_targetILNS1_3genE10ELNS1_11target_archE1200ELNS1_3gpuE4ELNS1_3repE0EEENS1_30default_config_static_selectorELNS0_4arch9wavefront6targetE1EEEvT1_,comdat
.Lfunc_end277:
	.size	_ZN7rocprim17ROCPRIM_400000_NS6detail17trampoline_kernelINS0_14default_configENS1_25partition_config_selectorILNS1_17partition_subalgoE8EdNS0_10empty_typeEbEEZZNS1_14partition_implILS5_8ELb0ES3_jPKdPS6_PKS6_NS0_5tupleIJPdS6_EEENSE_IJSB_SB_EEENS0_18inequality_wrapperIN6hipcub16HIPCUB_304000_NS8EqualityEEEPlJS6_EEE10hipError_tPvRmT3_T4_T5_T6_T7_T9_mT8_P12ihipStream_tbDpT10_ENKUlT_T0_E_clISt17integral_constantIbLb0EES17_EEDaS12_S13_EUlS12_E_NS1_11comp_targetILNS1_3genE10ELNS1_11target_archE1200ELNS1_3gpuE4ELNS1_3repE0EEENS1_30default_config_static_selectorELNS0_4arch9wavefront6targetE1EEEvT1_, .Lfunc_end277-_ZN7rocprim17ROCPRIM_400000_NS6detail17trampoline_kernelINS0_14default_configENS1_25partition_config_selectorILNS1_17partition_subalgoE8EdNS0_10empty_typeEbEEZZNS1_14partition_implILS5_8ELb0ES3_jPKdPS6_PKS6_NS0_5tupleIJPdS6_EEENSE_IJSB_SB_EEENS0_18inequality_wrapperIN6hipcub16HIPCUB_304000_NS8EqualityEEEPlJS6_EEE10hipError_tPvRmT3_T4_T5_T6_T7_T9_mT8_P12ihipStream_tbDpT10_ENKUlT_T0_E_clISt17integral_constantIbLb0EES17_EEDaS12_S13_EUlS12_E_NS1_11comp_targetILNS1_3genE10ELNS1_11target_archE1200ELNS1_3gpuE4ELNS1_3repE0EEENS1_30default_config_static_selectorELNS0_4arch9wavefront6targetE1EEEvT1_
                                        ; -- End function
	.section	.AMDGPU.csdata,"",@progbits
; Kernel info:
; codeLenInByte = 0
; NumSgprs: 4
; NumVgprs: 0
; NumAgprs: 0
; TotalNumVgprs: 0
; ScratchSize: 0
; MemoryBound: 0
; FloatMode: 240
; IeeeMode: 1
; LDSByteSize: 0 bytes/workgroup (compile time only)
; SGPRBlocks: 0
; VGPRBlocks: 0
; NumSGPRsForWavesPerEU: 4
; NumVGPRsForWavesPerEU: 1
; AccumOffset: 4
; Occupancy: 8
; WaveLimiterHint : 0
; COMPUTE_PGM_RSRC2:SCRATCH_EN: 0
; COMPUTE_PGM_RSRC2:USER_SGPR: 6
; COMPUTE_PGM_RSRC2:TRAP_HANDLER: 0
; COMPUTE_PGM_RSRC2:TGID_X_EN: 1
; COMPUTE_PGM_RSRC2:TGID_Y_EN: 0
; COMPUTE_PGM_RSRC2:TGID_Z_EN: 0
; COMPUTE_PGM_RSRC2:TIDIG_COMP_CNT: 0
; COMPUTE_PGM_RSRC3_GFX90A:ACCUM_OFFSET: 0
; COMPUTE_PGM_RSRC3_GFX90A:TG_SPLIT: 0
	.section	.text._ZN7rocprim17ROCPRIM_400000_NS6detail17trampoline_kernelINS0_14default_configENS1_25partition_config_selectorILNS1_17partition_subalgoE8EdNS0_10empty_typeEbEEZZNS1_14partition_implILS5_8ELb0ES3_jPKdPS6_PKS6_NS0_5tupleIJPdS6_EEENSE_IJSB_SB_EEENS0_18inequality_wrapperIN6hipcub16HIPCUB_304000_NS8EqualityEEEPlJS6_EEE10hipError_tPvRmT3_T4_T5_T6_T7_T9_mT8_P12ihipStream_tbDpT10_ENKUlT_T0_E_clISt17integral_constantIbLb0EES17_EEDaS12_S13_EUlS12_E_NS1_11comp_targetILNS1_3genE9ELNS1_11target_archE1100ELNS1_3gpuE3ELNS1_3repE0EEENS1_30default_config_static_selectorELNS0_4arch9wavefront6targetE1EEEvT1_,"axG",@progbits,_ZN7rocprim17ROCPRIM_400000_NS6detail17trampoline_kernelINS0_14default_configENS1_25partition_config_selectorILNS1_17partition_subalgoE8EdNS0_10empty_typeEbEEZZNS1_14partition_implILS5_8ELb0ES3_jPKdPS6_PKS6_NS0_5tupleIJPdS6_EEENSE_IJSB_SB_EEENS0_18inequality_wrapperIN6hipcub16HIPCUB_304000_NS8EqualityEEEPlJS6_EEE10hipError_tPvRmT3_T4_T5_T6_T7_T9_mT8_P12ihipStream_tbDpT10_ENKUlT_T0_E_clISt17integral_constantIbLb0EES17_EEDaS12_S13_EUlS12_E_NS1_11comp_targetILNS1_3genE9ELNS1_11target_archE1100ELNS1_3gpuE3ELNS1_3repE0EEENS1_30default_config_static_selectorELNS0_4arch9wavefront6targetE1EEEvT1_,comdat
	.protected	_ZN7rocprim17ROCPRIM_400000_NS6detail17trampoline_kernelINS0_14default_configENS1_25partition_config_selectorILNS1_17partition_subalgoE8EdNS0_10empty_typeEbEEZZNS1_14partition_implILS5_8ELb0ES3_jPKdPS6_PKS6_NS0_5tupleIJPdS6_EEENSE_IJSB_SB_EEENS0_18inequality_wrapperIN6hipcub16HIPCUB_304000_NS8EqualityEEEPlJS6_EEE10hipError_tPvRmT3_T4_T5_T6_T7_T9_mT8_P12ihipStream_tbDpT10_ENKUlT_T0_E_clISt17integral_constantIbLb0EES17_EEDaS12_S13_EUlS12_E_NS1_11comp_targetILNS1_3genE9ELNS1_11target_archE1100ELNS1_3gpuE3ELNS1_3repE0EEENS1_30default_config_static_selectorELNS0_4arch9wavefront6targetE1EEEvT1_ ; -- Begin function _ZN7rocprim17ROCPRIM_400000_NS6detail17trampoline_kernelINS0_14default_configENS1_25partition_config_selectorILNS1_17partition_subalgoE8EdNS0_10empty_typeEbEEZZNS1_14partition_implILS5_8ELb0ES3_jPKdPS6_PKS6_NS0_5tupleIJPdS6_EEENSE_IJSB_SB_EEENS0_18inequality_wrapperIN6hipcub16HIPCUB_304000_NS8EqualityEEEPlJS6_EEE10hipError_tPvRmT3_T4_T5_T6_T7_T9_mT8_P12ihipStream_tbDpT10_ENKUlT_T0_E_clISt17integral_constantIbLb0EES17_EEDaS12_S13_EUlS12_E_NS1_11comp_targetILNS1_3genE9ELNS1_11target_archE1100ELNS1_3gpuE3ELNS1_3repE0EEENS1_30default_config_static_selectorELNS0_4arch9wavefront6targetE1EEEvT1_
	.globl	_ZN7rocprim17ROCPRIM_400000_NS6detail17trampoline_kernelINS0_14default_configENS1_25partition_config_selectorILNS1_17partition_subalgoE8EdNS0_10empty_typeEbEEZZNS1_14partition_implILS5_8ELb0ES3_jPKdPS6_PKS6_NS0_5tupleIJPdS6_EEENSE_IJSB_SB_EEENS0_18inequality_wrapperIN6hipcub16HIPCUB_304000_NS8EqualityEEEPlJS6_EEE10hipError_tPvRmT3_T4_T5_T6_T7_T9_mT8_P12ihipStream_tbDpT10_ENKUlT_T0_E_clISt17integral_constantIbLb0EES17_EEDaS12_S13_EUlS12_E_NS1_11comp_targetILNS1_3genE9ELNS1_11target_archE1100ELNS1_3gpuE3ELNS1_3repE0EEENS1_30default_config_static_selectorELNS0_4arch9wavefront6targetE1EEEvT1_
	.p2align	8
	.type	_ZN7rocprim17ROCPRIM_400000_NS6detail17trampoline_kernelINS0_14default_configENS1_25partition_config_selectorILNS1_17partition_subalgoE8EdNS0_10empty_typeEbEEZZNS1_14partition_implILS5_8ELb0ES3_jPKdPS6_PKS6_NS0_5tupleIJPdS6_EEENSE_IJSB_SB_EEENS0_18inequality_wrapperIN6hipcub16HIPCUB_304000_NS8EqualityEEEPlJS6_EEE10hipError_tPvRmT3_T4_T5_T6_T7_T9_mT8_P12ihipStream_tbDpT10_ENKUlT_T0_E_clISt17integral_constantIbLb0EES17_EEDaS12_S13_EUlS12_E_NS1_11comp_targetILNS1_3genE9ELNS1_11target_archE1100ELNS1_3gpuE3ELNS1_3repE0EEENS1_30default_config_static_selectorELNS0_4arch9wavefront6targetE1EEEvT1_,@function
_ZN7rocprim17ROCPRIM_400000_NS6detail17trampoline_kernelINS0_14default_configENS1_25partition_config_selectorILNS1_17partition_subalgoE8EdNS0_10empty_typeEbEEZZNS1_14partition_implILS5_8ELb0ES3_jPKdPS6_PKS6_NS0_5tupleIJPdS6_EEENSE_IJSB_SB_EEENS0_18inequality_wrapperIN6hipcub16HIPCUB_304000_NS8EqualityEEEPlJS6_EEE10hipError_tPvRmT3_T4_T5_T6_T7_T9_mT8_P12ihipStream_tbDpT10_ENKUlT_T0_E_clISt17integral_constantIbLb0EES17_EEDaS12_S13_EUlS12_E_NS1_11comp_targetILNS1_3genE9ELNS1_11target_archE1100ELNS1_3gpuE3ELNS1_3repE0EEENS1_30default_config_static_selectorELNS0_4arch9wavefront6targetE1EEEvT1_: ; @_ZN7rocprim17ROCPRIM_400000_NS6detail17trampoline_kernelINS0_14default_configENS1_25partition_config_selectorILNS1_17partition_subalgoE8EdNS0_10empty_typeEbEEZZNS1_14partition_implILS5_8ELb0ES3_jPKdPS6_PKS6_NS0_5tupleIJPdS6_EEENSE_IJSB_SB_EEENS0_18inequality_wrapperIN6hipcub16HIPCUB_304000_NS8EqualityEEEPlJS6_EEE10hipError_tPvRmT3_T4_T5_T6_T7_T9_mT8_P12ihipStream_tbDpT10_ENKUlT_T0_E_clISt17integral_constantIbLb0EES17_EEDaS12_S13_EUlS12_E_NS1_11comp_targetILNS1_3genE9ELNS1_11target_archE1100ELNS1_3gpuE3ELNS1_3repE0EEENS1_30default_config_static_selectorELNS0_4arch9wavefront6targetE1EEEvT1_
; %bb.0:
	.section	.rodata,"a",@progbits
	.p2align	6, 0x0
	.amdhsa_kernel _ZN7rocprim17ROCPRIM_400000_NS6detail17trampoline_kernelINS0_14default_configENS1_25partition_config_selectorILNS1_17partition_subalgoE8EdNS0_10empty_typeEbEEZZNS1_14partition_implILS5_8ELb0ES3_jPKdPS6_PKS6_NS0_5tupleIJPdS6_EEENSE_IJSB_SB_EEENS0_18inequality_wrapperIN6hipcub16HIPCUB_304000_NS8EqualityEEEPlJS6_EEE10hipError_tPvRmT3_T4_T5_T6_T7_T9_mT8_P12ihipStream_tbDpT10_ENKUlT_T0_E_clISt17integral_constantIbLb0EES17_EEDaS12_S13_EUlS12_E_NS1_11comp_targetILNS1_3genE9ELNS1_11target_archE1100ELNS1_3gpuE3ELNS1_3repE0EEENS1_30default_config_static_selectorELNS0_4arch9wavefront6targetE1EEEvT1_
		.amdhsa_group_segment_fixed_size 0
		.amdhsa_private_segment_fixed_size 0
		.amdhsa_kernarg_size 112
		.amdhsa_user_sgpr_count 6
		.amdhsa_user_sgpr_private_segment_buffer 1
		.amdhsa_user_sgpr_dispatch_ptr 0
		.amdhsa_user_sgpr_queue_ptr 0
		.amdhsa_user_sgpr_kernarg_segment_ptr 1
		.amdhsa_user_sgpr_dispatch_id 0
		.amdhsa_user_sgpr_flat_scratch_init 0
		.amdhsa_user_sgpr_kernarg_preload_length 0
		.amdhsa_user_sgpr_kernarg_preload_offset 0
		.amdhsa_user_sgpr_private_segment_size 0
		.amdhsa_uses_dynamic_stack 0
		.amdhsa_system_sgpr_private_segment_wavefront_offset 0
		.amdhsa_system_sgpr_workgroup_id_x 1
		.amdhsa_system_sgpr_workgroup_id_y 0
		.amdhsa_system_sgpr_workgroup_id_z 0
		.amdhsa_system_sgpr_workgroup_info 0
		.amdhsa_system_vgpr_workitem_id 0
		.amdhsa_next_free_vgpr 1
		.amdhsa_next_free_sgpr 0
		.amdhsa_accum_offset 4
		.amdhsa_reserve_vcc 0
		.amdhsa_reserve_flat_scratch 0
		.amdhsa_float_round_mode_32 0
		.amdhsa_float_round_mode_16_64 0
		.amdhsa_float_denorm_mode_32 3
		.amdhsa_float_denorm_mode_16_64 3
		.amdhsa_dx10_clamp 1
		.amdhsa_ieee_mode 1
		.amdhsa_fp16_overflow 0
		.amdhsa_tg_split 0
		.amdhsa_exception_fp_ieee_invalid_op 0
		.amdhsa_exception_fp_denorm_src 0
		.amdhsa_exception_fp_ieee_div_zero 0
		.amdhsa_exception_fp_ieee_overflow 0
		.amdhsa_exception_fp_ieee_underflow 0
		.amdhsa_exception_fp_ieee_inexact 0
		.amdhsa_exception_int_div_zero 0
	.end_amdhsa_kernel
	.section	.text._ZN7rocprim17ROCPRIM_400000_NS6detail17trampoline_kernelINS0_14default_configENS1_25partition_config_selectorILNS1_17partition_subalgoE8EdNS0_10empty_typeEbEEZZNS1_14partition_implILS5_8ELb0ES3_jPKdPS6_PKS6_NS0_5tupleIJPdS6_EEENSE_IJSB_SB_EEENS0_18inequality_wrapperIN6hipcub16HIPCUB_304000_NS8EqualityEEEPlJS6_EEE10hipError_tPvRmT3_T4_T5_T6_T7_T9_mT8_P12ihipStream_tbDpT10_ENKUlT_T0_E_clISt17integral_constantIbLb0EES17_EEDaS12_S13_EUlS12_E_NS1_11comp_targetILNS1_3genE9ELNS1_11target_archE1100ELNS1_3gpuE3ELNS1_3repE0EEENS1_30default_config_static_selectorELNS0_4arch9wavefront6targetE1EEEvT1_,"axG",@progbits,_ZN7rocprim17ROCPRIM_400000_NS6detail17trampoline_kernelINS0_14default_configENS1_25partition_config_selectorILNS1_17partition_subalgoE8EdNS0_10empty_typeEbEEZZNS1_14partition_implILS5_8ELb0ES3_jPKdPS6_PKS6_NS0_5tupleIJPdS6_EEENSE_IJSB_SB_EEENS0_18inequality_wrapperIN6hipcub16HIPCUB_304000_NS8EqualityEEEPlJS6_EEE10hipError_tPvRmT3_T4_T5_T6_T7_T9_mT8_P12ihipStream_tbDpT10_ENKUlT_T0_E_clISt17integral_constantIbLb0EES17_EEDaS12_S13_EUlS12_E_NS1_11comp_targetILNS1_3genE9ELNS1_11target_archE1100ELNS1_3gpuE3ELNS1_3repE0EEENS1_30default_config_static_selectorELNS0_4arch9wavefront6targetE1EEEvT1_,comdat
.Lfunc_end278:
	.size	_ZN7rocprim17ROCPRIM_400000_NS6detail17trampoline_kernelINS0_14default_configENS1_25partition_config_selectorILNS1_17partition_subalgoE8EdNS0_10empty_typeEbEEZZNS1_14partition_implILS5_8ELb0ES3_jPKdPS6_PKS6_NS0_5tupleIJPdS6_EEENSE_IJSB_SB_EEENS0_18inequality_wrapperIN6hipcub16HIPCUB_304000_NS8EqualityEEEPlJS6_EEE10hipError_tPvRmT3_T4_T5_T6_T7_T9_mT8_P12ihipStream_tbDpT10_ENKUlT_T0_E_clISt17integral_constantIbLb0EES17_EEDaS12_S13_EUlS12_E_NS1_11comp_targetILNS1_3genE9ELNS1_11target_archE1100ELNS1_3gpuE3ELNS1_3repE0EEENS1_30default_config_static_selectorELNS0_4arch9wavefront6targetE1EEEvT1_, .Lfunc_end278-_ZN7rocprim17ROCPRIM_400000_NS6detail17trampoline_kernelINS0_14default_configENS1_25partition_config_selectorILNS1_17partition_subalgoE8EdNS0_10empty_typeEbEEZZNS1_14partition_implILS5_8ELb0ES3_jPKdPS6_PKS6_NS0_5tupleIJPdS6_EEENSE_IJSB_SB_EEENS0_18inequality_wrapperIN6hipcub16HIPCUB_304000_NS8EqualityEEEPlJS6_EEE10hipError_tPvRmT3_T4_T5_T6_T7_T9_mT8_P12ihipStream_tbDpT10_ENKUlT_T0_E_clISt17integral_constantIbLb0EES17_EEDaS12_S13_EUlS12_E_NS1_11comp_targetILNS1_3genE9ELNS1_11target_archE1100ELNS1_3gpuE3ELNS1_3repE0EEENS1_30default_config_static_selectorELNS0_4arch9wavefront6targetE1EEEvT1_
                                        ; -- End function
	.section	.AMDGPU.csdata,"",@progbits
; Kernel info:
; codeLenInByte = 0
; NumSgprs: 4
; NumVgprs: 0
; NumAgprs: 0
; TotalNumVgprs: 0
; ScratchSize: 0
; MemoryBound: 0
; FloatMode: 240
; IeeeMode: 1
; LDSByteSize: 0 bytes/workgroup (compile time only)
; SGPRBlocks: 0
; VGPRBlocks: 0
; NumSGPRsForWavesPerEU: 4
; NumVGPRsForWavesPerEU: 1
; AccumOffset: 4
; Occupancy: 8
; WaveLimiterHint : 0
; COMPUTE_PGM_RSRC2:SCRATCH_EN: 0
; COMPUTE_PGM_RSRC2:USER_SGPR: 6
; COMPUTE_PGM_RSRC2:TRAP_HANDLER: 0
; COMPUTE_PGM_RSRC2:TGID_X_EN: 1
; COMPUTE_PGM_RSRC2:TGID_Y_EN: 0
; COMPUTE_PGM_RSRC2:TGID_Z_EN: 0
; COMPUTE_PGM_RSRC2:TIDIG_COMP_CNT: 0
; COMPUTE_PGM_RSRC3_GFX90A:ACCUM_OFFSET: 0
; COMPUTE_PGM_RSRC3_GFX90A:TG_SPLIT: 0
	.section	.text._ZN7rocprim17ROCPRIM_400000_NS6detail17trampoline_kernelINS0_14default_configENS1_25partition_config_selectorILNS1_17partition_subalgoE8EdNS0_10empty_typeEbEEZZNS1_14partition_implILS5_8ELb0ES3_jPKdPS6_PKS6_NS0_5tupleIJPdS6_EEENSE_IJSB_SB_EEENS0_18inequality_wrapperIN6hipcub16HIPCUB_304000_NS8EqualityEEEPlJS6_EEE10hipError_tPvRmT3_T4_T5_T6_T7_T9_mT8_P12ihipStream_tbDpT10_ENKUlT_T0_E_clISt17integral_constantIbLb0EES17_EEDaS12_S13_EUlS12_E_NS1_11comp_targetILNS1_3genE8ELNS1_11target_archE1030ELNS1_3gpuE2ELNS1_3repE0EEENS1_30default_config_static_selectorELNS0_4arch9wavefront6targetE1EEEvT1_,"axG",@progbits,_ZN7rocprim17ROCPRIM_400000_NS6detail17trampoline_kernelINS0_14default_configENS1_25partition_config_selectorILNS1_17partition_subalgoE8EdNS0_10empty_typeEbEEZZNS1_14partition_implILS5_8ELb0ES3_jPKdPS6_PKS6_NS0_5tupleIJPdS6_EEENSE_IJSB_SB_EEENS0_18inequality_wrapperIN6hipcub16HIPCUB_304000_NS8EqualityEEEPlJS6_EEE10hipError_tPvRmT3_T4_T5_T6_T7_T9_mT8_P12ihipStream_tbDpT10_ENKUlT_T0_E_clISt17integral_constantIbLb0EES17_EEDaS12_S13_EUlS12_E_NS1_11comp_targetILNS1_3genE8ELNS1_11target_archE1030ELNS1_3gpuE2ELNS1_3repE0EEENS1_30default_config_static_selectorELNS0_4arch9wavefront6targetE1EEEvT1_,comdat
	.protected	_ZN7rocprim17ROCPRIM_400000_NS6detail17trampoline_kernelINS0_14default_configENS1_25partition_config_selectorILNS1_17partition_subalgoE8EdNS0_10empty_typeEbEEZZNS1_14partition_implILS5_8ELb0ES3_jPKdPS6_PKS6_NS0_5tupleIJPdS6_EEENSE_IJSB_SB_EEENS0_18inequality_wrapperIN6hipcub16HIPCUB_304000_NS8EqualityEEEPlJS6_EEE10hipError_tPvRmT3_T4_T5_T6_T7_T9_mT8_P12ihipStream_tbDpT10_ENKUlT_T0_E_clISt17integral_constantIbLb0EES17_EEDaS12_S13_EUlS12_E_NS1_11comp_targetILNS1_3genE8ELNS1_11target_archE1030ELNS1_3gpuE2ELNS1_3repE0EEENS1_30default_config_static_selectorELNS0_4arch9wavefront6targetE1EEEvT1_ ; -- Begin function _ZN7rocprim17ROCPRIM_400000_NS6detail17trampoline_kernelINS0_14default_configENS1_25partition_config_selectorILNS1_17partition_subalgoE8EdNS0_10empty_typeEbEEZZNS1_14partition_implILS5_8ELb0ES3_jPKdPS6_PKS6_NS0_5tupleIJPdS6_EEENSE_IJSB_SB_EEENS0_18inequality_wrapperIN6hipcub16HIPCUB_304000_NS8EqualityEEEPlJS6_EEE10hipError_tPvRmT3_T4_T5_T6_T7_T9_mT8_P12ihipStream_tbDpT10_ENKUlT_T0_E_clISt17integral_constantIbLb0EES17_EEDaS12_S13_EUlS12_E_NS1_11comp_targetILNS1_3genE8ELNS1_11target_archE1030ELNS1_3gpuE2ELNS1_3repE0EEENS1_30default_config_static_selectorELNS0_4arch9wavefront6targetE1EEEvT1_
	.globl	_ZN7rocprim17ROCPRIM_400000_NS6detail17trampoline_kernelINS0_14default_configENS1_25partition_config_selectorILNS1_17partition_subalgoE8EdNS0_10empty_typeEbEEZZNS1_14partition_implILS5_8ELb0ES3_jPKdPS6_PKS6_NS0_5tupleIJPdS6_EEENSE_IJSB_SB_EEENS0_18inequality_wrapperIN6hipcub16HIPCUB_304000_NS8EqualityEEEPlJS6_EEE10hipError_tPvRmT3_T4_T5_T6_T7_T9_mT8_P12ihipStream_tbDpT10_ENKUlT_T0_E_clISt17integral_constantIbLb0EES17_EEDaS12_S13_EUlS12_E_NS1_11comp_targetILNS1_3genE8ELNS1_11target_archE1030ELNS1_3gpuE2ELNS1_3repE0EEENS1_30default_config_static_selectorELNS0_4arch9wavefront6targetE1EEEvT1_
	.p2align	8
	.type	_ZN7rocprim17ROCPRIM_400000_NS6detail17trampoline_kernelINS0_14default_configENS1_25partition_config_selectorILNS1_17partition_subalgoE8EdNS0_10empty_typeEbEEZZNS1_14partition_implILS5_8ELb0ES3_jPKdPS6_PKS6_NS0_5tupleIJPdS6_EEENSE_IJSB_SB_EEENS0_18inequality_wrapperIN6hipcub16HIPCUB_304000_NS8EqualityEEEPlJS6_EEE10hipError_tPvRmT3_T4_T5_T6_T7_T9_mT8_P12ihipStream_tbDpT10_ENKUlT_T0_E_clISt17integral_constantIbLb0EES17_EEDaS12_S13_EUlS12_E_NS1_11comp_targetILNS1_3genE8ELNS1_11target_archE1030ELNS1_3gpuE2ELNS1_3repE0EEENS1_30default_config_static_selectorELNS0_4arch9wavefront6targetE1EEEvT1_,@function
_ZN7rocprim17ROCPRIM_400000_NS6detail17trampoline_kernelINS0_14default_configENS1_25partition_config_selectorILNS1_17partition_subalgoE8EdNS0_10empty_typeEbEEZZNS1_14partition_implILS5_8ELb0ES3_jPKdPS6_PKS6_NS0_5tupleIJPdS6_EEENSE_IJSB_SB_EEENS0_18inequality_wrapperIN6hipcub16HIPCUB_304000_NS8EqualityEEEPlJS6_EEE10hipError_tPvRmT3_T4_T5_T6_T7_T9_mT8_P12ihipStream_tbDpT10_ENKUlT_T0_E_clISt17integral_constantIbLb0EES17_EEDaS12_S13_EUlS12_E_NS1_11comp_targetILNS1_3genE8ELNS1_11target_archE1030ELNS1_3gpuE2ELNS1_3repE0EEENS1_30default_config_static_selectorELNS0_4arch9wavefront6targetE1EEEvT1_: ; @_ZN7rocprim17ROCPRIM_400000_NS6detail17trampoline_kernelINS0_14default_configENS1_25partition_config_selectorILNS1_17partition_subalgoE8EdNS0_10empty_typeEbEEZZNS1_14partition_implILS5_8ELb0ES3_jPKdPS6_PKS6_NS0_5tupleIJPdS6_EEENSE_IJSB_SB_EEENS0_18inequality_wrapperIN6hipcub16HIPCUB_304000_NS8EqualityEEEPlJS6_EEE10hipError_tPvRmT3_T4_T5_T6_T7_T9_mT8_P12ihipStream_tbDpT10_ENKUlT_T0_E_clISt17integral_constantIbLb0EES17_EEDaS12_S13_EUlS12_E_NS1_11comp_targetILNS1_3genE8ELNS1_11target_archE1030ELNS1_3gpuE2ELNS1_3repE0EEENS1_30default_config_static_selectorELNS0_4arch9wavefront6targetE1EEEvT1_
; %bb.0:
	.section	.rodata,"a",@progbits
	.p2align	6, 0x0
	.amdhsa_kernel _ZN7rocprim17ROCPRIM_400000_NS6detail17trampoline_kernelINS0_14default_configENS1_25partition_config_selectorILNS1_17partition_subalgoE8EdNS0_10empty_typeEbEEZZNS1_14partition_implILS5_8ELb0ES3_jPKdPS6_PKS6_NS0_5tupleIJPdS6_EEENSE_IJSB_SB_EEENS0_18inequality_wrapperIN6hipcub16HIPCUB_304000_NS8EqualityEEEPlJS6_EEE10hipError_tPvRmT3_T4_T5_T6_T7_T9_mT8_P12ihipStream_tbDpT10_ENKUlT_T0_E_clISt17integral_constantIbLb0EES17_EEDaS12_S13_EUlS12_E_NS1_11comp_targetILNS1_3genE8ELNS1_11target_archE1030ELNS1_3gpuE2ELNS1_3repE0EEENS1_30default_config_static_selectorELNS0_4arch9wavefront6targetE1EEEvT1_
		.amdhsa_group_segment_fixed_size 0
		.amdhsa_private_segment_fixed_size 0
		.amdhsa_kernarg_size 112
		.amdhsa_user_sgpr_count 6
		.amdhsa_user_sgpr_private_segment_buffer 1
		.amdhsa_user_sgpr_dispatch_ptr 0
		.amdhsa_user_sgpr_queue_ptr 0
		.amdhsa_user_sgpr_kernarg_segment_ptr 1
		.amdhsa_user_sgpr_dispatch_id 0
		.amdhsa_user_sgpr_flat_scratch_init 0
		.amdhsa_user_sgpr_kernarg_preload_length 0
		.amdhsa_user_sgpr_kernarg_preload_offset 0
		.amdhsa_user_sgpr_private_segment_size 0
		.amdhsa_uses_dynamic_stack 0
		.amdhsa_system_sgpr_private_segment_wavefront_offset 0
		.amdhsa_system_sgpr_workgroup_id_x 1
		.amdhsa_system_sgpr_workgroup_id_y 0
		.amdhsa_system_sgpr_workgroup_id_z 0
		.amdhsa_system_sgpr_workgroup_info 0
		.amdhsa_system_vgpr_workitem_id 0
		.amdhsa_next_free_vgpr 1
		.amdhsa_next_free_sgpr 0
		.amdhsa_accum_offset 4
		.amdhsa_reserve_vcc 0
		.amdhsa_reserve_flat_scratch 0
		.amdhsa_float_round_mode_32 0
		.amdhsa_float_round_mode_16_64 0
		.amdhsa_float_denorm_mode_32 3
		.amdhsa_float_denorm_mode_16_64 3
		.amdhsa_dx10_clamp 1
		.amdhsa_ieee_mode 1
		.amdhsa_fp16_overflow 0
		.amdhsa_tg_split 0
		.amdhsa_exception_fp_ieee_invalid_op 0
		.amdhsa_exception_fp_denorm_src 0
		.amdhsa_exception_fp_ieee_div_zero 0
		.amdhsa_exception_fp_ieee_overflow 0
		.amdhsa_exception_fp_ieee_underflow 0
		.amdhsa_exception_fp_ieee_inexact 0
		.amdhsa_exception_int_div_zero 0
	.end_amdhsa_kernel
	.section	.text._ZN7rocprim17ROCPRIM_400000_NS6detail17trampoline_kernelINS0_14default_configENS1_25partition_config_selectorILNS1_17partition_subalgoE8EdNS0_10empty_typeEbEEZZNS1_14partition_implILS5_8ELb0ES3_jPKdPS6_PKS6_NS0_5tupleIJPdS6_EEENSE_IJSB_SB_EEENS0_18inequality_wrapperIN6hipcub16HIPCUB_304000_NS8EqualityEEEPlJS6_EEE10hipError_tPvRmT3_T4_T5_T6_T7_T9_mT8_P12ihipStream_tbDpT10_ENKUlT_T0_E_clISt17integral_constantIbLb0EES17_EEDaS12_S13_EUlS12_E_NS1_11comp_targetILNS1_3genE8ELNS1_11target_archE1030ELNS1_3gpuE2ELNS1_3repE0EEENS1_30default_config_static_selectorELNS0_4arch9wavefront6targetE1EEEvT1_,"axG",@progbits,_ZN7rocprim17ROCPRIM_400000_NS6detail17trampoline_kernelINS0_14default_configENS1_25partition_config_selectorILNS1_17partition_subalgoE8EdNS0_10empty_typeEbEEZZNS1_14partition_implILS5_8ELb0ES3_jPKdPS6_PKS6_NS0_5tupleIJPdS6_EEENSE_IJSB_SB_EEENS0_18inequality_wrapperIN6hipcub16HIPCUB_304000_NS8EqualityEEEPlJS6_EEE10hipError_tPvRmT3_T4_T5_T6_T7_T9_mT8_P12ihipStream_tbDpT10_ENKUlT_T0_E_clISt17integral_constantIbLb0EES17_EEDaS12_S13_EUlS12_E_NS1_11comp_targetILNS1_3genE8ELNS1_11target_archE1030ELNS1_3gpuE2ELNS1_3repE0EEENS1_30default_config_static_selectorELNS0_4arch9wavefront6targetE1EEEvT1_,comdat
.Lfunc_end279:
	.size	_ZN7rocprim17ROCPRIM_400000_NS6detail17trampoline_kernelINS0_14default_configENS1_25partition_config_selectorILNS1_17partition_subalgoE8EdNS0_10empty_typeEbEEZZNS1_14partition_implILS5_8ELb0ES3_jPKdPS6_PKS6_NS0_5tupleIJPdS6_EEENSE_IJSB_SB_EEENS0_18inequality_wrapperIN6hipcub16HIPCUB_304000_NS8EqualityEEEPlJS6_EEE10hipError_tPvRmT3_T4_T5_T6_T7_T9_mT8_P12ihipStream_tbDpT10_ENKUlT_T0_E_clISt17integral_constantIbLb0EES17_EEDaS12_S13_EUlS12_E_NS1_11comp_targetILNS1_3genE8ELNS1_11target_archE1030ELNS1_3gpuE2ELNS1_3repE0EEENS1_30default_config_static_selectorELNS0_4arch9wavefront6targetE1EEEvT1_, .Lfunc_end279-_ZN7rocprim17ROCPRIM_400000_NS6detail17trampoline_kernelINS0_14default_configENS1_25partition_config_selectorILNS1_17partition_subalgoE8EdNS0_10empty_typeEbEEZZNS1_14partition_implILS5_8ELb0ES3_jPKdPS6_PKS6_NS0_5tupleIJPdS6_EEENSE_IJSB_SB_EEENS0_18inequality_wrapperIN6hipcub16HIPCUB_304000_NS8EqualityEEEPlJS6_EEE10hipError_tPvRmT3_T4_T5_T6_T7_T9_mT8_P12ihipStream_tbDpT10_ENKUlT_T0_E_clISt17integral_constantIbLb0EES17_EEDaS12_S13_EUlS12_E_NS1_11comp_targetILNS1_3genE8ELNS1_11target_archE1030ELNS1_3gpuE2ELNS1_3repE0EEENS1_30default_config_static_selectorELNS0_4arch9wavefront6targetE1EEEvT1_
                                        ; -- End function
	.section	.AMDGPU.csdata,"",@progbits
; Kernel info:
; codeLenInByte = 0
; NumSgprs: 4
; NumVgprs: 0
; NumAgprs: 0
; TotalNumVgprs: 0
; ScratchSize: 0
; MemoryBound: 0
; FloatMode: 240
; IeeeMode: 1
; LDSByteSize: 0 bytes/workgroup (compile time only)
; SGPRBlocks: 0
; VGPRBlocks: 0
; NumSGPRsForWavesPerEU: 4
; NumVGPRsForWavesPerEU: 1
; AccumOffset: 4
; Occupancy: 8
; WaveLimiterHint : 0
; COMPUTE_PGM_RSRC2:SCRATCH_EN: 0
; COMPUTE_PGM_RSRC2:USER_SGPR: 6
; COMPUTE_PGM_RSRC2:TRAP_HANDLER: 0
; COMPUTE_PGM_RSRC2:TGID_X_EN: 1
; COMPUTE_PGM_RSRC2:TGID_Y_EN: 0
; COMPUTE_PGM_RSRC2:TGID_Z_EN: 0
; COMPUTE_PGM_RSRC2:TIDIG_COMP_CNT: 0
; COMPUTE_PGM_RSRC3_GFX90A:ACCUM_OFFSET: 0
; COMPUTE_PGM_RSRC3_GFX90A:TG_SPLIT: 0
	.section	.text._ZN7rocprim17ROCPRIM_400000_NS6detail17trampoline_kernelINS0_14default_configENS1_25partition_config_selectorILNS1_17partition_subalgoE8EdNS0_10empty_typeEbEEZZNS1_14partition_implILS5_8ELb0ES3_jPKdPS6_PKS6_NS0_5tupleIJPdS6_EEENSE_IJSB_SB_EEENS0_18inequality_wrapperIN6hipcub16HIPCUB_304000_NS8EqualityEEEPlJS6_EEE10hipError_tPvRmT3_T4_T5_T6_T7_T9_mT8_P12ihipStream_tbDpT10_ENKUlT_T0_E_clISt17integral_constantIbLb1EES17_EEDaS12_S13_EUlS12_E_NS1_11comp_targetILNS1_3genE0ELNS1_11target_archE4294967295ELNS1_3gpuE0ELNS1_3repE0EEENS1_30default_config_static_selectorELNS0_4arch9wavefront6targetE1EEEvT1_,"axG",@progbits,_ZN7rocprim17ROCPRIM_400000_NS6detail17trampoline_kernelINS0_14default_configENS1_25partition_config_selectorILNS1_17partition_subalgoE8EdNS0_10empty_typeEbEEZZNS1_14partition_implILS5_8ELb0ES3_jPKdPS6_PKS6_NS0_5tupleIJPdS6_EEENSE_IJSB_SB_EEENS0_18inequality_wrapperIN6hipcub16HIPCUB_304000_NS8EqualityEEEPlJS6_EEE10hipError_tPvRmT3_T4_T5_T6_T7_T9_mT8_P12ihipStream_tbDpT10_ENKUlT_T0_E_clISt17integral_constantIbLb1EES17_EEDaS12_S13_EUlS12_E_NS1_11comp_targetILNS1_3genE0ELNS1_11target_archE4294967295ELNS1_3gpuE0ELNS1_3repE0EEENS1_30default_config_static_selectorELNS0_4arch9wavefront6targetE1EEEvT1_,comdat
	.protected	_ZN7rocprim17ROCPRIM_400000_NS6detail17trampoline_kernelINS0_14default_configENS1_25partition_config_selectorILNS1_17partition_subalgoE8EdNS0_10empty_typeEbEEZZNS1_14partition_implILS5_8ELb0ES3_jPKdPS6_PKS6_NS0_5tupleIJPdS6_EEENSE_IJSB_SB_EEENS0_18inequality_wrapperIN6hipcub16HIPCUB_304000_NS8EqualityEEEPlJS6_EEE10hipError_tPvRmT3_T4_T5_T6_T7_T9_mT8_P12ihipStream_tbDpT10_ENKUlT_T0_E_clISt17integral_constantIbLb1EES17_EEDaS12_S13_EUlS12_E_NS1_11comp_targetILNS1_3genE0ELNS1_11target_archE4294967295ELNS1_3gpuE0ELNS1_3repE0EEENS1_30default_config_static_selectorELNS0_4arch9wavefront6targetE1EEEvT1_ ; -- Begin function _ZN7rocprim17ROCPRIM_400000_NS6detail17trampoline_kernelINS0_14default_configENS1_25partition_config_selectorILNS1_17partition_subalgoE8EdNS0_10empty_typeEbEEZZNS1_14partition_implILS5_8ELb0ES3_jPKdPS6_PKS6_NS0_5tupleIJPdS6_EEENSE_IJSB_SB_EEENS0_18inequality_wrapperIN6hipcub16HIPCUB_304000_NS8EqualityEEEPlJS6_EEE10hipError_tPvRmT3_T4_T5_T6_T7_T9_mT8_P12ihipStream_tbDpT10_ENKUlT_T0_E_clISt17integral_constantIbLb1EES17_EEDaS12_S13_EUlS12_E_NS1_11comp_targetILNS1_3genE0ELNS1_11target_archE4294967295ELNS1_3gpuE0ELNS1_3repE0EEENS1_30default_config_static_selectorELNS0_4arch9wavefront6targetE1EEEvT1_
	.globl	_ZN7rocprim17ROCPRIM_400000_NS6detail17trampoline_kernelINS0_14default_configENS1_25partition_config_selectorILNS1_17partition_subalgoE8EdNS0_10empty_typeEbEEZZNS1_14partition_implILS5_8ELb0ES3_jPKdPS6_PKS6_NS0_5tupleIJPdS6_EEENSE_IJSB_SB_EEENS0_18inequality_wrapperIN6hipcub16HIPCUB_304000_NS8EqualityEEEPlJS6_EEE10hipError_tPvRmT3_T4_T5_T6_T7_T9_mT8_P12ihipStream_tbDpT10_ENKUlT_T0_E_clISt17integral_constantIbLb1EES17_EEDaS12_S13_EUlS12_E_NS1_11comp_targetILNS1_3genE0ELNS1_11target_archE4294967295ELNS1_3gpuE0ELNS1_3repE0EEENS1_30default_config_static_selectorELNS0_4arch9wavefront6targetE1EEEvT1_
	.p2align	8
	.type	_ZN7rocprim17ROCPRIM_400000_NS6detail17trampoline_kernelINS0_14default_configENS1_25partition_config_selectorILNS1_17partition_subalgoE8EdNS0_10empty_typeEbEEZZNS1_14partition_implILS5_8ELb0ES3_jPKdPS6_PKS6_NS0_5tupleIJPdS6_EEENSE_IJSB_SB_EEENS0_18inequality_wrapperIN6hipcub16HIPCUB_304000_NS8EqualityEEEPlJS6_EEE10hipError_tPvRmT3_T4_T5_T6_T7_T9_mT8_P12ihipStream_tbDpT10_ENKUlT_T0_E_clISt17integral_constantIbLb1EES17_EEDaS12_S13_EUlS12_E_NS1_11comp_targetILNS1_3genE0ELNS1_11target_archE4294967295ELNS1_3gpuE0ELNS1_3repE0EEENS1_30default_config_static_selectorELNS0_4arch9wavefront6targetE1EEEvT1_,@function
_ZN7rocprim17ROCPRIM_400000_NS6detail17trampoline_kernelINS0_14default_configENS1_25partition_config_selectorILNS1_17partition_subalgoE8EdNS0_10empty_typeEbEEZZNS1_14partition_implILS5_8ELb0ES3_jPKdPS6_PKS6_NS0_5tupleIJPdS6_EEENSE_IJSB_SB_EEENS0_18inequality_wrapperIN6hipcub16HIPCUB_304000_NS8EqualityEEEPlJS6_EEE10hipError_tPvRmT3_T4_T5_T6_T7_T9_mT8_P12ihipStream_tbDpT10_ENKUlT_T0_E_clISt17integral_constantIbLb1EES17_EEDaS12_S13_EUlS12_E_NS1_11comp_targetILNS1_3genE0ELNS1_11target_archE4294967295ELNS1_3gpuE0ELNS1_3repE0EEENS1_30default_config_static_selectorELNS0_4arch9wavefront6targetE1EEEvT1_: ; @_ZN7rocprim17ROCPRIM_400000_NS6detail17trampoline_kernelINS0_14default_configENS1_25partition_config_selectorILNS1_17partition_subalgoE8EdNS0_10empty_typeEbEEZZNS1_14partition_implILS5_8ELb0ES3_jPKdPS6_PKS6_NS0_5tupleIJPdS6_EEENSE_IJSB_SB_EEENS0_18inequality_wrapperIN6hipcub16HIPCUB_304000_NS8EqualityEEEPlJS6_EEE10hipError_tPvRmT3_T4_T5_T6_T7_T9_mT8_P12ihipStream_tbDpT10_ENKUlT_T0_E_clISt17integral_constantIbLb1EES17_EEDaS12_S13_EUlS12_E_NS1_11comp_targetILNS1_3genE0ELNS1_11target_archE4294967295ELNS1_3gpuE0ELNS1_3repE0EEENS1_30default_config_static_selectorELNS0_4arch9wavefront6targetE1EEEvT1_
; %bb.0:
	.section	.rodata,"a",@progbits
	.p2align	6, 0x0
	.amdhsa_kernel _ZN7rocprim17ROCPRIM_400000_NS6detail17trampoline_kernelINS0_14default_configENS1_25partition_config_selectorILNS1_17partition_subalgoE8EdNS0_10empty_typeEbEEZZNS1_14partition_implILS5_8ELb0ES3_jPKdPS6_PKS6_NS0_5tupleIJPdS6_EEENSE_IJSB_SB_EEENS0_18inequality_wrapperIN6hipcub16HIPCUB_304000_NS8EqualityEEEPlJS6_EEE10hipError_tPvRmT3_T4_T5_T6_T7_T9_mT8_P12ihipStream_tbDpT10_ENKUlT_T0_E_clISt17integral_constantIbLb1EES17_EEDaS12_S13_EUlS12_E_NS1_11comp_targetILNS1_3genE0ELNS1_11target_archE4294967295ELNS1_3gpuE0ELNS1_3repE0EEENS1_30default_config_static_selectorELNS0_4arch9wavefront6targetE1EEEvT1_
		.amdhsa_group_segment_fixed_size 0
		.amdhsa_private_segment_fixed_size 0
		.amdhsa_kernarg_size 128
		.amdhsa_user_sgpr_count 6
		.amdhsa_user_sgpr_private_segment_buffer 1
		.amdhsa_user_sgpr_dispatch_ptr 0
		.amdhsa_user_sgpr_queue_ptr 0
		.amdhsa_user_sgpr_kernarg_segment_ptr 1
		.amdhsa_user_sgpr_dispatch_id 0
		.amdhsa_user_sgpr_flat_scratch_init 0
		.amdhsa_user_sgpr_kernarg_preload_length 0
		.amdhsa_user_sgpr_kernarg_preload_offset 0
		.amdhsa_user_sgpr_private_segment_size 0
		.amdhsa_uses_dynamic_stack 0
		.amdhsa_system_sgpr_private_segment_wavefront_offset 0
		.amdhsa_system_sgpr_workgroup_id_x 1
		.amdhsa_system_sgpr_workgroup_id_y 0
		.amdhsa_system_sgpr_workgroup_id_z 0
		.amdhsa_system_sgpr_workgroup_info 0
		.amdhsa_system_vgpr_workitem_id 0
		.amdhsa_next_free_vgpr 1
		.amdhsa_next_free_sgpr 0
		.amdhsa_accum_offset 4
		.amdhsa_reserve_vcc 0
		.amdhsa_reserve_flat_scratch 0
		.amdhsa_float_round_mode_32 0
		.amdhsa_float_round_mode_16_64 0
		.amdhsa_float_denorm_mode_32 3
		.amdhsa_float_denorm_mode_16_64 3
		.amdhsa_dx10_clamp 1
		.amdhsa_ieee_mode 1
		.amdhsa_fp16_overflow 0
		.amdhsa_tg_split 0
		.amdhsa_exception_fp_ieee_invalid_op 0
		.amdhsa_exception_fp_denorm_src 0
		.amdhsa_exception_fp_ieee_div_zero 0
		.amdhsa_exception_fp_ieee_overflow 0
		.amdhsa_exception_fp_ieee_underflow 0
		.amdhsa_exception_fp_ieee_inexact 0
		.amdhsa_exception_int_div_zero 0
	.end_amdhsa_kernel
	.section	.text._ZN7rocprim17ROCPRIM_400000_NS6detail17trampoline_kernelINS0_14default_configENS1_25partition_config_selectorILNS1_17partition_subalgoE8EdNS0_10empty_typeEbEEZZNS1_14partition_implILS5_8ELb0ES3_jPKdPS6_PKS6_NS0_5tupleIJPdS6_EEENSE_IJSB_SB_EEENS0_18inequality_wrapperIN6hipcub16HIPCUB_304000_NS8EqualityEEEPlJS6_EEE10hipError_tPvRmT3_T4_T5_T6_T7_T9_mT8_P12ihipStream_tbDpT10_ENKUlT_T0_E_clISt17integral_constantIbLb1EES17_EEDaS12_S13_EUlS12_E_NS1_11comp_targetILNS1_3genE0ELNS1_11target_archE4294967295ELNS1_3gpuE0ELNS1_3repE0EEENS1_30default_config_static_selectorELNS0_4arch9wavefront6targetE1EEEvT1_,"axG",@progbits,_ZN7rocprim17ROCPRIM_400000_NS6detail17trampoline_kernelINS0_14default_configENS1_25partition_config_selectorILNS1_17partition_subalgoE8EdNS0_10empty_typeEbEEZZNS1_14partition_implILS5_8ELb0ES3_jPKdPS6_PKS6_NS0_5tupleIJPdS6_EEENSE_IJSB_SB_EEENS0_18inequality_wrapperIN6hipcub16HIPCUB_304000_NS8EqualityEEEPlJS6_EEE10hipError_tPvRmT3_T4_T5_T6_T7_T9_mT8_P12ihipStream_tbDpT10_ENKUlT_T0_E_clISt17integral_constantIbLb1EES17_EEDaS12_S13_EUlS12_E_NS1_11comp_targetILNS1_3genE0ELNS1_11target_archE4294967295ELNS1_3gpuE0ELNS1_3repE0EEENS1_30default_config_static_selectorELNS0_4arch9wavefront6targetE1EEEvT1_,comdat
.Lfunc_end280:
	.size	_ZN7rocprim17ROCPRIM_400000_NS6detail17trampoline_kernelINS0_14default_configENS1_25partition_config_selectorILNS1_17partition_subalgoE8EdNS0_10empty_typeEbEEZZNS1_14partition_implILS5_8ELb0ES3_jPKdPS6_PKS6_NS0_5tupleIJPdS6_EEENSE_IJSB_SB_EEENS0_18inequality_wrapperIN6hipcub16HIPCUB_304000_NS8EqualityEEEPlJS6_EEE10hipError_tPvRmT3_T4_T5_T6_T7_T9_mT8_P12ihipStream_tbDpT10_ENKUlT_T0_E_clISt17integral_constantIbLb1EES17_EEDaS12_S13_EUlS12_E_NS1_11comp_targetILNS1_3genE0ELNS1_11target_archE4294967295ELNS1_3gpuE0ELNS1_3repE0EEENS1_30default_config_static_selectorELNS0_4arch9wavefront6targetE1EEEvT1_, .Lfunc_end280-_ZN7rocprim17ROCPRIM_400000_NS6detail17trampoline_kernelINS0_14default_configENS1_25partition_config_selectorILNS1_17partition_subalgoE8EdNS0_10empty_typeEbEEZZNS1_14partition_implILS5_8ELb0ES3_jPKdPS6_PKS6_NS0_5tupleIJPdS6_EEENSE_IJSB_SB_EEENS0_18inequality_wrapperIN6hipcub16HIPCUB_304000_NS8EqualityEEEPlJS6_EEE10hipError_tPvRmT3_T4_T5_T6_T7_T9_mT8_P12ihipStream_tbDpT10_ENKUlT_T0_E_clISt17integral_constantIbLb1EES17_EEDaS12_S13_EUlS12_E_NS1_11comp_targetILNS1_3genE0ELNS1_11target_archE4294967295ELNS1_3gpuE0ELNS1_3repE0EEENS1_30default_config_static_selectorELNS0_4arch9wavefront6targetE1EEEvT1_
                                        ; -- End function
	.section	.AMDGPU.csdata,"",@progbits
; Kernel info:
; codeLenInByte = 0
; NumSgprs: 4
; NumVgprs: 0
; NumAgprs: 0
; TotalNumVgprs: 0
; ScratchSize: 0
; MemoryBound: 0
; FloatMode: 240
; IeeeMode: 1
; LDSByteSize: 0 bytes/workgroup (compile time only)
; SGPRBlocks: 0
; VGPRBlocks: 0
; NumSGPRsForWavesPerEU: 4
; NumVGPRsForWavesPerEU: 1
; AccumOffset: 4
; Occupancy: 8
; WaveLimiterHint : 0
; COMPUTE_PGM_RSRC2:SCRATCH_EN: 0
; COMPUTE_PGM_RSRC2:USER_SGPR: 6
; COMPUTE_PGM_RSRC2:TRAP_HANDLER: 0
; COMPUTE_PGM_RSRC2:TGID_X_EN: 1
; COMPUTE_PGM_RSRC2:TGID_Y_EN: 0
; COMPUTE_PGM_RSRC2:TGID_Z_EN: 0
; COMPUTE_PGM_RSRC2:TIDIG_COMP_CNT: 0
; COMPUTE_PGM_RSRC3_GFX90A:ACCUM_OFFSET: 0
; COMPUTE_PGM_RSRC3_GFX90A:TG_SPLIT: 0
	.section	.text._ZN7rocprim17ROCPRIM_400000_NS6detail17trampoline_kernelINS0_14default_configENS1_25partition_config_selectorILNS1_17partition_subalgoE8EdNS0_10empty_typeEbEEZZNS1_14partition_implILS5_8ELb0ES3_jPKdPS6_PKS6_NS0_5tupleIJPdS6_EEENSE_IJSB_SB_EEENS0_18inequality_wrapperIN6hipcub16HIPCUB_304000_NS8EqualityEEEPlJS6_EEE10hipError_tPvRmT3_T4_T5_T6_T7_T9_mT8_P12ihipStream_tbDpT10_ENKUlT_T0_E_clISt17integral_constantIbLb1EES17_EEDaS12_S13_EUlS12_E_NS1_11comp_targetILNS1_3genE5ELNS1_11target_archE942ELNS1_3gpuE9ELNS1_3repE0EEENS1_30default_config_static_selectorELNS0_4arch9wavefront6targetE1EEEvT1_,"axG",@progbits,_ZN7rocprim17ROCPRIM_400000_NS6detail17trampoline_kernelINS0_14default_configENS1_25partition_config_selectorILNS1_17partition_subalgoE8EdNS0_10empty_typeEbEEZZNS1_14partition_implILS5_8ELb0ES3_jPKdPS6_PKS6_NS0_5tupleIJPdS6_EEENSE_IJSB_SB_EEENS0_18inequality_wrapperIN6hipcub16HIPCUB_304000_NS8EqualityEEEPlJS6_EEE10hipError_tPvRmT3_T4_T5_T6_T7_T9_mT8_P12ihipStream_tbDpT10_ENKUlT_T0_E_clISt17integral_constantIbLb1EES17_EEDaS12_S13_EUlS12_E_NS1_11comp_targetILNS1_3genE5ELNS1_11target_archE942ELNS1_3gpuE9ELNS1_3repE0EEENS1_30default_config_static_selectorELNS0_4arch9wavefront6targetE1EEEvT1_,comdat
	.protected	_ZN7rocprim17ROCPRIM_400000_NS6detail17trampoline_kernelINS0_14default_configENS1_25partition_config_selectorILNS1_17partition_subalgoE8EdNS0_10empty_typeEbEEZZNS1_14partition_implILS5_8ELb0ES3_jPKdPS6_PKS6_NS0_5tupleIJPdS6_EEENSE_IJSB_SB_EEENS0_18inequality_wrapperIN6hipcub16HIPCUB_304000_NS8EqualityEEEPlJS6_EEE10hipError_tPvRmT3_T4_T5_T6_T7_T9_mT8_P12ihipStream_tbDpT10_ENKUlT_T0_E_clISt17integral_constantIbLb1EES17_EEDaS12_S13_EUlS12_E_NS1_11comp_targetILNS1_3genE5ELNS1_11target_archE942ELNS1_3gpuE9ELNS1_3repE0EEENS1_30default_config_static_selectorELNS0_4arch9wavefront6targetE1EEEvT1_ ; -- Begin function _ZN7rocprim17ROCPRIM_400000_NS6detail17trampoline_kernelINS0_14default_configENS1_25partition_config_selectorILNS1_17partition_subalgoE8EdNS0_10empty_typeEbEEZZNS1_14partition_implILS5_8ELb0ES3_jPKdPS6_PKS6_NS0_5tupleIJPdS6_EEENSE_IJSB_SB_EEENS0_18inequality_wrapperIN6hipcub16HIPCUB_304000_NS8EqualityEEEPlJS6_EEE10hipError_tPvRmT3_T4_T5_T6_T7_T9_mT8_P12ihipStream_tbDpT10_ENKUlT_T0_E_clISt17integral_constantIbLb1EES17_EEDaS12_S13_EUlS12_E_NS1_11comp_targetILNS1_3genE5ELNS1_11target_archE942ELNS1_3gpuE9ELNS1_3repE0EEENS1_30default_config_static_selectorELNS0_4arch9wavefront6targetE1EEEvT1_
	.globl	_ZN7rocprim17ROCPRIM_400000_NS6detail17trampoline_kernelINS0_14default_configENS1_25partition_config_selectorILNS1_17partition_subalgoE8EdNS0_10empty_typeEbEEZZNS1_14partition_implILS5_8ELb0ES3_jPKdPS6_PKS6_NS0_5tupleIJPdS6_EEENSE_IJSB_SB_EEENS0_18inequality_wrapperIN6hipcub16HIPCUB_304000_NS8EqualityEEEPlJS6_EEE10hipError_tPvRmT3_T4_T5_T6_T7_T9_mT8_P12ihipStream_tbDpT10_ENKUlT_T0_E_clISt17integral_constantIbLb1EES17_EEDaS12_S13_EUlS12_E_NS1_11comp_targetILNS1_3genE5ELNS1_11target_archE942ELNS1_3gpuE9ELNS1_3repE0EEENS1_30default_config_static_selectorELNS0_4arch9wavefront6targetE1EEEvT1_
	.p2align	8
	.type	_ZN7rocprim17ROCPRIM_400000_NS6detail17trampoline_kernelINS0_14default_configENS1_25partition_config_selectorILNS1_17partition_subalgoE8EdNS0_10empty_typeEbEEZZNS1_14partition_implILS5_8ELb0ES3_jPKdPS6_PKS6_NS0_5tupleIJPdS6_EEENSE_IJSB_SB_EEENS0_18inequality_wrapperIN6hipcub16HIPCUB_304000_NS8EqualityEEEPlJS6_EEE10hipError_tPvRmT3_T4_T5_T6_T7_T9_mT8_P12ihipStream_tbDpT10_ENKUlT_T0_E_clISt17integral_constantIbLb1EES17_EEDaS12_S13_EUlS12_E_NS1_11comp_targetILNS1_3genE5ELNS1_11target_archE942ELNS1_3gpuE9ELNS1_3repE0EEENS1_30default_config_static_selectorELNS0_4arch9wavefront6targetE1EEEvT1_,@function
_ZN7rocprim17ROCPRIM_400000_NS6detail17trampoline_kernelINS0_14default_configENS1_25partition_config_selectorILNS1_17partition_subalgoE8EdNS0_10empty_typeEbEEZZNS1_14partition_implILS5_8ELb0ES3_jPKdPS6_PKS6_NS0_5tupleIJPdS6_EEENSE_IJSB_SB_EEENS0_18inequality_wrapperIN6hipcub16HIPCUB_304000_NS8EqualityEEEPlJS6_EEE10hipError_tPvRmT3_T4_T5_T6_T7_T9_mT8_P12ihipStream_tbDpT10_ENKUlT_T0_E_clISt17integral_constantIbLb1EES17_EEDaS12_S13_EUlS12_E_NS1_11comp_targetILNS1_3genE5ELNS1_11target_archE942ELNS1_3gpuE9ELNS1_3repE0EEENS1_30default_config_static_selectorELNS0_4arch9wavefront6targetE1EEEvT1_: ; @_ZN7rocprim17ROCPRIM_400000_NS6detail17trampoline_kernelINS0_14default_configENS1_25partition_config_selectorILNS1_17partition_subalgoE8EdNS0_10empty_typeEbEEZZNS1_14partition_implILS5_8ELb0ES3_jPKdPS6_PKS6_NS0_5tupleIJPdS6_EEENSE_IJSB_SB_EEENS0_18inequality_wrapperIN6hipcub16HIPCUB_304000_NS8EqualityEEEPlJS6_EEE10hipError_tPvRmT3_T4_T5_T6_T7_T9_mT8_P12ihipStream_tbDpT10_ENKUlT_T0_E_clISt17integral_constantIbLb1EES17_EEDaS12_S13_EUlS12_E_NS1_11comp_targetILNS1_3genE5ELNS1_11target_archE942ELNS1_3gpuE9ELNS1_3repE0EEENS1_30default_config_static_selectorELNS0_4arch9wavefront6targetE1EEEvT1_
; %bb.0:
	.section	.rodata,"a",@progbits
	.p2align	6, 0x0
	.amdhsa_kernel _ZN7rocprim17ROCPRIM_400000_NS6detail17trampoline_kernelINS0_14default_configENS1_25partition_config_selectorILNS1_17partition_subalgoE8EdNS0_10empty_typeEbEEZZNS1_14partition_implILS5_8ELb0ES3_jPKdPS6_PKS6_NS0_5tupleIJPdS6_EEENSE_IJSB_SB_EEENS0_18inequality_wrapperIN6hipcub16HIPCUB_304000_NS8EqualityEEEPlJS6_EEE10hipError_tPvRmT3_T4_T5_T6_T7_T9_mT8_P12ihipStream_tbDpT10_ENKUlT_T0_E_clISt17integral_constantIbLb1EES17_EEDaS12_S13_EUlS12_E_NS1_11comp_targetILNS1_3genE5ELNS1_11target_archE942ELNS1_3gpuE9ELNS1_3repE0EEENS1_30default_config_static_selectorELNS0_4arch9wavefront6targetE1EEEvT1_
		.amdhsa_group_segment_fixed_size 0
		.amdhsa_private_segment_fixed_size 0
		.amdhsa_kernarg_size 128
		.amdhsa_user_sgpr_count 6
		.amdhsa_user_sgpr_private_segment_buffer 1
		.amdhsa_user_sgpr_dispatch_ptr 0
		.amdhsa_user_sgpr_queue_ptr 0
		.amdhsa_user_sgpr_kernarg_segment_ptr 1
		.amdhsa_user_sgpr_dispatch_id 0
		.amdhsa_user_sgpr_flat_scratch_init 0
		.amdhsa_user_sgpr_kernarg_preload_length 0
		.amdhsa_user_sgpr_kernarg_preload_offset 0
		.amdhsa_user_sgpr_private_segment_size 0
		.amdhsa_uses_dynamic_stack 0
		.amdhsa_system_sgpr_private_segment_wavefront_offset 0
		.amdhsa_system_sgpr_workgroup_id_x 1
		.amdhsa_system_sgpr_workgroup_id_y 0
		.amdhsa_system_sgpr_workgroup_id_z 0
		.amdhsa_system_sgpr_workgroup_info 0
		.amdhsa_system_vgpr_workitem_id 0
		.amdhsa_next_free_vgpr 1
		.amdhsa_next_free_sgpr 0
		.amdhsa_accum_offset 4
		.amdhsa_reserve_vcc 0
		.amdhsa_reserve_flat_scratch 0
		.amdhsa_float_round_mode_32 0
		.amdhsa_float_round_mode_16_64 0
		.amdhsa_float_denorm_mode_32 3
		.amdhsa_float_denorm_mode_16_64 3
		.amdhsa_dx10_clamp 1
		.amdhsa_ieee_mode 1
		.amdhsa_fp16_overflow 0
		.amdhsa_tg_split 0
		.amdhsa_exception_fp_ieee_invalid_op 0
		.amdhsa_exception_fp_denorm_src 0
		.amdhsa_exception_fp_ieee_div_zero 0
		.amdhsa_exception_fp_ieee_overflow 0
		.amdhsa_exception_fp_ieee_underflow 0
		.amdhsa_exception_fp_ieee_inexact 0
		.amdhsa_exception_int_div_zero 0
	.end_amdhsa_kernel
	.section	.text._ZN7rocprim17ROCPRIM_400000_NS6detail17trampoline_kernelINS0_14default_configENS1_25partition_config_selectorILNS1_17partition_subalgoE8EdNS0_10empty_typeEbEEZZNS1_14partition_implILS5_8ELb0ES3_jPKdPS6_PKS6_NS0_5tupleIJPdS6_EEENSE_IJSB_SB_EEENS0_18inequality_wrapperIN6hipcub16HIPCUB_304000_NS8EqualityEEEPlJS6_EEE10hipError_tPvRmT3_T4_T5_T6_T7_T9_mT8_P12ihipStream_tbDpT10_ENKUlT_T0_E_clISt17integral_constantIbLb1EES17_EEDaS12_S13_EUlS12_E_NS1_11comp_targetILNS1_3genE5ELNS1_11target_archE942ELNS1_3gpuE9ELNS1_3repE0EEENS1_30default_config_static_selectorELNS0_4arch9wavefront6targetE1EEEvT1_,"axG",@progbits,_ZN7rocprim17ROCPRIM_400000_NS6detail17trampoline_kernelINS0_14default_configENS1_25partition_config_selectorILNS1_17partition_subalgoE8EdNS0_10empty_typeEbEEZZNS1_14partition_implILS5_8ELb0ES3_jPKdPS6_PKS6_NS0_5tupleIJPdS6_EEENSE_IJSB_SB_EEENS0_18inequality_wrapperIN6hipcub16HIPCUB_304000_NS8EqualityEEEPlJS6_EEE10hipError_tPvRmT3_T4_T5_T6_T7_T9_mT8_P12ihipStream_tbDpT10_ENKUlT_T0_E_clISt17integral_constantIbLb1EES17_EEDaS12_S13_EUlS12_E_NS1_11comp_targetILNS1_3genE5ELNS1_11target_archE942ELNS1_3gpuE9ELNS1_3repE0EEENS1_30default_config_static_selectorELNS0_4arch9wavefront6targetE1EEEvT1_,comdat
.Lfunc_end281:
	.size	_ZN7rocprim17ROCPRIM_400000_NS6detail17trampoline_kernelINS0_14default_configENS1_25partition_config_selectorILNS1_17partition_subalgoE8EdNS0_10empty_typeEbEEZZNS1_14partition_implILS5_8ELb0ES3_jPKdPS6_PKS6_NS0_5tupleIJPdS6_EEENSE_IJSB_SB_EEENS0_18inequality_wrapperIN6hipcub16HIPCUB_304000_NS8EqualityEEEPlJS6_EEE10hipError_tPvRmT3_T4_T5_T6_T7_T9_mT8_P12ihipStream_tbDpT10_ENKUlT_T0_E_clISt17integral_constantIbLb1EES17_EEDaS12_S13_EUlS12_E_NS1_11comp_targetILNS1_3genE5ELNS1_11target_archE942ELNS1_3gpuE9ELNS1_3repE0EEENS1_30default_config_static_selectorELNS0_4arch9wavefront6targetE1EEEvT1_, .Lfunc_end281-_ZN7rocprim17ROCPRIM_400000_NS6detail17trampoline_kernelINS0_14default_configENS1_25partition_config_selectorILNS1_17partition_subalgoE8EdNS0_10empty_typeEbEEZZNS1_14partition_implILS5_8ELb0ES3_jPKdPS6_PKS6_NS0_5tupleIJPdS6_EEENSE_IJSB_SB_EEENS0_18inequality_wrapperIN6hipcub16HIPCUB_304000_NS8EqualityEEEPlJS6_EEE10hipError_tPvRmT3_T4_T5_T6_T7_T9_mT8_P12ihipStream_tbDpT10_ENKUlT_T0_E_clISt17integral_constantIbLb1EES17_EEDaS12_S13_EUlS12_E_NS1_11comp_targetILNS1_3genE5ELNS1_11target_archE942ELNS1_3gpuE9ELNS1_3repE0EEENS1_30default_config_static_selectorELNS0_4arch9wavefront6targetE1EEEvT1_
                                        ; -- End function
	.section	.AMDGPU.csdata,"",@progbits
; Kernel info:
; codeLenInByte = 0
; NumSgprs: 4
; NumVgprs: 0
; NumAgprs: 0
; TotalNumVgprs: 0
; ScratchSize: 0
; MemoryBound: 0
; FloatMode: 240
; IeeeMode: 1
; LDSByteSize: 0 bytes/workgroup (compile time only)
; SGPRBlocks: 0
; VGPRBlocks: 0
; NumSGPRsForWavesPerEU: 4
; NumVGPRsForWavesPerEU: 1
; AccumOffset: 4
; Occupancy: 8
; WaveLimiterHint : 0
; COMPUTE_PGM_RSRC2:SCRATCH_EN: 0
; COMPUTE_PGM_RSRC2:USER_SGPR: 6
; COMPUTE_PGM_RSRC2:TRAP_HANDLER: 0
; COMPUTE_PGM_RSRC2:TGID_X_EN: 1
; COMPUTE_PGM_RSRC2:TGID_Y_EN: 0
; COMPUTE_PGM_RSRC2:TGID_Z_EN: 0
; COMPUTE_PGM_RSRC2:TIDIG_COMP_CNT: 0
; COMPUTE_PGM_RSRC3_GFX90A:ACCUM_OFFSET: 0
; COMPUTE_PGM_RSRC3_GFX90A:TG_SPLIT: 0
	.section	.text._ZN7rocprim17ROCPRIM_400000_NS6detail17trampoline_kernelINS0_14default_configENS1_25partition_config_selectorILNS1_17partition_subalgoE8EdNS0_10empty_typeEbEEZZNS1_14partition_implILS5_8ELb0ES3_jPKdPS6_PKS6_NS0_5tupleIJPdS6_EEENSE_IJSB_SB_EEENS0_18inequality_wrapperIN6hipcub16HIPCUB_304000_NS8EqualityEEEPlJS6_EEE10hipError_tPvRmT3_T4_T5_T6_T7_T9_mT8_P12ihipStream_tbDpT10_ENKUlT_T0_E_clISt17integral_constantIbLb1EES17_EEDaS12_S13_EUlS12_E_NS1_11comp_targetILNS1_3genE4ELNS1_11target_archE910ELNS1_3gpuE8ELNS1_3repE0EEENS1_30default_config_static_selectorELNS0_4arch9wavefront6targetE1EEEvT1_,"axG",@progbits,_ZN7rocprim17ROCPRIM_400000_NS6detail17trampoline_kernelINS0_14default_configENS1_25partition_config_selectorILNS1_17partition_subalgoE8EdNS0_10empty_typeEbEEZZNS1_14partition_implILS5_8ELb0ES3_jPKdPS6_PKS6_NS0_5tupleIJPdS6_EEENSE_IJSB_SB_EEENS0_18inequality_wrapperIN6hipcub16HIPCUB_304000_NS8EqualityEEEPlJS6_EEE10hipError_tPvRmT3_T4_T5_T6_T7_T9_mT8_P12ihipStream_tbDpT10_ENKUlT_T0_E_clISt17integral_constantIbLb1EES17_EEDaS12_S13_EUlS12_E_NS1_11comp_targetILNS1_3genE4ELNS1_11target_archE910ELNS1_3gpuE8ELNS1_3repE0EEENS1_30default_config_static_selectorELNS0_4arch9wavefront6targetE1EEEvT1_,comdat
	.protected	_ZN7rocprim17ROCPRIM_400000_NS6detail17trampoline_kernelINS0_14default_configENS1_25partition_config_selectorILNS1_17partition_subalgoE8EdNS0_10empty_typeEbEEZZNS1_14partition_implILS5_8ELb0ES3_jPKdPS6_PKS6_NS0_5tupleIJPdS6_EEENSE_IJSB_SB_EEENS0_18inequality_wrapperIN6hipcub16HIPCUB_304000_NS8EqualityEEEPlJS6_EEE10hipError_tPvRmT3_T4_T5_T6_T7_T9_mT8_P12ihipStream_tbDpT10_ENKUlT_T0_E_clISt17integral_constantIbLb1EES17_EEDaS12_S13_EUlS12_E_NS1_11comp_targetILNS1_3genE4ELNS1_11target_archE910ELNS1_3gpuE8ELNS1_3repE0EEENS1_30default_config_static_selectorELNS0_4arch9wavefront6targetE1EEEvT1_ ; -- Begin function _ZN7rocprim17ROCPRIM_400000_NS6detail17trampoline_kernelINS0_14default_configENS1_25partition_config_selectorILNS1_17partition_subalgoE8EdNS0_10empty_typeEbEEZZNS1_14partition_implILS5_8ELb0ES3_jPKdPS6_PKS6_NS0_5tupleIJPdS6_EEENSE_IJSB_SB_EEENS0_18inequality_wrapperIN6hipcub16HIPCUB_304000_NS8EqualityEEEPlJS6_EEE10hipError_tPvRmT3_T4_T5_T6_T7_T9_mT8_P12ihipStream_tbDpT10_ENKUlT_T0_E_clISt17integral_constantIbLb1EES17_EEDaS12_S13_EUlS12_E_NS1_11comp_targetILNS1_3genE4ELNS1_11target_archE910ELNS1_3gpuE8ELNS1_3repE0EEENS1_30default_config_static_selectorELNS0_4arch9wavefront6targetE1EEEvT1_
	.globl	_ZN7rocprim17ROCPRIM_400000_NS6detail17trampoline_kernelINS0_14default_configENS1_25partition_config_selectorILNS1_17partition_subalgoE8EdNS0_10empty_typeEbEEZZNS1_14partition_implILS5_8ELb0ES3_jPKdPS6_PKS6_NS0_5tupleIJPdS6_EEENSE_IJSB_SB_EEENS0_18inequality_wrapperIN6hipcub16HIPCUB_304000_NS8EqualityEEEPlJS6_EEE10hipError_tPvRmT3_T4_T5_T6_T7_T9_mT8_P12ihipStream_tbDpT10_ENKUlT_T0_E_clISt17integral_constantIbLb1EES17_EEDaS12_S13_EUlS12_E_NS1_11comp_targetILNS1_3genE4ELNS1_11target_archE910ELNS1_3gpuE8ELNS1_3repE0EEENS1_30default_config_static_selectorELNS0_4arch9wavefront6targetE1EEEvT1_
	.p2align	8
	.type	_ZN7rocprim17ROCPRIM_400000_NS6detail17trampoline_kernelINS0_14default_configENS1_25partition_config_selectorILNS1_17partition_subalgoE8EdNS0_10empty_typeEbEEZZNS1_14partition_implILS5_8ELb0ES3_jPKdPS6_PKS6_NS0_5tupleIJPdS6_EEENSE_IJSB_SB_EEENS0_18inequality_wrapperIN6hipcub16HIPCUB_304000_NS8EqualityEEEPlJS6_EEE10hipError_tPvRmT3_T4_T5_T6_T7_T9_mT8_P12ihipStream_tbDpT10_ENKUlT_T0_E_clISt17integral_constantIbLb1EES17_EEDaS12_S13_EUlS12_E_NS1_11comp_targetILNS1_3genE4ELNS1_11target_archE910ELNS1_3gpuE8ELNS1_3repE0EEENS1_30default_config_static_selectorELNS0_4arch9wavefront6targetE1EEEvT1_,@function
_ZN7rocprim17ROCPRIM_400000_NS6detail17trampoline_kernelINS0_14default_configENS1_25partition_config_selectorILNS1_17partition_subalgoE8EdNS0_10empty_typeEbEEZZNS1_14partition_implILS5_8ELb0ES3_jPKdPS6_PKS6_NS0_5tupleIJPdS6_EEENSE_IJSB_SB_EEENS0_18inequality_wrapperIN6hipcub16HIPCUB_304000_NS8EqualityEEEPlJS6_EEE10hipError_tPvRmT3_T4_T5_T6_T7_T9_mT8_P12ihipStream_tbDpT10_ENKUlT_T0_E_clISt17integral_constantIbLb1EES17_EEDaS12_S13_EUlS12_E_NS1_11comp_targetILNS1_3genE4ELNS1_11target_archE910ELNS1_3gpuE8ELNS1_3repE0EEENS1_30default_config_static_selectorELNS0_4arch9wavefront6targetE1EEEvT1_: ; @_ZN7rocprim17ROCPRIM_400000_NS6detail17trampoline_kernelINS0_14default_configENS1_25partition_config_selectorILNS1_17partition_subalgoE8EdNS0_10empty_typeEbEEZZNS1_14partition_implILS5_8ELb0ES3_jPKdPS6_PKS6_NS0_5tupleIJPdS6_EEENSE_IJSB_SB_EEENS0_18inequality_wrapperIN6hipcub16HIPCUB_304000_NS8EqualityEEEPlJS6_EEE10hipError_tPvRmT3_T4_T5_T6_T7_T9_mT8_P12ihipStream_tbDpT10_ENKUlT_T0_E_clISt17integral_constantIbLb1EES17_EEDaS12_S13_EUlS12_E_NS1_11comp_targetILNS1_3genE4ELNS1_11target_archE910ELNS1_3gpuE8ELNS1_3repE0EEENS1_30default_config_static_selectorELNS0_4arch9wavefront6targetE1EEEvT1_
; %bb.0:
	s_load_dwordx2 s[18:19], s[4:5], 0x28
	s_load_dwordx4 s[20:23], s[4:5], 0x40
	s_load_dwordx2 s[6:7], s[4:5], 0x50
	s_load_dwordx2 s[26:27], s[4:5], 0x60
	v_cmp_ne_u32_e64 s[2:3], 0, v0
	v_cmp_eq_u32_e64 s[0:1], 0, v0
	s_and_saveexec_b64 s[8:9], s[0:1]
	s_cbranch_execz .LBB282_4
; %bb.1:
	s_mov_b64 s[12:13], exec
	v_mbcnt_lo_u32_b32 v1, s12, 0
	v_mbcnt_hi_u32_b32 v1, s13, v1
	v_cmp_eq_u32_e32 vcc, 0, v1
                                        ; implicit-def: $vgpr2
	s_and_saveexec_b64 s[10:11], vcc
	s_cbranch_execz .LBB282_3
; %bb.2:
	s_load_dwordx2 s[14:15], s[4:5], 0x70
	s_bcnt1_i32_b64 s12, s[12:13]
	v_mov_b32_e32 v2, 0
	v_mov_b32_e32 v3, s12
	s_waitcnt lgkmcnt(0)
	global_atomic_add v2, v2, v3, s[14:15] glc
.LBB282_3:
	s_or_b64 exec, exec, s[10:11]
	s_waitcnt vmcnt(0)
	v_readfirstlane_b32 s10, v2
	v_add_u32_e32 v1, s10, v1
	v_mov_b32_e32 v2, 0
	ds_write_b32 v2, v1
.LBB282_4:
	s_or_b64 exec, exec, s[8:9]
	v_mov_b32_e32 v3, 0
	s_load_dwordx4 s[8:11], s[4:5], 0x8
	s_load_dword s12, s[4:5], 0x68
	s_waitcnt lgkmcnt(0)
	s_barrier
	ds_read_b32 v1, v3
	s_waitcnt lgkmcnt(0)
	s_barrier
	global_load_dwordx2 v[18:19], v3, s[22:23]
	s_lshl_b64 s[4:5], s[10:11], 3
	v_mov_b32_e32 v5, s7
	s_add_u32 s7, s8, s4
	s_movk_i32 s4, 0x500
	v_mul_lo_u32 v2, v1, s4
	s_mul_i32 s4, s12, 0x500
	s_addc_u32 s8, s9, s5
	s_add_i32 s5, s4, s10
	s_add_i32 s9, s12, -1
	s_sub_i32 s28, s6, s5
	s_add_u32 s4, s10, s4
	v_readfirstlane_b32 s33, v1
	s_addc_u32 s5, s11, 0
	v_mov_b32_e32 v4, s6
	s_cmp_eq_u32 s33, s9
	v_cmp_ge_u64_e32 vcc, s[4:5], v[4:5]
	s_cselect_b64 s[22:23], -1, 0
	v_lshlrev_b64 v[2:3], 3, v[2:3]
	s_and_b64 s[12:13], vcc, s[22:23]
	v_mov_b32_e32 v1, s8
	v_add_co_u32_e32 v20, vcc, s7, v2
	s_xor_b64 s[24:25], s[12:13], -1
	v_addc_co_u32_e32 v21, vcc, v1, v3, vcc
	s_mov_b64 s[4:5], -1
	s_and_b64 vcc, exec, s[24:25]
	s_cbranch_vccz .LBB282_6
; %bb.5:
	v_lshlrev_b32_e32 v1, 3, v0
	v_add_co_u32_e32 v12, vcc, v20, v1
	v_addc_co_u32_e32 v13, vcc, 0, v21, vcc
	v_add_co_u32_e32 v2, vcc, 0x1000, v12
	v_readfirstlane_b32 s4, v20
	v_readfirstlane_b32 s5, v21
	v_addc_co_u32_e32 v3, vcc, 0, v13, vcc
	s_nop 3
	global_load_dwordx2 v[4:5], v1, s[4:5]
	global_load_dwordx2 v[6:7], v1, s[4:5] offset:2048
	global_load_dwordx2 v[8:9], v[2:3], off
	global_load_dwordx2 v[10:11], v[2:3], off offset:2048
	v_add_co_u32_e32 v2, vcc, 0x2000, v12
	v_addc_co_u32_e32 v3, vcc, 0, v13, vcc
	global_load_dwordx2 v[2:3], v[2:3], off
	s_mov_b64 s[4:5], 0
	s_waitcnt vmcnt(3)
	ds_write2st64_b64 v1, v[4:5], v[6:7] offset1:4
	s_waitcnt vmcnt(1)
	ds_write2st64_b64 v1, v[8:9], v[10:11] offset0:8 offset1:12
	s_waitcnt vmcnt(0)
	ds_write_b64 v1, v[2:3] offset:8192
	s_waitcnt lgkmcnt(0)
	s_barrier
.LBB282_6:
	s_andn2_b64 vcc, exec, s[4:5]
	s_addk_i32 s28, 0x500
	s_cbranch_vccnz .LBB282_18
; %bb.7:
	v_cmp_gt_u32_e32 vcc, s28, v0
                                        ; implicit-def: $vgpr2_vgpr3_vgpr4_vgpr5_vgpr6_vgpr7_vgpr8_vgpr9_vgpr10_vgpr11_vgpr12_vgpr13_vgpr14_vgpr15_vgpr16_vgpr17
	s_and_saveexec_b64 s[4:5], vcc
	s_cbranch_execz .LBB282_9
; %bb.8:
	v_lshlrev_b32_e32 v1, 3, v0
	v_readfirstlane_b32 s6, v20
	v_readfirstlane_b32 s7, v21
	s_nop 4
	global_load_dwordx2 v[2:3], v1, s[6:7]
.LBB282_9:
	s_or_b64 exec, exec, s[4:5]
	v_or_b32_e32 v1, 0x100, v0
	v_cmp_gt_u32_e32 vcc, s28, v1
	s_and_saveexec_b64 s[4:5], vcc
	s_cbranch_execz .LBB282_11
; %bb.10:
	v_lshlrev_b32_e32 v1, 3, v0
	v_readfirstlane_b32 s6, v20
	v_readfirstlane_b32 s7, v21
	s_nop 4
	global_load_dwordx2 v[4:5], v1, s[6:7] offset:2048
.LBB282_11:
	s_or_b64 exec, exec, s[4:5]
	v_or_b32_e32 v1, 0x200, v0
	v_cmp_gt_u32_e32 vcc, s28, v1
	s_and_saveexec_b64 s[4:5], vcc
	s_cbranch_execz .LBB282_13
; %bb.12:
	v_lshlrev_b32_e32 v1, 3, v1
	v_readfirstlane_b32 s6, v20
	v_readfirstlane_b32 s7, v21
	s_nop 4
	global_load_dwordx2 v[6:7], v1, s[6:7]
.LBB282_13:
	s_or_b64 exec, exec, s[4:5]
	v_or_b32_e32 v1, 0x300, v0
	v_cmp_gt_u32_e32 vcc, s28, v1
	s_and_saveexec_b64 s[4:5], vcc
	s_cbranch_execz .LBB282_15
; %bb.14:
	v_lshlrev_b32_e32 v1, 3, v1
	v_readfirstlane_b32 s6, v20
	v_readfirstlane_b32 s7, v21
	s_nop 4
	global_load_dwordx2 v[8:9], v1, s[6:7]
.LBB282_15:
	;; [unrolled: 12-line block ×3, first 2 shown]
	s_or_b64 exec, exec, s[4:5]
	v_lshlrev_b32_e32 v1, 3, v0
	s_waitcnt vmcnt(0)
	ds_write2st64_b64 v1, v[2:3], v[4:5] offset1:4
	ds_write2st64_b64 v1, v[6:7], v[8:9] offset0:8 offset1:12
	ds_write_b64 v1, v[10:11] offset:8192
	s_waitcnt lgkmcnt(0)
	s_barrier
.LBB282_18:
	v_mul_u32_u24_e32 v22, 5, v0
	v_lshlrev_b32_e32 v1, 3, v22
	ds_read2_b64 v[6:9], v1 offset1:1
	ds_read2_b64 v[2:5], v1 offset0:2 offset1:3
	ds_read_b64 v[10:11], v1 offset:32
	s_cmp_lg_u32 s33, 0
	s_cselect_b64 s[16:17], -1, 0
	s_cmp_lg_u64 s[10:11], 0
	s_cselect_b64 s[4:5], -1, 0
	s_or_b64 s[4:5], s[4:5], s[16:17]
	v_mad_u32_u24 v25, v0, 5, 1
	v_mad_u32_u24 v23, v0, 5, 2
	;; [unrolled: 1-line block ×4, first 2 shown]
	s_mov_b64 s[14:15], 0
	s_and_b64 vcc, exec, s[4:5]
	s_waitcnt lgkmcnt(0)
	s_barrier
	s_cbranch_vccz .LBB282_23
; %bb.19:
	global_load_dwordx2 v[14:15], v[20:21], off offset:-8
	v_lshlrev_b32_e32 v12, 3, v0
	s_and_b64 vcc, exec, s[24:25]
	ds_write_b64 v12, v[10:11]
	s_cbranch_vccz .LBB282_24
; %bb.20:
	s_waitcnt vmcnt(0)
	v_pk_mov_b32 v[16:17], v[14:15], v[14:15] op_sel:[0,1]
	s_waitcnt lgkmcnt(0)
	s_barrier
	s_and_saveexec_b64 s[4:5], s[2:3]
	s_cbranch_execz .LBB282_22
; %bb.21:
	v_add_u32_e32 v13, -8, v12
	ds_read_b64 v[16:17], v13
.LBB282_22:
	s_or_b64 exec, exec, s[4:5]
	v_cmp_neq_f64_e32 vcc, v[4:5], v[10:11]
	v_cndmask_b32_e64 v13, 0, 1, vcc
	v_cmp_neq_f64_e32 vcc, v[2:3], v[4:5]
	v_cndmask_b32_e64 v20, 0, 1, vcc
	;; [unrolled: 2-line block ×4, first 2 shown]
	s_waitcnt lgkmcnt(0)
	v_cmp_neq_f64_e64 s[4:5], v[16:17], v[6:7]
	v_lshlrev_b16_e32 v16, 8, v20
	v_or_b32_sdwa v16, v21, v16 dst_sel:WORD_1 dst_unused:UNUSED_PAD src0_sel:DWORD src1_sel:DWORD
	v_lshlrev_b16_e32 v17, 8, v27
	v_or_b32_e32 v16, v17, v16
	s_branch .LBB282_28
.LBB282_23:
                                        ; implicit-def: $sgpr4_sgpr5
                                        ; implicit-def: $vgpr13
                                        ; implicit-def: $vgpr16
	s_branch .LBB282_29
.LBB282_24:
                                        ; implicit-def: $sgpr4_sgpr5
                                        ; implicit-def: $vgpr13
                                        ; implicit-def: $vgpr16
	s_cbranch_execz .LBB282_28
; %bb.25:
	s_waitcnt lgkmcnt(0)
	s_barrier
	s_and_saveexec_b64 s[4:5], s[2:3]
	s_cbranch_execz .LBB282_27
; %bb.26:
	v_add_u32_e32 v12, -8, v12
	s_waitcnt vmcnt(0)
	ds_read_b64 v[14:15], v12
.LBB282_27:
	s_or_b64 exec, exec, s[4:5]
	v_cmp_gt_u32_e32 vcc, s28, v24
	v_cmp_neq_f64_e64 s[4:5], v[4:5], v[10:11]
	s_and_b64 s[4:5], vcc, s[4:5]
	v_cndmask_b32_e64 v13, 0, 1, s[4:5]
	v_cmp_gt_u32_e32 vcc, s28, v26
	v_cmp_neq_f64_e64 s[4:5], v[2:3], v[4:5]
	s_and_b64 s[4:5], vcc, s[4:5]
	v_cndmask_b32_e64 v12, 0, 1, s[4:5]
	;; [unrolled: 4-line block ×4, first 2 shown]
	v_lshlrev_b16_e32 v12, 8, v12
	v_cmp_gt_u32_e32 vcc, s28, v22
	s_waitcnt vmcnt(0) lgkmcnt(0)
	v_cmp_neq_f64_e64 s[4:5], v[14:15], v[6:7]
	v_or_b32_sdwa v12, v16, v12 dst_sel:WORD_1 dst_unused:UNUSED_PAD src0_sel:DWORD src1_sel:DWORD
	v_lshlrev_b16_e32 v14, 8, v17
	s_and_b64 s[4:5], vcc, s[4:5]
	v_or_b32_e32 v16, v14, v12
.LBB282_28:
	s_mov_b64 s[14:15], -1
	s_cbranch_execnz .LBB282_37
.LBB282_29:
	v_lshlrev_b32_e32 v12, 5, v0
	s_waitcnt vmcnt(0)
	v_sub_u32_e32 v14, v1, v12
	s_and_b64 vcc, exec, s[24:25]
	v_cmp_neq_f64_e64 s[4:5], v[4:5], v[10:11]
	v_cmp_neq_f64_e64 s[6:7], v[2:3], v[4:5]
	;; [unrolled: 1-line block ×4, first 2 shown]
	ds_write_b64 v14, v[10:11]
	s_cbranch_vccz .LBB282_33
; %bb.30:
	v_cndmask_b32_e64 v12, 0, 1, s[6:7]
	v_cndmask_b32_e64 v13, 0, 1, s[8:9]
	;; [unrolled: 1-line block ×3, first 2 shown]
	v_lshlrev_b16_e32 v12, 8, v12
	v_or_b32_sdwa v12, v13, v12 dst_sel:WORD_1 dst_unused:UNUSED_PAD src0_sel:DWORD src1_sel:DWORD
	v_lshlrev_b16_e32 v13, 8, v15
	v_or_b32_e32 v13, 1, v13
	v_or_b32_sdwa v12, v13, v12 dst_sel:DWORD dst_unused:UNUSED_PAD src0_sel:WORD_0 src1_sel:DWORD
	v_cndmask_b32_e64 v13, 0, 1, s[4:5]
	s_waitcnt lgkmcnt(0)
	s_barrier
	s_waitcnt lgkmcnt(0)
                                        ; implicit-def: $sgpr4_sgpr5
                                        ; implicit-def: $vgpr16
	s_and_saveexec_b64 s[6:7], s[2:3]
	s_xor_b64 s[6:7], exec, s[6:7]
	s_cbranch_execz .LBB282_32
; %bb.31:
	v_add_u32_e32 v15, -8, v14
	ds_read_b64 v[20:21], v15
	s_mov_b32 s4, 0x3020104
	v_perm_b32 v16, v12, v12, s4
	s_or_b64 s[14:15], s[14:15], exec
	s_waitcnt lgkmcnt(0)
	v_cmp_neq_f64_e32 vcc, v[20:21], v[6:7]
	s_and_b64 s[4:5], vcc, exec
.LBB282_32:
	s_or_b64 exec, exec, s[6:7]
	s_branch .LBB282_37
.LBB282_33:
                                        ; implicit-def: $sgpr4_sgpr5
                                        ; implicit-def: $vgpr13
                                        ; implicit-def: $vgpr16
	s_cbranch_execz .LBB282_37
; %bb.34:
	v_cmp_gt_u32_e64 s[6:7], s28, v26
	v_cmp_neq_f64_e64 s[8:9], v[2:3], v[4:5]
	s_and_b64 s[6:7], s[6:7], s[8:9]
	v_cndmask_b32_e64 v12, 0, 1, s[6:7]
	v_cmp_gt_u32_e64 s[6:7], s28, v23
	v_cmp_neq_f64_e64 s[8:9], v[8:9], v[2:3]
	s_and_b64 s[6:7], s[6:7], s[8:9]
	v_cndmask_b32_e64 v13, 0, 1, s[6:7]
	;; [unrolled: 4-line block ×3, first 2 shown]
	v_lshlrev_b16_e32 v12, 8, v12
	v_cmp_gt_u32_e32 vcc, s28, v24
	v_cmp_neq_f64_e64 s[4:5], v[4:5], v[10:11]
	v_or_b32_sdwa v12, v13, v12 dst_sel:WORD_1 dst_unused:UNUSED_PAD src0_sel:DWORD src1_sel:DWORD
	v_lshlrev_b16_e32 v13, 8, v15
	v_or_b32_e32 v13, 1, v13
	s_and_b64 s[4:5], vcc, s[4:5]
	v_or_b32_sdwa v12, v13, v12 dst_sel:DWORD dst_unused:UNUSED_PAD src0_sel:WORD_0 src1_sel:DWORD
	v_cndmask_b32_e64 v13, 0, 1, s[4:5]
	s_waitcnt lgkmcnt(0)
	s_barrier
	s_waitcnt lgkmcnt(0)
                                        ; implicit-def: $sgpr4_sgpr5
                                        ; implicit-def: $vgpr16
	s_and_saveexec_b64 s[6:7], s[2:3]
	s_cbranch_execz .LBB282_36
; %bb.35:
	v_add_u32_e32 v14, -8, v14
	ds_read_b64 v[14:15], v14
	s_mov_b32 s2, 0x3020104
	v_cmp_gt_u32_e32 vcc, s28, v22
	v_perm_b32 v16, v12, v12, s2
	s_or_b64 s[14:15], s[14:15], exec
	s_waitcnt lgkmcnt(0)
	v_cmp_neq_f64_e64 s[2:3], v[14:15], v[6:7]
	s_and_b64 s[2:3], vcc, s[2:3]
	s_and_b64 s[4:5], s[2:3], exec
.LBB282_36:
	s_or_b64 exec, exec, s[6:7]
.LBB282_37:
	s_and_saveexec_b64 s[2:3], s[14:15]
	s_cbranch_execz .LBB282_39
; %bb.38:
	v_cndmask_b32_e64 v12, 0, 1, s[4:5]
	s_waitcnt vmcnt(0)
	v_lshrrev_b32_e32 v14, 24, v16
	s_movk_i32 s4, 0xff
	v_lshlrev_b16_e32 v14, 8, v14
	v_and_b32_sdwa v15, v16, s4 dst_sel:DWORD dst_unused:UNUSED_PAD src0_sel:WORD_1 src1_sel:DWORD
	v_or_b32_sdwa v14, v15, v14 dst_sel:WORD_1 dst_unused:UNUSED_PAD src0_sel:DWORD src1_sel:DWORD
	v_mov_b32_e32 v15, 8
	v_lshrrev_b32_sdwa v15, v15, v16 dst_sel:BYTE_1 dst_unused:UNUSED_PAD src0_sel:DWORD src1_sel:DWORD
	v_or_b32_e32 v12, v12, v15
	s_mov_b32 s4, 0xffff
	v_or_b32_sdwa v12, v12, v14 dst_sel:DWORD dst_unused:UNUSED_PAD src0_sel:WORD_0 src1_sel:DWORD
	v_and_b32_sdwa v13, s4, v13 dst_sel:DWORD dst_unused:UNUSED_PAD src0_sel:DWORD src1_sel:BYTE_0
.LBB282_39:
	s_or_b64 exec, exec, s[2:3]
	s_andn2_b64 vcc, exec, s[12:13]
	s_cbranch_vccnz .LBB282_41
; %bb.40:
	v_cmp_gt_u32_e32 vcc, s28, v22
	s_waitcnt vmcnt(0)
	v_cndmask_b32_e32 v14, 0, v12, vcc
	v_and_b32_e32 v14, 0xffff00ff, v14
	v_cmp_gt_u32_e64 s[2:3], s28, v25
	v_cndmask_b32_e64 v14, v14, v12, s[2:3]
	v_lshrrev_b32_e32 v15, 24, v14
	s_mov_b32 s4, 0x40c0100
	v_perm_b32 v14, v15, v14, s4
	v_cmp_gt_u32_e64 s[4:5], s28, v23
	v_cmp_gt_u32_e64 s[6:7], s28, v26
	v_cndmask_b32_e64 v14, v14, v12, s[4:5]
	s_or_b64 s[4:5], s[6:7], s[4:5]
	s_or_b64 s[2:3], s[4:5], s[2:3]
	s_or_b64 vcc, s[2:3], vcc
	v_and_b32_e32 v14, 0xffffff, v14
	v_cndmask_b32_e32 v15, 0, v13, vcc
	v_cndmask_b32_e64 v14, v14, v12, s[6:7]
	v_and_b32_e32 v15, 0xffffff00, v15
	v_cmp_gt_u32_e32 vcc, s28, v24
	v_cndmask_b32_e32 v12, v14, v12, vcc
	v_cndmask_b32_e32 v13, v15, v13, vcc
	s_mov_b32 s2, 0x3020104
	v_and_b32_e32 v13, 0xff, v13
	v_perm_b32 v12, v12, v12, s2
.LBB282_41:
	v_and_b32_e32 v27, 0xff, v12
	v_bfe_u32 v29, v12, 8, 8
	v_bfe_u32 v30, v12, 16, 8
	s_waitcnt vmcnt(0)
	v_alignbit_b32 v14, v13, v12, 24
	v_and_b32_e32 v31, 0xff, v14
	v_and_b32_e32 v14, 0xff, v13
	v_add3_u32 v15, v29, v27, v30
	v_add3_u32 v34, v15, v31, v14
	v_mbcnt_lo_u32_b32 v14, -1, 0
	v_mbcnt_hi_u32_b32 v32, -1, v14
	v_and_b32_e32 v14, 15, v32
	v_cmp_eq_u32_e64 s[14:15], 0, v14
	v_cmp_lt_u32_e64 s[12:13], 1, v14
	v_cmp_lt_u32_e64 s[10:11], 3, v14
	;; [unrolled: 1-line block ×3, first 2 shown]
	v_and_b32_e32 v14, 16, v32
	v_cmp_eq_u32_e64 s[6:7], 0, v14
	v_or_b32_e32 v14, 63, v0
	v_cmp_lt_u32_e64 s[2:3], 31, v32
	v_lshrrev_b32_e32 v33, 6, v0
	v_cmp_eq_u32_e64 s[4:5], v14, v0
	s_and_b64 vcc, exec, s[16:17]
	s_waitcnt lgkmcnt(0)
	s_barrier
	s_cbranch_vccz .LBB282_72
; %bb.42:
	v_mov_b32_dpp v14, v34 row_shr:1 row_mask:0xf bank_mask:0xf
	v_cndmask_b32_e64 v14, v14, 0, s[14:15]
	v_add_u32_e32 v14, v14, v34
	s_nop 1
	v_mov_b32_dpp v15, v14 row_shr:2 row_mask:0xf bank_mask:0xf
	v_cndmask_b32_e64 v15, 0, v15, s[12:13]
	v_add_u32_e32 v14, v14, v15
	s_nop 1
	;; [unrolled: 4-line block ×4, first 2 shown]
	v_mov_b32_dpp v15, v14 row_bcast:15 row_mask:0xf bank_mask:0xf
	v_cndmask_b32_e64 v15, v15, 0, s[6:7]
	v_add_u32_e32 v14, v14, v15
	s_nop 1
	v_mov_b32_dpp v15, v14 row_bcast:31 row_mask:0xf bank_mask:0xf
	v_cndmask_b32_e64 v15, 0, v15, s[2:3]
	v_add_u32_e32 v14, v14, v15
	s_and_saveexec_b64 s[16:17], s[4:5]
	s_cbranch_execz .LBB282_44
; %bb.43:
	v_lshlrev_b32_e32 v15, 2, v33
	ds_write_b32 v15, v14
.LBB282_44:
	s_or_b64 exec, exec, s[16:17]
	v_cmp_gt_u32_e32 vcc, 4, v0
	s_waitcnt lgkmcnt(0)
	s_barrier
	s_and_saveexec_b64 s[16:17], vcc
	s_cbranch_execz .LBB282_46
; %bb.45:
	v_lshlrev_b32_e32 v15, 2, v0
	ds_read_b32 v16, v15
	v_and_b32_e32 v17, 3, v32
	v_cmp_ne_u32_e32 vcc, 0, v17
	s_waitcnt lgkmcnt(0)
	v_mov_b32_dpp v20, v16 row_shr:1 row_mask:0xf bank_mask:0xf
	v_cndmask_b32_e32 v20, 0, v20, vcc
	v_add_u32_e32 v16, v20, v16
	v_cmp_lt_u32_e32 vcc, 1, v17
	s_nop 0
	v_mov_b32_dpp v20, v16 row_shr:2 row_mask:0xf bank_mask:0xf
	v_cndmask_b32_e32 v17, 0, v20, vcc
	v_add_u32_e32 v16, v16, v17
	ds_write_b32 v15, v16
.LBB282_46:
	s_or_b64 exec, exec, s[16:17]
	v_cmp_gt_u32_e32 vcc, 64, v0
	v_cmp_lt_u32_e64 s[16:17], 63, v0
	s_waitcnt lgkmcnt(0)
	s_barrier
	s_waitcnt lgkmcnt(0)
                                        ; implicit-def: $vgpr26
	s_and_saveexec_b64 s[28:29], s[16:17]
	s_cbranch_execz .LBB282_48
; %bb.47:
	v_lshl_add_u32 v15, v33, 2, -4
	ds_read_b32 v26, v15
	s_waitcnt lgkmcnt(0)
	v_add_u32_e32 v14, v26, v14
.LBB282_48:
	s_or_b64 exec, exec, s[28:29]
	v_add_u32_e32 v15, -1, v32
	v_and_b32_e32 v16, 64, v32
	v_cmp_lt_i32_e64 s[16:17], v15, v16
	v_cndmask_b32_e64 v15, v15, v32, s[16:17]
	v_lshlrev_b32_e32 v15, 2, v15
	ds_bpermute_b32 v28, v15, v14
	v_cmp_eq_u32_e64 s[16:17], 0, v32
	s_and_saveexec_b64 s[28:29], vcc
	s_cbranch_execz .LBB282_71
; %bb.49:
	v_mov_b32_e32 v25, 0
	ds_read_b32 v14, v25 offset:12
	s_and_saveexec_b64 s[30:31], s[16:17]
	s_cbranch_execz .LBB282_51
; %bb.50:
	s_add_i32 s34, s33, 64
	s_mov_b32 s35, 0
	s_lshl_b64 s[34:35], s[34:35], 3
	s_add_u32 s34, s26, s34
	v_mov_b32_e32 v15, 1
	s_addc_u32 s35, s27, s35
	s_waitcnt lgkmcnt(0)
	global_store_dwordx2 v25, v[14:15], s[34:35]
.LBB282_51:
	s_or_b64 exec, exec, s[30:31]
	v_xad_u32 v16, v32, -1, s33
	v_add_u32_e32 v24, 64, v16
	v_lshlrev_b64 v[20:21], 3, v[24:25]
	v_mov_b32_e32 v15, s27
	v_add_co_u32_e32 v20, vcc, s26, v20
	v_addc_co_u32_e32 v21, vcc, v15, v21, vcc
	global_load_dwordx2 v[22:23], v[20:21], off glc
	s_waitcnt vmcnt(0)
	v_cmp_eq_u16_sdwa s[34:35], v23, v25 src0_sel:BYTE_0 src1_sel:DWORD
	s_and_saveexec_b64 s[30:31], s[34:35]
	s_cbranch_execz .LBB282_57
; %bb.52:
	s_mov_b32 s36, 1
	s_mov_b64 s[34:35], 0
	v_mov_b32_e32 v15, 0
.LBB282_53:                             ; =>This Loop Header: Depth=1
                                        ;     Child Loop BB282_54 Depth 2
	s_max_u32 s37, s36, 1
.LBB282_54:                             ;   Parent Loop BB282_53 Depth=1
                                        ; =>  This Inner Loop Header: Depth=2
	s_add_i32 s37, s37, -1
	s_cmp_eq_u32 s37, 0
	s_sleep 1
	s_cbranch_scc0 .LBB282_54
; %bb.55:                               ;   in Loop: Header=BB282_53 Depth=1
	global_load_dwordx2 v[22:23], v[20:21], off glc
	s_cmp_lt_u32 s36, 32
	s_cselect_b64 s[38:39], -1, 0
	s_cmp_lg_u64 s[38:39], 0
	s_addc_u32 s36, s36, 0
	s_waitcnt vmcnt(0)
	v_cmp_ne_u16_sdwa s[38:39], v23, v15 src0_sel:BYTE_0 src1_sel:DWORD
	s_or_b64 s[34:35], s[38:39], s[34:35]
	s_andn2_b64 exec, exec, s[34:35]
	s_cbranch_execnz .LBB282_53
; %bb.56:
	s_or_b64 exec, exec, s[34:35]
.LBB282_57:
	s_or_b64 exec, exec, s[30:31]
	v_and_b32_e32 v36, 63, v32
	v_mov_b32_e32 v35, 2
	v_cmp_ne_u32_e32 vcc, 63, v36
	v_cmp_eq_u16_sdwa s[30:31], v23, v35 src0_sel:BYTE_0 src1_sel:DWORD
	v_lshlrev_b64 v[20:21], v32, -1
	v_addc_co_u32_e32 v24, vcc, 0, v32, vcc
	v_and_b32_e32 v15, s31, v21
	v_lshlrev_b32_e32 v37, 2, v24
	v_or_b32_e32 v15, 0x80000000, v15
	ds_bpermute_b32 v24, v37, v22
	v_and_b32_e32 v17, s30, v20
	v_ffbl_b32_e32 v15, v15
	v_add_u32_e32 v15, 32, v15
	v_ffbl_b32_e32 v17, v17
	v_min_u32_e32 v15, v17, v15
	v_cmp_lt_u32_e32 vcc, v36, v15
	s_waitcnt lgkmcnt(0)
	v_cndmask_b32_e32 v17, 0, v24, vcc
	v_cmp_gt_u32_e32 vcc, 62, v36
	v_add_u32_e32 v17, v17, v22
	v_cndmask_b32_e64 v22, 0, 1, vcc
	v_lshlrev_b32_e32 v22, 1, v22
	v_add_lshl_u32 v38, v22, v32, 2
	ds_bpermute_b32 v22, v38, v17
	v_add_u32_e32 v39, 2, v36
	v_cmp_le_u32_e32 vcc, v39, v15
	v_add_u32_e32 v41, 4, v36
	v_add_u32_e32 v43, 8, v36
	s_waitcnt lgkmcnt(0)
	v_cndmask_b32_e32 v22, 0, v22, vcc
	v_cmp_gt_u32_e32 vcc, 60, v36
	v_add_u32_e32 v17, v17, v22
	v_cndmask_b32_e64 v22, 0, 1, vcc
	v_lshlrev_b32_e32 v22, 2, v22
	v_add_lshl_u32 v40, v22, v32, 2
	ds_bpermute_b32 v22, v40, v17
	v_cmp_le_u32_e32 vcc, v41, v15
	v_add_u32_e32 v45, 16, v36
	v_add_u32_e32 v47, 32, v36
	s_waitcnt lgkmcnt(0)
	v_cndmask_b32_e32 v22, 0, v22, vcc
	v_cmp_gt_u32_e32 vcc, 56, v36
	v_add_u32_e32 v17, v17, v22
	v_cndmask_b32_e64 v22, 0, 1, vcc
	v_lshlrev_b32_e32 v22, 3, v22
	v_add_lshl_u32 v42, v22, v32, 2
	ds_bpermute_b32 v22, v42, v17
	v_cmp_le_u32_e32 vcc, v43, v15
	s_waitcnt lgkmcnt(0)
	v_cndmask_b32_e32 v22, 0, v22, vcc
	v_cmp_gt_u32_e32 vcc, 48, v36
	v_add_u32_e32 v17, v17, v22
	v_cndmask_b32_e64 v22, 0, 1, vcc
	v_lshlrev_b32_e32 v22, 4, v22
	v_add_lshl_u32 v44, v22, v32, 2
	ds_bpermute_b32 v22, v44, v17
	v_cmp_le_u32_e32 vcc, v45, v15
	;; [unrolled: 9-line block ×3, first 2 shown]
	s_waitcnt lgkmcnt(0)
	v_cndmask_b32_e32 v15, 0, v22, vcc
	v_add_u32_e32 v22, v17, v15
	v_mov_b32_e32 v17, 0
	s_branch .LBB282_59
.LBB282_58:                             ;   in Loop: Header=BB282_59 Depth=1
	s_or_b64 exec, exec, s[30:31]
	v_cmp_eq_u16_sdwa s[30:31], v23, v35 src0_sel:BYTE_0 src1_sel:DWORD
	v_and_b32_e32 v24, s31, v21
	v_or_b32_e32 v24, 0x80000000, v24
	ds_bpermute_b32 v48, v37, v22
	v_and_b32_e32 v25, s30, v20
	v_ffbl_b32_e32 v24, v24
	v_add_u32_e32 v24, 32, v24
	v_ffbl_b32_e32 v25, v25
	v_min_u32_e32 v24, v25, v24
	v_cmp_lt_u32_e32 vcc, v36, v24
	s_waitcnt lgkmcnt(0)
	v_cndmask_b32_e32 v25, 0, v48, vcc
	v_add_u32_e32 v22, v25, v22
	ds_bpermute_b32 v25, v38, v22
	v_cmp_le_u32_e32 vcc, v39, v24
	v_subrev_u32_e32 v16, 64, v16
	s_waitcnt lgkmcnt(0)
	v_cndmask_b32_e32 v25, 0, v25, vcc
	v_add_u32_e32 v22, v22, v25
	ds_bpermute_b32 v25, v40, v22
	v_cmp_le_u32_e32 vcc, v41, v24
	s_waitcnt lgkmcnt(0)
	v_cndmask_b32_e32 v25, 0, v25, vcc
	v_add_u32_e32 v22, v22, v25
	ds_bpermute_b32 v25, v42, v22
	v_cmp_le_u32_e32 vcc, v43, v24
	;; [unrolled: 5-line block ×4, first 2 shown]
	s_waitcnt lgkmcnt(0)
	v_cndmask_b32_e32 v24, 0, v25, vcc
	v_add3_u32 v22, v24, v15, v22
.LBB282_59:                             ; =>This Loop Header: Depth=1
                                        ;     Child Loop BB282_62 Depth 2
                                        ;       Child Loop BB282_63 Depth 3
	v_cmp_ne_u16_sdwa s[30:31], v23, v35 src0_sel:BYTE_0 src1_sel:DWORD
	v_cndmask_b32_e64 v15, 0, 1, s[30:31]
	;;#ASMSTART
	;;#ASMEND
	v_cmp_ne_u32_e32 vcc, 0, v15
	s_cmp_lg_u64 vcc, exec
	v_mov_b32_e32 v15, v22
	s_cbranch_scc1 .LBB282_66
; %bb.60:                               ;   in Loop: Header=BB282_59 Depth=1
	v_lshlrev_b64 v[22:23], 3, v[16:17]
	v_mov_b32_e32 v25, s27
	v_add_co_u32_e32 v24, vcc, s26, v22
	v_addc_co_u32_e32 v25, vcc, v25, v23, vcc
	global_load_dwordx2 v[22:23], v[24:25], off glc
	s_waitcnt vmcnt(0)
	v_cmp_eq_u16_sdwa s[34:35], v23, v17 src0_sel:BYTE_0 src1_sel:DWORD
	s_and_saveexec_b64 s[30:31], s[34:35]
	s_cbranch_execz .LBB282_58
; %bb.61:                               ;   in Loop: Header=BB282_59 Depth=1
	s_mov_b32 s36, 1
	s_mov_b64 s[34:35], 0
.LBB282_62:                             ;   Parent Loop BB282_59 Depth=1
                                        ; =>  This Loop Header: Depth=2
                                        ;       Child Loop BB282_63 Depth 3
	s_max_u32 s37, s36, 1
.LBB282_63:                             ;   Parent Loop BB282_59 Depth=1
                                        ;     Parent Loop BB282_62 Depth=2
                                        ; =>    This Inner Loop Header: Depth=3
	s_add_i32 s37, s37, -1
	s_cmp_eq_u32 s37, 0
	s_sleep 1
	s_cbranch_scc0 .LBB282_63
; %bb.64:                               ;   in Loop: Header=BB282_62 Depth=2
	global_load_dwordx2 v[22:23], v[24:25], off glc
	s_cmp_lt_u32 s36, 32
	s_cselect_b64 s[38:39], -1, 0
	s_cmp_lg_u64 s[38:39], 0
	s_addc_u32 s36, s36, 0
	s_waitcnt vmcnt(0)
	v_cmp_ne_u16_sdwa s[38:39], v23, v17 src0_sel:BYTE_0 src1_sel:DWORD
	s_or_b64 s[34:35], s[38:39], s[34:35]
	s_andn2_b64 exec, exec, s[34:35]
	s_cbranch_execnz .LBB282_62
; %bb.65:                               ;   in Loop: Header=BB282_59 Depth=1
	s_or_b64 exec, exec, s[34:35]
	s_branch .LBB282_58
.LBB282_66:                             ;   in Loop: Header=BB282_59 Depth=1
                                        ; implicit-def: $vgpr22
                                        ; implicit-def: $vgpr23
	s_cbranch_execz .LBB282_59
; %bb.67:
	s_and_saveexec_b64 s[30:31], s[16:17]
	s_cbranch_execz .LBB282_69
; %bb.68:
	s_add_i32 s34, s33, 64
	s_mov_b32 s35, 0
	s_lshl_b64 s[34:35], s[34:35], 3
	s_add_u32 s34, s26, s34
	v_add_u32_e32 v16, v15, v14
	v_mov_b32_e32 v17, 2
	s_addc_u32 s35, s27, s35
	v_mov_b32_e32 v20, 0
	global_store_dwordx2 v20, v[16:17], s[34:35]
	ds_write_b64 v20, v[14:15] offset:10240
.LBB282_69:
	s_or_b64 exec, exec, s[30:31]
	s_and_b64 exec, exec, s[0:1]
	s_cbranch_execz .LBB282_71
; %bb.70:
	v_mov_b32_e32 v14, 0
	ds_write_b32 v14, v15 offset:12
.LBB282_71:
	s_or_b64 exec, exec, s[28:29]
	v_mov_b32_e32 v14, 0
	s_waitcnt lgkmcnt(0)
	s_barrier
	ds_read_b32 v15, v14 offset:12
	v_cndmask_b32_e64 v16, v28, v26, s[16:17]
	v_cndmask_b32_e64 v16, v16, 0, s[0:1]
	s_waitcnt lgkmcnt(0)
	s_barrier
	v_add_u32_e32 v28, v15, v16
	ds_read_b64 v[14:15], v14 offset:10240
	v_add_u32_e32 v26, v28, v27
	v_add_u32_e32 v24, v26, v29
	;; [unrolled: 1-line block ×4, first 2 shown]
	v_lshrrev_b64 v[16:17], 24, v[12:13]
	s_branch .LBB282_82
.LBB282_72:
                                        ; implicit-def: $vgpr15
                                        ; implicit-def: $vgpr20
                                        ; implicit-def: $vgpr22
                                        ; implicit-def: $vgpr24
                                        ; implicit-def: $vgpr26
                                        ; implicit-def: $vgpr28
	v_lshrrev_b64 v[16:17], 24, v[12:13]
	s_cbranch_execz .LBB282_82
; %bb.73:
	s_waitcnt lgkmcnt(0)
	v_mov_b32_dpp v14, v34 row_shr:1 row_mask:0xf bank_mask:0xf
	v_cndmask_b32_e64 v14, v14, 0, s[14:15]
	v_add_u32_e32 v14, v14, v34
	s_nop 1
	v_mov_b32_dpp v15, v14 row_shr:2 row_mask:0xf bank_mask:0xf
	v_cndmask_b32_e64 v15, 0, v15, s[12:13]
	v_add_u32_e32 v14, v14, v15
	s_nop 1
	;; [unrolled: 4-line block ×4, first 2 shown]
	v_mov_b32_dpp v15, v14 row_bcast:15 row_mask:0xf bank_mask:0xf
	v_cndmask_b32_e64 v15, v15, 0, s[6:7]
	v_add_u32_e32 v14, v14, v15
	s_nop 1
	v_mov_b32_dpp v15, v14 row_bcast:31 row_mask:0xf bank_mask:0xf
	v_cndmask_b32_e64 v15, 0, v15, s[2:3]
	v_add_u32_e32 v14, v14, v15
	s_and_saveexec_b64 s[2:3], s[4:5]
	s_cbranch_execz .LBB282_75
; %bb.74:
	v_lshlrev_b32_e32 v15, 2, v33
	ds_write_b32 v15, v14
.LBB282_75:
	s_or_b64 exec, exec, s[2:3]
	v_cmp_gt_u32_e32 vcc, 4, v0
	s_waitcnt lgkmcnt(0)
	s_barrier
	s_and_saveexec_b64 s[2:3], vcc
	s_cbranch_execz .LBB282_77
; %bb.76:
	s_movk_i32 s4, 0xffdc
	v_mad_i32_i24 v1, v0, s4, v1
	ds_read_b32 v15, v1
	v_and_b32_e32 v17, 3, v32
	v_cmp_ne_u32_e32 vcc, 0, v17
	s_waitcnt lgkmcnt(0)
	v_mov_b32_dpp v20, v15 row_shr:1 row_mask:0xf bank_mask:0xf
	v_cndmask_b32_e32 v20, 0, v20, vcc
	v_add_u32_e32 v15, v20, v15
	v_cmp_lt_u32_e32 vcc, 1, v17
	s_nop 0
	v_mov_b32_dpp v20, v15 row_shr:2 row_mask:0xf bank_mask:0xf
	v_cndmask_b32_e32 v17, 0, v20, vcc
	v_add_u32_e32 v15, v15, v17
	ds_write_b32 v1, v15
.LBB282_77:
	s_or_b64 exec, exec, s[2:3]
	v_cmp_lt_u32_e32 vcc, 63, v0
	v_mov_b32_e32 v15, 0
	v_mov_b32_e32 v1, 0
	s_waitcnt lgkmcnt(0)
	s_barrier
	s_and_saveexec_b64 s[2:3], vcc
	s_cbranch_execz .LBB282_79
; %bb.78:
	v_lshl_add_u32 v1, v33, 2, -4
	ds_read_b32 v1, v1
.LBB282_79:
	s_or_b64 exec, exec, s[2:3]
	v_add_u32_e32 v17, -1, v32
	v_and_b32_e32 v20, 64, v32
	v_cmp_lt_i32_e32 vcc, v17, v20
	v_cndmask_b32_e32 v17, v17, v32, vcc
	s_waitcnt lgkmcnt(0)
	v_add_u32_e32 v14, v1, v14
	v_lshlrev_b32_e32 v17, 2, v17
	ds_bpermute_b32 v17, v17, v14
	ds_read_b32 v14, v15 offset:12
	s_and_saveexec_b64 s[2:3], s[0:1]
	s_cbranch_execz .LBB282_81
; %bb.80:
	v_mov_b32_e32 v20, 0
	v_mov_b32_e32 v15, 2
	s_waitcnt lgkmcnt(0)
	global_store_dwordx2 v20, v[14:15], s[26:27] offset:512
.LBB282_81:
	s_or_b64 exec, exec, s[2:3]
	v_cmp_eq_u32_e32 vcc, 0, v32
	s_waitcnt lgkmcnt(1)
	v_cndmask_b32_e32 v1, v17, v1, vcc
	v_cndmask_b32_e64 v28, v1, 0, s[0:1]
	v_add_u32_e32 v26, v28, v27
	v_add_u32_e32 v24, v26, v29
	;; [unrolled: 1-line block ×3, first 2 shown]
	v_mov_b32_e32 v15, 0
	v_add_u32_e32 v20, v22, v31
	s_waitcnt lgkmcnt(0)
	s_barrier
.LBB282_82:
	s_movk_i32 s2, 0x101
	s_waitcnt lgkmcnt(0)
	v_cmp_gt_u32_e32 vcc, s2, v14
	v_lshrrev_b32_e32 v1, 8, v12
	s_mov_b64 s[2:3], -1
	s_cbranch_vccnz .LBB282_86
; %bb.83:
	s_and_b64 vcc, exec, s[2:3]
	s_cbranch_vccnz .LBB282_102
.LBB282_84:
	s_and_b64 s[0:1], s[0:1], s[22:23]
	s_and_saveexec_b64 s[2:3], s[0:1]
	s_cbranch_execnz .LBB282_116
.LBB282_85:
	s_endpgm
.LBB282_86:
	v_lshlrev_b64 v[30:31], 3, v[18:19]
	v_mov_b32_e32 v23, s19
	v_add_co_u32_e32 v17, vcc, s18, v30
	v_add_u32_e32 v21, v15, v14
	v_addc_co_u32_e32 v30, vcc, v23, v31, vcc
	v_cmp_lt_u32_e32 vcc, v28, v21
	s_or_b64 s[4:5], s[24:25], vcc
	s_and_saveexec_b64 s[2:3], s[4:5]
	s_cbranch_execz .LBB282_89
; %bb.87:
	v_and_b32_e32 v23, 1, v12
	v_cmp_eq_u32_e32 vcc, 1, v23
	s_and_b64 exec, exec, vcc
	s_cbranch_execz .LBB282_89
; %bb.88:
	v_mov_b32_e32 v29, 0
	v_lshlrev_b64 v[32:33], 3, v[28:29]
	v_add_co_u32_e32 v32, vcc, v17, v32
	v_addc_co_u32_e32 v33, vcc, v30, v33, vcc
	global_store_dwordx2 v[32:33], v[6:7], off
.LBB282_89:
	s_or_b64 exec, exec, s[2:3]
	v_cmp_lt_u32_e32 vcc, v26, v21
	s_or_b64 s[4:5], s[24:25], vcc
	s_and_saveexec_b64 s[2:3], s[4:5]
	s_cbranch_execz .LBB282_92
; %bb.90:
	v_and_b32_e32 v23, 1, v1
	v_cmp_eq_u32_e32 vcc, 1, v23
	s_and_b64 exec, exec, vcc
	s_cbranch_execz .LBB282_92
; %bb.91:
	v_mov_b32_e32 v27, 0
	v_lshlrev_b64 v[32:33], 3, v[26:27]
	v_add_co_u32_e32 v32, vcc, v17, v32
	v_addc_co_u32_e32 v33, vcc, v30, v33, vcc
	global_store_dwordx2 v[32:33], v[8:9], off
.LBB282_92:
	s_or_b64 exec, exec, s[2:3]
	v_cmp_lt_u32_e32 vcc, v24, v21
	s_or_b64 s[4:5], s[24:25], vcc
	s_and_saveexec_b64 s[2:3], s[4:5]
	s_cbranch_execz .LBB282_95
; %bb.93:
	v_mov_b32_e32 v23, 1
	v_and_b32_sdwa v23, v23, v12 dst_sel:DWORD dst_unused:UNUSED_PAD src0_sel:DWORD src1_sel:WORD_1
	v_cmp_eq_u32_e32 vcc, 1, v23
	s_and_b64 exec, exec, vcc
	s_cbranch_execz .LBB282_95
; %bb.94:
	v_mov_b32_e32 v25, 0
	v_lshlrev_b64 v[32:33], 3, v[24:25]
	v_add_co_u32_e32 v32, vcc, v17, v32
	v_addc_co_u32_e32 v33, vcc, v30, v33, vcc
	global_store_dwordx2 v[32:33], v[2:3], off
.LBB282_95:
	s_or_b64 exec, exec, s[2:3]
	v_cmp_lt_u32_e32 vcc, v22, v21
	s_or_b64 s[4:5], s[24:25], vcc
	s_and_saveexec_b64 s[2:3], s[4:5]
	s_cbranch_execz .LBB282_98
; %bb.96:
	v_and_b32_e32 v23, 1, v16
	v_cmp_eq_u32_e32 vcc, 1, v23
	s_and_b64 exec, exec, vcc
	s_cbranch_execz .LBB282_98
; %bb.97:
	v_mov_b32_e32 v23, 0
	v_lshlrev_b64 v[32:33], 3, v[22:23]
	v_add_co_u32_e32 v32, vcc, v17, v32
	v_addc_co_u32_e32 v33, vcc, v30, v33, vcc
	global_store_dwordx2 v[32:33], v[4:5], off
.LBB282_98:
	s_or_b64 exec, exec, s[2:3]
	v_cmp_lt_u32_e32 vcc, v20, v21
	s_or_b64 s[4:5], s[24:25], vcc
	s_and_saveexec_b64 s[2:3], s[4:5]
	s_cbranch_execz .LBB282_101
; %bb.99:
	v_and_b32_e32 v21, 1, v13
	v_cmp_eq_u32_e32 vcc, 1, v21
	s_and_b64 exec, exec, vcc
	s_cbranch_execz .LBB282_101
; %bb.100:
	v_mov_b32_e32 v21, 0
	v_lshlrev_b64 v[32:33], 3, v[20:21]
	v_add_co_u32_e32 v32, vcc, v17, v32
	v_addc_co_u32_e32 v33, vcc, v30, v33, vcc
	global_store_dwordx2 v[32:33], v[10:11], off
.LBB282_101:
	s_or_b64 exec, exec, s[2:3]
	s_branch .LBB282_84
.LBB282_102:
	v_and_b32_e32 v17, 1, v12
	v_cmp_eq_u32_e32 vcc, 1, v17
	s_and_saveexec_b64 s[2:3], vcc
	s_cbranch_execz .LBB282_104
; %bb.103:
	v_sub_u32_e32 v17, v28, v15
	v_lshlrev_b32_e32 v17, 3, v17
	ds_write_b64 v17, v[6:7]
.LBB282_104:
	s_or_b64 exec, exec, s[2:3]
	v_and_b32_e32 v1, 1, v1
	v_cmp_eq_u32_e32 vcc, 1, v1
	s_and_saveexec_b64 s[2:3], vcc
	s_cbranch_execz .LBB282_106
; %bb.105:
	v_sub_u32_e32 v1, v26, v15
	v_lshlrev_b32_e32 v1, 3, v1
	ds_write_b64 v1, v[8:9]
.LBB282_106:
	s_or_b64 exec, exec, s[2:3]
	v_mov_b32_e32 v1, 1
	v_and_b32_sdwa v1, v1, v12 dst_sel:DWORD dst_unused:UNUSED_PAD src0_sel:DWORD src1_sel:WORD_1
	v_cmp_eq_u32_e32 vcc, 1, v1
	s_and_saveexec_b64 s[2:3], vcc
	s_cbranch_execz .LBB282_108
; %bb.107:
	v_sub_u32_e32 v1, v24, v15
	v_lshlrev_b32_e32 v1, 3, v1
	ds_write_b64 v1, v[2:3]
.LBB282_108:
	s_or_b64 exec, exec, s[2:3]
	v_and_b32_e32 v1, 1, v16
	v_cmp_eq_u32_e32 vcc, 1, v1
	s_and_saveexec_b64 s[2:3], vcc
	s_cbranch_execz .LBB282_110
; %bb.109:
	v_sub_u32_e32 v1, v22, v15
	v_lshlrev_b32_e32 v1, 3, v1
	ds_write_b64 v1, v[4:5]
.LBB282_110:
	s_or_b64 exec, exec, s[2:3]
	v_and_b32_e32 v1, 1, v13
	v_cmp_eq_u32_e32 vcc, 1, v1
	s_and_saveexec_b64 s[2:3], vcc
	s_cbranch_execz .LBB282_112
; %bb.111:
	v_sub_u32_e32 v1, v20, v15
	v_lshlrev_b32_e32 v1, 3, v1
	ds_write_b64 v1, v[10:11]
.LBB282_112:
	s_or_b64 exec, exec, s[2:3]
	v_cmp_lt_u32_e32 vcc, v0, v14
	s_waitcnt lgkmcnt(0)
	s_barrier
	s_and_saveexec_b64 s[2:3], vcc
	s_cbranch_execz .LBB282_115
; %bb.113:
	v_mov_b32_e32 v1, 0
	v_lshlrev_b64 v[4:5], 3, v[18:19]
	v_mov_b32_e32 v2, v15
	v_mov_b32_e32 v3, v1
	;; [unrolled: 1-line block ×3, first 2 shown]
	v_add_co_u32_e32 v4, vcc, s18, v4
	v_addc_co_u32_e32 v5, vcc, v6, v5, vcc
	v_lshlrev_b64 v[2:3], 3, v[2:3]
	v_add_co_u32_e32 v2, vcc, v4, v2
	v_addc_co_u32_e32 v3, vcc, v5, v3, vcc
	v_lshlrev_b32_e32 v4, 3, v0
	s_mov_b64 s[4:5], 0
.LBB282_114:                            ; =>This Inner Loop Header: Depth=1
	ds_read_b64 v[6:7], v4
	v_lshlrev_b64 v[8:9], 3, v[0:1]
	v_add_co_u32_e32 v8, vcc, v2, v8
	v_add_u32_e32 v0, 0x100, v0
	v_addc_co_u32_e32 v9, vcc, v3, v9, vcc
	v_cmp_ge_u32_e32 vcc, v0, v14
	v_add_u32_e32 v4, 0x800, v4
	s_or_b64 s[4:5], vcc, s[4:5]
	s_waitcnt lgkmcnt(0)
	global_store_dwordx2 v[8:9], v[6:7], off
	s_andn2_b64 exec, exec, s[4:5]
	s_cbranch_execnz .LBB282_114
.LBB282_115:
	s_or_b64 exec, exec, s[2:3]
	s_and_b64 s[0:1], s[0:1], s[22:23]
	s_and_saveexec_b64 s[2:3], s[0:1]
	s_cbranch_execz .LBB282_85
.LBB282_116:
	v_add_co_u32_e32 v0, vcc, v18, v14
	v_addc_co_u32_e32 v1, vcc, 0, v19, vcc
	v_add_co_u32_e32 v0, vcc, v0, v15
	v_mov_b32_e32 v2, 0
	v_addc_co_u32_e32 v1, vcc, 0, v1, vcc
	global_store_dwordx2 v2, v[0:1], s[20:21]
	s_endpgm
	.section	.rodata,"a",@progbits
	.p2align	6, 0x0
	.amdhsa_kernel _ZN7rocprim17ROCPRIM_400000_NS6detail17trampoline_kernelINS0_14default_configENS1_25partition_config_selectorILNS1_17partition_subalgoE8EdNS0_10empty_typeEbEEZZNS1_14partition_implILS5_8ELb0ES3_jPKdPS6_PKS6_NS0_5tupleIJPdS6_EEENSE_IJSB_SB_EEENS0_18inequality_wrapperIN6hipcub16HIPCUB_304000_NS8EqualityEEEPlJS6_EEE10hipError_tPvRmT3_T4_T5_T6_T7_T9_mT8_P12ihipStream_tbDpT10_ENKUlT_T0_E_clISt17integral_constantIbLb1EES17_EEDaS12_S13_EUlS12_E_NS1_11comp_targetILNS1_3genE4ELNS1_11target_archE910ELNS1_3gpuE8ELNS1_3repE0EEENS1_30default_config_static_selectorELNS0_4arch9wavefront6targetE1EEEvT1_
		.amdhsa_group_segment_fixed_size 10248
		.amdhsa_private_segment_fixed_size 0
		.amdhsa_kernarg_size 128
		.amdhsa_user_sgpr_count 6
		.amdhsa_user_sgpr_private_segment_buffer 1
		.amdhsa_user_sgpr_dispatch_ptr 0
		.amdhsa_user_sgpr_queue_ptr 0
		.amdhsa_user_sgpr_kernarg_segment_ptr 1
		.amdhsa_user_sgpr_dispatch_id 0
		.amdhsa_user_sgpr_flat_scratch_init 0
		.amdhsa_user_sgpr_kernarg_preload_length 0
		.amdhsa_user_sgpr_kernarg_preload_offset 0
		.amdhsa_user_sgpr_private_segment_size 0
		.amdhsa_uses_dynamic_stack 0
		.amdhsa_system_sgpr_private_segment_wavefront_offset 0
		.amdhsa_system_sgpr_workgroup_id_x 1
		.amdhsa_system_sgpr_workgroup_id_y 0
		.amdhsa_system_sgpr_workgroup_id_z 0
		.amdhsa_system_sgpr_workgroup_info 0
		.amdhsa_system_vgpr_workitem_id 0
		.amdhsa_next_free_vgpr 49
		.amdhsa_next_free_sgpr 40
		.amdhsa_accum_offset 52
		.amdhsa_reserve_vcc 1
		.amdhsa_reserve_flat_scratch 0
		.amdhsa_float_round_mode_32 0
		.amdhsa_float_round_mode_16_64 0
		.amdhsa_float_denorm_mode_32 3
		.amdhsa_float_denorm_mode_16_64 3
		.amdhsa_dx10_clamp 1
		.amdhsa_ieee_mode 1
		.amdhsa_fp16_overflow 0
		.amdhsa_tg_split 0
		.amdhsa_exception_fp_ieee_invalid_op 0
		.amdhsa_exception_fp_denorm_src 0
		.amdhsa_exception_fp_ieee_div_zero 0
		.amdhsa_exception_fp_ieee_overflow 0
		.amdhsa_exception_fp_ieee_underflow 0
		.amdhsa_exception_fp_ieee_inexact 0
		.amdhsa_exception_int_div_zero 0
	.end_amdhsa_kernel
	.section	.text._ZN7rocprim17ROCPRIM_400000_NS6detail17trampoline_kernelINS0_14default_configENS1_25partition_config_selectorILNS1_17partition_subalgoE8EdNS0_10empty_typeEbEEZZNS1_14partition_implILS5_8ELb0ES3_jPKdPS6_PKS6_NS0_5tupleIJPdS6_EEENSE_IJSB_SB_EEENS0_18inequality_wrapperIN6hipcub16HIPCUB_304000_NS8EqualityEEEPlJS6_EEE10hipError_tPvRmT3_T4_T5_T6_T7_T9_mT8_P12ihipStream_tbDpT10_ENKUlT_T0_E_clISt17integral_constantIbLb1EES17_EEDaS12_S13_EUlS12_E_NS1_11comp_targetILNS1_3genE4ELNS1_11target_archE910ELNS1_3gpuE8ELNS1_3repE0EEENS1_30default_config_static_selectorELNS0_4arch9wavefront6targetE1EEEvT1_,"axG",@progbits,_ZN7rocprim17ROCPRIM_400000_NS6detail17trampoline_kernelINS0_14default_configENS1_25partition_config_selectorILNS1_17partition_subalgoE8EdNS0_10empty_typeEbEEZZNS1_14partition_implILS5_8ELb0ES3_jPKdPS6_PKS6_NS0_5tupleIJPdS6_EEENSE_IJSB_SB_EEENS0_18inequality_wrapperIN6hipcub16HIPCUB_304000_NS8EqualityEEEPlJS6_EEE10hipError_tPvRmT3_T4_T5_T6_T7_T9_mT8_P12ihipStream_tbDpT10_ENKUlT_T0_E_clISt17integral_constantIbLb1EES17_EEDaS12_S13_EUlS12_E_NS1_11comp_targetILNS1_3genE4ELNS1_11target_archE910ELNS1_3gpuE8ELNS1_3repE0EEENS1_30default_config_static_selectorELNS0_4arch9wavefront6targetE1EEEvT1_,comdat
.Lfunc_end282:
	.size	_ZN7rocprim17ROCPRIM_400000_NS6detail17trampoline_kernelINS0_14default_configENS1_25partition_config_selectorILNS1_17partition_subalgoE8EdNS0_10empty_typeEbEEZZNS1_14partition_implILS5_8ELb0ES3_jPKdPS6_PKS6_NS0_5tupleIJPdS6_EEENSE_IJSB_SB_EEENS0_18inequality_wrapperIN6hipcub16HIPCUB_304000_NS8EqualityEEEPlJS6_EEE10hipError_tPvRmT3_T4_T5_T6_T7_T9_mT8_P12ihipStream_tbDpT10_ENKUlT_T0_E_clISt17integral_constantIbLb1EES17_EEDaS12_S13_EUlS12_E_NS1_11comp_targetILNS1_3genE4ELNS1_11target_archE910ELNS1_3gpuE8ELNS1_3repE0EEENS1_30default_config_static_selectorELNS0_4arch9wavefront6targetE1EEEvT1_, .Lfunc_end282-_ZN7rocprim17ROCPRIM_400000_NS6detail17trampoline_kernelINS0_14default_configENS1_25partition_config_selectorILNS1_17partition_subalgoE8EdNS0_10empty_typeEbEEZZNS1_14partition_implILS5_8ELb0ES3_jPKdPS6_PKS6_NS0_5tupleIJPdS6_EEENSE_IJSB_SB_EEENS0_18inequality_wrapperIN6hipcub16HIPCUB_304000_NS8EqualityEEEPlJS6_EEE10hipError_tPvRmT3_T4_T5_T6_T7_T9_mT8_P12ihipStream_tbDpT10_ENKUlT_T0_E_clISt17integral_constantIbLb1EES17_EEDaS12_S13_EUlS12_E_NS1_11comp_targetILNS1_3genE4ELNS1_11target_archE910ELNS1_3gpuE8ELNS1_3repE0EEENS1_30default_config_static_selectorELNS0_4arch9wavefront6targetE1EEEvT1_
                                        ; -- End function
	.section	.AMDGPU.csdata,"",@progbits
; Kernel info:
; codeLenInByte = 4744
; NumSgprs: 44
; NumVgprs: 49
; NumAgprs: 0
; TotalNumVgprs: 49
; ScratchSize: 0
; MemoryBound: 0
; FloatMode: 240
; IeeeMode: 1
; LDSByteSize: 10248 bytes/workgroup (compile time only)
; SGPRBlocks: 5
; VGPRBlocks: 6
; NumSGPRsForWavesPerEU: 44
; NumVGPRsForWavesPerEU: 49
; AccumOffset: 52
; Occupancy: 6
; WaveLimiterHint : 1
; COMPUTE_PGM_RSRC2:SCRATCH_EN: 0
; COMPUTE_PGM_RSRC2:USER_SGPR: 6
; COMPUTE_PGM_RSRC2:TRAP_HANDLER: 0
; COMPUTE_PGM_RSRC2:TGID_X_EN: 1
; COMPUTE_PGM_RSRC2:TGID_Y_EN: 0
; COMPUTE_PGM_RSRC2:TGID_Z_EN: 0
; COMPUTE_PGM_RSRC2:TIDIG_COMP_CNT: 0
; COMPUTE_PGM_RSRC3_GFX90A:ACCUM_OFFSET: 12
; COMPUTE_PGM_RSRC3_GFX90A:TG_SPLIT: 0
	.section	.text._ZN7rocprim17ROCPRIM_400000_NS6detail17trampoline_kernelINS0_14default_configENS1_25partition_config_selectorILNS1_17partition_subalgoE8EdNS0_10empty_typeEbEEZZNS1_14partition_implILS5_8ELb0ES3_jPKdPS6_PKS6_NS0_5tupleIJPdS6_EEENSE_IJSB_SB_EEENS0_18inequality_wrapperIN6hipcub16HIPCUB_304000_NS8EqualityEEEPlJS6_EEE10hipError_tPvRmT3_T4_T5_T6_T7_T9_mT8_P12ihipStream_tbDpT10_ENKUlT_T0_E_clISt17integral_constantIbLb1EES17_EEDaS12_S13_EUlS12_E_NS1_11comp_targetILNS1_3genE3ELNS1_11target_archE908ELNS1_3gpuE7ELNS1_3repE0EEENS1_30default_config_static_selectorELNS0_4arch9wavefront6targetE1EEEvT1_,"axG",@progbits,_ZN7rocprim17ROCPRIM_400000_NS6detail17trampoline_kernelINS0_14default_configENS1_25partition_config_selectorILNS1_17partition_subalgoE8EdNS0_10empty_typeEbEEZZNS1_14partition_implILS5_8ELb0ES3_jPKdPS6_PKS6_NS0_5tupleIJPdS6_EEENSE_IJSB_SB_EEENS0_18inequality_wrapperIN6hipcub16HIPCUB_304000_NS8EqualityEEEPlJS6_EEE10hipError_tPvRmT3_T4_T5_T6_T7_T9_mT8_P12ihipStream_tbDpT10_ENKUlT_T0_E_clISt17integral_constantIbLb1EES17_EEDaS12_S13_EUlS12_E_NS1_11comp_targetILNS1_3genE3ELNS1_11target_archE908ELNS1_3gpuE7ELNS1_3repE0EEENS1_30default_config_static_selectorELNS0_4arch9wavefront6targetE1EEEvT1_,comdat
	.protected	_ZN7rocprim17ROCPRIM_400000_NS6detail17trampoline_kernelINS0_14default_configENS1_25partition_config_selectorILNS1_17partition_subalgoE8EdNS0_10empty_typeEbEEZZNS1_14partition_implILS5_8ELb0ES3_jPKdPS6_PKS6_NS0_5tupleIJPdS6_EEENSE_IJSB_SB_EEENS0_18inequality_wrapperIN6hipcub16HIPCUB_304000_NS8EqualityEEEPlJS6_EEE10hipError_tPvRmT3_T4_T5_T6_T7_T9_mT8_P12ihipStream_tbDpT10_ENKUlT_T0_E_clISt17integral_constantIbLb1EES17_EEDaS12_S13_EUlS12_E_NS1_11comp_targetILNS1_3genE3ELNS1_11target_archE908ELNS1_3gpuE7ELNS1_3repE0EEENS1_30default_config_static_selectorELNS0_4arch9wavefront6targetE1EEEvT1_ ; -- Begin function _ZN7rocprim17ROCPRIM_400000_NS6detail17trampoline_kernelINS0_14default_configENS1_25partition_config_selectorILNS1_17partition_subalgoE8EdNS0_10empty_typeEbEEZZNS1_14partition_implILS5_8ELb0ES3_jPKdPS6_PKS6_NS0_5tupleIJPdS6_EEENSE_IJSB_SB_EEENS0_18inequality_wrapperIN6hipcub16HIPCUB_304000_NS8EqualityEEEPlJS6_EEE10hipError_tPvRmT3_T4_T5_T6_T7_T9_mT8_P12ihipStream_tbDpT10_ENKUlT_T0_E_clISt17integral_constantIbLb1EES17_EEDaS12_S13_EUlS12_E_NS1_11comp_targetILNS1_3genE3ELNS1_11target_archE908ELNS1_3gpuE7ELNS1_3repE0EEENS1_30default_config_static_selectorELNS0_4arch9wavefront6targetE1EEEvT1_
	.globl	_ZN7rocprim17ROCPRIM_400000_NS6detail17trampoline_kernelINS0_14default_configENS1_25partition_config_selectorILNS1_17partition_subalgoE8EdNS0_10empty_typeEbEEZZNS1_14partition_implILS5_8ELb0ES3_jPKdPS6_PKS6_NS0_5tupleIJPdS6_EEENSE_IJSB_SB_EEENS0_18inequality_wrapperIN6hipcub16HIPCUB_304000_NS8EqualityEEEPlJS6_EEE10hipError_tPvRmT3_T4_T5_T6_T7_T9_mT8_P12ihipStream_tbDpT10_ENKUlT_T0_E_clISt17integral_constantIbLb1EES17_EEDaS12_S13_EUlS12_E_NS1_11comp_targetILNS1_3genE3ELNS1_11target_archE908ELNS1_3gpuE7ELNS1_3repE0EEENS1_30default_config_static_selectorELNS0_4arch9wavefront6targetE1EEEvT1_
	.p2align	8
	.type	_ZN7rocprim17ROCPRIM_400000_NS6detail17trampoline_kernelINS0_14default_configENS1_25partition_config_selectorILNS1_17partition_subalgoE8EdNS0_10empty_typeEbEEZZNS1_14partition_implILS5_8ELb0ES3_jPKdPS6_PKS6_NS0_5tupleIJPdS6_EEENSE_IJSB_SB_EEENS0_18inequality_wrapperIN6hipcub16HIPCUB_304000_NS8EqualityEEEPlJS6_EEE10hipError_tPvRmT3_T4_T5_T6_T7_T9_mT8_P12ihipStream_tbDpT10_ENKUlT_T0_E_clISt17integral_constantIbLb1EES17_EEDaS12_S13_EUlS12_E_NS1_11comp_targetILNS1_3genE3ELNS1_11target_archE908ELNS1_3gpuE7ELNS1_3repE0EEENS1_30default_config_static_selectorELNS0_4arch9wavefront6targetE1EEEvT1_,@function
_ZN7rocprim17ROCPRIM_400000_NS6detail17trampoline_kernelINS0_14default_configENS1_25partition_config_selectorILNS1_17partition_subalgoE8EdNS0_10empty_typeEbEEZZNS1_14partition_implILS5_8ELb0ES3_jPKdPS6_PKS6_NS0_5tupleIJPdS6_EEENSE_IJSB_SB_EEENS0_18inequality_wrapperIN6hipcub16HIPCUB_304000_NS8EqualityEEEPlJS6_EEE10hipError_tPvRmT3_T4_T5_T6_T7_T9_mT8_P12ihipStream_tbDpT10_ENKUlT_T0_E_clISt17integral_constantIbLb1EES17_EEDaS12_S13_EUlS12_E_NS1_11comp_targetILNS1_3genE3ELNS1_11target_archE908ELNS1_3gpuE7ELNS1_3repE0EEENS1_30default_config_static_selectorELNS0_4arch9wavefront6targetE1EEEvT1_: ; @_ZN7rocprim17ROCPRIM_400000_NS6detail17trampoline_kernelINS0_14default_configENS1_25partition_config_selectorILNS1_17partition_subalgoE8EdNS0_10empty_typeEbEEZZNS1_14partition_implILS5_8ELb0ES3_jPKdPS6_PKS6_NS0_5tupleIJPdS6_EEENSE_IJSB_SB_EEENS0_18inequality_wrapperIN6hipcub16HIPCUB_304000_NS8EqualityEEEPlJS6_EEE10hipError_tPvRmT3_T4_T5_T6_T7_T9_mT8_P12ihipStream_tbDpT10_ENKUlT_T0_E_clISt17integral_constantIbLb1EES17_EEDaS12_S13_EUlS12_E_NS1_11comp_targetILNS1_3genE3ELNS1_11target_archE908ELNS1_3gpuE7ELNS1_3repE0EEENS1_30default_config_static_selectorELNS0_4arch9wavefront6targetE1EEEvT1_
; %bb.0:
	.section	.rodata,"a",@progbits
	.p2align	6, 0x0
	.amdhsa_kernel _ZN7rocprim17ROCPRIM_400000_NS6detail17trampoline_kernelINS0_14default_configENS1_25partition_config_selectorILNS1_17partition_subalgoE8EdNS0_10empty_typeEbEEZZNS1_14partition_implILS5_8ELb0ES3_jPKdPS6_PKS6_NS0_5tupleIJPdS6_EEENSE_IJSB_SB_EEENS0_18inequality_wrapperIN6hipcub16HIPCUB_304000_NS8EqualityEEEPlJS6_EEE10hipError_tPvRmT3_T4_T5_T6_T7_T9_mT8_P12ihipStream_tbDpT10_ENKUlT_T0_E_clISt17integral_constantIbLb1EES17_EEDaS12_S13_EUlS12_E_NS1_11comp_targetILNS1_3genE3ELNS1_11target_archE908ELNS1_3gpuE7ELNS1_3repE0EEENS1_30default_config_static_selectorELNS0_4arch9wavefront6targetE1EEEvT1_
		.amdhsa_group_segment_fixed_size 0
		.amdhsa_private_segment_fixed_size 0
		.amdhsa_kernarg_size 128
		.amdhsa_user_sgpr_count 6
		.amdhsa_user_sgpr_private_segment_buffer 1
		.amdhsa_user_sgpr_dispatch_ptr 0
		.amdhsa_user_sgpr_queue_ptr 0
		.amdhsa_user_sgpr_kernarg_segment_ptr 1
		.amdhsa_user_sgpr_dispatch_id 0
		.amdhsa_user_sgpr_flat_scratch_init 0
		.amdhsa_user_sgpr_kernarg_preload_length 0
		.amdhsa_user_sgpr_kernarg_preload_offset 0
		.amdhsa_user_sgpr_private_segment_size 0
		.amdhsa_uses_dynamic_stack 0
		.amdhsa_system_sgpr_private_segment_wavefront_offset 0
		.amdhsa_system_sgpr_workgroup_id_x 1
		.amdhsa_system_sgpr_workgroup_id_y 0
		.amdhsa_system_sgpr_workgroup_id_z 0
		.amdhsa_system_sgpr_workgroup_info 0
		.amdhsa_system_vgpr_workitem_id 0
		.amdhsa_next_free_vgpr 1
		.amdhsa_next_free_sgpr 0
		.amdhsa_accum_offset 4
		.amdhsa_reserve_vcc 0
		.amdhsa_reserve_flat_scratch 0
		.amdhsa_float_round_mode_32 0
		.amdhsa_float_round_mode_16_64 0
		.amdhsa_float_denorm_mode_32 3
		.amdhsa_float_denorm_mode_16_64 3
		.amdhsa_dx10_clamp 1
		.amdhsa_ieee_mode 1
		.amdhsa_fp16_overflow 0
		.amdhsa_tg_split 0
		.amdhsa_exception_fp_ieee_invalid_op 0
		.amdhsa_exception_fp_denorm_src 0
		.amdhsa_exception_fp_ieee_div_zero 0
		.amdhsa_exception_fp_ieee_overflow 0
		.amdhsa_exception_fp_ieee_underflow 0
		.amdhsa_exception_fp_ieee_inexact 0
		.amdhsa_exception_int_div_zero 0
	.end_amdhsa_kernel
	.section	.text._ZN7rocprim17ROCPRIM_400000_NS6detail17trampoline_kernelINS0_14default_configENS1_25partition_config_selectorILNS1_17partition_subalgoE8EdNS0_10empty_typeEbEEZZNS1_14partition_implILS5_8ELb0ES3_jPKdPS6_PKS6_NS0_5tupleIJPdS6_EEENSE_IJSB_SB_EEENS0_18inequality_wrapperIN6hipcub16HIPCUB_304000_NS8EqualityEEEPlJS6_EEE10hipError_tPvRmT3_T4_T5_T6_T7_T9_mT8_P12ihipStream_tbDpT10_ENKUlT_T0_E_clISt17integral_constantIbLb1EES17_EEDaS12_S13_EUlS12_E_NS1_11comp_targetILNS1_3genE3ELNS1_11target_archE908ELNS1_3gpuE7ELNS1_3repE0EEENS1_30default_config_static_selectorELNS0_4arch9wavefront6targetE1EEEvT1_,"axG",@progbits,_ZN7rocprim17ROCPRIM_400000_NS6detail17trampoline_kernelINS0_14default_configENS1_25partition_config_selectorILNS1_17partition_subalgoE8EdNS0_10empty_typeEbEEZZNS1_14partition_implILS5_8ELb0ES3_jPKdPS6_PKS6_NS0_5tupleIJPdS6_EEENSE_IJSB_SB_EEENS0_18inequality_wrapperIN6hipcub16HIPCUB_304000_NS8EqualityEEEPlJS6_EEE10hipError_tPvRmT3_T4_T5_T6_T7_T9_mT8_P12ihipStream_tbDpT10_ENKUlT_T0_E_clISt17integral_constantIbLb1EES17_EEDaS12_S13_EUlS12_E_NS1_11comp_targetILNS1_3genE3ELNS1_11target_archE908ELNS1_3gpuE7ELNS1_3repE0EEENS1_30default_config_static_selectorELNS0_4arch9wavefront6targetE1EEEvT1_,comdat
.Lfunc_end283:
	.size	_ZN7rocprim17ROCPRIM_400000_NS6detail17trampoline_kernelINS0_14default_configENS1_25partition_config_selectorILNS1_17partition_subalgoE8EdNS0_10empty_typeEbEEZZNS1_14partition_implILS5_8ELb0ES3_jPKdPS6_PKS6_NS0_5tupleIJPdS6_EEENSE_IJSB_SB_EEENS0_18inequality_wrapperIN6hipcub16HIPCUB_304000_NS8EqualityEEEPlJS6_EEE10hipError_tPvRmT3_T4_T5_T6_T7_T9_mT8_P12ihipStream_tbDpT10_ENKUlT_T0_E_clISt17integral_constantIbLb1EES17_EEDaS12_S13_EUlS12_E_NS1_11comp_targetILNS1_3genE3ELNS1_11target_archE908ELNS1_3gpuE7ELNS1_3repE0EEENS1_30default_config_static_selectorELNS0_4arch9wavefront6targetE1EEEvT1_, .Lfunc_end283-_ZN7rocprim17ROCPRIM_400000_NS6detail17trampoline_kernelINS0_14default_configENS1_25partition_config_selectorILNS1_17partition_subalgoE8EdNS0_10empty_typeEbEEZZNS1_14partition_implILS5_8ELb0ES3_jPKdPS6_PKS6_NS0_5tupleIJPdS6_EEENSE_IJSB_SB_EEENS0_18inequality_wrapperIN6hipcub16HIPCUB_304000_NS8EqualityEEEPlJS6_EEE10hipError_tPvRmT3_T4_T5_T6_T7_T9_mT8_P12ihipStream_tbDpT10_ENKUlT_T0_E_clISt17integral_constantIbLb1EES17_EEDaS12_S13_EUlS12_E_NS1_11comp_targetILNS1_3genE3ELNS1_11target_archE908ELNS1_3gpuE7ELNS1_3repE0EEENS1_30default_config_static_selectorELNS0_4arch9wavefront6targetE1EEEvT1_
                                        ; -- End function
	.section	.AMDGPU.csdata,"",@progbits
; Kernel info:
; codeLenInByte = 0
; NumSgprs: 4
; NumVgprs: 0
; NumAgprs: 0
; TotalNumVgprs: 0
; ScratchSize: 0
; MemoryBound: 0
; FloatMode: 240
; IeeeMode: 1
; LDSByteSize: 0 bytes/workgroup (compile time only)
; SGPRBlocks: 0
; VGPRBlocks: 0
; NumSGPRsForWavesPerEU: 4
; NumVGPRsForWavesPerEU: 1
; AccumOffset: 4
; Occupancy: 8
; WaveLimiterHint : 0
; COMPUTE_PGM_RSRC2:SCRATCH_EN: 0
; COMPUTE_PGM_RSRC2:USER_SGPR: 6
; COMPUTE_PGM_RSRC2:TRAP_HANDLER: 0
; COMPUTE_PGM_RSRC2:TGID_X_EN: 1
; COMPUTE_PGM_RSRC2:TGID_Y_EN: 0
; COMPUTE_PGM_RSRC2:TGID_Z_EN: 0
; COMPUTE_PGM_RSRC2:TIDIG_COMP_CNT: 0
; COMPUTE_PGM_RSRC3_GFX90A:ACCUM_OFFSET: 0
; COMPUTE_PGM_RSRC3_GFX90A:TG_SPLIT: 0
	.section	.text._ZN7rocprim17ROCPRIM_400000_NS6detail17trampoline_kernelINS0_14default_configENS1_25partition_config_selectorILNS1_17partition_subalgoE8EdNS0_10empty_typeEbEEZZNS1_14partition_implILS5_8ELb0ES3_jPKdPS6_PKS6_NS0_5tupleIJPdS6_EEENSE_IJSB_SB_EEENS0_18inequality_wrapperIN6hipcub16HIPCUB_304000_NS8EqualityEEEPlJS6_EEE10hipError_tPvRmT3_T4_T5_T6_T7_T9_mT8_P12ihipStream_tbDpT10_ENKUlT_T0_E_clISt17integral_constantIbLb1EES17_EEDaS12_S13_EUlS12_E_NS1_11comp_targetILNS1_3genE2ELNS1_11target_archE906ELNS1_3gpuE6ELNS1_3repE0EEENS1_30default_config_static_selectorELNS0_4arch9wavefront6targetE1EEEvT1_,"axG",@progbits,_ZN7rocprim17ROCPRIM_400000_NS6detail17trampoline_kernelINS0_14default_configENS1_25partition_config_selectorILNS1_17partition_subalgoE8EdNS0_10empty_typeEbEEZZNS1_14partition_implILS5_8ELb0ES3_jPKdPS6_PKS6_NS0_5tupleIJPdS6_EEENSE_IJSB_SB_EEENS0_18inequality_wrapperIN6hipcub16HIPCUB_304000_NS8EqualityEEEPlJS6_EEE10hipError_tPvRmT3_T4_T5_T6_T7_T9_mT8_P12ihipStream_tbDpT10_ENKUlT_T0_E_clISt17integral_constantIbLb1EES17_EEDaS12_S13_EUlS12_E_NS1_11comp_targetILNS1_3genE2ELNS1_11target_archE906ELNS1_3gpuE6ELNS1_3repE0EEENS1_30default_config_static_selectorELNS0_4arch9wavefront6targetE1EEEvT1_,comdat
	.protected	_ZN7rocprim17ROCPRIM_400000_NS6detail17trampoline_kernelINS0_14default_configENS1_25partition_config_selectorILNS1_17partition_subalgoE8EdNS0_10empty_typeEbEEZZNS1_14partition_implILS5_8ELb0ES3_jPKdPS6_PKS6_NS0_5tupleIJPdS6_EEENSE_IJSB_SB_EEENS0_18inequality_wrapperIN6hipcub16HIPCUB_304000_NS8EqualityEEEPlJS6_EEE10hipError_tPvRmT3_T4_T5_T6_T7_T9_mT8_P12ihipStream_tbDpT10_ENKUlT_T0_E_clISt17integral_constantIbLb1EES17_EEDaS12_S13_EUlS12_E_NS1_11comp_targetILNS1_3genE2ELNS1_11target_archE906ELNS1_3gpuE6ELNS1_3repE0EEENS1_30default_config_static_selectorELNS0_4arch9wavefront6targetE1EEEvT1_ ; -- Begin function _ZN7rocprim17ROCPRIM_400000_NS6detail17trampoline_kernelINS0_14default_configENS1_25partition_config_selectorILNS1_17partition_subalgoE8EdNS0_10empty_typeEbEEZZNS1_14partition_implILS5_8ELb0ES3_jPKdPS6_PKS6_NS0_5tupleIJPdS6_EEENSE_IJSB_SB_EEENS0_18inequality_wrapperIN6hipcub16HIPCUB_304000_NS8EqualityEEEPlJS6_EEE10hipError_tPvRmT3_T4_T5_T6_T7_T9_mT8_P12ihipStream_tbDpT10_ENKUlT_T0_E_clISt17integral_constantIbLb1EES17_EEDaS12_S13_EUlS12_E_NS1_11comp_targetILNS1_3genE2ELNS1_11target_archE906ELNS1_3gpuE6ELNS1_3repE0EEENS1_30default_config_static_selectorELNS0_4arch9wavefront6targetE1EEEvT1_
	.globl	_ZN7rocprim17ROCPRIM_400000_NS6detail17trampoline_kernelINS0_14default_configENS1_25partition_config_selectorILNS1_17partition_subalgoE8EdNS0_10empty_typeEbEEZZNS1_14partition_implILS5_8ELb0ES3_jPKdPS6_PKS6_NS0_5tupleIJPdS6_EEENSE_IJSB_SB_EEENS0_18inequality_wrapperIN6hipcub16HIPCUB_304000_NS8EqualityEEEPlJS6_EEE10hipError_tPvRmT3_T4_T5_T6_T7_T9_mT8_P12ihipStream_tbDpT10_ENKUlT_T0_E_clISt17integral_constantIbLb1EES17_EEDaS12_S13_EUlS12_E_NS1_11comp_targetILNS1_3genE2ELNS1_11target_archE906ELNS1_3gpuE6ELNS1_3repE0EEENS1_30default_config_static_selectorELNS0_4arch9wavefront6targetE1EEEvT1_
	.p2align	8
	.type	_ZN7rocprim17ROCPRIM_400000_NS6detail17trampoline_kernelINS0_14default_configENS1_25partition_config_selectorILNS1_17partition_subalgoE8EdNS0_10empty_typeEbEEZZNS1_14partition_implILS5_8ELb0ES3_jPKdPS6_PKS6_NS0_5tupleIJPdS6_EEENSE_IJSB_SB_EEENS0_18inequality_wrapperIN6hipcub16HIPCUB_304000_NS8EqualityEEEPlJS6_EEE10hipError_tPvRmT3_T4_T5_T6_T7_T9_mT8_P12ihipStream_tbDpT10_ENKUlT_T0_E_clISt17integral_constantIbLb1EES17_EEDaS12_S13_EUlS12_E_NS1_11comp_targetILNS1_3genE2ELNS1_11target_archE906ELNS1_3gpuE6ELNS1_3repE0EEENS1_30default_config_static_selectorELNS0_4arch9wavefront6targetE1EEEvT1_,@function
_ZN7rocprim17ROCPRIM_400000_NS6detail17trampoline_kernelINS0_14default_configENS1_25partition_config_selectorILNS1_17partition_subalgoE8EdNS0_10empty_typeEbEEZZNS1_14partition_implILS5_8ELb0ES3_jPKdPS6_PKS6_NS0_5tupleIJPdS6_EEENSE_IJSB_SB_EEENS0_18inequality_wrapperIN6hipcub16HIPCUB_304000_NS8EqualityEEEPlJS6_EEE10hipError_tPvRmT3_T4_T5_T6_T7_T9_mT8_P12ihipStream_tbDpT10_ENKUlT_T0_E_clISt17integral_constantIbLb1EES17_EEDaS12_S13_EUlS12_E_NS1_11comp_targetILNS1_3genE2ELNS1_11target_archE906ELNS1_3gpuE6ELNS1_3repE0EEENS1_30default_config_static_selectorELNS0_4arch9wavefront6targetE1EEEvT1_: ; @_ZN7rocprim17ROCPRIM_400000_NS6detail17trampoline_kernelINS0_14default_configENS1_25partition_config_selectorILNS1_17partition_subalgoE8EdNS0_10empty_typeEbEEZZNS1_14partition_implILS5_8ELb0ES3_jPKdPS6_PKS6_NS0_5tupleIJPdS6_EEENSE_IJSB_SB_EEENS0_18inequality_wrapperIN6hipcub16HIPCUB_304000_NS8EqualityEEEPlJS6_EEE10hipError_tPvRmT3_T4_T5_T6_T7_T9_mT8_P12ihipStream_tbDpT10_ENKUlT_T0_E_clISt17integral_constantIbLb1EES17_EEDaS12_S13_EUlS12_E_NS1_11comp_targetILNS1_3genE2ELNS1_11target_archE906ELNS1_3gpuE6ELNS1_3repE0EEENS1_30default_config_static_selectorELNS0_4arch9wavefront6targetE1EEEvT1_
; %bb.0:
	.section	.rodata,"a",@progbits
	.p2align	6, 0x0
	.amdhsa_kernel _ZN7rocprim17ROCPRIM_400000_NS6detail17trampoline_kernelINS0_14default_configENS1_25partition_config_selectorILNS1_17partition_subalgoE8EdNS0_10empty_typeEbEEZZNS1_14partition_implILS5_8ELb0ES3_jPKdPS6_PKS6_NS0_5tupleIJPdS6_EEENSE_IJSB_SB_EEENS0_18inequality_wrapperIN6hipcub16HIPCUB_304000_NS8EqualityEEEPlJS6_EEE10hipError_tPvRmT3_T4_T5_T6_T7_T9_mT8_P12ihipStream_tbDpT10_ENKUlT_T0_E_clISt17integral_constantIbLb1EES17_EEDaS12_S13_EUlS12_E_NS1_11comp_targetILNS1_3genE2ELNS1_11target_archE906ELNS1_3gpuE6ELNS1_3repE0EEENS1_30default_config_static_selectorELNS0_4arch9wavefront6targetE1EEEvT1_
		.amdhsa_group_segment_fixed_size 0
		.amdhsa_private_segment_fixed_size 0
		.amdhsa_kernarg_size 128
		.amdhsa_user_sgpr_count 6
		.amdhsa_user_sgpr_private_segment_buffer 1
		.amdhsa_user_sgpr_dispatch_ptr 0
		.amdhsa_user_sgpr_queue_ptr 0
		.amdhsa_user_sgpr_kernarg_segment_ptr 1
		.amdhsa_user_sgpr_dispatch_id 0
		.amdhsa_user_sgpr_flat_scratch_init 0
		.amdhsa_user_sgpr_kernarg_preload_length 0
		.amdhsa_user_sgpr_kernarg_preload_offset 0
		.amdhsa_user_sgpr_private_segment_size 0
		.amdhsa_uses_dynamic_stack 0
		.amdhsa_system_sgpr_private_segment_wavefront_offset 0
		.amdhsa_system_sgpr_workgroup_id_x 1
		.amdhsa_system_sgpr_workgroup_id_y 0
		.amdhsa_system_sgpr_workgroup_id_z 0
		.amdhsa_system_sgpr_workgroup_info 0
		.amdhsa_system_vgpr_workitem_id 0
		.amdhsa_next_free_vgpr 1
		.amdhsa_next_free_sgpr 0
		.amdhsa_accum_offset 4
		.amdhsa_reserve_vcc 0
		.amdhsa_reserve_flat_scratch 0
		.amdhsa_float_round_mode_32 0
		.amdhsa_float_round_mode_16_64 0
		.amdhsa_float_denorm_mode_32 3
		.amdhsa_float_denorm_mode_16_64 3
		.amdhsa_dx10_clamp 1
		.amdhsa_ieee_mode 1
		.amdhsa_fp16_overflow 0
		.amdhsa_tg_split 0
		.amdhsa_exception_fp_ieee_invalid_op 0
		.amdhsa_exception_fp_denorm_src 0
		.amdhsa_exception_fp_ieee_div_zero 0
		.amdhsa_exception_fp_ieee_overflow 0
		.amdhsa_exception_fp_ieee_underflow 0
		.amdhsa_exception_fp_ieee_inexact 0
		.amdhsa_exception_int_div_zero 0
	.end_amdhsa_kernel
	.section	.text._ZN7rocprim17ROCPRIM_400000_NS6detail17trampoline_kernelINS0_14default_configENS1_25partition_config_selectorILNS1_17partition_subalgoE8EdNS0_10empty_typeEbEEZZNS1_14partition_implILS5_8ELb0ES3_jPKdPS6_PKS6_NS0_5tupleIJPdS6_EEENSE_IJSB_SB_EEENS0_18inequality_wrapperIN6hipcub16HIPCUB_304000_NS8EqualityEEEPlJS6_EEE10hipError_tPvRmT3_T4_T5_T6_T7_T9_mT8_P12ihipStream_tbDpT10_ENKUlT_T0_E_clISt17integral_constantIbLb1EES17_EEDaS12_S13_EUlS12_E_NS1_11comp_targetILNS1_3genE2ELNS1_11target_archE906ELNS1_3gpuE6ELNS1_3repE0EEENS1_30default_config_static_selectorELNS0_4arch9wavefront6targetE1EEEvT1_,"axG",@progbits,_ZN7rocprim17ROCPRIM_400000_NS6detail17trampoline_kernelINS0_14default_configENS1_25partition_config_selectorILNS1_17partition_subalgoE8EdNS0_10empty_typeEbEEZZNS1_14partition_implILS5_8ELb0ES3_jPKdPS6_PKS6_NS0_5tupleIJPdS6_EEENSE_IJSB_SB_EEENS0_18inequality_wrapperIN6hipcub16HIPCUB_304000_NS8EqualityEEEPlJS6_EEE10hipError_tPvRmT3_T4_T5_T6_T7_T9_mT8_P12ihipStream_tbDpT10_ENKUlT_T0_E_clISt17integral_constantIbLb1EES17_EEDaS12_S13_EUlS12_E_NS1_11comp_targetILNS1_3genE2ELNS1_11target_archE906ELNS1_3gpuE6ELNS1_3repE0EEENS1_30default_config_static_selectorELNS0_4arch9wavefront6targetE1EEEvT1_,comdat
.Lfunc_end284:
	.size	_ZN7rocprim17ROCPRIM_400000_NS6detail17trampoline_kernelINS0_14default_configENS1_25partition_config_selectorILNS1_17partition_subalgoE8EdNS0_10empty_typeEbEEZZNS1_14partition_implILS5_8ELb0ES3_jPKdPS6_PKS6_NS0_5tupleIJPdS6_EEENSE_IJSB_SB_EEENS0_18inequality_wrapperIN6hipcub16HIPCUB_304000_NS8EqualityEEEPlJS6_EEE10hipError_tPvRmT3_T4_T5_T6_T7_T9_mT8_P12ihipStream_tbDpT10_ENKUlT_T0_E_clISt17integral_constantIbLb1EES17_EEDaS12_S13_EUlS12_E_NS1_11comp_targetILNS1_3genE2ELNS1_11target_archE906ELNS1_3gpuE6ELNS1_3repE0EEENS1_30default_config_static_selectorELNS0_4arch9wavefront6targetE1EEEvT1_, .Lfunc_end284-_ZN7rocprim17ROCPRIM_400000_NS6detail17trampoline_kernelINS0_14default_configENS1_25partition_config_selectorILNS1_17partition_subalgoE8EdNS0_10empty_typeEbEEZZNS1_14partition_implILS5_8ELb0ES3_jPKdPS6_PKS6_NS0_5tupleIJPdS6_EEENSE_IJSB_SB_EEENS0_18inequality_wrapperIN6hipcub16HIPCUB_304000_NS8EqualityEEEPlJS6_EEE10hipError_tPvRmT3_T4_T5_T6_T7_T9_mT8_P12ihipStream_tbDpT10_ENKUlT_T0_E_clISt17integral_constantIbLb1EES17_EEDaS12_S13_EUlS12_E_NS1_11comp_targetILNS1_3genE2ELNS1_11target_archE906ELNS1_3gpuE6ELNS1_3repE0EEENS1_30default_config_static_selectorELNS0_4arch9wavefront6targetE1EEEvT1_
                                        ; -- End function
	.section	.AMDGPU.csdata,"",@progbits
; Kernel info:
; codeLenInByte = 0
; NumSgprs: 4
; NumVgprs: 0
; NumAgprs: 0
; TotalNumVgprs: 0
; ScratchSize: 0
; MemoryBound: 0
; FloatMode: 240
; IeeeMode: 1
; LDSByteSize: 0 bytes/workgroup (compile time only)
; SGPRBlocks: 0
; VGPRBlocks: 0
; NumSGPRsForWavesPerEU: 4
; NumVGPRsForWavesPerEU: 1
; AccumOffset: 4
; Occupancy: 8
; WaveLimiterHint : 0
; COMPUTE_PGM_RSRC2:SCRATCH_EN: 0
; COMPUTE_PGM_RSRC2:USER_SGPR: 6
; COMPUTE_PGM_RSRC2:TRAP_HANDLER: 0
; COMPUTE_PGM_RSRC2:TGID_X_EN: 1
; COMPUTE_PGM_RSRC2:TGID_Y_EN: 0
; COMPUTE_PGM_RSRC2:TGID_Z_EN: 0
; COMPUTE_PGM_RSRC2:TIDIG_COMP_CNT: 0
; COMPUTE_PGM_RSRC3_GFX90A:ACCUM_OFFSET: 0
; COMPUTE_PGM_RSRC3_GFX90A:TG_SPLIT: 0
	.section	.text._ZN7rocprim17ROCPRIM_400000_NS6detail17trampoline_kernelINS0_14default_configENS1_25partition_config_selectorILNS1_17partition_subalgoE8EdNS0_10empty_typeEbEEZZNS1_14partition_implILS5_8ELb0ES3_jPKdPS6_PKS6_NS0_5tupleIJPdS6_EEENSE_IJSB_SB_EEENS0_18inequality_wrapperIN6hipcub16HIPCUB_304000_NS8EqualityEEEPlJS6_EEE10hipError_tPvRmT3_T4_T5_T6_T7_T9_mT8_P12ihipStream_tbDpT10_ENKUlT_T0_E_clISt17integral_constantIbLb1EES17_EEDaS12_S13_EUlS12_E_NS1_11comp_targetILNS1_3genE10ELNS1_11target_archE1200ELNS1_3gpuE4ELNS1_3repE0EEENS1_30default_config_static_selectorELNS0_4arch9wavefront6targetE1EEEvT1_,"axG",@progbits,_ZN7rocprim17ROCPRIM_400000_NS6detail17trampoline_kernelINS0_14default_configENS1_25partition_config_selectorILNS1_17partition_subalgoE8EdNS0_10empty_typeEbEEZZNS1_14partition_implILS5_8ELb0ES3_jPKdPS6_PKS6_NS0_5tupleIJPdS6_EEENSE_IJSB_SB_EEENS0_18inequality_wrapperIN6hipcub16HIPCUB_304000_NS8EqualityEEEPlJS6_EEE10hipError_tPvRmT3_T4_T5_T6_T7_T9_mT8_P12ihipStream_tbDpT10_ENKUlT_T0_E_clISt17integral_constantIbLb1EES17_EEDaS12_S13_EUlS12_E_NS1_11comp_targetILNS1_3genE10ELNS1_11target_archE1200ELNS1_3gpuE4ELNS1_3repE0EEENS1_30default_config_static_selectorELNS0_4arch9wavefront6targetE1EEEvT1_,comdat
	.protected	_ZN7rocprim17ROCPRIM_400000_NS6detail17trampoline_kernelINS0_14default_configENS1_25partition_config_selectorILNS1_17partition_subalgoE8EdNS0_10empty_typeEbEEZZNS1_14partition_implILS5_8ELb0ES3_jPKdPS6_PKS6_NS0_5tupleIJPdS6_EEENSE_IJSB_SB_EEENS0_18inequality_wrapperIN6hipcub16HIPCUB_304000_NS8EqualityEEEPlJS6_EEE10hipError_tPvRmT3_T4_T5_T6_T7_T9_mT8_P12ihipStream_tbDpT10_ENKUlT_T0_E_clISt17integral_constantIbLb1EES17_EEDaS12_S13_EUlS12_E_NS1_11comp_targetILNS1_3genE10ELNS1_11target_archE1200ELNS1_3gpuE4ELNS1_3repE0EEENS1_30default_config_static_selectorELNS0_4arch9wavefront6targetE1EEEvT1_ ; -- Begin function _ZN7rocprim17ROCPRIM_400000_NS6detail17trampoline_kernelINS0_14default_configENS1_25partition_config_selectorILNS1_17partition_subalgoE8EdNS0_10empty_typeEbEEZZNS1_14partition_implILS5_8ELb0ES3_jPKdPS6_PKS6_NS0_5tupleIJPdS6_EEENSE_IJSB_SB_EEENS0_18inequality_wrapperIN6hipcub16HIPCUB_304000_NS8EqualityEEEPlJS6_EEE10hipError_tPvRmT3_T4_T5_T6_T7_T9_mT8_P12ihipStream_tbDpT10_ENKUlT_T0_E_clISt17integral_constantIbLb1EES17_EEDaS12_S13_EUlS12_E_NS1_11comp_targetILNS1_3genE10ELNS1_11target_archE1200ELNS1_3gpuE4ELNS1_3repE0EEENS1_30default_config_static_selectorELNS0_4arch9wavefront6targetE1EEEvT1_
	.globl	_ZN7rocprim17ROCPRIM_400000_NS6detail17trampoline_kernelINS0_14default_configENS1_25partition_config_selectorILNS1_17partition_subalgoE8EdNS0_10empty_typeEbEEZZNS1_14partition_implILS5_8ELb0ES3_jPKdPS6_PKS6_NS0_5tupleIJPdS6_EEENSE_IJSB_SB_EEENS0_18inequality_wrapperIN6hipcub16HIPCUB_304000_NS8EqualityEEEPlJS6_EEE10hipError_tPvRmT3_T4_T5_T6_T7_T9_mT8_P12ihipStream_tbDpT10_ENKUlT_T0_E_clISt17integral_constantIbLb1EES17_EEDaS12_S13_EUlS12_E_NS1_11comp_targetILNS1_3genE10ELNS1_11target_archE1200ELNS1_3gpuE4ELNS1_3repE0EEENS1_30default_config_static_selectorELNS0_4arch9wavefront6targetE1EEEvT1_
	.p2align	8
	.type	_ZN7rocprim17ROCPRIM_400000_NS6detail17trampoline_kernelINS0_14default_configENS1_25partition_config_selectorILNS1_17partition_subalgoE8EdNS0_10empty_typeEbEEZZNS1_14partition_implILS5_8ELb0ES3_jPKdPS6_PKS6_NS0_5tupleIJPdS6_EEENSE_IJSB_SB_EEENS0_18inequality_wrapperIN6hipcub16HIPCUB_304000_NS8EqualityEEEPlJS6_EEE10hipError_tPvRmT3_T4_T5_T6_T7_T9_mT8_P12ihipStream_tbDpT10_ENKUlT_T0_E_clISt17integral_constantIbLb1EES17_EEDaS12_S13_EUlS12_E_NS1_11comp_targetILNS1_3genE10ELNS1_11target_archE1200ELNS1_3gpuE4ELNS1_3repE0EEENS1_30default_config_static_selectorELNS0_4arch9wavefront6targetE1EEEvT1_,@function
_ZN7rocprim17ROCPRIM_400000_NS6detail17trampoline_kernelINS0_14default_configENS1_25partition_config_selectorILNS1_17partition_subalgoE8EdNS0_10empty_typeEbEEZZNS1_14partition_implILS5_8ELb0ES3_jPKdPS6_PKS6_NS0_5tupleIJPdS6_EEENSE_IJSB_SB_EEENS0_18inequality_wrapperIN6hipcub16HIPCUB_304000_NS8EqualityEEEPlJS6_EEE10hipError_tPvRmT3_T4_T5_T6_T7_T9_mT8_P12ihipStream_tbDpT10_ENKUlT_T0_E_clISt17integral_constantIbLb1EES17_EEDaS12_S13_EUlS12_E_NS1_11comp_targetILNS1_3genE10ELNS1_11target_archE1200ELNS1_3gpuE4ELNS1_3repE0EEENS1_30default_config_static_selectorELNS0_4arch9wavefront6targetE1EEEvT1_: ; @_ZN7rocprim17ROCPRIM_400000_NS6detail17trampoline_kernelINS0_14default_configENS1_25partition_config_selectorILNS1_17partition_subalgoE8EdNS0_10empty_typeEbEEZZNS1_14partition_implILS5_8ELb0ES3_jPKdPS6_PKS6_NS0_5tupleIJPdS6_EEENSE_IJSB_SB_EEENS0_18inequality_wrapperIN6hipcub16HIPCUB_304000_NS8EqualityEEEPlJS6_EEE10hipError_tPvRmT3_T4_T5_T6_T7_T9_mT8_P12ihipStream_tbDpT10_ENKUlT_T0_E_clISt17integral_constantIbLb1EES17_EEDaS12_S13_EUlS12_E_NS1_11comp_targetILNS1_3genE10ELNS1_11target_archE1200ELNS1_3gpuE4ELNS1_3repE0EEENS1_30default_config_static_selectorELNS0_4arch9wavefront6targetE1EEEvT1_
; %bb.0:
	.section	.rodata,"a",@progbits
	.p2align	6, 0x0
	.amdhsa_kernel _ZN7rocprim17ROCPRIM_400000_NS6detail17trampoline_kernelINS0_14default_configENS1_25partition_config_selectorILNS1_17partition_subalgoE8EdNS0_10empty_typeEbEEZZNS1_14partition_implILS5_8ELb0ES3_jPKdPS6_PKS6_NS0_5tupleIJPdS6_EEENSE_IJSB_SB_EEENS0_18inequality_wrapperIN6hipcub16HIPCUB_304000_NS8EqualityEEEPlJS6_EEE10hipError_tPvRmT3_T4_T5_T6_T7_T9_mT8_P12ihipStream_tbDpT10_ENKUlT_T0_E_clISt17integral_constantIbLb1EES17_EEDaS12_S13_EUlS12_E_NS1_11comp_targetILNS1_3genE10ELNS1_11target_archE1200ELNS1_3gpuE4ELNS1_3repE0EEENS1_30default_config_static_selectorELNS0_4arch9wavefront6targetE1EEEvT1_
		.amdhsa_group_segment_fixed_size 0
		.amdhsa_private_segment_fixed_size 0
		.amdhsa_kernarg_size 128
		.amdhsa_user_sgpr_count 6
		.amdhsa_user_sgpr_private_segment_buffer 1
		.amdhsa_user_sgpr_dispatch_ptr 0
		.amdhsa_user_sgpr_queue_ptr 0
		.amdhsa_user_sgpr_kernarg_segment_ptr 1
		.amdhsa_user_sgpr_dispatch_id 0
		.amdhsa_user_sgpr_flat_scratch_init 0
		.amdhsa_user_sgpr_kernarg_preload_length 0
		.amdhsa_user_sgpr_kernarg_preload_offset 0
		.amdhsa_user_sgpr_private_segment_size 0
		.amdhsa_uses_dynamic_stack 0
		.amdhsa_system_sgpr_private_segment_wavefront_offset 0
		.amdhsa_system_sgpr_workgroup_id_x 1
		.amdhsa_system_sgpr_workgroup_id_y 0
		.amdhsa_system_sgpr_workgroup_id_z 0
		.amdhsa_system_sgpr_workgroup_info 0
		.amdhsa_system_vgpr_workitem_id 0
		.amdhsa_next_free_vgpr 1
		.amdhsa_next_free_sgpr 0
		.amdhsa_accum_offset 4
		.amdhsa_reserve_vcc 0
		.amdhsa_reserve_flat_scratch 0
		.amdhsa_float_round_mode_32 0
		.amdhsa_float_round_mode_16_64 0
		.amdhsa_float_denorm_mode_32 3
		.amdhsa_float_denorm_mode_16_64 3
		.amdhsa_dx10_clamp 1
		.amdhsa_ieee_mode 1
		.amdhsa_fp16_overflow 0
		.amdhsa_tg_split 0
		.amdhsa_exception_fp_ieee_invalid_op 0
		.amdhsa_exception_fp_denorm_src 0
		.amdhsa_exception_fp_ieee_div_zero 0
		.amdhsa_exception_fp_ieee_overflow 0
		.amdhsa_exception_fp_ieee_underflow 0
		.amdhsa_exception_fp_ieee_inexact 0
		.amdhsa_exception_int_div_zero 0
	.end_amdhsa_kernel
	.section	.text._ZN7rocprim17ROCPRIM_400000_NS6detail17trampoline_kernelINS0_14default_configENS1_25partition_config_selectorILNS1_17partition_subalgoE8EdNS0_10empty_typeEbEEZZNS1_14partition_implILS5_8ELb0ES3_jPKdPS6_PKS6_NS0_5tupleIJPdS6_EEENSE_IJSB_SB_EEENS0_18inequality_wrapperIN6hipcub16HIPCUB_304000_NS8EqualityEEEPlJS6_EEE10hipError_tPvRmT3_T4_T5_T6_T7_T9_mT8_P12ihipStream_tbDpT10_ENKUlT_T0_E_clISt17integral_constantIbLb1EES17_EEDaS12_S13_EUlS12_E_NS1_11comp_targetILNS1_3genE10ELNS1_11target_archE1200ELNS1_3gpuE4ELNS1_3repE0EEENS1_30default_config_static_selectorELNS0_4arch9wavefront6targetE1EEEvT1_,"axG",@progbits,_ZN7rocprim17ROCPRIM_400000_NS6detail17trampoline_kernelINS0_14default_configENS1_25partition_config_selectorILNS1_17partition_subalgoE8EdNS0_10empty_typeEbEEZZNS1_14partition_implILS5_8ELb0ES3_jPKdPS6_PKS6_NS0_5tupleIJPdS6_EEENSE_IJSB_SB_EEENS0_18inequality_wrapperIN6hipcub16HIPCUB_304000_NS8EqualityEEEPlJS6_EEE10hipError_tPvRmT3_T4_T5_T6_T7_T9_mT8_P12ihipStream_tbDpT10_ENKUlT_T0_E_clISt17integral_constantIbLb1EES17_EEDaS12_S13_EUlS12_E_NS1_11comp_targetILNS1_3genE10ELNS1_11target_archE1200ELNS1_3gpuE4ELNS1_3repE0EEENS1_30default_config_static_selectorELNS0_4arch9wavefront6targetE1EEEvT1_,comdat
.Lfunc_end285:
	.size	_ZN7rocprim17ROCPRIM_400000_NS6detail17trampoline_kernelINS0_14default_configENS1_25partition_config_selectorILNS1_17partition_subalgoE8EdNS0_10empty_typeEbEEZZNS1_14partition_implILS5_8ELb0ES3_jPKdPS6_PKS6_NS0_5tupleIJPdS6_EEENSE_IJSB_SB_EEENS0_18inequality_wrapperIN6hipcub16HIPCUB_304000_NS8EqualityEEEPlJS6_EEE10hipError_tPvRmT3_T4_T5_T6_T7_T9_mT8_P12ihipStream_tbDpT10_ENKUlT_T0_E_clISt17integral_constantIbLb1EES17_EEDaS12_S13_EUlS12_E_NS1_11comp_targetILNS1_3genE10ELNS1_11target_archE1200ELNS1_3gpuE4ELNS1_3repE0EEENS1_30default_config_static_selectorELNS0_4arch9wavefront6targetE1EEEvT1_, .Lfunc_end285-_ZN7rocprim17ROCPRIM_400000_NS6detail17trampoline_kernelINS0_14default_configENS1_25partition_config_selectorILNS1_17partition_subalgoE8EdNS0_10empty_typeEbEEZZNS1_14partition_implILS5_8ELb0ES3_jPKdPS6_PKS6_NS0_5tupleIJPdS6_EEENSE_IJSB_SB_EEENS0_18inequality_wrapperIN6hipcub16HIPCUB_304000_NS8EqualityEEEPlJS6_EEE10hipError_tPvRmT3_T4_T5_T6_T7_T9_mT8_P12ihipStream_tbDpT10_ENKUlT_T0_E_clISt17integral_constantIbLb1EES17_EEDaS12_S13_EUlS12_E_NS1_11comp_targetILNS1_3genE10ELNS1_11target_archE1200ELNS1_3gpuE4ELNS1_3repE0EEENS1_30default_config_static_selectorELNS0_4arch9wavefront6targetE1EEEvT1_
                                        ; -- End function
	.section	.AMDGPU.csdata,"",@progbits
; Kernel info:
; codeLenInByte = 0
; NumSgprs: 4
; NumVgprs: 0
; NumAgprs: 0
; TotalNumVgprs: 0
; ScratchSize: 0
; MemoryBound: 0
; FloatMode: 240
; IeeeMode: 1
; LDSByteSize: 0 bytes/workgroup (compile time only)
; SGPRBlocks: 0
; VGPRBlocks: 0
; NumSGPRsForWavesPerEU: 4
; NumVGPRsForWavesPerEU: 1
; AccumOffset: 4
; Occupancy: 8
; WaveLimiterHint : 0
; COMPUTE_PGM_RSRC2:SCRATCH_EN: 0
; COMPUTE_PGM_RSRC2:USER_SGPR: 6
; COMPUTE_PGM_RSRC2:TRAP_HANDLER: 0
; COMPUTE_PGM_RSRC2:TGID_X_EN: 1
; COMPUTE_PGM_RSRC2:TGID_Y_EN: 0
; COMPUTE_PGM_RSRC2:TGID_Z_EN: 0
; COMPUTE_PGM_RSRC2:TIDIG_COMP_CNT: 0
; COMPUTE_PGM_RSRC3_GFX90A:ACCUM_OFFSET: 0
; COMPUTE_PGM_RSRC3_GFX90A:TG_SPLIT: 0
	.section	.text._ZN7rocprim17ROCPRIM_400000_NS6detail17trampoline_kernelINS0_14default_configENS1_25partition_config_selectorILNS1_17partition_subalgoE8EdNS0_10empty_typeEbEEZZNS1_14partition_implILS5_8ELb0ES3_jPKdPS6_PKS6_NS0_5tupleIJPdS6_EEENSE_IJSB_SB_EEENS0_18inequality_wrapperIN6hipcub16HIPCUB_304000_NS8EqualityEEEPlJS6_EEE10hipError_tPvRmT3_T4_T5_T6_T7_T9_mT8_P12ihipStream_tbDpT10_ENKUlT_T0_E_clISt17integral_constantIbLb1EES17_EEDaS12_S13_EUlS12_E_NS1_11comp_targetILNS1_3genE9ELNS1_11target_archE1100ELNS1_3gpuE3ELNS1_3repE0EEENS1_30default_config_static_selectorELNS0_4arch9wavefront6targetE1EEEvT1_,"axG",@progbits,_ZN7rocprim17ROCPRIM_400000_NS6detail17trampoline_kernelINS0_14default_configENS1_25partition_config_selectorILNS1_17partition_subalgoE8EdNS0_10empty_typeEbEEZZNS1_14partition_implILS5_8ELb0ES3_jPKdPS6_PKS6_NS0_5tupleIJPdS6_EEENSE_IJSB_SB_EEENS0_18inequality_wrapperIN6hipcub16HIPCUB_304000_NS8EqualityEEEPlJS6_EEE10hipError_tPvRmT3_T4_T5_T6_T7_T9_mT8_P12ihipStream_tbDpT10_ENKUlT_T0_E_clISt17integral_constantIbLb1EES17_EEDaS12_S13_EUlS12_E_NS1_11comp_targetILNS1_3genE9ELNS1_11target_archE1100ELNS1_3gpuE3ELNS1_3repE0EEENS1_30default_config_static_selectorELNS0_4arch9wavefront6targetE1EEEvT1_,comdat
	.protected	_ZN7rocprim17ROCPRIM_400000_NS6detail17trampoline_kernelINS0_14default_configENS1_25partition_config_selectorILNS1_17partition_subalgoE8EdNS0_10empty_typeEbEEZZNS1_14partition_implILS5_8ELb0ES3_jPKdPS6_PKS6_NS0_5tupleIJPdS6_EEENSE_IJSB_SB_EEENS0_18inequality_wrapperIN6hipcub16HIPCUB_304000_NS8EqualityEEEPlJS6_EEE10hipError_tPvRmT3_T4_T5_T6_T7_T9_mT8_P12ihipStream_tbDpT10_ENKUlT_T0_E_clISt17integral_constantIbLb1EES17_EEDaS12_S13_EUlS12_E_NS1_11comp_targetILNS1_3genE9ELNS1_11target_archE1100ELNS1_3gpuE3ELNS1_3repE0EEENS1_30default_config_static_selectorELNS0_4arch9wavefront6targetE1EEEvT1_ ; -- Begin function _ZN7rocprim17ROCPRIM_400000_NS6detail17trampoline_kernelINS0_14default_configENS1_25partition_config_selectorILNS1_17partition_subalgoE8EdNS0_10empty_typeEbEEZZNS1_14partition_implILS5_8ELb0ES3_jPKdPS6_PKS6_NS0_5tupleIJPdS6_EEENSE_IJSB_SB_EEENS0_18inequality_wrapperIN6hipcub16HIPCUB_304000_NS8EqualityEEEPlJS6_EEE10hipError_tPvRmT3_T4_T5_T6_T7_T9_mT8_P12ihipStream_tbDpT10_ENKUlT_T0_E_clISt17integral_constantIbLb1EES17_EEDaS12_S13_EUlS12_E_NS1_11comp_targetILNS1_3genE9ELNS1_11target_archE1100ELNS1_3gpuE3ELNS1_3repE0EEENS1_30default_config_static_selectorELNS0_4arch9wavefront6targetE1EEEvT1_
	.globl	_ZN7rocprim17ROCPRIM_400000_NS6detail17trampoline_kernelINS0_14default_configENS1_25partition_config_selectorILNS1_17partition_subalgoE8EdNS0_10empty_typeEbEEZZNS1_14partition_implILS5_8ELb0ES3_jPKdPS6_PKS6_NS0_5tupleIJPdS6_EEENSE_IJSB_SB_EEENS0_18inequality_wrapperIN6hipcub16HIPCUB_304000_NS8EqualityEEEPlJS6_EEE10hipError_tPvRmT3_T4_T5_T6_T7_T9_mT8_P12ihipStream_tbDpT10_ENKUlT_T0_E_clISt17integral_constantIbLb1EES17_EEDaS12_S13_EUlS12_E_NS1_11comp_targetILNS1_3genE9ELNS1_11target_archE1100ELNS1_3gpuE3ELNS1_3repE0EEENS1_30default_config_static_selectorELNS0_4arch9wavefront6targetE1EEEvT1_
	.p2align	8
	.type	_ZN7rocprim17ROCPRIM_400000_NS6detail17trampoline_kernelINS0_14default_configENS1_25partition_config_selectorILNS1_17partition_subalgoE8EdNS0_10empty_typeEbEEZZNS1_14partition_implILS5_8ELb0ES3_jPKdPS6_PKS6_NS0_5tupleIJPdS6_EEENSE_IJSB_SB_EEENS0_18inequality_wrapperIN6hipcub16HIPCUB_304000_NS8EqualityEEEPlJS6_EEE10hipError_tPvRmT3_T4_T5_T6_T7_T9_mT8_P12ihipStream_tbDpT10_ENKUlT_T0_E_clISt17integral_constantIbLb1EES17_EEDaS12_S13_EUlS12_E_NS1_11comp_targetILNS1_3genE9ELNS1_11target_archE1100ELNS1_3gpuE3ELNS1_3repE0EEENS1_30default_config_static_selectorELNS0_4arch9wavefront6targetE1EEEvT1_,@function
_ZN7rocprim17ROCPRIM_400000_NS6detail17trampoline_kernelINS0_14default_configENS1_25partition_config_selectorILNS1_17partition_subalgoE8EdNS0_10empty_typeEbEEZZNS1_14partition_implILS5_8ELb0ES3_jPKdPS6_PKS6_NS0_5tupleIJPdS6_EEENSE_IJSB_SB_EEENS0_18inequality_wrapperIN6hipcub16HIPCUB_304000_NS8EqualityEEEPlJS6_EEE10hipError_tPvRmT3_T4_T5_T6_T7_T9_mT8_P12ihipStream_tbDpT10_ENKUlT_T0_E_clISt17integral_constantIbLb1EES17_EEDaS12_S13_EUlS12_E_NS1_11comp_targetILNS1_3genE9ELNS1_11target_archE1100ELNS1_3gpuE3ELNS1_3repE0EEENS1_30default_config_static_selectorELNS0_4arch9wavefront6targetE1EEEvT1_: ; @_ZN7rocprim17ROCPRIM_400000_NS6detail17trampoline_kernelINS0_14default_configENS1_25partition_config_selectorILNS1_17partition_subalgoE8EdNS0_10empty_typeEbEEZZNS1_14partition_implILS5_8ELb0ES3_jPKdPS6_PKS6_NS0_5tupleIJPdS6_EEENSE_IJSB_SB_EEENS0_18inequality_wrapperIN6hipcub16HIPCUB_304000_NS8EqualityEEEPlJS6_EEE10hipError_tPvRmT3_T4_T5_T6_T7_T9_mT8_P12ihipStream_tbDpT10_ENKUlT_T0_E_clISt17integral_constantIbLb1EES17_EEDaS12_S13_EUlS12_E_NS1_11comp_targetILNS1_3genE9ELNS1_11target_archE1100ELNS1_3gpuE3ELNS1_3repE0EEENS1_30default_config_static_selectorELNS0_4arch9wavefront6targetE1EEEvT1_
; %bb.0:
	.section	.rodata,"a",@progbits
	.p2align	6, 0x0
	.amdhsa_kernel _ZN7rocprim17ROCPRIM_400000_NS6detail17trampoline_kernelINS0_14default_configENS1_25partition_config_selectorILNS1_17partition_subalgoE8EdNS0_10empty_typeEbEEZZNS1_14partition_implILS5_8ELb0ES3_jPKdPS6_PKS6_NS0_5tupleIJPdS6_EEENSE_IJSB_SB_EEENS0_18inequality_wrapperIN6hipcub16HIPCUB_304000_NS8EqualityEEEPlJS6_EEE10hipError_tPvRmT3_T4_T5_T6_T7_T9_mT8_P12ihipStream_tbDpT10_ENKUlT_T0_E_clISt17integral_constantIbLb1EES17_EEDaS12_S13_EUlS12_E_NS1_11comp_targetILNS1_3genE9ELNS1_11target_archE1100ELNS1_3gpuE3ELNS1_3repE0EEENS1_30default_config_static_selectorELNS0_4arch9wavefront6targetE1EEEvT1_
		.amdhsa_group_segment_fixed_size 0
		.amdhsa_private_segment_fixed_size 0
		.amdhsa_kernarg_size 128
		.amdhsa_user_sgpr_count 6
		.amdhsa_user_sgpr_private_segment_buffer 1
		.amdhsa_user_sgpr_dispatch_ptr 0
		.amdhsa_user_sgpr_queue_ptr 0
		.amdhsa_user_sgpr_kernarg_segment_ptr 1
		.amdhsa_user_sgpr_dispatch_id 0
		.amdhsa_user_sgpr_flat_scratch_init 0
		.amdhsa_user_sgpr_kernarg_preload_length 0
		.amdhsa_user_sgpr_kernarg_preload_offset 0
		.amdhsa_user_sgpr_private_segment_size 0
		.amdhsa_uses_dynamic_stack 0
		.amdhsa_system_sgpr_private_segment_wavefront_offset 0
		.amdhsa_system_sgpr_workgroup_id_x 1
		.amdhsa_system_sgpr_workgroup_id_y 0
		.amdhsa_system_sgpr_workgroup_id_z 0
		.amdhsa_system_sgpr_workgroup_info 0
		.amdhsa_system_vgpr_workitem_id 0
		.amdhsa_next_free_vgpr 1
		.amdhsa_next_free_sgpr 0
		.amdhsa_accum_offset 4
		.amdhsa_reserve_vcc 0
		.amdhsa_reserve_flat_scratch 0
		.amdhsa_float_round_mode_32 0
		.amdhsa_float_round_mode_16_64 0
		.amdhsa_float_denorm_mode_32 3
		.amdhsa_float_denorm_mode_16_64 3
		.amdhsa_dx10_clamp 1
		.amdhsa_ieee_mode 1
		.amdhsa_fp16_overflow 0
		.amdhsa_tg_split 0
		.amdhsa_exception_fp_ieee_invalid_op 0
		.amdhsa_exception_fp_denorm_src 0
		.amdhsa_exception_fp_ieee_div_zero 0
		.amdhsa_exception_fp_ieee_overflow 0
		.amdhsa_exception_fp_ieee_underflow 0
		.amdhsa_exception_fp_ieee_inexact 0
		.amdhsa_exception_int_div_zero 0
	.end_amdhsa_kernel
	.section	.text._ZN7rocprim17ROCPRIM_400000_NS6detail17trampoline_kernelINS0_14default_configENS1_25partition_config_selectorILNS1_17partition_subalgoE8EdNS0_10empty_typeEbEEZZNS1_14partition_implILS5_8ELb0ES3_jPKdPS6_PKS6_NS0_5tupleIJPdS6_EEENSE_IJSB_SB_EEENS0_18inequality_wrapperIN6hipcub16HIPCUB_304000_NS8EqualityEEEPlJS6_EEE10hipError_tPvRmT3_T4_T5_T6_T7_T9_mT8_P12ihipStream_tbDpT10_ENKUlT_T0_E_clISt17integral_constantIbLb1EES17_EEDaS12_S13_EUlS12_E_NS1_11comp_targetILNS1_3genE9ELNS1_11target_archE1100ELNS1_3gpuE3ELNS1_3repE0EEENS1_30default_config_static_selectorELNS0_4arch9wavefront6targetE1EEEvT1_,"axG",@progbits,_ZN7rocprim17ROCPRIM_400000_NS6detail17trampoline_kernelINS0_14default_configENS1_25partition_config_selectorILNS1_17partition_subalgoE8EdNS0_10empty_typeEbEEZZNS1_14partition_implILS5_8ELb0ES3_jPKdPS6_PKS6_NS0_5tupleIJPdS6_EEENSE_IJSB_SB_EEENS0_18inequality_wrapperIN6hipcub16HIPCUB_304000_NS8EqualityEEEPlJS6_EEE10hipError_tPvRmT3_T4_T5_T6_T7_T9_mT8_P12ihipStream_tbDpT10_ENKUlT_T0_E_clISt17integral_constantIbLb1EES17_EEDaS12_S13_EUlS12_E_NS1_11comp_targetILNS1_3genE9ELNS1_11target_archE1100ELNS1_3gpuE3ELNS1_3repE0EEENS1_30default_config_static_selectorELNS0_4arch9wavefront6targetE1EEEvT1_,comdat
.Lfunc_end286:
	.size	_ZN7rocprim17ROCPRIM_400000_NS6detail17trampoline_kernelINS0_14default_configENS1_25partition_config_selectorILNS1_17partition_subalgoE8EdNS0_10empty_typeEbEEZZNS1_14partition_implILS5_8ELb0ES3_jPKdPS6_PKS6_NS0_5tupleIJPdS6_EEENSE_IJSB_SB_EEENS0_18inequality_wrapperIN6hipcub16HIPCUB_304000_NS8EqualityEEEPlJS6_EEE10hipError_tPvRmT3_T4_T5_T6_T7_T9_mT8_P12ihipStream_tbDpT10_ENKUlT_T0_E_clISt17integral_constantIbLb1EES17_EEDaS12_S13_EUlS12_E_NS1_11comp_targetILNS1_3genE9ELNS1_11target_archE1100ELNS1_3gpuE3ELNS1_3repE0EEENS1_30default_config_static_selectorELNS0_4arch9wavefront6targetE1EEEvT1_, .Lfunc_end286-_ZN7rocprim17ROCPRIM_400000_NS6detail17trampoline_kernelINS0_14default_configENS1_25partition_config_selectorILNS1_17partition_subalgoE8EdNS0_10empty_typeEbEEZZNS1_14partition_implILS5_8ELb0ES3_jPKdPS6_PKS6_NS0_5tupleIJPdS6_EEENSE_IJSB_SB_EEENS0_18inequality_wrapperIN6hipcub16HIPCUB_304000_NS8EqualityEEEPlJS6_EEE10hipError_tPvRmT3_T4_T5_T6_T7_T9_mT8_P12ihipStream_tbDpT10_ENKUlT_T0_E_clISt17integral_constantIbLb1EES17_EEDaS12_S13_EUlS12_E_NS1_11comp_targetILNS1_3genE9ELNS1_11target_archE1100ELNS1_3gpuE3ELNS1_3repE0EEENS1_30default_config_static_selectorELNS0_4arch9wavefront6targetE1EEEvT1_
                                        ; -- End function
	.section	.AMDGPU.csdata,"",@progbits
; Kernel info:
; codeLenInByte = 0
; NumSgprs: 4
; NumVgprs: 0
; NumAgprs: 0
; TotalNumVgprs: 0
; ScratchSize: 0
; MemoryBound: 0
; FloatMode: 240
; IeeeMode: 1
; LDSByteSize: 0 bytes/workgroup (compile time only)
; SGPRBlocks: 0
; VGPRBlocks: 0
; NumSGPRsForWavesPerEU: 4
; NumVGPRsForWavesPerEU: 1
; AccumOffset: 4
; Occupancy: 8
; WaveLimiterHint : 0
; COMPUTE_PGM_RSRC2:SCRATCH_EN: 0
; COMPUTE_PGM_RSRC2:USER_SGPR: 6
; COMPUTE_PGM_RSRC2:TRAP_HANDLER: 0
; COMPUTE_PGM_RSRC2:TGID_X_EN: 1
; COMPUTE_PGM_RSRC2:TGID_Y_EN: 0
; COMPUTE_PGM_RSRC2:TGID_Z_EN: 0
; COMPUTE_PGM_RSRC2:TIDIG_COMP_CNT: 0
; COMPUTE_PGM_RSRC3_GFX90A:ACCUM_OFFSET: 0
; COMPUTE_PGM_RSRC3_GFX90A:TG_SPLIT: 0
	.section	.text._ZN7rocprim17ROCPRIM_400000_NS6detail17trampoline_kernelINS0_14default_configENS1_25partition_config_selectorILNS1_17partition_subalgoE8EdNS0_10empty_typeEbEEZZNS1_14partition_implILS5_8ELb0ES3_jPKdPS6_PKS6_NS0_5tupleIJPdS6_EEENSE_IJSB_SB_EEENS0_18inequality_wrapperIN6hipcub16HIPCUB_304000_NS8EqualityEEEPlJS6_EEE10hipError_tPvRmT3_T4_T5_T6_T7_T9_mT8_P12ihipStream_tbDpT10_ENKUlT_T0_E_clISt17integral_constantIbLb1EES17_EEDaS12_S13_EUlS12_E_NS1_11comp_targetILNS1_3genE8ELNS1_11target_archE1030ELNS1_3gpuE2ELNS1_3repE0EEENS1_30default_config_static_selectorELNS0_4arch9wavefront6targetE1EEEvT1_,"axG",@progbits,_ZN7rocprim17ROCPRIM_400000_NS6detail17trampoline_kernelINS0_14default_configENS1_25partition_config_selectorILNS1_17partition_subalgoE8EdNS0_10empty_typeEbEEZZNS1_14partition_implILS5_8ELb0ES3_jPKdPS6_PKS6_NS0_5tupleIJPdS6_EEENSE_IJSB_SB_EEENS0_18inequality_wrapperIN6hipcub16HIPCUB_304000_NS8EqualityEEEPlJS6_EEE10hipError_tPvRmT3_T4_T5_T6_T7_T9_mT8_P12ihipStream_tbDpT10_ENKUlT_T0_E_clISt17integral_constantIbLb1EES17_EEDaS12_S13_EUlS12_E_NS1_11comp_targetILNS1_3genE8ELNS1_11target_archE1030ELNS1_3gpuE2ELNS1_3repE0EEENS1_30default_config_static_selectorELNS0_4arch9wavefront6targetE1EEEvT1_,comdat
	.protected	_ZN7rocprim17ROCPRIM_400000_NS6detail17trampoline_kernelINS0_14default_configENS1_25partition_config_selectorILNS1_17partition_subalgoE8EdNS0_10empty_typeEbEEZZNS1_14partition_implILS5_8ELb0ES3_jPKdPS6_PKS6_NS0_5tupleIJPdS6_EEENSE_IJSB_SB_EEENS0_18inequality_wrapperIN6hipcub16HIPCUB_304000_NS8EqualityEEEPlJS6_EEE10hipError_tPvRmT3_T4_T5_T6_T7_T9_mT8_P12ihipStream_tbDpT10_ENKUlT_T0_E_clISt17integral_constantIbLb1EES17_EEDaS12_S13_EUlS12_E_NS1_11comp_targetILNS1_3genE8ELNS1_11target_archE1030ELNS1_3gpuE2ELNS1_3repE0EEENS1_30default_config_static_selectorELNS0_4arch9wavefront6targetE1EEEvT1_ ; -- Begin function _ZN7rocprim17ROCPRIM_400000_NS6detail17trampoline_kernelINS0_14default_configENS1_25partition_config_selectorILNS1_17partition_subalgoE8EdNS0_10empty_typeEbEEZZNS1_14partition_implILS5_8ELb0ES3_jPKdPS6_PKS6_NS0_5tupleIJPdS6_EEENSE_IJSB_SB_EEENS0_18inequality_wrapperIN6hipcub16HIPCUB_304000_NS8EqualityEEEPlJS6_EEE10hipError_tPvRmT3_T4_T5_T6_T7_T9_mT8_P12ihipStream_tbDpT10_ENKUlT_T0_E_clISt17integral_constantIbLb1EES17_EEDaS12_S13_EUlS12_E_NS1_11comp_targetILNS1_3genE8ELNS1_11target_archE1030ELNS1_3gpuE2ELNS1_3repE0EEENS1_30default_config_static_selectorELNS0_4arch9wavefront6targetE1EEEvT1_
	.globl	_ZN7rocprim17ROCPRIM_400000_NS6detail17trampoline_kernelINS0_14default_configENS1_25partition_config_selectorILNS1_17partition_subalgoE8EdNS0_10empty_typeEbEEZZNS1_14partition_implILS5_8ELb0ES3_jPKdPS6_PKS6_NS0_5tupleIJPdS6_EEENSE_IJSB_SB_EEENS0_18inequality_wrapperIN6hipcub16HIPCUB_304000_NS8EqualityEEEPlJS6_EEE10hipError_tPvRmT3_T4_T5_T6_T7_T9_mT8_P12ihipStream_tbDpT10_ENKUlT_T0_E_clISt17integral_constantIbLb1EES17_EEDaS12_S13_EUlS12_E_NS1_11comp_targetILNS1_3genE8ELNS1_11target_archE1030ELNS1_3gpuE2ELNS1_3repE0EEENS1_30default_config_static_selectorELNS0_4arch9wavefront6targetE1EEEvT1_
	.p2align	8
	.type	_ZN7rocprim17ROCPRIM_400000_NS6detail17trampoline_kernelINS0_14default_configENS1_25partition_config_selectorILNS1_17partition_subalgoE8EdNS0_10empty_typeEbEEZZNS1_14partition_implILS5_8ELb0ES3_jPKdPS6_PKS6_NS0_5tupleIJPdS6_EEENSE_IJSB_SB_EEENS0_18inequality_wrapperIN6hipcub16HIPCUB_304000_NS8EqualityEEEPlJS6_EEE10hipError_tPvRmT3_T4_T5_T6_T7_T9_mT8_P12ihipStream_tbDpT10_ENKUlT_T0_E_clISt17integral_constantIbLb1EES17_EEDaS12_S13_EUlS12_E_NS1_11comp_targetILNS1_3genE8ELNS1_11target_archE1030ELNS1_3gpuE2ELNS1_3repE0EEENS1_30default_config_static_selectorELNS0_4arch9wavefront6targetE1EEEvT1_,@function
_ZN7rocprim17ROCPRIM_400000_NS6detail17trampoline_kernelINS0_14default_configENS1_25partition_config_selectorILNS1_17partition_subalgoE8EdNS0_10empty_typeEbEEZZNS1_14partition_implILS5_8ELb0ES3_jPKdPS6_PKS6_NS0_5tupleIJPdS6_EEENSE_IJSB_SB_EEENS0_18inequality_wrapperIN6hipcub16HIPCUB_304000_NS8EqualityEEEPlJS6_EEE10hipError_tPvRmT3_T4_T5_T6_T7_T9_mT8_P12ihipStream_tbDpT10_ENKUlT_T0_E_clISt17integral_constantIbLb1EES17_EEDaS12_S13_EUlS12_E_NS1_11comp_targetILNS1_3genE8ELNS1_11target_archE1030ELNS1_3gpuE2ELNS1_3repE0EEENS1_30default_config_static_selectorELNS0_4arch9wavefront6targetE1EEEvT1_: ; @_ZN7rocprim17ROCPRIM_400000_NS6detail17trampoline_kernelINS0_14default_configENS1_25partition_config_selectorILNS1_17partition_subalgoE8EdNS0_10empty_typeEbEEZZNS1_14partition_implILS5_8ELb0ES3_jPKdPS6_PKS6_NS0_5tupleIJPdS6_EEENSE_IJSB_SB_EEENS0_18inequality_wrapperIN6hipcub16HIPCUB_304000_NS8EqualityEEEPlJS6_EEE10hipError_tPvRmT3_T4_T5_T6_T7_T9_mT8_P12ihipStream_tbDpT10_ENKUlT_T0_E_clISt17integral_constantIbLb1EES17_EEDaS12_S13_EUlS12_E_NS1_11comp_targetILNS1_3genE8ELNS1_11target_archE1030ELNS1_3gpuE2ELNS1_3repE0EEENS1_30default_config_static_selectorELNS0_4arch9wavefront6targetE1EEEvT1_
; %bb.0:
	.section	.rodata,"a",@progbits
	.p2align	6, 0x0
	.amdhsa_kernel _ZN7rocprim17ROCPRIM_400000_NS6detail17trampoline_kernelINS0_14default_configENS1_25partition_config_selectorILNS1_17partition_subalgoE8EdNS0_10empty_typeEbEEZZNS1_14partition_implILS5_8ELb0ES3_jPKdPS6_PKS6_NS0_5tupleIJPdS6_EEENSE_IJSB_SB_EEENS0_18inequality_wrapperIN6hipcub16HIPCUB_304000_NS8EqualityEEEPlJS6_EEE10hipError_tPvRmT3_T4_T5_T6_T7_T9_mT8_P12ihipStream_tbDpT10_ENKUlT_T0_E_clISt17integral_constantIbLb1EES17_EEDaS12_S13_EUlS12_E_NS1_11comp_targetILNS1_3genE8ELNS1_11target_archE1030ELNS1_3gpuE2ELNS1_3repE0EEENS1_30default_config_static_selectorELNS0_4arch9wavefront6targetE1EEEvT1_
		.amdhsa_group_segment_fixed_size 0
		.amdhsa_private_segment_fixed_size 0
		.amdhsa_kernarg_size 128
		.amdhsa_user_sgpr_count 6
		.amdhsa_user_sgpr_private_segment_buffer 1
		.amdhsa_user_sgpr_dispatch_ptr 0
		.amdhsa_user_sgpr_queue_ptr 0
		.amdhsa_user_sgpr_kernarg_segment_ptr 1
		.amdhsa_user_sgpr_dispatch_id 0
		.amdhsa_user_sgpr_flat_scratch_init 0
		.amdhsa_user_sgpr_kernarg_preload_length 0
		.amdhsa_user_sgpr_kernarg_preload_offset 0
		.amdhsa_user_sgpr_private_segment_size 0
		.amdhsa_uses_dynamic_stack 0
		.amdhsa_system_sgpr_private_segment_wavefront_offset 0
		.amdhsa_system_sgpr_workgroup_id_x 1
		.amdhsa_system_sgpr_workgroup_id_y 0
		.amdhsa_system_sgpr_workgroup_id_z 0
		.amdhsa_system_sgpr_workgroup_info 0
		.amdhsa_system_vgpr_workitem_id 0
		.amdhsa_next_free_vgpr 1
		.amdhsa_next_free_sgpr 0
		.amdhsa_accum_offset 4
		.amdhsa_reserve_vcc 0
		.amdhsa_reserve_flat_scratch 0
		.amdhsa_float_round_mode_32 0
		.amdhsa_float_round_mode_16_64 0
		.amdhsa_float_denorm_mode_32 3
		.amdhsa_float_denorm_mode_16_64 3
		.amdhsa_dx10_clamp 1
		.amdhsa_ieee_mode 1
		.amdhsa_fp16_overflow 0
		.amdhsa_tg_split 0
		.amdhsa_exception_fp_ieee_invalid_op 0
		.amdhsa_exception_fp_denorm_src 0
		.amdhsa_exception_fp_ieee_div_zero 0
		.amdhsa_exception_fp_ieee_overflow 0
		.amdhsa_exception_fp_ieee_underflow 0
		.amdhsa_exception_fp_ieee_inexact 0
		.amdhsa_exception_int_div_zero 0
	.end_amdhsa_kernel
	.section	.text._ZN7rocprim17ROCPRIM_400000_NS6detail17trampoline_kernelINS0_14default_configENS1_25partition_config_selectorILNS1_17partition_subalgoE8EdNS0_10empty_typeEbEEZZNS1_14partition_implILS5_8ELb0ES3_jPKdPS6_PKS6_NS0_5tupleIJPdS6_EEENSE_IJSB_SB_EEENS0_18inequality_wrapperIN6hipcub16HIPCUB_304000_NS8EqualityEEEPlJS6_EEE10hipError_tPvRmT3_T4_T5_T6_T7_T9_mT8_P12ihipStream_tbDpT10_ENKUlT_T0_E_clISt17integral_constantIbLb1EES17_EEDaS12_S13_EUlS12_E_NS1_11comp_targetILNS1_3genE8ELNS1_11target_archE1030ELNS1_3gpuE2ELNS1_3repE0EEENS1_30default_config_static_selectorELNS0_4arch9wavefront6targetE1EEEvT1_,"axG",@progbits,_ZN7rocprim17ROCPRIM_400000_NS6detail17trampoline_kernelINS0_14default_configENS1_25partition_config_selectorILNS1_17partition_subalgoE8EdNS0_10empty_typeEbEEZZNS1_14partition_implILS5_8ELb0ES3_jPKdPS6_PKS6_NS0_5tupleIJPdS6_EEENSE_IJSB_SB_EEENS0_18inequality_wrapperIN6hipcub16HIPCUB_304000_NS8EqualityEEEPlJS6_EEE10hipError_tPvRmT3_T4_T5_T6_T7_T9_mT8_P12ihipStream_tbDpT10_ENKUlT_T0_E_clISt17integral_constantIbLb1EES17_EEDaS12_S13_EUlS12_E_NS1_11comp_targetILNS1_3genE8ELNS1_11target_archE1030ELNS1_3gpuE2ELNS1_3repE0EEENS1_30default_config_static_selectorELNS0_4arch9wavefront6targetE1EEEvT1_,comdat
.Lfunc_end287:
	.size	_ZN7rocprim17ROCPRIM_400000_NS6detail17trampoline_kernelINS0_14default_configENS1_25partition_config_selectorILNS1_17partition_subalgoE8EdNS0_10empty_typeEbEEZZNS1_14partition_implILS5_8ELb0ES3_jPKdPS6_PKS6_NS0_5tupleIJPdS6_EEENSE_IJSB_SB_EEENS0_18inequality_wrapperIN6hipcub16HIPCUB_304000_NS8EqualityEEEPlJS6_EEE10hipError_tPvRmT3_T4_T5_T6_T7_T9_mT8_P12ihipStream_tbDpT10_ENKUlT_T0_E_clISt17integral_constantIbLb1EES17_EEDaS12_S13_EUlS12_E_NS1_11comp_targetILNS1_3genE8ELNS1_11target_archE1030ELNS1_3gpuE2ELNS1_3repE0EEENS1_30default_config_static_selectorELNS0_4arch9wavefront6targetE1EEEvT1_, .Lfunc_end287-_ZN7rocprim17ROCPRIM_400000_NS6detail17trampoline_kernelINS0_14default_configENS1_25partition_config_selectorILNS1_17partition_subalgoE8EdNS0_10empty_typeEbEEZZNS1_14partition_implILS5_8ELb0ES3_jPKdPS6_PKS6_NS0_5tupleIJPdS6_EEENSE_IJSB_SB_EEENS0_18inequality_wrapperIN6hipcub16HIPCUB_304000_NS8EqualityEEEPlJS6_EEE10hipError_tPvRmT3_T4_T5_T6_T7_T9_mT8_P12ihipStream_tbDpT10_ENKUlT_T0_E_clISt17integral_constantIbLb1EES17_EEDaS12_S13_EUlS12_E_NS1_11comp_targetILNS1_3genE8ELNS1_11target_archE1030ELNS1_3gpuE2ELNS1_3repE0EEENS1_30default_config_static_selectorELNS0_4arch9wavefront6targetE1EEEvT1_
                                        ; -- End function
	.section	.AMDGPU.csdata,"",@progbits
; Kernel info:
; codeLenInByte = 0
; NumSgprs: 4
; NumVgprs: 0
; NumAgprs: 0
; TotalNumVgprs: 0
; ScratchSize: 0
; MemoryBound: 0
; FloatMode: 240
; IeeeMode: 1
; LDSByteSize: 0 bytes/workgroup (compile time only)
; SGPRBlocks: 0
; VGPRBlocks: 0
; NumSGPRsForWavesPerEU: 4
; NumVGPRsForWavesPerEU: 1
; AccumOffset: 4
; Occupancy: 8
; WaveLimiterHint : 0
; COMPUTE_PGM_RSRC2:SCRATCH_EN: 0
; COMPUTE_PGM_RSRC2:USER_SGPR: 6
; COMPUTE_PGM_RSRC2:TRAP_HANDLER: 0
; COMPUTE_PGM_RSRC2:TGID_X_EN: 1
; COMPUTE_PGM_RSRC2:TGID_Y_EN: 0
; COMPUTE_PGM_RSRC2:TGID_Z_EN: 0
; COMPUTE_PGM_RSRC2:TIDIG_COMP_CNT: 0
; COMPUTE_PGM_RSRC3_GFX90A:ACCUM_OFFSET: 0
; COMPUTE_PGM_RSRC3_GFX90A:TG_SPLIT: 0
	.section	.text._ZN7rocprim17ROCPRIM_400000_NS6detail17trampoline_kernelINS0_14default_configENS1_25partition_config_selectorILNS1_17partition_subalgoE8EdNS0_10empty_typeEbEEZZNS1_14partition_implILS5_8ELb0ES3_jPKdPS6_PKS6_NS0_5tupleIJPdS6_EEENSE_IJSB_SB_EEENS0_18inequality_wrapperIN6hipcub16HIPCUB_304000_NS8EqualityEEEPlJS6_EEE10hipError_tPvRmT3_T4_T5_T6_T7_T9_mT8_P12ihipStream_tbDpT10_ENKUlT_T0_E_clISt17integral_constantIbLb1EES16_IbLb0EEEEDaS12_S13_EUlS12_E_NS1_11comp_targetILNS1_3genE0ELNS1_11target_archE4294967295ELNS1_3gpuE0ELNS1_3repE0EEENS1_30default_config_static_selectorELNS0_4arch9wavefront6targetE1EEEvT1_,"axG",@progbits,_ZN7rocprim17ROCPRIM_400000_NS6detail17trampoline_kernelINS0_14default_configENS1_25partition_config_selectorILNS1_17partition_subalgoE8EdNS0_10empty_typeEbEEZZNS1_14partition_implILS5_8ELb0ES3_jPKdPS6_PKS6_NS0_5tupleIJPdS6_EEENSE_IJSB_SB_EEENS0_18inequality_wrapperIN6hipcub16HIPCUB_304000_NS8EqualityEEEPlJS6_EEE10hipError_tPvRmT3_T4_T5_T6_T7_T9_mT8_P12ihipStream_tbDpT10_ENKUlT_T0_E_clISt17integral_constantIbLb1EES16_IbLb0EEEEDaS12_S13_EUlS12_E_NS1_11comp_targetILNS1_3genE0ELNS1_11target_archE4294967295ELNS1_3gpuE0ELNS1_3repE0EEENS1_30default_config_static_selectorELNS0_4arch9wavefront6targetE1EEEvT1_,comdat
	.protected	_ZN7rocprim17ROCPRIM_400000_NS6detail17trampoline_kernelINS0_14default_configENS1_25partition_config_selectorILNS1_17partition_subalgoE8EdNS0_10empty_typeEbEEZZNS1_14partition_implILS5_8ELb0ES3_jPKdPS6_PKS6_NS0_5tupleIJPdS6_EEENSE_IJSB_SB_EEENS0_18inequality_wrapperIN6hipcub16HIPCUB_304000_NS8EqualityEEEPlJS6_EEE10hipError_tPvRmT3_T4_T5_T6_T7_T9_mT8_P12ihipStream_tbDpT10_ENKUlT_T0_E_clISt17integral_constantIbLb1EES16_IbLb0EEEEDaS12_S13_EUlS12_E_NS1_11comp_targetILNS1_3genE0ELNS1_11target_archE4294967295ELNS1_3gpuE0ELNS1_3repE0EEENS1_30default_config_static_selectorELNS0_4arch9wavefront6targetE1EEEvT1_ ; -- Begin function _ZN7rocprim17ROCPRIM_400000_NS6detail17trampoline_kernelINS0_14default_configENS1_25partition_config_selectorILNS1_17partition_subalgoE8EdNS0_10empty_typeEbEEZZNS1_14partition_implILS5_8ELb0ES3_jPKdPS6_PKS6_NS0_5tupleIJPdS6_EEENSE_IJSB_SB_EEENS0_18inequality_wrapperIN6hipcub16HIPCUB_304000_NS8EqualityEEEPlJS6_EEE10hipError_tPvRmT3_T4_T5_T6_T7_T9_mT8_P12ihipStream_tbDpT10_ENKUlT_T0_E_clISt17integral_constantIbLb1EES16_IbLb0EEEEDaS12_S13_EUlS12_E_NS1_11comp_targetILNS1_3genE0ELNS1_11target_archE4294967295ELNS1_3gpuE0ELNS1_3repE0EEENS1_30default_config_static_selectorELNS0_4arch9wavefront6targetE1EEEvT1_
	.globl	_ZN7rocprim17ROCPRIM_400000_NS6detail17trampoline_kernelINS0_14default_configENS1_25partition_config_selectorILNS1_17partition_subalgoE8EdNS0_10empty_typeEbEEZZNS1_14partition_implILS5_8ELb0ES3_jPKdPS6_PKS6_NS0_5tupleIJPdS6_EEENSE_IJSB_SB_EEENS0_18inequality_wrapperIN6hipcub16HIPCUB_304000_NS8EqualityEEEPlJS6_EEE10hipError_tPvRmT3_T4_T5_T6_T7_T9_mT8_P12ihipStream_tbDpT10_ENKUlT_T0_E_clISt17integral_constantIbLb1EES16_IbLb0EEEEDaS12_S13_EUlS12_E_NS1_11comp_targetILNS1_3genE0ELNS1_11target_archE4294967295ELNS1_3gpuE0ELNS1_3repE0EEENS1_30default_config_static_selectorELNS0_4arch9wavefront6targetE1EEEvT1_
	.p2align	8
	.type	_ZN7rocprim17ROCPRIM_400000_NS6detail17trampoline_kernelINS0_14default_configENS1_25partition_config_selectorILNS1_17partition_subalgoE8EdNS0_10empty_typeEbEEZZNS1_14partition_implILS5_8ELb0ES3_jPKdPS6_PKS6_NS0_5tupleIJPdS6_EEENSE_IJSB_SB_EEENS0_18inequality_wrapperIN6hipcub16HIPCUB_304000_NS8EqualityEEEPlJS6_EEE10hipError_tPvRmT3_T4_T5_T6_T7_T9_mT8_P12ihipStream_tbDpT10_ENKUlT_T0_E_clISt17integral_constantIbLb1EES16_IbLb0EEEEDaS12_S13_EUlS12_E_NS1_11comp_targetILNS1_3genE0ELNS1_11target_archE4294967295ELNS1_3gpuE0ELNS1_3repE0EEENS1_30default_config_static_selectorELNS0_4arch9wavefront6targetE1EEEvT1_,@function
_ZN7rocprim17ROCPRIM_400000_NS6detail17trampoline_kernelINS0_14default_configENS1_25partition_config_selectorILNS1_17partition_subalgoE8EdNS0_10empty_typeEbEEZZNS1_14partition_implILS5_8ELb0ES3_jPKdPS6_PKS6_NS0_5tupleIJPdS6_EEENSE_IJSB_SB_EEENS0_18inequality_wrapperIN6hipcub16HIPCUB_304000_NS8EqualityEEEPlJS6_EEE10hipError_tPvRmT3_T4_T5_T6_T7_T9_mT8_P12ihipStream_tbDpT10_ENKUlT_T0_E_clISt17integral_constantIbLb1EES16_IbLb0EEEEDaS12_S13_EUlS12_E_NS1_11comp_targetILNS1_3genE0ELNS1_11target_archE4294967295ELNS1_3gpuE0ELNS1_3repE0EEENS1_30default_config_static_selectorELNS0_4arch9wavefront6targetE1EEEvT1_: ; @_ZN7rocprim17ROCPRIM_400000_NS6detail17trampoline_kernelINS0_14default_configENS1_25partition_config_selectorILNS1_17partition_subalgoE8EdNS0_10empty_typeEbEEZZNS1_14partition_implILS5_8ELb0ES3_jPKdPS6_PKS6_NS0_5tupleIJPdS6_EEENSE_IJSB_SB_EEENS0_18inequality_wrapperIN6hipcub16HIPCUB_304000_NS8EqualityEEEPlJS6_EEE10hipError_tPvRmT3_T4_T5_T6_T7_T9_mT8_P12ihipStream_tbDpT10_ENKUlT_T0_E_clISt17integral_constantIbLb1EES16_IbLb0EEEEDaS12_S13_EUlS12_E_NS1_11comp_targetILNS1_3genE0ELNS1_11target_archE4294967295ELNS1_3gpuE0ELNS1_3repE0EEENS1_30default_config_static_selectorELNS0_4arch9wavefront6targetE1EEEvT1_
; %bb.0:
	.section	.rodata,"a",@progbits
	.p2align	6, 0x0
	.amdhsa_kernel _ZN7rocprim17ROCPRIM_400000_NS6detail17trampoline_kernelINS0_14default_configENS1_25partition_config_selectorILNS1_17partition_subalgoE8EdNS0_10empty_typeEbEEZZNS1_14partition_implILS5_8ELb0ES3_jPKdPS6_PKS6_NS0_5tupleIJPdS6_EEENSE_IJSB_SB_EEENS0_18inequality_wrapperIN6hipcub16HIPCUB_304000_NS8EqualityEEEPlJS6_EEE10hipError_tPvRmT3_T4_T5_T6_T7_T9_mT8_P12ihipStream_tbDpT10_ENKUlT_T0_E_clISt17integral_constantIbLb1EES16_IbLb0EEEEDaS12_S13_EUlS12_E_NS1_11comp_targetILNS1_3genE0ELNS1_11target_archE4294967295ELNS1_3gpuE0ELNS1_3repE0EEENS1_30default_config_static_selectorELNS0_4arch9wavefront6targetE1EEEvT1_
		.amdhsa_group_segment_fixed_size 0
		.amdhsa_private_segment_fixed_size 0
		.amdhsa_kernarg_size 112
		.amdhsa_user_sgpr_count 6
		.amdhsa_user_sgpr_private_segment_buffer 1
		.amdhsa_user_sgpr_dispatch_ptr 0
		.amdhsa_user_sgpr_queue_ptr 0
		.amdhsa_user_sgpr_kernarg_segment_ptr 1
		.amdhsa_user_sgpr_dispatch_id 0
		.amdhsa_user_sgpr_flat_scratch_init 0
		.amdhsa_user_sgpr_kernarg_preload_length 0
		.amdhsa_user_sgpr_kernarg_preload_offset 0
		.amdhsa_user_sgpr_private_segment_size 0
		.amdhsa_uses_dynamic_stack 0
		.amdhsa_system_sgpr_private_segment_wavefront_offset 0
		.amdhsa_system_sgpr_workgroup_id_x 1
		.amdhsa_system_sgpr_workgroup_id_y 0
		.amdhsa_system_sgpr_workgroup_id_z 0
		.amdhsa_system_sgpr_workgroup_info 0
		.amdhsa_system_vgpr_workitem_id 0
		.amdhsa_next_free_vgpr 1
		.amdhsa_next_free_sgpr 0
		.amdhsa_accum_offset 4
		.amdhsa_reserve_vcc 0
		.amdhsa_reserve_flat_scratch 0
		.amdhsa_float_round_mode_32 0
		.amdhsa_float_round_mode_16_64 0
		.amdhsa_float_denorm_mode_32 3
		.amdhsa_float_denorm_mode_16_64 3
		.amdhsa_dx10_clamp 1
		.amdhsa_ieee_mode 1
		.amdhsa_fp16_overflow 0
		.amdhsa_tg_split 0
		.amdhsa_exception_fp_ieee_invalid_op 0
		.amdhsa_exception_fp_denorm_src 0
		.amdhsa_exception_fp_ieee_div_zero 0
		.amdhsa_exception_fp_ieee_overflow 0
		.amdhsa_exception_fp_ieee_underflow 0
		.amdhsa_exception_fp_ieee_inexact 0
		.amdhsa_exception_int_div_zero 0
	.end_amdhsa_kernel
	.section	.text._ZN7rocprim17ROCPRIM_400000_NS6detail17trampoline_kernelINS0_14default_configENS1_25partition_config_selectorILNS1_17partition_subalgoE8EdNS0_10empty_typeEbEEZZNS1_14partition_implILS5_8ELb0ES3_jPKdPS6_PKS6_NS0_5tupleIJPdS6_EEENSE_IJSB_SB_EEENS0_18inequality_wrapperIN6hipcub16HIPCUB_304000_NS8EqualityEEEPlJS6_EEE10hipError_tPvRmT3_T4_T5_T6_T7_T9_mT8_P12ihipStream_tbDpT10_ENKUlT_T0_E_clISt17integral_constantIbLb1EES16_IbLb0EEEEDaS12_S13_EUlS12_E_NS1_11comp_targetILNS1_3genE0ELNS1_11target_archE4294967295ELNS1_3gpuE0ELNS1_3repE0EEENS1_30default_config_static_selectorELNS0_4arch9wavefront6targetE1EEEvT1_,"axG",@progbits,_ZN7rocprim17ROCPRIM_400000_NS6detail17trampoline_kernelINS0_14default_configENS1_25partition_config_selectorILNS1_17partition_subalgoE8EdNS0_10empty_typeEbEEZZNS1_14partition_implILS5_8ELb0ES3_jPKdPS6_PKS6_NS0_5tupleIJPdS6_EEENSE_IJSB_SB_EEENS0_18inequality_wrapperIN6hipcub16HIPCUB_304000_NS8EqualityEEEPlJS6_EEE10hipError_tPvRmT3_T4_T5_T6_T7_T9_mT8_P12ihipStream_tbDpT10_ENKUlT_T0_E_clISt17integral_constantIbLb1EES16_IbLb0EEEEDaS12_S13_EUlS12_E_NS1_11comp_targetILNS1_3genE0ELNS1_11target_archE4294967295ELNS1_3gpuE0ELNS1_3repE0EEENS1_30default_config_static_selectorELNS0_4arch9wavefront6targetE1EEEvT1_,comdat
.Lfunc_end288:
	.size	_ZN7rocprim17ROCPRIM_400000_NS6detail17trampoline_kernelINS0_14default_configENS1_25partition_config_selectorILNS1_17partition_subalgoE8EdNS0_10empty_typeEbEEZZNS1_14partition_implILS5_8ELb0ES3_jPKdPS6_PKS6_NS0_5tupleIJPdS6_EEENSE_IJSB_SB_EEENS0_18inequality_wrapperIN6hipcub16HIPCUB_304000_NS8EqualityEEEPlJS6_EEE10hipError_tPvRmT3_T4_T5_T6_T7_T9_mT8_P12ihipStream_tbDpT10_ENKUlT_T0_E_clISt17integral_constantIbLb1EES16_IbLb0EEEEDaS12_S13_EUlS12_E_NS1_11comp_targetILNS1_3genE0ELNS1_11target_archE4294967295ELNS1_3gpuE0ELNS1_3repE0EEENS1_30default_config_static_selectorELNS0_4arch9wavefront6targetE1EEEvT1_, .Lfunc_end288-_ZN7rocprim17ROCPRIM_400000_NS6detail17trampoline_kernelINS0_14default_configENS1_25partition_config_selectorILNS1_17partition_subalgoE8EdNS0_10empty_typeEbEEZZNS1_14partition_implILS5_8ELb0ES3_jPKdPS6_PKS6_NS0_5tupleIJPdS6_EEENSE_IJSB_SB_EEENS0_18inequality_wrapperIN6hipcub16HIPCUB_304000_NS8EqualityEEEPlJS6_EEE10hipError_tPvRmT3_T4_T5_T6_T7_T9_mT8_P12ihipStream_tbDpT10_ENKUlT_T0_E_clISt17integral_constantIbLb1EES16_IbLb0EEEEDaS12_S13_EUlS12_E_NS1_11comp_targetILNS1_3genE0ELNS1_11target_archE4294967295ELNS1_3gpuE0ELNS1_3repE0EEENS1_30default_config_static_selectorELNS0_4arch9wavefront6targetE1EEEvT1_
                                        ; -- End function
	.section	.AMDGPU.csdata,"",@progbits
; Kernel info:
; codeLenInByte = 0
; NumSgprs: 4
; NumVgprs: 0
; NumAgprs: 0
; TotalNumVgprs: 0
; ScratchSize: 0
; MemoryBound: 0
; FloatMode: 240
; IeeeMode: 1
; LDSByteSize: 0 bytes/workgroup (compile time only)
; SGPRBlocks: 0
; VGPRBlocks: 0
; NumSGPRsForWavesPerEU: 4
; NumVGPRsForWavesPerEU: 1
; AccumOffset: 4
; Occupancy: 8
; WaveLimiterHint : 0
; COMPUTE_PGM_RSRC2:SCRATCH_EN: 0
; COMPUTE_PGM_RSRC2:USER_SGPR: 6
; COMPUTE_PGM_RSRC2:TRAP_HANDLER: 0
; COMPUTE_PGM_RSRC2:TGID_X_EN: 1
; COMPUTE_PGM_RSRC2:TGID_Y_EN: 0
; COMPUTE_PGM_RSRC2:TGID_Z_EN: 0
; COMPUTE_PGM_RSRC2:TIDIG_COMP_CNT: 0
; COMPUTE_PGM_RSRC3_GFX90A:ACCUM_OFFSET: 0
; COMPUTE_PGM_RSRC3_GFX90A:TG_SPLIT: 0
	.section	.text._ZN7rocprim17ROCPRIM_400000_NS6detail17trampoline_kernelINS0_14default_configENS1_25partition_config_selectorILNS1_17partition_subalgoE8EdNS0_10empty_typeEbEEZZNS1_14partition_implILS5_8ELb0ES3_jPKdPS6_PKS6_NS0_5tupleIJPdS6_EEENSE_IJSB_SB_EEENS0_18inequality_wrapperIN6hipcub16HIPCUB_304000_NS8EqualityEEEPlJS6_EEE10hipError_tPvRmT3_T4_T5_T6_T7_T9_mT8_P12ihipStream_tbDpT10_ENKUlT_T0_E_clISt17integral_constantIbLb1EES16_IbLb0EEEEDaS12_S13_EUlS12_E_NS1_11comp_targetILNS1_3genE5ELNS1_11target_archE942ELNS1_3gpuE9ELNS1_3repE0EEENS1_30default_config_static_selectorELNS0_4arch9wavefront6targetE1EEEvT1_,"axG",@progbits,_ZN7rocprim17ROCPRIM_400000_NS6detail17trampoline_kernelINS0_14default_configENS1_25partition_config_selectorILNS1_17partition_subalgoE8EdNS0_10empty_typeEbEEZZNS1_14partition_implILS5_8ELb0ES3_jPKdPS6_PKS6_NS0_5tupleIJPdS6_EEENSE_IJSB_SB_EEENS0_18inequality_wrapperIN6hipcub16HIPCUB_304000_NS8EqualityEEEPlJS6_EEE10hipError_tPvRmT3_T4_T5_T6_T7_T9_mT8_P12ihipStream_tbDpT10_ENKUlT_T0_E_clISt17integral_constantIbLb1EES16_IbLb0EEEEDaS12_S13_EUlS12_E_NS1_11comp_targetILNS1_3genE5ELNS1_11target_archE942ELNS1_3gpuE9ELNS1_3repE0EEENS1_30default_config_static_selectorELNS0_4arch9wavefront6targetE1EEEvT1_,comdat
	.protected	_ZN7rocprim17ROCPRIM_400000_NS6detail17trampoline_kernelINS0_14default_configENS1_25partition_config_selectorILNS1_17partition_subalgoE8EdNS0_10empty_typeEbEEZZNS1_14partition_implILS5_8ELb0ES3_jPKdPS6_PKS6_NS0_5tupleIJPdS6_EEENSE_IJSB_SB_EEENS0_18inequality_wrapperIN6hipcub16HIPCUB_304000_NS8EqualityEEEPlJS6_EEE10hipError_tPvRmT3_T4_T5_T6_T7_T9_mT8_P12ihipStream_tbDpT10_ENKUlT_T0_E_clISt17integral_constantIbLb1EES16_IbLb0EEEEDaS12_S13_EUlS12_E_NS1_11comp_targetILNS1_3genE5ELNS1_11target_archE942ELNS1_3gpuE9ELNS1_3repE0EEENS1_30default_config_static_selectorELNS0_4arch9wavefront6targetE1EEEvT1_ ; -- Begin function _ZN7rocprim17ROCPRIM_400000_NS6detail17trampoline_kernelINS0_14default_configENS1_25partition_config_selectorILNS1_17partition_subalgoE8EdNS0_10empty_typeEbEEZZNS1_14partition_implILS5_8ELb0ES3_jPKdPS6_PKS6_NS0_5tupleIJPdS6_EEENSE_IJSB_SB_EEENS0_18inequality_wrapperIN6hipcub16HIPCUB_304000_NS8EqualityEEEPlJS6_EEE10hipError_tPvRmT3_T4_T5_T6_T7_T9_mT8_P12ihipStream_tbDpT10_ENKUlT_T0_E_clISt17integral_constantIbLb1EES16_IbLb0EEEEDaS12_S13_EUlS12_E_NS1_11comp_targetILNS1_3genE5ELNS1_11target_archE942ELNS1_3gpuE9ELNS1_3repE0EEENS1_30default_config_static_selectorELNS0_4arch9wavefront6targetE1EEEvT1_
	.globl	_ZN7rocprim17ROCPRIM_400000_NS6detail17trampoline_kernelINS0_14default_configENS1_25partition_config_selectorILNS1_17partition_subalgoE8EdNS0_10empty_typeEbEEZZNS1_14partition_implILS5_8ELb0ES3_jPKdPS6_PKS6_NS0_5tupleIJPdS6_EEENSE_IJSB_SB_EEENS0_18inequality_wrapperIN6hipcub16HIPCUB_304000_NS8EqualityEEEPlJS6_EEE10hipError_tPvRmT3_T4_T5_T6_T7_T9_mT8_P12ihipStream_tbDpT10_ENKUlT_T0_E_clISt17integral_constantIbLb1EES16_IbLb0EEEEDaS12_S13_EUlS12_E_NS1_11comp_targetILNS1_3genE5ELNS1_11target_archE942ELNS1_3gpuE9ELNS1_3repE0EEENS1_30default_config_static_selectorELNS0_4arch9wavefront6targetE1EEEvT1_
	.p2align	8
	.type	_ZN7rocprim17ROCPRIM_400000_NS6detail17trampoline_kernelINS0_14default_configENS1_25partition_config_selectorILNS1_17partition_subalgoE8EdNS0_10empty_typeEbEEZZNS1_14partition_implILS5_8ELb0ES3_jPKdPS6_PKS6_NS0_5tupleIJPdS6_EEENSE_IJSB_SB_EEENS0_18inequality_wrapperIN6hipcub16HIPCUB_304000_NS8EqualityEEEPlJS6_EEE10hipError_tPvRmT3_T4_T5_T6_T7_T9_mT8_P12ihipStream_tbDpT10_ENKUlT_T0_E_clISt17integral_constantIbLb1EES16_IbLb0EEEEDaS12_S13_EUlS12_E_NS1_11comp_targetILNS1_3genE5ELNS1_11target_archE942ELNS1_3gpuE9ELNS1_3repE0EEENS1_30default_config_static_selectorELNS0_4arch9wavefront6targetE1EEEvT1_,@function
_ZN7rocprim17ROCPRIM_400000_NS6detail17trampoline_kernelINS0_14default_configENS1_25partition_config_selectorILNS1_17partition_subalgoE8EdNS0_10empty_typeEbEEZZNS1_14partition_implILS5_8ELb0ES3_jPKdPS6_PKS6_NS0_5tupleIJPdS6_EEENSE_IJSB_SB_EEENS0_18inequality_wrapperIN6hipcub16HIPCUB_304000_NS8EqualityEEEPlJS6_EEE10hipError_tPvRmT3_T4_T5_T6_T7_T9_mT8_P12ihipStream_tbDpT10_ENKUlT_T0_E_clISt17integral_constantIbLb1EES16_IbLb0EEEEDaS12_S13_EUlS12_E_NS1_11comp_targetILNS1_3genE5ELNS1_11target_archE942ELNS1_3gpuE9ELNS1_3repE0EEENS1_30default_config_static_selectorELNS0_4arch9wavefront6targetE1EEEvT1_: ; @_ZN7rocprim17ROCPRIM_400000_NS6detail17trampoline_kernelINS0_14default_configENS1_25partition_config_selectorILNS1_17partition_subalgoE8EdNS0_10empty_typeEbEEZZNS1_14partition_implILS5_8ELb0ES3_jPKdPS6_PKS6_NS0_5tupleIJPdS6_EEENSE_IJSB_SB_EEENS0_18inequality_wrapperIN6hipcub16HIPCUB_304000_NS8EqualityEEEPlJS6_EEE10hipError_tPvRmT3_T4_T5_T6_T7_T9_mT8_P12ihipStream_tbDpT10_ENKUlT_T0_E_clISt17integral_constantIbLb1EES16_IbLb0EEEEDaS12_S13_EUlS12_E_NS1_11comp_targetILNS1_3genE5ELNS1_11target_archE942ELNS1_3gpuE9ELNS1_3repE0EEENS1_30default_config_static_selectorELNS0_4arch9wavefront6targetE1EEEvT1_
; %bb.0:
	.section	.rodata,"a",@progbits
	.p2align	6, 0x0
	.amdhsa_kernel _ZN7rocprim17ROCPRIM_400000_NS6detail17trampoline_kernelINS0_14default_configENS1_25partition_config_selectorILNS1_17partition_subalgoE8EdNS0_10empty_typeEbEEZZNS1_14partition_implILS5_8ELb0ES3_jPKdPS6_PKS6_NS0_5tupleIJPdS6_EEENSE_IJSB_SB_EEENS0_18inequality_wrapperIN6hipcub16HIPCUB_304000_NS8EqualityEEEPlJS6_EEE10hipError_tPvRmT3_T4_T5_T6_T7_T9_mT8_P12ihipStream_tbDpT10_ENKUlT_T0_E_clISt17integral_constantIbLb1EES16_IbLb0EEEEDaS12_S13_EUlS12_E_NS1_11comp_targetILNS1_3genE5ELNS1_11target_archE942ELNS1_3gpuE9ELNS1_3repE0EEENS1_30default_config_static_selectorELNS0_4arch9wavefront6targetE1EEEvT1_
		.amdhsa_group_segment_fixed_size 0
		.amdhsa_private_segment_fixed_size 0
		.amdhsa_kernarg_size 112
		.amdhsa_user_sgpr_count 6
		.amdhsa_user_sgpr_private_segment_buffer 1
		.amdhsa_user_sgpr_dispatch_ptr 0
		.amdhsa_user_sgpr_queue_ptr 0
		.amdhsa_user_sgpr_kernarg_segment_ptr 1
		.amdhsa_user_sgpr_dispatch_id 0
		.amdhsa_user_sgpr_flat_scratch_init 0
		.amdhsa_user_sgpr_kernarg_preload_length 0
		.amdhsa_user_sgpr_kernarg_preload_offset 0
		.amdhsa_user_sgpr_private_segment_size 0
		.amdhsa_uses_dynamic_stack 0
		.amdhsa_system_sgpr_private_segment_wavefront_offset 0
		.amdhsa_system_sgpr_workgroup_id_x 1
		.amdhsa_system_sgpr_workgroup_id_y 0
		.amdhsa_system_sgpr_workgroup_id_z 0
		.amdhsa_system_sgpr_workgroup_info 0
		.amdhsa_system_vgpr_workitem_id 0
		.amdhsa_next_free_vgpr 1
		.amdhsa_next_free_sgpr 0
		.amdhsa_accum_offset 4
		.amdhsa_reserve_vcc 0
		.amdhsa_reserve_flat_scratch 0
		.amdhsa_float_round_mode_32 0
		.amdhsa_float_round_mode_16_64 0
		.amdhsa_float_denorm_mode_32 3
		.amdhsa_float_denorm_mode_16_64 3
		.amdhsa_dx10_clamp 1
		.amdhsa_ieee_mode 1
		.amdhsa_fp16_overflow 0
		.amdhsa_tg_split 0
		.amdhsa_exception_fp_ieee_invalid_op 0
		.amdhsa_exception_fp_denorm_src 0
		.amdhsa_exception_fp_ieee_div_zero 0
		.amdhsa_exception_fp_ieee_overflow 0
		.amdhsa_exception_fp_ieee_underflow 0
		.amdhsa_exception_fp_ieee_inexact 0
		.amdhsa_exception_int_div_zero 0
	.end_amdhsa_kernel
	.section	.text._ZN7rocprim17ROCPRIM_400000_NS6detail17trampoline_kernelINS0_14default_configENS1_25partition_config_selectorILNS1_17partition_subalgoE8EdNS0_10empty_typeEbEEZZNS1_14partition_implILS5_8ELb0ES3_jPKdPS6_PKS6_NS0_5tupleIJPdS6_EEENSE_IJSB_SB_EEENS0_18inequality_wrapperIN6hipcub16HIPCUB_304000_NS8EqualityEEEPlJS6_EEE10hipError_tPvRmT3_T4_T5_T6_T7_T9_mT8_P12ihipStream_tbDpT10_ENKUlT_T0_E_clISt17integral_constantIbLb1EES16_IbLb0EEEEDaS12_S13_EUlS12_E_NS1_11comp_targetILNS1_3genE5ELNS1_11target_archE942ELNS1_3gpuE9ELNS1_3repE0EEENS1_30default_config_static_selectorELNS0_4arch9wavefront6targetE1EEEvT1_,"axG",@progbits,_ZN7rocprim17ROCPRIM_400000_NS6detail17trampoline_kernelINS0_14default_configENS1_25partition_config_selectorILNS1_17partition_subalgoE8EdNS0_10empty_typeEbEEZZNS1_14partition_implILS5_8ELb0ES3_jPKdPS6_PKS6_NS0_5tupleIJPdS6_EEENSE_IJSB_SB_EEENS0_18inequality_wrapperIN6hipcub16HIPCUB_304000_NS8EqualityEEEPlJS6_EEE10hipError_tPvRmT3_T4_T5_T6_T7_T9_mT8_P12ihipStream_tbDpT10_ENKUlT_T0_E_clISt17integral_constantIbLb1EES16_IbLb0EEEEDaS12_S13_EUlS12_E_NS1_11comp_targetILNS1_3genE5ELNS1_11target_archE942ELNS1_3gpuE9ELNS1_3repE0EEENS1_30default_config_static_selectorELNS0_4arch9wavefront6targetE1EEEvT1_,comdat
.Lfunc_end289:
	.size	_ZN7rocprim17ROCPRIM_400000_NS6detail17trampoline_kernelINS0_14default_configENS1_25partition_config_selectorILNS1_17partition_subalgoE8EdNS0_10empty_typeEbEEZZNS1_14partition_implILS5_8ELb0ES3_jPKdPS6_PKS6_NS0_5tupleIJPdS6_EEENSE_IJSB_SB_EEENS0_18inequality_wrapperIN6hipcub16HIPCUB_304000_NS8EqualityEEEPlJS6_EEE10hipError_tPvRmT3_T4_T5_T6_T7_T9_mT8_P12ihipStream_tbDpT10_ENKUlT_T0_E_clISt17integral_constantIbLb1EES16_IbLb0EEEEDaS12_S13_EUlS12_E_NS1_11comp_targetILNS1_3genE5ELNS1_11target_archE942ELNS1_3gpuE9ELNS1_3repE0EEENS1_30default_config_static_selectorELNS0_4arch9wavefront6targetE1EEEvT1_, .Lfunc_end289-_ZN7rocprim17ROCPRIM_400000_NS6detail17trampoline_kernelINS0_14default_configENS1_25partition_config_selectorILNS1_17partition_subalgoE8EdNS0_10empty_typeEbEEZZNS1_14partition_implILS5_8ELb0ES3_jPKdPS6_PKS6_NS0_5tupleIJPdS6_EEENSE_IJSB_SB_EEENS0_18inequality_wrapperIN6hipcub16HIPCUB_304000_NS8EqualityEEEPlJS6_EEE10hipError_tPvRmT3_T4_T5_T6_T7_T9_mT8_P12ihipStream_tbDpT10_ENKUlT_T0_E_clISt17integral_constantIbLb1EES16_IbLb0EEEEDaS12_S13_EUlS12_E_NS1_11comp_targetILNS1_3genE5ELNS1_11target_archE942ELNS1_3gpuE9ELNS1_3repE0EEENS1_30default_config_static_selectorELNS0_4arch9wavefront6targetE1EEEvT1_
                                        ; -- End function
	.section	.AMDGPU.csdata,"",@progbits
; Kernel info:
; codeLenInByte = 0
; NumSgprs: 4
; NumVgprs: 0
; NumAgprs: 0
; TotalNumVgprs: 0
; ScratchSize: 0
; MemoryBound: 0
; FloatMode: 240
; IeeeMode: 1
; LDSByteSize: 0 bytes/workgroup (compile time only)
; SGPRBlocks: 0
; VGPRBlocks: 0
; NumSGPRsForWavesPerEU: 4
; NumVGPRsForWavesPerEU: 1
; AccumOffset: 4
; Occupancy: 8
; WaveLimiterHint : 0
; COMPUTE_PGM_RSRC2:SCRATCH_EN: 0
; COMPUTE_PGM_RSRC2:USER_SGPR: 6
; COMPUTE_PGM_RSRC2:TRAP_HANDLER: 0
; COMPUTE_PGM_RSRC2:TGID_X_EN: 1
; COMPUTE_PGM_RSRC2:TGID_Y_EN: 0
; COMPUTE_PGM_RSRC2:TGID_Z_EN: 0
; COMPUTE_PGM_RSRC2:TIDIG_COMP_CNT: 0
; COMPUTE_PGM_RSRC3_GFX90A:ACCUM_OFFSET: 0
; COMPUTE_PGM_RSRC3_GFX90A:TG_SPLIT: 0
	.section	.text._ZN7rocprim17ROCPRIM_400000_NS6detail17trampoline_kernelINS0_14default_configENS1_25partition_config_selectorILNS1_17partition_subalgoE8EdNS0_10empty_typeEbEEZZNS1_14partition_implILS5_8ELb0ES3_jPKdPS6_PKS6_NS0_5tupleIJPdS6_EEENSE_IJSB_SB_EEENS0_18inequality_wrapperIN6hipcub16HIPCUB_304000_NS8EqualityEEEPlJS6_EEE10hipError_tPvRmT3_T4_T5_T6_T7_T9_mT8_P12ihipStream_tbDpT10_ENKUlT_T0_E_clISt17integral_constantIbLb1EES16_IbLb0EEEEDaS12_S13_EUlS12_E_NS1_11comp_targetILNS1_3genE4ELNS1_11target_archE910ELNS1_3gpuE8ELNS1_3repE0EEENS1_30default_config_static_selectorELNS0_4arch9wavefront6targetE1EEEvT1_,"axG",@progbits,_ZN7rocprim17ROCPRIM_400000_NS6detail17trampoline_kernelINS0_14default_configENS1_25partition_config_selectorILNS1_17partition_subalgoE8EdNS0_10empty_typeEbEEZZNS1_14partition_implILS5_8ELb0ES3_jPKdPS6_PKS6_NS0_5tupleIJPdS6_EEENSE_IJSB_SB_EEENS0_18inequality_wrapperIN6hipcub16HIPCUB_304000_NS8EqualityEEEPlJS6_EEE10hipError_tPvRmT3_T4_T5_T6_T7_T9_mT8_P12ihipStream_tbDpT10_ENKUlT_T0_E_clISt17integral_constantIbLb1EES16_IbLb0EEEEDaS12_S13_EUlS12_E_NS1_11comp_targetILNS1_3genE4ELNS1_11target_archE910ELNS1_3gpuE8ELNS1_3repE0EEENS1_30default_config_static_selectorELNS0_4arch9wavefront6targetE1EEEvT1_,comdat
	.protected	_ZN7rocprim17ROCPRIM_400000_NS6detail17trampoline_kernelINS0_14default_configENS1_25partition_config_selectorILNS1_17partition_subalgoE8EdNS0_10empty_typeEbEEZZNS1_14partition_implILS5_8ELb0ES3_jPKdPS6_PKS6_NS0_5tupleIJPdS6_EEENSE_IJSB_SB_EEENS0_18inequality_wrapperIN6hipcub16HIPCUB_304000_NS8EqualityEEEPlJS6_EEE10hipError_tPvRmT3_T4_T5_T6_T7_T9_mT8_P12ihipStream_tbDpT10_ENKUlT_T0_E_clISt17integral_constantIbLb1EES16_IbLb0EEEEDaS12_S13_EUlS12_E_NS1_11comp_targetILNS1_3genE4ELNS1_11target_archE910ELNS1_3gpuE8ELNS1_3repE0EEENS1_30default_config_static_selectorELNS0_4arch9wavefront6targetE1EEEvT1_ ; -- Begin function _ZN7rocprim17ROCPRIM_400000_NS6detail17trampoline_kernelINS0_14default_configENS1_25partition_config_selectorILNS1_17partition_subalgoE8EdNS0_10empty_typeEbEEZZNS1_14partition_implILS5_8ELb0ES3_jPKdPS6_PKS6_NS0_5tupleIJPdS6_EEENSE_IJSB_SB_EEENS0_18inequality_wrapperIN6hipcub16HIPCUB_304000_NS8EqualityEEEPlJS6_EEE10hipError_tPvRmT3_T4_T5_T6_T7_T9_mT8_P12ihipStream_tbDpT10_ENKUlT_T0_E_clISt17integral_constantIbLb1EES16_IbLb0EEEEDaS12_S13_EUlS12_E_NS1_11comp_targetILNS1_3genE4ELNS1_11target_archE910ELNS1_3gpuE8ELNS1_3repE0EEENS1_30default_config_static_selectorELNS0_4arch9wavefront6targetE1EEEvT1_
	.globl	_ZN7rocprim17ROCPRIM_400000_NS6detail17trampoline_kernelINS0_14default_configENS1_25partition_config_selectorILNS1_17partition_subalgoE8EdNS0_10empty_typeEbEEZZNS1_14partition_implILS5_8ELb0ES3_jPKdPS6_PKS6_NS0_5tupleIJPdS6_EEENSE_IJSB_SB_EEENS0_18inequality_wrapperIN6hipcub16HIPCUB_304000_NS8EqualityEEEPlJS6_EEE10hipError_tPvRmT3_T4_T5_T6_T7_T9_mT8_P12ihipStream_tbDpT10_ENKUlT_T0_E_clISt17integral_constantIbLb1EES16_IbLb0EEEEDaS12_S13_EUlS12_E_NS1_11comp_targetILNS1_3genE4ELNS1_11target_archE910ELNS1_3gpuE8ELNS1_3repE0EEENS1_30default_config_static_selectorELNS0_4arch9wavefront6targetE1EEEvT1_
	.p2align	8
	.type	_ZN7rocprim17ROCPRIM_400000_NS6detail17trampoline_kernelINS0_14default_configENS1_25partition_config_selectorILNS1_17partition_subalgoE8EdNS0_10empty_typeEbEEZZNS1_14partition_implILS5_8ELb0ES3_jPKdPS6_PKS6_NS0_5tupleIJPdS6_EEENSE_IJSB_SB_EEENS0_18inequality_wrapperIN6hipcub16HIPCUB_304000_NS8EqualityEEEPlJS6_EEE10hipError_tPvRmT3_T4_T5_T6_T7_T9_mT8_P12ihipStream_tbDpT10_ENKUlT_T0_E_clISt17integral_constantIbLb1EES16_IbLb0EEEEDaS12_S13_EUlS12_E_NS1_11comp_targetILNS1_3genE4ELNS1_11target_archE910ELNS1_3gpuE8ELNS1_3repE0EEENS1_30default_config_static_selectorELNS0_4arch9wavefront6targetE1EEEvT1_,@function
_ZN7rocprim17ROCPRIM_400000_NS6detail17trampoline_kernelINS0_14default_configENS1_25partition_config_selectorILNS1_17partition_subalgoE8EdNS0_10empty_typeEbEEZZNS1_14partition_implILS5_8ELb0ES3_jPKdPS6_PKS6_NS0_5tupleIJPdS6_EEENSE_IJSB_SB_EEENS0_18inequality_wrapperIN6hipcub16HIPCUB_304000_NS8EqualityEEEPlJS6_EEE10hipError_tPvRmT3_T4_T5_T6_T7_T9_mT8_P12ihipStream_tbDpT10_ENKUlT_T0_E_clISt17integral_constantIbLb1EES16_IbLb0EEEEDaS12_S13_EUlS12_E_NS1_11comp_targetILNS1_3genE4ELNS1_11target_archE910ELNS1_3gpuE8ELNS1_3repE0EEENS1_30default_config_static_selectorELNS0_4arch9wavefront6targetE1EEEvT1_: ; @_ZN7rocprim17ROCPRIM_400000_NS6detail17trampoline_kernelINS0_14default_configENS1_25partition_config_selectorILNS1_17partition_subalgoE8EdNS0_10empty_typeEbEEZZNS1_14partition_implILS5_8ELb0ES3_jPKdPS6_PKS6_NS0_5tupleIJPdS6_EEENSE_IJSB_SB_EEENS0_18inequality_wrapperIN6hipcub16HIPCUB_304000_NS8EqualityEEEPlJS6_EEE10hipError_tPvRmT3_T4_T5_T6_T7_T9_mT8_P12ihipStream_tbDpT10_ENKUlT_T0_E_clISt17integral_constantIbLb1EES16_IbLb0EEEEDaS12_S13_EUlS12_E_NS1_11comp_targetILNS1_3genE4ELNS1_11target_archE910ELNS1_3gpuE8ELNS1_3repE0EEENS1_30default_config_static_selectorELNS0_4arch9wavefront6targetE1EEEvT1_
; %bb.0:
	s_load_dwordx2 s[8:9], s[4:5], 0x50
	s_load_dwordx4 s[0:3], s[4:5], 0x8
	s_load_dwordx4 s[20:23], s[4:5], 0x40
	s_load_dword s7, s[4:5], 0x68
	s_waitcnt lgkmcnt(0)
	v_mov_b32_e32 v3, s9
	s_lshl_b64 s[10:11], s[2:3], 3
	s_add_u32 s10, s0, s10
	s_mul_i32 s9, s7, 0x500
	s_addc_u32 s11, s1, s11
	s_add_i32 s1, s9, s2
	s_add_i32 s12, s7, -1
	s_sub_i32 s7, s8, s1
	v_mov_b32_e32 v2, s8
	s_add_u32 s8, s2, s9
	s_addc_u32 s9, s3, 0
	s_cmp_eq_u32 s6, s12
	s_load_dwordx2 s[22:23], s[22:23], 0x0
	v_cmp_ge_u64_e32 vcc, s[8:9], v[2:3]
	s_cselect_b64 s[24:25], -1, 0
	s_mul_i32 s0, s6, 0x500
	s_mov_b32 s1, 0
	s_and_b64 s[12:13], s[24:25], vcc
	s_xor_b64 s[26:27], s[12:13], -1
	s_lshl_b64 s[0:1], s[0:1], 3
	s_add_u32 s0, s10, s0
	s_mov_b64 s[8:9], -1
	s_addc_u32 s1, s11, s1
	s_and_b64 vcc, exec, s[26:27]
	s_cbranch_vccz .LBB290_2
; %bb.1:
	v_lshlrev_b32_e32 v1, 3, v0
	v_mov_b32_e32 v2, s1
	v_add_co_u32_e32 v12, vcc, s0, v1
	v_addc_co_u32_e32 v13, vcc, 0, v2, vcc
	v_add_co_u32_e32 v2, vcc, 0x1000, v12
	v_addc_co_u32_e32 v3, vcc, 0, v13, vcc
	global_load_dwordx2 v[4:5], v1, s[0:1]
	global_load_dwordx2 v[6:7], v1, s[0:1] offset:2048
	global_load_dwordx2 v[8:9], v[2:3], off
	global_load_dwordx2 v[10:11], v[2:3], off offset:2048
	v_add_co_u32_e32 v2, vcc, 0x2000, v12
	v_addc_co_u32_e32 v3, vcc, 0, v13, vcc
	global_load_dwordx2 v[2:3], v[2:3], off
	s_mov_b64 s[8:9], 0
	s_waitcnt vmcnt(3)
	ds_write2st64_b64 v1, v[4:5], v[6:7] offset1:4
	s_waitcnt vmcnt(1)
	ds_write2st64_b64 v1, v[8:9], v[10:11] offset0:8 offset1:12
	s_waitcnt vmcnt(0)
	ds_write_b64 v1, v[2:3] offset:8192
	s_waitcnt lgkmcnt(0)
	s_barrier
.LBB290_2:
	s_andn2_b64 vcc, exec, s[8:9]
	s_addk_i32 s7, 0x500
	s_cbranch_vccnz .LBB290_14
; %bb.3:
	v_cmp_gt_u32_e32 vcc, s7, v0
                                        ; implicit-def: $vgpr2_vgpr3_vgpr4_vgpr5_vgpr6_vgpr7_vgpr8_vgpr9_vgpr10_vgpr11_vgpr12_vgpr13_vgpr14_vgpr15_vgpr16_vgpr17
	s_and_saveexec_b64 s[8:9], vcc
	s_cbranch_execz .LBB290_5
; %bb.4:
	v_lshlrev_b32_e32 v1, 3, v0
	global_load_dwordx2 v[2:3], v1, s[0:1]
.LBB290_5:
	s_or_b64 exec, exec, s[8:9]
	v_or_b32_e32 v1, 0x100, v0
	v_cmp_gt_u32_e32 vcc, s7, v1
	s_and_saveexec_b64 s[8:9], vcc
	s_cbranch_execz .LBB290_7
; %bb.6:
	v_lshlrev_b32_e32 v1, 3, v0
	global_load_dwordx2 v[4:5], v1, s[0:1] offset:2048
.LBB290_7:
	s_or_b64 exec, exec, s[8:9]
	v_or_b32_e32 v1, 0x200, v0
	v_cmp_gt_u32_e32 vcc, s7, v1
	s_and_saveexec_b64 s[8:9], vcc
	s_cbranch_execz .LBB290_9
; %bb.8:
	v_lshlrev_b32_e32 v1, 3, v1
	global_load_dwordx2 v[6:7], v1, s[0:1]
.LBB290_9:
	s_or_b64 exec, exec, s[8:9]
	v_or_b32_e32 v1, 0x300, v0
	v_cmp_gt_u32_e32 vcc, s7, v1
	s_and_saveexec_b64 s[8:9], vcc
	s_cbranch_execz .LBB290_11
; %bb.10:
	v_lshlrev_b32_e32 v1, 3, v1
	global_load_dwordx2 v[8:9], v1, s[0:1]
.LBB290_11:
	;; [unrolled: 9-line block ×3, first 2 shown]
	s_or_b64 exec, exec, s[8:9]
	v_lshlrev_b32_e32 v1, 3, v0
	s_waitcnt vmcnt(0)
	ds_write2st64_b64 v1, v[2:3], v[4:5] offset1:4
	ds_write2st64_b64 v1, v[6:7], v[8:9] offset0:8 offset1:12
	ds_write_b64 v1, v[10:11] offset:8192
	s_waitcnt lgkmcnt(0)
	s_barrier
.LBB290_14:
	v_mul_u32_u24_e32 v16, 5, v0
	v_lshlrev_b32_e32 v1, 3, v16
	s_waitcnt lgkmcnt(0)
	ds_read2_b64 v[6:9], v1 offset1:1
	ds_read2_b64 v[2:5], v1 offset0:2 offset1:3
	ds_read_b64 v[10:11], v1 offset:32
	s_cmp_lg_u32 s6, 0
	s_cselect_b64 s[16:17], -1, 0
	s_cmp_lg_u64 s[2:3], 0
	s_cselect_b64 s[2:3], -1, 0
	s_or_b64 s[2:3], s[16:17], s[2:3]
	v_mad_u32_u24 v19, v0, 5, 1
	v_mad_u32_u24 v17, v0, 5, 2
	;; [unrolled: 1-line block ×4, first 2 shown]
	s_mov_b64 s[14:15], 0
	s_and_b64 vcc, exec, s[2:3]
	s_waitcnt lgkmcnt(0)
	s_barrier
	s_cbranch_vccz .LBB290_19
; %bb.15:
	s_add_u32 s0, s0, -8
	s_addc_u32 s1, s1, -1
	s_load_dwordx2 s[2:3], s[0:1], 0x0
	v_lshlrev_b32_e32 v12, 3, v0
	s_and_b64 vcc, exec, s[26:27]
	ds_write_b64 v12, v[10:11]
	s_cbranch_vccz .LBB290_20
; %bb.16:
	v_cmp_ne_u32_e32 vcc, 0, v0
	s_waitcnt lgkmcnt(0)
	v_pk_mov_b32 v[14:15], s[2:3], s[2:3] op_sel:[0,1]
	s_barrier
	s_and_saveexec_b64 s[0:1], vcc
	s_cbranch_execz .LBB290_18
; %bb.17:
	v_add_u32_e32 v13, -8, v12
	ds_read_b64 v[14:15], v13
.LBB290_18:
	s_or_b64 exec, exec, s[0:1]
	v_cmp_neq_f64_e32 vcc, v[4:5], v[10:11]
	v_cndmask_b32_e64 v13, 0, 1, vcc
	v_cmp_neq_f64_e32 vcc, v[2:3], v[4:5]
	v_cndmask_b32_e64 v21, 0, 1, vcc
	;; [unrolled: 2-line block ×4, first 2 shown]
	s_waitcnt lgkmcnt(0)
	v_cmp_neq_f64_e64 s[0:1], v[14:15], v[6:7]
	v_lshlrev_b16_e32 v14, 8, v21
	v_or_b32_sdwa v14, v22, v14 dst_sel:WORD_1 dst_unused:UNUSED_PAD src0_sel:DWORD src1_sel:DWORD
	v_lshlrev_b16_e32 v15, 8, v23
	v_or_b32_e32 v14, v15, v14
	s_branch .LBB290_24
.LBB290_19:
                                        ; implicit-def: $sgpr0_sgpr1
                                        ; implicit-def: $vgpr13
                                        ; implicit-def: $vgpr14
	s_branch .LBB290_25
.LBB290_20:
                                        ; implicit-def: $sgpr0_sgpr1
                                        ; implicit-def: $vgpr13
                                        ; implicit-def: $vgpr14
	s_cbranch_execz .LBB290_24
; %bb.21:
	v_cmp_ne_u32_e32 vcc, 0, v0
	s_waitcnt lgkmcnt(0)
	v_pk_mov_b32 v[14:15], s[2:3], s[2:3] op_sel:[0,1]
	s_barrier
	s_and_saveexec_b64 s[0:1], vcc
	s_cbranch_execz .LBB290_23
; %bb.22:
	v_add_u32_e32 v12, -8, v12
	ds_read_b64 v[14:15], v12
.LBB290_23:
	s_or_b64 exec, exec, s[0:1]
	v_cmp_gt_u32_e32 vcc, s7, v18
	v_cmp_neq_f64_e64 s[0:1], v[4:5], v[10:11]
	s_and_b64 s[0:1], vcc, s[0:1]
	v_cndmask_b32_e64 v13, 0, 1, s[0:1]
	v_cmp_gt_u32_e32 vcc, s7, v20
	v_cmp_neq_f64_e64 s[0:1], v[2:3], v[4:5]
	s_and_b64 s[0:1], vcc, s[0:1]
	v_cndmask_b32_e64 v12, 0, 1, s[0:1]
	;; [unrolled: 4-line block ×4, first 2 shown]
	v_lshlrev_b16_e32 v12, 8, v12
	v_cmp_gt_u32_e32 vcc, s7, v16
	s_waitcnt lgkmcnt(0)
	v_cmp_neq_f64_e64 s[0:1], v[14:15], v[6:7]
	v_or_b32_sdwa v12, v21, v12 dst_sel:WORD_1 dst_unused:UNUSED_PAD src0_sel:DWORD src1_sel:DWORD
	v_lshlrev_b16_e32 v14, 8, v22
	s_and_b64 s[0:1], vcc, s[0:1]
	v_or_b32_e32 v14, v14, v12
.LBB290_24:
	s_waitcnt lgkmcnt(0)
	s_mov_b64 s[14:15], -1
	s_cbranch_execnz .LBB290_33
.LBB290_25:
	v_lshlrev_b32_e32 v12, 5, v0
	v_sub_u32_e32 v15, v1, v12
	s_and_b64 vcc, exec, s[26:27]
	v_cmp_neq_f64_e64 s[0:1], v[4:5], v[10:11]
	v_cmp_neq_f64_e64 s[2:3], v[2:3], v[4:5]
	;; [unrolled: 1-line block ×4, first 2 shown]
	ds_write_b64 v15, v[10:11]
	s_cbranch_vccz .LBB290_29
; %bb.26:
	v_cndmask_b32_e64 v12, 0, 1, s[2:3]
	v_cndmask_b32_e64 v13, 0, 1, s[10:11]
	;; [unrolled: 1-line block ×3, first 2 shown]
	v_lshlrev_b16_e32 v12, 8, v12
	v_or_b32_sdwa v12, v13, v12 dst_sel:WORD_1 dst_unused:UNUSED_PAD src0_sel:DWORD src1_sel:DWORD
	v_lshlrev_b16_e32 v13, 8, v14
	v_or_b32_e32 v13, 1, v13
	v_or_b32_sdwa v12, v13, v12 dst_sel:DWORD dst_unused:UNUSED_PAD src0_sel:WORD_0 src1_sel:DWORD
	v_cndmask_b32_e64 v13, 0, 1, s[0:1]
	v_cmp_ne_u32_e32 vcc, 0, v0
	s_waitcnt lgkmcnt(0)
	s_barrier
	s_waitcnt lgkmcnt(0)
                                        ; implicit-def: $sgpr0_sgpr1
                                        ; implicit-def: $vgpr14
	s_and_saveexec_b64 s[2:3], vcc
	s_xor_b64 s[2:3], exec, s[2:3]
	s_cbranch_execz .LBB290_28
; %bb.27:
	v_add_u32_e32 v14, -8, v15
	ds_read_b64 v[22:23], v14
	s_mov_b32 s0, 0x3020104
	v_perm_b32 v14, v12, v12, s0
	s_or_b64 s[14:15], s[14:15], exec
	s_waitcnt lgkmcnt(0)
	v_cmp_neq_f64_e32 vcc, v[22:23], v[6:7]
	s_and_b64 s[0:1], vcc, exec
.LBB290_28:
	s_or_b64 exec, exec, s[2:3]
	s_branch .LBB290_33
.LBB290_29:
                                        ; implicit-def: $sgpr0_sgpr1
                                        ; implicit-def: $vgpr13
                                        ; implicit-def: $vgpr14
	s_cbranch_execz .LBB290_33
; %bb.30:
	v_cmp_gt_u32_e64 s[2:3], s7, v20
	v_cmp_neq_f64_e64 s[8:9], v[2:3], v[4:5]
	s_and_b64 s[2:3], s[2:3], s[8:9]
	v_cndmask_b32_e64 v12, 0, 1, s[2:3]
	v_cmp_gt_u32_e64 s[2:3], s7, v17
	v_cmp_neq_f64_e64 s[8:9], v[8:9], v[2:3]
	s_and_b64 s[2:3], s[2:3], s[8:9]
	v_cndmask_b32_e64 v13, 0, 1, s[2:3]
	;; [unrolled: 4-line block ×3, first 2 shown]
	v_lshlrev_b16_e32 v12, 8, v12
	v_cmp_gt_u32_e32 vcc, s7, v18
	v_cmp_neq_f64_e64 s[0:1], v[4:5], v[10:11]
	v_or_b32_sdwa v12, v13, v12 dst_sel:WORD_1 dst_unused:UNUSED_PAD src0_sel:DWORD src1_sel:DWORD
	v_lshlrev_b16_e32 v13, 8, v14
	v_or_b32_e32 v13, 1, v13
	s_and_b64 s[0:1], vcc, s[0:1]
	v_or_b32_sdwa v12, v13, v12 dst_sel:DWORD dst_unused:UNUSED_PAD src0_sel:WORD_0 src1_sel:DWORD
	v_cndmask_b32_e64 v13, 0, 1, s[0:1]
	v_cmp_ne_u32_e32 vcc, 0, v0
	s_waitcnt lgkmcnt(0)
	s_barrier
	s_waitcnt lgkmcnt(0)
                                        ; implicit-def: $sgpr0_sgpr1
                                        ; implicit-def: $vgpr14
	s_and_saveexec_b64 s[2:3], vcc
	s_cbranch_execz .LBB290_32
; %bb.31:
	v_add_u32_e32 v14, -8, v15
	ds_read_b64 v[22:23], v14
	s_mov_b32 s0, 0x3020104
	v_cmp_gt_u32_e32 vcc, s7, v16
	v_perm_b32 v14, v12, v12, s0
	s_or_b64 s[14:15], s[14:15], exec
	s_waitcnt lgkmcnt(0)
	v_cmp_neq_f64_e64 s[0:1], v[22:23], v[6:7]
	s_and_b64 s[0:1], vcc, s[0:1]
	s_and_b64 s[0:1], s[0:1], exec
.LBB290_32:
	s_or_b64 exec, exec, s[2:3]
.LBB290_33:
	s_and_saveexec_b64 s[2:3], s[14:15]
	s_cbranch_execz .LBB290_35
; %bb.34:
	v_cndmask_b32_e64 v12, 0, 1, s[0:1]
	v_lshrrev_b32_e32 v15, 24, v14
	s_movk_i32 s0, 0xff
	v_lshlrev_b16_e32 v15, 8, v15
	v_and_b32_sdwa v21, v14, s0 dst_sel:DWORD dst_unused:UNUSED_PAD src0_sel:WORD_1 src1_sel:DWORD
	v_or_b32_sdwa v15, v21, v15 dst_sel:WORD_1 dst_unused:UNUSED_PAD src0_sel:DWORD src1_sel:DWORD
	v_mov_b32_e32 v21, 8
	v_lshrrev_b32_sdwa v14, v21, v14 dst_sel:BYTE_1 dst_unused:UNUSED_PAD src0_sel:DWORD src1_sel:DWORD
	v_or_b32_e32 v12, v12, v14
	s_mov_b32 s0, 0xffff
	v_or_b32_sdwa v12, v12, v15 dst_sel:DWORD dst_unused:UNUSED_PAD src0_sel:WORD_0 src1_sel:DWORD
	v_and_b32_sdwa v13, s0, v13 dst_sel:DWORD dst_unused:UNUSED_PAD src0_sel:DWORD src1_sel:BYTE_0
.LBB290_35:
	s_or_b64 exec, exec, s[2:3]
	s_load_dwordx2 s[28:29], s[4:5], 0x60
	s_andn2_b64 vcc, exec, s[12:13]
	s_cbranch_vccnz .LBB290_37
; %bb.36:
	v_cmp_gt_u32_e32 vcc, s7, v16
	v_cndmask_b32_e32 v14, 0, v12, vcc
	v_and_b32_e32 v14, 0xffff00ff, v14
	v_cmp_gt_u32_e64 s[0:1], s7, v19
	v_cndmask_b32_e64 v14, v14, v12, s[0:1]
	v_lshrrev_b32_e32 v15, 24, v14
	s_mov_b32 s2, 0x40c0100
	v_perm_b32 v14, v15, v14, s2
	v_cmp_gt_u32_e64 s[2:3], s7, v17
	v_cmp_gt_u32_e64 s[8:9], s7, v20
	v_cndmask_b32_e64 v14, v14, v12, s[2:3]
	s_or_b64 s[2:3], s[8:9], s[2:3]
	s_or_b64 s[0:1], s[2:3], s[0:1]
	s_or_b64 vcc, s[0:1], vcc
	v_and_b32_e32 v14, 0xffffff, v14
	v_cndmask_b32_e32 v15, 0, v13, vcc
	v_cndmask_b32_e64 v14, v14, v12, s[8:9]
	v_and_b32_e32 v15, 0xffffff00, v15
	v_cmp_gt_u32_e32 vcc, s7, v18
	v_cndmask_b32_e32 v12, v14, v12, vcc
	v_cndmask_b32_e32 v13, v15, v13, vcc
	s_mov_b32 s0, 0x3020104
	v_and_b32_e32 v13, 0xff, v13
	v_perm_b32 v12, v12, v12, s0
.LBB290_37:
	v_and_b32_e32 v25, 0xff, v12
	v_bfe_u32 v27, v12, 8, 8
	v_bfe_u32 v28, v12, 16, 8
	v_alignbit_b32 v14, v13, v12, 24
	v_and_b32_e32 v29, 0xff, v14
	v_and_b32_e32 v14, 0xff, v13
	v_add3_u32 v15, v27, v25, v28
	v_add3_u32 v32, v15, v29, v14
	v_mbcnt_lo_u32_b32 v14, -1, 0
	v_mbcnt_hi_u32_b32 v30, -1, v14
	v_and_b32_e32 v14, 15, v30
	v_cmp_eq_u32_e64 s[14:15], 0, v14
	v_cmp_lt_u32_e64 s[12:13], 1, v14
	v_cmp_lt_u32_e64 s[10:11], 3, v14
	v_cmp_lt_u32_e64 s[8:9], 7, v14
	v_and_b32_e32 v14, 16, v30
	v_cmp_eq_u32_e64 s[18:19], 0, v14
	v_or_b32_e32 v14, 63, v0
	v_cmp_lt_u32_e64 s[0:1], 31, v30
	v_lshrrev_b32_e32 v31, 6, v0
	v_cmp_eq_u32_e64 s[2:3], v14, v0
	s_and_b64 vcc, exec, s[16:17]
	s_waitcnt lgkmcnt(0)
	s_barrier
	s_cbranch_vccz .LBB290_68
; %bb.38:
	v_mov_b32_dpp v14, v32 row_shr:1 row_mask:0xf bank_mask:0xf
	v_cndmask_b32_e64 v14, v14, 0, s[14:15]
	v_add_u32_e32 v14, v14, v32
	s_nop 1
	v_mov_b32_dpp v15, v14 row_shr:2 row_mask:0xf bank_mask:0xf
	v_cndmask_b32_e64 v15, 0, v15, s[12:13]
	v_add_u32_e32 v14, v14, v15
	s_nop 1
	;; [unrolled: 4-line block ×4, first 2 shown]
	v_mov_b32_dpp v15, v14 row_bcast:15 row_mask:0xf bank_mask:0xf
	v_cndmask_b32_e64 v15, v15, 0, s[18:19]
	v_add_u32_e32 v14, v14, v15
	s_nop 1
	v_mov_b32_dpp v15, v14 row_bcast:31 row_mask:0xf bank_mask:0xf
	v_cndmask_b32_e64 v15, 0, v15, s[0:1]
	v_add_u32_e32 v14, v14, v15
	s_and_saveexec_b64 s[16:17], s[2:3]
	s_cbranch_execz .LBB290_40
; %bb.39:
	v_lshlrev_b32_e32 v15, 2, v31
	ds_write_b32 v15, v14
.LBB290_40:
	s_or_b64 exec, exec, s[16:17]
	v_cmp_gt_u32_e32 vcc, 4, v0
	s_waitcnt lgkmcnt(0)
	s_barrier
	s_and_saveexec_b64 s[16:17], vcc
	s_cbranch_execz .LBB290_42
; %bb.41:
	v_lshlrev_b32_e32 v15, 2, v0
	ds_read_b32 v16, v15
	v_and_b32_e32 v17, 3, v30
	v_cmp_ne_u32_e32 vcc, 0, v17
	s_waitcnt lgkmcnt(0)
	v_mov_b32_dpp v18, v16 row_shr:1 row_mask:0xf bank_mask:0xf
	v_cndmask_b32_e32 v18, 0, v18, vcc
	v_add_u32_e32 v16, v18, v16
	v_cmp_lt_u32_e32 vcc, 1, v17
	s_nop 0
	v_mov_b32_dpp v18, v16 row_shr:2 row_mask:0xf bank_mask:0xf
	v_cndmask_b32_e32 v17, 0, v18, vcc
	v_add_u32_e32 v16, v16, v17
	ds_write_b32 v15, v16
.LBB290_42:
	s_or_b64 exec, exec, s[16:17]
	v_cmp_gt_u32_e32 vcc, 64, v0
	v_cmp_lt_u32_e64 s[16:17], 63, v0
	s_waitcnt lgkmcnt(0)
	s_barrier
	s_waitcnt lgkmcnt(0)
                                        ; implicit-def: $vgpr24
	s_and_saveexec_b64 s[30:31], s[16:17]
	s_cbranch_execz .LBB290_44
; %bb.43:
	v_lshl_add_u32 v15, v31, 2, -4
	ds_read_b32 v24, v15
	s_waitcnt lgkmcnt(0)
	v_add_u32_e32 v14, v24, v14
.LBB290_44:
	s_or_b64 exec, exec, s[30:31]
	v_add_u32_e32 v15, -1, v30
	v_and_b32_e32 v16, 64, v30
	v_cmp_lt_i32_e64 s[16:17], v15, v16
	v_cndmask_b32_e64 v15, v15, v30, s[16:17]
	v_lshlrev_b32_e32 v15, 2, v15
	ds_bpermute_b32 v26, v15, v14
	v_cmp_eq_u32_e64 s[16:17], 0, v30
	s_and_saveexec_b64 s[30:31], vcc
	s_cbranch_execz .LBB290_67
; %bb.45:
	v_mov_b32_e32 v23, 0
	ds_read_b32 v14, v23 offset:12
	s_and_saveexec_b64 s[34:35], s[16:17]
	s_cbranch_execz .LBB290_47
; %bb.46:
	s_add_i32 s36, s6, 64
	s_mov_b32 s37, 0
	s_lshl_b64 s[36:37], s[36:37], 3
	s_add_u32 s36, s28, s36
	v_mov_b32_e32 v15, 1
	s_addc_u32 s37, s29, s37
	s_waitcnt lgkmcnt(0)
	global_store_dwordx2 v23, v[14:15], s[36:37]
.LBB290_47:
	s_or_b64 exec, exec, s[34:35]
	v_xad_u32 v16, v30, -1, s6
	v_add_u32_e32 v22, 64, v16
	v_lshlrev_b64 v[18:19], 3, v[22:23]
	v_mov_b32_e32 v15, s29
	v_add_co_u32_e32 v18, vcc, s28, v18
	v_addc_co_u32_e32 v19, vcc, v15, v19, vcc
	global_load_dwordx2 v[20:21], v[18:19], off glc
	s_waitcnt vmcnt(0)
	v_cmp_eq_u16_sdwa s[36:37], v21, v23 src0_sel:BYTE_0 src1_sel:DWORD
	s_and_saveexec_b64 s[34:35], s[36:37]
	s_cbranch_execz .LBB290_53
; %bb.48:
	s_mov_b32 s7, 1
	s_mov_b64 s[36:37], 0
	v_mov_b32_e32 v15, 0
.LBB290_49:                             ; =>This Loop Header: Depth=1
                                        ;     Child Loop BB290_50 Depth 2
	s_max_u32 s33, s7, 1
.LBB290_50:                             ;   Parent Loop BB290_49 Depth=1
                                        ; =>  This Inner Loop Header: Depth=2
	s_add_i32 s33, s33, -1
	s_cmp_eq_u32 s33, 0
	s_sleep 1
	s_cbranch_scc0 .LBB290_50
; %bb.51:                               ;   in Loop: Header=BB290_49 Depth=1
	global_load_dwordx2 v[20:21], v[18:19], off glc
	s_cmp_lt_u32 s7, 32
	s_cselect_b64 s[38:39], -1, 0
	s_cmp_lg_u64 s[38:39], 0
	s_addc_u32 s7, s7, 0
	s_waitcnt vmcnt(0)
	v_cmp_ne_u16_sdwa s[38:39], v21, v15 src0_sel:BYTE_0 src1_sel:DWORD
	s_or_b64 s[36:37], s[38:39], s[36:37]
	s_andn2_b64 exec, exec, s[36:37]
	s_cbranch_execnz .LBB290_49
; %bb.52:
	s_or_b64 exec, exec, s[36:37]
.LBB290_53:
	s_or_b64 exec, exec, s[34:35]
	v_and_b32_e32 v34, 63, v30
	v_mov_b32_e32 v33, 2
	v_cmp_ne_u32_e32 vcc, 63, v34
	v_cmp_eq_u16_sdwa s[34:35], v21, v33 src0_sel:BYTE_0 src1_sel:DWORD
	v_lshlrev_b64 v[18:19], v30, -1
	v_addc_co_u32_e32 v22, vcc, 0, v30, vcc
	v_and_b32_e32 v15, s35, v19
	v_lshlrev_b32_e32 v35, 2, v22
	v_or_b32_e32 v15, 0x80000000, v15
	ds_bpermute_b32 v22, v35, v20
	v_and_b32_e32 v17, s34, v18
	v_ffbl_b32_e32 v15, v15
	v_add_u32_e32 v15, 32, v15
	v_ffbl_b32_e32 v17, v17
	v_min_u32_e32 v15, v17, v15
	v_cmp_lt_u32_e32 vcc, v34, v15
	s_waitcnt lgkmcnt(0)
	v_cndmask_b32_e32 v17, 0, v22, vcc
	v_cmp_gt_u32_e32 vcc, 62, v34
	v_add_u32_e32 v17, v17, v20
	v_cndmask_b32_e64 v20, 0, 1, vcc
	v_lshlrev_b32_e32 v20, 1, v20
	v_add_lshl_u32 v36, v20, v30, 2
	ds_bpermute_b32 v20, v36, v17
	v_add_u32_e32 v37, 2, v34
	v_cmp_le_u32_e32 vcc, v37, v15
	v_add_u32_e32 v39, 4, v34
	v_add_u32_e32 v41, 8, v34
	s_waitcnt lgkmcnt(0)
	v_cndmask_b32_e32 v20, 0, v20, vcc
	v_cmp_gt_u32_e32 vcc, 60, v34
	v_add_u32_e32 v17, v17, v20
	v_cndmask_b32_e64 v20, 0, 1, vcc
	v_lshlrev_b32_e32 v20, 2, v20
	v_add_lshl_u32 v38, v20, v30, 2
	ds_bpermute_b32 v20, v38, v17
	v_cmp_le_u32_e32 vcc, v39, v15
	v_add_u32_e32 v43, 16, v34
	v_add_u32_e32 v45, 32, v34
	s_waitcnt lgkmcnt(0)
	v_cndmask_b32_e32 v20, 0, v20, vcc
	v_cmp_gt_u32_e32 vcc, 56, v34
	v_add_u32_e32 v17, v17, v20
	v_cndmask_b32_e64 v20, 0, 1, vcc
	v_lshlrev_b32_e32 v20, 3, v20
	v_add_lshl_u32 v40, v20, v30, 2
	ds_bpermute_b32 v20, v40, v17
	v_cmp_le_u32_e32 vcc, v41, v15
	s_waitcnt lgkmcnt(0)
	v_cndmask_b32_e32 v20, 0, v20, vcc
	v_cmp_gt_u32_e32 vcc, 48, v34
	v_add_u32_e32 v17, v17, v20
	v_cndmask_b32_e64 v20, 0, 1, vcc
	v_lshlrev_b32_e32 v20, 4, v20
	v_add_lshl_u32 v42, v20, v30, 2
	ds_bpermute_b32 v20, v42, v17
	v_cmp_le_u32_e32 vcc, v43, v15
	;; [unrolled: 9-line block ×3, first 2 shown]
	s_waitcnt lgkmcnt(0)
	v_cndmask_b32_e32 v15, 0, v20, vcc
	v_add_u32_e32 v20, v17, v15
	v_mov_b32_e32 v17, 0
	s_branch .LBB290_55
.LBB290_54:                             ;   in Loop: Header=BB290_55 Depth=1
	s_or_b64 exec, exec, s[34:35]
	v_cmp_eq_u16_sdwa s[34:35], v21, v33 src0_sel:BYTE_0 src1_sel:DWORD
	v_and_b32_e32 v22, s35, v19
	v_or_b32_e32 v22, 0x80000000, v22
	ds_bpermute_b32 v46, v35, v20
	v_and_b32_e32 v23, s34, v18
	v_ffbl_b32_e32 v22, v22
	v_add_u32_e32 v22, 32, v22
	v_ffbl_b32_e32 v23, v23
	v_min_u32_e32 v22, v23, v22
	v_cmp_lt_u32_e32 vcc, v34, v22
	s_waitcnt lgkmcnt(0)
	v_cndmask_b32_e32 v23, 0, v46, vcc
	v_add_u32_e32 v20, v23, v20
	ds_bpermute_b32 v23, v36, v20
	v_cmp_le_u32_e32 vcc, v37, v22
	v_subrev_u32_e32 v16, 64, v16
	s_waitcnt lgkmcnt(0)
	v_cndmask_b32_e32 v23, 0, v23, vcc
	v_add_u32_e32 v20, v20, v23
	ds_bpermute_b32 v23, v38, v20
	v_cmp_le_u32_e32 vcc, v39, v22
	s_waitcnt lgkmcnt(0)
	v_cndmask_b32_e32 v23, 0, v23, vcc
	v_add_u32_e32 v20, v20, v23
	ds_bpermute_b32 v23, v40, v20
	v_cmp_le_u32_e32 vcc, v41, v22
	;; [unrolled: 5-line block ×4, first 2 shown]
	s_waitcnt lgkmcnt(0)
	v_cndmask_b32_e32 v22, 0, v23, vcc
	v_add3_u32 v20, v22, v15, v20
.LBB290_55:                             ; =>This Loop Header: Depth=1
                                        ;     Child Loop BB290_58 Depth 2
                                        ;       Child Loop BB290_59 Depth 3
	v_cmp_ne_u16_sdwa s[34:35], v21, v33 src0_sel:BYTE_0 src1_sel:DWORD
	v_cndmask_b32_e64 v15, 0, 1, s[34:35]
	;;#ASMSTART
	;;#ASMEND
	v_cmp_ne_u32_e32 vcc, 0, v15
	s_cmp_lg_u64 vcc, exec
	v_mov_b32_e32 v15, v20
	s_cbranch_scc1 .LBB290_62
; %bb.56:                               ;   in Loop: Header=BB290_55 Depth=1
	v_lshlrev_b64 v[20:21], 3, v[16:17]
	v_mov_b32_e32 v23, s29
	v_add_co_u32_e32 v22, vcc, s28, v20
	v_addc_co_u32_e32 v23, vcc, v23, v21, vcc
	global_load_dwordx2 v[20:21], v[22:23], off glc
	s_waitcnt vmcnt(0)
	v_cmp_eq_u16_sdwa s[36:37], v21, v17 src0_sel:BYTE_0 src1_sel:DWORD
	s_and_saveexec_b64 s[34:35], s[36:37]
	s_cbranch_execz .LBB290_54
; %bb.57:                               ;   in Loop: Header=BB290_55 Depth=1
	s_mov_b32 s7, 1
	s_mov_b64 s[36:37], 0
.LBB290_58:                             ;   Parent Loop BB290_55 Depth=1
                                        ; =>  This Loop Header: Depth=2
                                        ;       Child Loop BB290_59 Depth 3
	s_max_u32 s33, s7, 1
.LBB290_59:                             ;   Parent Loop BB290_55 Depth=1
                                        ;     Parent Loop BB290_58 Depth=2
                                        ; =>    This Inner Loop Header: Depth=3
	s_add_i32 s33, s33, -1
	s_cmp_eq_u32 s33, 0
	s_sleep 1
	s_cbranch_scc0 .LBB290_59
; %bb.60:                               ;   in Loop: Header=BB290_58 Depth=2
	global_load_dwordx2 v[20:21], v[22:23], off glc
	s_cmp_lt_u32 s7, 32
	s_cselect_b64 s[38:39], -1, 0
	s_cmp_lg_u64 s[38:39], 0
	s_addc_u32 s7, s7, 0
	s_waitcnt vmcnt(0)
	v_cmp_ne_u16_sdwa s[38:39], v21, v17 src0_sel:BYTE_0 src1_sel:DWORD
	s_or_b64 s[36:37], s[38:39], s[36:37]
	s_andn2_b64 exec, exec, s[36:37]
	s_cbranch_execnz .LBB290_58
; %bb.61:                               ;   in Loop: Header=BB290_55 Depth=1
	s_or_b64 exec, exec, s[36:37]
	s_branch .LBB290_54
.LBB290_62:                             ;   in Loop: Header=BB290_55 Depth=1
                                        ; implicit-def: $vgpr20
                                        ; implicit-def: $vgpr21
	s_cbranch_execz .LBB290_55
; %bb.63:
	s_and_saveexec_b64 s[34:35], s[16:17]
	s_cbranch_execz .LBB290_65
; %bb.64:
	s_add_i32 s6, s6, 64
	s_mov_b32 s7, 0
	s_lshl_b64 s[6:7], s[6:7], 3
	s_add_u32 s6, s28, s6
	v_add_u32_e32 v16, v15, v14
	v_mov_b32_e32 v17, 2
	s_addc_u32 s7, s29, s7
	v_mov_b32_e32 v18, 0
	global_store_dwordx2 v18, v[16:17], s[6:7]
	ds_write_b64 v18, v[14:15] offset:10240
.LBB290_65:
	s_or_b64 exec, exec, s[34:35]
	v_cmp_eq_u32_e32 vcc, 0, v0
	s_and_b64 exec, exec, vcc
	s_cbranch_execz .LBB290_67
; %bb.66:
	v_mov_b32_e32 v14, 0
	ds_write_b32 v14, v15 offset:12
.LBB290_67:
	s_or_b64 exec, exec, s[30:31]
	v_mov_b32_e32 v14, 0
	s_waitcnt lgkmcnt(0)
	s_barrier
	ds_read_b32 v15, v14 offset:12
	v_cndmask_b32_e64 v16, v26, v24, s[16:17]
	v_cmp_ne_u32_e32 vcc, 0, v0
	v_cndmask_b32_e32 v16, 0, v16, vcc
	s_waitcnt lgkmcnt(0)
	v_add_u32_e32 v26, v15, v16
	s_barrier
	ds_read_b64 v[14:15], v14 offset:10240
	v_add_u32_e32 v24, v26, v25
	v_add_u32_e32 v22, v24, v27
	;; [unrolled: 1-line block ×4, first 2 shown]
	s_load_dwordx2 s[4:5], s[4:5], 0x28
	v_lshrrev_b64 v[16:17], 24, v[12:13]
	s_branch .LBB290_78
.LBB290_68:
                                        ; implicit-def: $vgpr15
                                        ; implicit-def: $vgpr18
                                        ; implicit-def: $vgpr20
                                        ; implicit-def: $vgpr22
                                        ; implicit-def: $vgpr24
                                        ; implicit-def: $vgpr26
	s_load_dwordx2 s[4:5], s[4:5], 0x28
	v_lshrrev_b64 v[16:17], 24, v[12:13]
	s_cbranch_execz .LBB290_78
; %bb.69:
	s_waitcnt lgkmcnt(0)
	v_mov_b32_dpp v14, v32 row_shr:1 row_mask:0xf bank_mask:0xf
	v_cndmask_b32_e64 v14, v14, 0, s[14:15]
	v_add_u32_e32 v14, v14, v32
	s_nop 1
	v_mov_b32_dpp v15, v14 row_shr:2 row_mask:0xf bank_mask:0xf
	v_cndmask_b32_e64 v15, 0, v15, s[12:13]
	v_add_u32_e32 v14, v14, v15
	s_nop 1
	;; [unrolled: 4-line block ×4, first 2 shown]
	v_mov_b32_dpp v15, v14 row_bcast:15 row_mask:0xf bank_mask:0xf
	v_cndmask_b32_e64 v15, v15, 0, s[18:19]
	v_add_u32_e32 v14, v14, v15
	s_nop 1
	v_mov_b32_dpp v15, v14 row_bcast:31 row_mask:0xf bank_mask:0xf
	v_cndmask_b32_e64 v15, 0, v15, s[0:1]
	v_add_u32_e32 v14, v14, v15
	s_and_saveexec_b64 s[0:1], s[2:3]
	s_cbranch_execz .LBB290_71
; %bb.70:
	v_lshlrev_b32_e32 v15, 2, v31
	ds_write_b32 v15, v14
.LBB290_71:
	s_or_b64 exec, exec, s[0:1]
	v_cmp_gt_u32_e32 vcc, 4, v0
	s_waitcnt lgkmcnt(0)
	s_barrier
	s_and_saveexec_b64 s[0:1], vcc
	s_cbranch_execz .LBB290_73
; %bb.72:
	s_movk_i32 s2, 0xffdc
	v_mad_i32_i24 v1, v0, s2, v1
	ds_read_b32 v15, v1
	v_and_b32_e32 v17, 3, v30
	v_cmp_ne_u32_e32 vcc, 0, v17
	s_waitcnt lgkmcnt(0)
	v_mov_b32_dpp v18, v15 row_shr:1 row_mask:0xf bank_mask:0xf
	v_cndmask_b32_e32 v18, 0, v18, vcc
	v_add_u32_e32 v15, v18, v15
	v_cmp_lt_u32_e32 vcc, 1, v17
	s_nop 0
	v_mov_b32_dpp v18, v15 row_shr:2 row_mask:0xf bank_mask:0xf
	v_cndmask_b32_e32 v17, 0, v18, vcc
	v_add_u32_e32 v15, v15, v17
	ds_write_b32 v1, v15
.LBB290_73:
	s_or_b64 exec, exec, s[0:1]
	v_cmp_lt_u32_e32 vcc, 63, v0
	v_mov_b32_e32 v15, 0
	v_mov_b32_e32 v1, 0
	s_waitcnt lgkmcnt(0)
	s_barrier
	s_and_saveexec_b64 s[0:1], vcc
	s_cbranch_execz .LBB290_75
; %bb.74:
	v_lshl_add_u32 v1, v31, 2, -4
	ds_read_b32 v1, v1
.LBB290_75:
	s_or_b64 exec, exec, s[0:1]
	v_add_u32_e32 v17, -1, v30
	v_and_b32_e32 v18, 64, v30
	v_cmp_lt_i32_e32 vcc, v17, v18
	v_cndmask_b32_e32 v17, v17, v30, vcc
	s_waitcnt lgkmcnt(0)
	v_add_u32_e32 v14, v1, v14
	v_lshlrev_b32_e32 v17, 2, v17
	ds_bpermute_b32 v17, v17, v14
	ds_read_b32 v14, v15 offset:12
	v_cmp_eq_u32_e32 vcc, 0, v0
	s_and_saveexec_b64 s[0:1], vcc
	s_cbranch_execz .LBB290_77
; %bb.76:
	v_mov_b32_e32 v18, 0
	v_mov_b32_e32 v15, 2
	s_waitcnt lgkmcnt(0)
	global_store_dwordx2 v18, v[14:15], s[28:29] offset:512
.LBB290_77:
	s_or_b64 exec, exec, s[0:1]
	v_cmp_eq_u32_e64 s[0:1], 0, v30
	s_waitcnt lgkmcnt(1)
	v_cndmask_b32_e64 v1, v17, v1, s[0:1]
	v_cndmask_b32_e64 v26, v1, 0, vcc
	v_add_u32_e32 v24, v26, v25
	v_add_u32_e32 v22, v24, v27
	;; [unrolled: 1-line block ×3, first 2 shown]
	v_mov_b32_e32 v15, 0
	v_add_u32_e32 v18, v20, v29
	s_waitcnt lgkmcnt(0)
	s_barrier
.LBB290_78:
	s_movk_i32 s0, 0x101
	s_waitcnt lgkmcnt(0)
	v_cmp_gt_u32_e32 vcc, s0, v14
	v_lshrrev_b32_e32 v1, 8, v12
	s_mov_b64 s[0:1], -1
	s_cbranch_vccnz .LBB290_82
; %bb.79:
	s_and_b64 vcc, exec, s[0:1]
	s_cbranch_vccnz .LBB290_98
.LBB290_80:
	v_cmp_eq_u32_e32 vcc, 0, v0
	s_and_b64 s[0:1], vcc, s[24:25]
	s_and_saveexec_b64 s[2:3], s[0:1]
	s_cbranch_execnz .LBB290_112
.LBB290_81:
	s_endpgm
.LBB290_82:
	v_add_u32_e32 v17, v15, v14
	s_lshl_b64 s[0:1], s[22:23], 3
	s_add_u32 s2, s4, s0
	v_cmp_lt_u32_e32 vcc, v26, v17
	s_addc_u32 s3, s5, s1
	s_or_b64 s[6:7], s[26:27], vcc
	s_and_saveexec_b64 s[0:1], s[6:7]
	s_cbranch_execz .LBB290_85
; %bb.83:
	v_and_b32_e32 v19, 1, v12
	v_cmp_eq_u32_e32 vcc, 1, v19
	s_and_b64 exec, exec, vcc
	s_cbranch_execz .LBB290_85
; %bb.84:
	v_mov_b32_e32 v27, 0
	v_lshlrev_b64 v[28:29], 3, v[26:27]
	v_mov_b32_e32 v19, s3
	v_add_co_u32_e32 v28, vcc, s2, v28
	v_addc_co_u32_e32 v29, vcc, v19, v29, vcc
	global_store_dwordx2 v[28:29], v[6:7], off
.LBB290_85:
	s_or_b64 exec, exec, s[0:1]
	v_cmp_lt_u32_e32 vcc, v24, v17
	s_or_b64 s[6:7], s[26:27], vcc
	s_and_saveexec_b64 s[0:1], s[6:7]
	s_cbranch_execz .LBB290_88
; %bb.86:
	v_and_b32_e32 v19, 1, v1
	v_cmp_eq_u32_e32 vcc, 1, v19
	s_and_b64 exec, exec, vcc
	s_cbranch_execz .LBB290_88
; %bb.87:
	v_mov_b32_e32 v25, 0
	v_lshlrev_b64 v[28:29], 3, v[24:25]
	v_mov_b32_e32 v19, s3
	v_add_co_u32_e32 v28, vcc, s2, v28
	v_addc_co_u32_e32 v29, vcc, v19, v29, vcc
	global_store_dwordx2 v[28:29], v[8:9], off
.LBB290_88:
	s_or_b64 exec, exec, s[0:1]
	v_cmp_lt_u32_e32 vcc, v22, v17
	s_or_b64 s[6:7], s[26:27], vcc
	s_and_saveexec_b64 s[0:1], s[6:7]
	s_cbranch_execz .LBB290_91
; %bb.89:
	v_mov_b32_e32 v19, 1
	v_and_b32_sdwa v19, v19, v12 dst_sel:DWORD dst_unused:UNUSED_PAD src0_sel:DWORD src1_sel:WORD_1
	v_cmp_eq_u32_e32 vcc, 1, v19
	s_and_b64 exec, exec, vcc
	s_cbranch_execz .LBB290_91
; %bb.90:
	v_mov_b32_e32 v23, 0
	v_lshlrev_b64 v[28:29], 3, v[22:23]
	v_mov_b32_e32 v19, s3
	v_add_co_u32_e32 v28, vcc, s2, v28
	v_addc_co_u32_e32 v29, vcc, v19, v29, vcc
	global_store_dwordx2 v[28:29], v[2:3], off
.LBB290_91:
	s_or_b64 exec, exec, s[0:1]
	v_cmp_lt_u32_e32 vcc, v20, v17
	s_or_b64 s[6:7], s[26:27], vcc
	s_and_saveexec_b64 s[0:1], s[6:7]
	s_cbranch_execz .LBB290_94
; %bb.92:
	v_and_b32_e32 v19, 1, v16
	v_cmp_eq_u32_e32 vcc, 1, v19
	s_and_b64 exec, exec, vcc
	s_cbranch_execz .LBB290_94
; %bb.93:
	v_mov_b32_e32 v21, 0
	v_lshlrev_b64 v[28:29], 3, v[20:21]
	v_mov_b32_e32 v19, s3
	v_add_co_u32_e32 v28, vcc, s2, v28
	v_addc_co_u32_e32 v29, vcc, v19, v29, vcc
	global_store_dwordx2 v[28:29], v[4:5], off
.LBB290_94:
	s_or_b64 exec, exec, s[0:1]
	v_cmp_lt_u32_e32 vcc, v18, v17
	s_or_b64 s[6:7], s[26:27], vcc
	s_and_saveexec_b64 s[0:1], s[6:7]
	s_cbranch_execz .LBB290_97
; %bb.95:
	v_and_b32_e32 v17, 1, v13
	v_cmp_eq_u32_e32 vcc, 1, v17
	s_and_b64 exec, exec, vcc
	s_cbranch_execz .LBB290_97
; %bb.96:
	v_mov_b32_e32 v19, 0
	v_lshlrev_b64 v[28:29], 3, v[18:19]
	v_mov_b32_e32 v17, s3
	v_add_co_u32_e32 v28, vcc, s2, v28
	v_addc_co_u32_e32 v29, vcc, v17, v29, vcc
	global_store_dwordx2 v[28:29], v[10:11], off
.LBB290_97:
	s_or_b64 exec, exec, s[0:1]
	s_branch .LBB290_80
.LBB290_98:
	v_and_b32_e32 v17, 1, v12
	v_cmp_eq_u32_e32 vcc, 1, v17
	s_and_saveexec_b64 s[0:1], vcc
	s_cbranch_execz .LBB290_100
; %bb.99:
	v_sub_u32_e32 v17, v26, v15
	v_lshlrev_b32_e32 v17, 3, v17
	ds_write_b64 v17, v[6:7]
.LBB290_100:
	s_or_b64 exec, exec, s[0:1]
	v_and_b32_e32 v1, 1, v1
	v_cmp_eq_u32_e32 vcc, 1, v1
	s_and_saveexec_b64 s[0:1], vcc
	s_cbranch_execz .LBB290_102
; %bb.101:
	v_sub_u32_e32 v1, v24, v15
	v_lshlrev_b32_e32 v1, 3, v1
	ds_write_b64 v1, v[8:9]
.LBB290_102:
	s_or_b64 exec, exec, s[0:1]
	v_mov_b32_e32 v1, 1
	v_and_b32_sdwa v1, v1, v12 dst_sel:DWORD dst_unused:UNUSED_PAD src0_sel:DWORD src1_sel:WORD_1
	v_cmp_eq_u32_e32 vcc, 1, v1
	s_and_saveexec_b64 s[0:1], vcc
	s_cbranch_execz .LBB290_104
; %bb.103:
	v_sub_u32_e32 v1, v22, v15
	v_lshlrev_b32_e32 v1, 3, v1
	ds_write_b64 v1, v[2:3]
.LBB290_104:
	s_or_b64 exec, exec, s[0:1]
	v_and_b32_e32 v1, 1, v16
	v_cmp_eq_u32_e32 vcc, 1, v1
	s_and_saveexec_b64 s[0:1], vcc
	s_cbranch_execz .LBB290_106
; %bb.105:
	v_sub_u32_e32 v1, v20, v15
	v_lshlrev_b32_e32 v1, 3, v1
	ds_write_b64 v1, v[4:5]
.LBB290_106:
	s_or_b64 exec, exec, s[0:1]
	v_and_b32_e32 v1, 1, v13
	v_cmp_eq_u32_e32 vcc, 1, v1
	s_and_saveexec_b64 s[0:1], vcc
	s_cbranch_execz .LBB290_108
; %bb.107:
	v_sub_u32_e32 v1, v18, v15
	v_lshlrev_b32_e32 v1, 3, v1
	ds_write_b64 v1, v[10:11]
.LBB290_108:
	s_or_b64 exec, exec, s[0:1]
	v_cmp_lt_u32_e32 vcc, v0, v14
	s_waitcnt lgkmcnt(0)
	s_barrier
	s_and_saveexec_b64 s[0:1], vcc
	s_cbranch_execz .LBB290_111
; %bb.109:
	s_lshl_b64 s[2:3], s[22:23], 3
	v_mov_b32_e32 v3, 0
	v_mov_b32_e32 v2, v15
	s_add_u32 s2, s4, s2
	s_addc_u32 s3, s5, s3
	v_lshlrev_b64 v[4:5], 3, v[2:3]
	v_mov_b32_e32 v2, s3
	v_add_co_u32_e32 v1, vcc, s2, v4
	v_addc_co_u32_e32 v4, vcc, v2, v5, vcc
	v_lshlrev_b32_e32 v5, 3, v0
	s_mov_b64 s[2:3], 0
	v_mov_b32_e32 v2, v0
.LBB290_110:                            ; =>This Inner Loop Header: Depth=1
	ds_read_b64 v[6:7], v5
	v_lshlrev_b64 v[8:9], 3, v[2:3]
	v_add_co_u32_e32 v8, vcc, v1, v8
	v_add_u32_e32 v2, 0x100, v2
	v_addc_co_u32_e32 v9, vcc, v4, v9, vcc
	v_cmp_ge_u32_e32 vcc, v2, v14
	v_add_u32_e32 v5, 0x800, v5
	s_or_b64 s[2:3], vcc, s[2:3]
	s_waitcnt lgkmcnt(0)
	global_store_dwordx2 v[8:9], v[6:7], off
	s_andn2_b64 exec, exec, s[2:3]
	s_cbranch_execnz .LBB290_110
.LBB290_111:
	s_or_b64 exec, exec, s[0:1]
	v_cmp_eq_u32_e32 vcc, 0, v0
	s_and_b64 s[0:1], vcc, s[24:25]
	s_and_saveexec_b64 s[2:3], s[0:1]
	s_cbranch_execz .LBB290_81
.LBB290_112:
	v_mov_b32_e32 v0, s23
	v_add_co_u32_e32 v1, vcc, s22, v14
	v_addc_co_u32_e32 v3, vcc, 0, v0, vcc
	v_add_co_u32_e32 v0, vcc, v1, v15
	v_mov_b32_e32 v2, 0
	v_addc_co_u32_e32 v1, vcc, 0, v3, vcc
	global_store_dwordx2 v2, v[0:1], s[20:21]
	s_endpgm
	.section	.rodata,"a",@progbits
	.p2align	6, 0x0
	.amdhsa_kernel _ZN7rocprim17ROCPRIM_400000_NS6detail17trampoline_kernelINS0_14default_configENS1_25partition_config_selectorILNS1_17partition_subalgoE8EdNS0_10empty_typeEbEEZZNS1_14partition_implILS5_8ELb0ES3_jPKdPS6_PKS6_NS0_5tupleIJPdS6_EEENSE_IJSB_SB_EEENS0_18inequality_wrapperIN6hipcub16HIPCUB_304000_NS8EqualityEEEPlJS6_EEE10hipError_tPvRmT3_T4_T5_T6_T7_T9_mT8_P12ihipStream_tbDpT10_ENKUlT_T0_E_clISt17integral_constantIbLb1EES16_IbLb0EEEEDaS12_S13_EUlS12_E_NS1_11comp_targetILNS1_3genE4ELNS1_11target_archE910ELNS1_3gpuE8ELNS1_3repE0EEENS1_30default_config_static_selectorELNS0_4arch9wavefront6targetE1EEEvT1_
		.amdhsa_group_segment_fixed_size 10248
		.amdhsa_private_segment_fixed_size 0
		.amdhsa_kernarg_size 112
		.amdhsa_user_sgpr_count 6
		.amdhsa_user_sgpr_private_segment_buffer 1
		.amdhsa_user_sgpr_dispatch_ptr 0
		.amdhsa_user_sgpr_queue_ptr 0
		.amdhsa_user_sgpr_kernarg_segment_ptr 1
		.amdhsa_user_sgpr_dispatch_id 0
		.amdhsa_user_sgpr_flat_scratch_init 0
		.amdhsa_user_sgpr_kernarg_preload_length 0
		.amdhsa_user_sgpr_kernarg_preload_offset 0
		.amdhsa_user_sgpr_private_segment_size 0
		.amdhsa_uses_dynamic_stack 0
		.amdhsa_system_sgpr_private_segment_wavefront_offset 0
		.amdhsa_system_sgpr_workgroup_id_x 1
		.amdhsa_system_sgpr_workgroup_id_y 0
		.amdhsa_system_sgpr_workgroup_id_z 0
		.amdhsa_system_sgpr_workgroup_info 0
		.amdhsa_system_vgpr_workitem_id 0
		.amdhsa_next_free_vgpr 47
		.amdhsa_next_free_sgpr 40
		.amdhsa_accum_offset 48
		.amdhsa_reserve_vcc 1
		.amdhsa_reserve_flat_scratch 0
		.amdhsa_float_round_mode_32 0
		.amdhsa_float_round_mode_16_64 0
		.amdhsa_float_denorm_mode_32 3
		.amdhsa_float_denorm_mode_16_64 3
		.amdhsa_dx10_clamp 1
		.amdhsa_ieee_mode 1
		.amdhsa_fp16_overflow 0
		.amdhsa_tg_split 0
		.amdhsa_exception_fp_ieee_invalid_op 0
		.amdhsa_exception_fp_denorm_src 0
		.amdhsa_exception_fp_ieee_div_zero 0
		.amdhsa_exception_fp_ieee_overflow 0
		.amdhsa_exception_fp_ieee_underflow 0
		.amdhsa_exception_fp_ieee_inexact 0
		.amdhsa_exception_int_div_zero 0
	.end_amdhsa_kernel
	.section	.text._ZN7rocprim17ROCPRIM_400000_NS6detail17trampoline_kernelINS0_14default_configENS1_25partition_config_selectorILNS1_17partition_subalgoE8EdNS0_10empty_typeEbEEZZNS1_14partition_implILS5_8ELb0ES3_jPKdPS6_PKS6_NS0_5tupleIJPdS6_EEENSE_IJSB_SB_EEENS0_18inequality_wrapperIN6hipcub16HIPCUB_304000_NS8EqualityEEEPlJS6_EEE10hipError_tPvRmT3_T4_T5_T6_T7_T9_mT8_P12ihipStream_tbDpT10_ENKUlT_T0_E_clISt17integral_constantIbLb1EES16_IbLb0EEEEDaS12_S13_EUlS12_E_NS1_11comp_targetILNS1_3genE4ELNS1_11target_archE910ELNS1_3gpuE8ELNS1_3repE0EEENS1_30default_config_static_selectorELNS0_4arch9wavefront6targetE1EEEvT1_,"axG",@progbits,_ZN7rocprim17ROCPRIM_400000_NS6detail17trampoline_kernelINS0_14default_configENS1_25partition_config_selectorILNS1_17partition_subalgoE8EdNS0_10empty_typeEbEEZZNS1_14partition_implILS5_8ELb0ES3_jPKdPS6_PKS6_NS0_5tupleIJPdS6_EEENSE_IJSB_SB_EEENS0_18inequality_wrapperIN6hipcub16HIPCUB_304000_NS8EqualityEEEPlJS6_EEE10hipError_tPvRmT3_T4_T5_T6_T7_T9_mT8_P12ihipStream_tbDpT10_ENKUlT_T0_E_clISt17integral_constantIbLb1EES16_IbLb0EEEEDaS12_S13_EUlS12_E_NS1_11comp_targetILNS1_3genE4ELNS1_11target_archE910ELNS1_3gpuE8ELNS1_3repE0EEENS1_30default_config_static_selectorELNS0_4arch9wavefront6targetE1EEEvT1_,comdat
.Lfunc_end290:
	.size	_ZN7rocprim17ROCPRIM_400000_NS6detail17trampoline_kernelINS0_14default_configENS1_25partition_config_selectorILNS1_17partition_subalgoE8EdNS0_10empty_typeEbEEZZNS1_14partition_implILS5_8ELb0ES3_jPKdPS6_PKS6_NS0_5tupleIJPdS6_EEENSE_IJSB_SB_EEENS0_18inequality_wrapperIN6hipcub16HIPCUB_304000_NS8EqualityEEEPlJS6_EEE10hipError_tPvRmT3_T4_T5_T6_T7_T9_mT8_P12ihipStream_tbDpT10_ENKUlT_T0_E_clISt17integral_constantIbLb1EES16_IbLb0EEEEDaS12_S13_EUlS12_E_NS1_11comp_targetILNS1_3genE4ELNS1_11target_archE910ELNS1_3gpuE8ELNS1_3repE0EEENS1_30default_config_static_selectorELNS0_4arch9wavefront6targetE1EEEvT1_, .Lfunc_end290-_ZN7rocprim17ROCPRIM_400000_NS6detail17trampoline_kernelINS0_14default_configENS1_25partition_config_selectorILNS1_17partition_subalgoE8EdNS0_10empty_typeEbEEZZNS1_14partition_implILS5_8ELb0ES3_jPKdPS6_PKS6_NS0_5tupleIJPdS6_EEENSE_IJSB_SB_EEENS0_18inequality_wrapperIN6hipcub16HIPCUB_304000_NS8EqualityEEEPlJS6_EEE10hipError_tPvRmT3_T4_T5_T6_T7_T9_mT8_P12ihipStream_tbDpT10_ENKUlT_T0_E_clISt17integral_constantIbLb1EES16_IbLb0EEEEDaS12_S13_EUlS12_E_NS1_11comp_targetILNS1_3genE4ELNS1_11target_archE910ELNS1_3gpuE8ELNS1_3repE0EEENS1_30default_config_static_selectorELNS0_4arch9wavefront6targetE1EEEvT1_
                                        ; -- End function
	.section	.AMDGPU.csdata,"",@progbits
; Kernel info:
; codeLenInByte = 4580
; NumSgprs: 44
; NumVgprs: 47
; NumAgprs: 0
; TotalNumVgprs: 47
; ScratchSize: 0
; MemoryBound: 0
; FloatMode: 240
; IeeeMode: 1
; LDSByteSize: 10248 bytes/workgroup (compile time only)
; SGPRBlocks: 5
; VGPRBlocks: 5
; NumSGPRsForWavesPerEU: 44
; NumVGPRsForWavesPerEU: 47
; AccumOffset: 48
; Occupancy: 6
; WaveLimiterHint : 1
; COMPUTE_PGM_RSRC2:SCRATCH_EN: 0
; COMPUTE_PGM_RSRC2:USER_SGPR: 6
; COMPUTE_PGM_RSRC2:TRAP_HANDLER: 0
; COMPUTE_PGM_RSRC2:TGID_X_EN: 1
; COMPUTE_PGM_RSRC2:TGID_Y_EN: 0
; COMPUTE_PGM_RSRC2:TGID_Z_EN: 0
; COMPUTE_PGM_RSRC2:TIDIG_COMP_CNT: 0
; COMPUTE_PGM_RSRC3_GFX90A:ACCUM_OFFSET: 11
; COMPUTE_PGM_RSRC3_GFX90A:TG_SPLIT: 0
	.section	.text._ZN7rocprim17ROCPRIM_400000_NS6detail17trampoline_kernelINS0_14default_configENS1_25partition_config_selectorILNS1_17partition_subalgoE8EdNS0_10empty_typeEbEEZZNS1_14partition_implILS5_8ELb0ES3_jPKdPS6_PKS6_NS0_5tupleIJPdS6_EEENSE_IJSB_SB_EEENS0_18inequality_wrapperIN6hipcub16HIPCUB_304000_NS8EqualityEEEPlJS6_EEE10hipError_tPvRmT3_T4_T5_T6_T7_T9_mT8_P12ihipStream_tbDpT10_ENKUlT_T0_E_clISt17integral_constantIbLb1EES16_IbLb0EEEEDaS12_S13_EUlS12_E_NS1_11comp_targetILNS1_3genE3ELNS1_11target_archE908ELNS1_3gpuE7ELNS1_3repE0EEENS1_30default_config_static_selectorELNS0_4arch9wavefront6targetE1EEEvT1_,"axG",@progbits,_ZN7rocprim17ROCPRIM_400000_NS6detail17trampoline_kernelINS0_14default_configENS1_25partition_config_selectorILNS1_17partition_subalgoE8EdNS0_10empty_typeEbEEZZNS1_14partition_implILS5_8ELb0ES3_jPKdPS6_PKS6_NS0_5tupleIJPdS6_EEENSE_IJSB_SB_EEENS0_18inequality_wrapperIN6hipcub16HIPCUB_304000_NS8EqualityEEEPlJS6_EEE10hipError_tPvRmT3_T4_T5_T6_T7_T9_mT8_P12ihipStream_tbDpT10_ENKUlT_T0_E_clISt17integral_constantIbLb1EES16_IbLb0EEEEDaS12_S13_EUlS12_E_NS1_11comp_targetILNS1_3genE3ELNS1_11target_archE908ELNS1_3gpuE7ELNS1_3repE0EEENS1_30default_config_static_selectorELNS0_4arch9wavefront6targetE1EEEvT1_,comdat
	.protected	_ZN7rocprim17ROCPRIM_400000_NS6detail17trampoline_kernelINS0_14default_configENS1_25partition_config_selectorILNS1_17partition_subalgoE8EdNS0_10empty_typeEbEEZZNS1_14partition_implILS5_8ELb0ES3_jPKdPS6_PKS6_NS0_5tupleIJPdS6_EEENSE_IJSB_SB_EEENS0_18inequality_wrapperIN6hipcub16HIPCUB_304000_NS8EqualityEEEPlJS6_EEE10hipError_tPvRmT3_T4_T5_T6_T7_T9_mT8_P12ihipStream_tbDpT10_ENKUlT_T0_E_clISt17integral_constantIbLb1EES16_IbLb0EEEEDaS12_S13_EUlS12_E_NS1_11comp_targetILNS1_3genE3ELNS1_11target_archE908ELNS1_3gpuE7ELNS1_3repE0EEENS1_30default_config_static_selectorELNS0_4arch9wavefront6targetE1EEEvT1_ ; -- Begin function _ZN7rocprim17ROCPRIM_400000_NS6detail17trampoline_kernelINS0_14default_configENS1_25partition_config_selectorILNS1_17partition_subalgoE8EdNS0_10empty_typeEbEEZZNS1_14partition_implILS5_8ELb0ES3_jPKdPS6_PKS6_NS0_5tupleIJPdS6_EEENSE_IJSB_SB_EEENS0_18inequality_wrapperIN6hipcub16HIPCUB_304000_NS8EqualityEEEPlJS6_EEE10hipError_tPvRmT3_T4_T5_T6_T7_T9_mT8_P12ihipStream_tbDpT10_ENKUlT_T0_E_clISt17integral_constantIbLb1EES16_IbLb0EEEEDaS12_S13_EUlS12_E_NS1_11comp_targetILNS1_3genE3ELNS1_11target_archE908ELNS1_3gpuE7ELNS1_3repE0EEENS1_30default_config_static_selectorELNS0_4arch9wavefront6targetE1EEEvT1_
	.globl	_ZN7rocprim17ROCPRIM_400000_NS6detail17trampoline_kernelINS0_14default_configENS1_25partition_config_selectorILNS1_17partition_subalgoE8EdNS0_10empty_typeEbEEZZNS1_14partition_implILS5_8ELb0ES3_jPKdPS6_PKS6_NS0_5tupleIJPdS6_EEENSE_IJSB_SB_EEENS0_18inequality_wrapperIN6hipcub16HIPCUB_304000_NS8EqualityEEEPlJS6_EEE10hipError_tPvRmT3_T4_T5_T6_T7_T9_mT8_P12ihipStream_tbDpT10_ENKUlT_T0_E_clISt17integral_constantIbLb1EES16_IbLb0EEEEDaS12_S13_EUlS12_E_NS1_11comp_targetILNS1_3genE3ELNS1_11target_archE908ELNS1_3gpuE7ELNS1_3repE0EEENS1_30default_config_static_selectorELNS0_4arch9wavefront6targetE1EEEvT1_
	.p2align	8
	.type	_ZN7rocprim17ROCPRIM_400000_NS6detail17trampoline_kernelINS0_14default_configENS1_25partition_config_selectorILNS1_17partition_subalgoE8EdNS0_10empty_typeEbEEZZNS1_14partition_implILS5_8ELb0ES3_jPKdPS6_PKS6_NS0_5tupleIJPdS6_EEENSE_IJSB_SB_EEENS0_18inequality_wrapperIN6hipcub16HIPCUB_304000_NS8EqualityEEEPlJS6_EEE10hipError_tPvRmT3_T4_T5_T6_T7_T9_mT8_P12ihipStream_tbDpT10_ENKUlT_T0_E_clISt17integral_constantIbLb1EES16_IbLb0EEEEDaS12_S13_EUlS12_E_NS1_11comp_targetILNS1_3genE3ELNS1_11target_archE908ELNS1_3gpuE7ELNS1_3repE0EEENS1_30default_config_static_selectorELNS0_4arch9wavefront6targetE1EEEvT1_,@function
_ZN7rocprim17ROCPRIM_400000_NS6detail17trampoline_kernelINS0_14default_configENS1_25partition_config_selectorILNS1_17partition_subalgoE8EdNS0_10empty_typeEbEEZZNS1_14partition_implILS5_8ELb0ES3_jPKdPS6_PKS6_NS0_5tupleIJPdS6_EEENSE_IJSB_SB_EEENS0_18inequality_wrapperIN6hipcub16HIPCUB_304000_NS8EqualityEEEPlJS6_EEE10hipError_tPvRmT3_T4_T5_T6_T7_T9_mT8_P12ihipStream_tbDpT10_ENKUlT_T0_E_clISt17integral_constantIbLb1EES16_IbLb0EEEEDaS12_S13_EUlS12_E_NS1_11comp_targetILNS1_3genE3ELNS1_11target_archE908ELNS1_3gpuE7ELNS1_3repE0EEENS1_30default_config_static_selectorELNS0_4arch9wavefront6targetE1EEEvT1_: ; @_ZN7rocprim17ROCPRIM_400000_NS6detail17trampoline_kernelINS0_14default_configENS1_25partition_config_selectorILNS1_17partition_subalgoE8EdNS0_10empty_typeEbEEZZNS1_14partition_implILS5_8ELb0ES3_jPKdPS6_PKS6_NS0_5tupleIJPdS6_EEENSE_IJSB_SB_EEENS0_18inequality_wrapperIN6hipcub16HIPCUB_304000_NS8EqualityEEEPlJS6_EEE10hipError_tPvRmT3_T4_T5_T6_T7_T9_mT8_P12ihipStream_tbDpT10_ENKUlT_T0_E_clISt17integral_constantIbLb1EES16_IbLb0EEEEDaS12_S13_EUlS12_E_NS1_11comp_targetILNS1_3genE3ELNS1_11target_archE908ELNS1_3gpuE7ELNS1_3repE0EEENS1_30default_config_static_selectorELNS0_4arch9wavefront6targetE1EEEvT1_
; %bb.0:
	.section	.rodata,"a",@progbits
	.p2align	6, 0x0
	.amdhsa_kernel _ZN7rocprim17ROCPRIM_400000_NS6detail17trampoline_kernelINS0_14default_configENS1_25partition_config_selectorILNS1_17partition_subalgoE8EdNS0_10empty_typeEbEEZZNS1_14partition_implILS5_8ELb0ES3_jPKdPS6_PKS6_NS0_5tupleIJPdS6_EEENSE_IJSB_SB_EEENS0_18inequality_wrapperIN6hipcub16HIPCUB_304000_NS8EqualityEEEPlJS6_EEE10hipError_tPvRmT3_T4_T5_T6_T7_T9_mT8_P12ihipStream_tbDpT10_ENKUlT_T0_E_clISt17integral_constantIbLb1EES16_IbLb0EEEEDaS12_S13_EUlS12_E_NS1_11comp_targetILNS1_3genE3ELNS1_11target_archE908ELNS1_3gpuE7ELNS1_3repE0EEENS1_30default_config_static_selectorELNS0_4arch9wavefront6targetE1EEEvT1_
		.amdhsa_group_segment_fixed_size 0
		.amdhsa_private_segment_fixed_size 0
		.amdhsa_kernarg_size 112
		.amdhsa_user_sgpr_count 6
		.amdhsa_user_sgpr_private_segment_buffer 1
		.amdhsa_user_sgpr_dispatch_ptr 0
		.amdhsa_user_sgpr_queue_ptr 0
		.amdhsa_user_sgpr_kernarg_segment_ptr 1
		.amdhsa_user_sgpr_dispatch_id 0
		.amdhsa_user_sgpr_flat_scratch_init 0
		.amdhsa_user_sgpr_kernarg_preload_length 0
		.amdhsa_user_sgpr_kernarg_preload_offset 0
		.amdhsa_user_sgpr_private_segment_size 0
		.amdhsa_uses_dynamic_stack 0
		.amdhsa_system_sgpr_private_segment_wavefront_offset 0
		.amdhsa_system_sgpr_workgroup_id_x 1
		.amdhsa_system_sgpr_workgroup_id_y 0
		.amdhsa_system_sgpr_workgroup_id_z 0
		.amdhsa_system_sgpr_workgroup_info 0
		.amdhsa_system_vgpr_workitem_id 0
		.amdhsa_next_free_vgpr 1
		.amdhsa_next_free_sgpr 0
		.amdhsa_accum_offset 4
		.amdhsa_reserve_vcc 0
		.amdhsa_reserve_flat_scratch 0
		.amdhsa_float_round_mode_32 0
		.amdhsa_float_round_mode_16_64 0
		.amdhsa_float_denorm_mode_32 3
		.amdhsa_float_denorm_mode_16_64 3
		.amdhsa_dx10_clamp 1
		.amdhsa_ieee_mode 1
		.amdhsa_fp16_overflow 0
		.amdhsa_tg_split 0
		.amdhsa_exception_fp_ieee_invalid_op 0
		.amdhsa_exception_fp_denorm_src 0
		.amdhsa_exception_fp_ieee_div_zero 0
		.amdhsa_exception_fp_ieee_overflow 0
		.amdhsa_exception_fp_ieee_underflow 0
		.amdhsa_exception_fp_ieee_inexact 0
		.amdhsa_exception_int_div_zero 0
	.end_amdhsa_kernel
	.section	.text._ZN7rocprim17ROCPRIM_400000_NS6detail17trampoline_kernelINS0_14default_configENS1_25partition_config_selectorILNS1_17partition_subalgoE8EdNS0_10empty_typeEbEEZZNS1_14partition_implILS5_8ELb0ES3_jPKdPS6_PKS6_NS0_5tupleIJPdS6_EEENSE_IJSB_SB_EEENS0_18inequality_wrapperIN6hipcub16HIPCUB_304000_NS8EqualityEEEPlJS6_EEE10hipError_tPvRmT3_T4_T5_T6_T7_T9_mT8_P12ihipStream_tbDpT10_ENKUlT_T0_E_clISt17integral_constantIbLb1EES16_IbLb0EEEEDaS12_S13_EUlS12_E_NS1_11comp_targetILNS1_3genE3ELNS1_11target_archE908ELNS1_3gpuE7ELNS1_3repE0EEENS1_30default_config_static_selectorELNS0_4arch9wavefront6targetE1EEEvT1_,"axG",@progbits,_ZN7rocprim17ROCPRIM_400000_NS6detail17trampoline_kernelINS0_14default_configENS1_25partition_config_selectorILNS1_17partition_subalgoE8EdNS0_10empty_typeEbEEZZNS1_14partition_implILS5_8ELb0ES3_jPKdPS6_PKS6_NS0_5tupleIJPdS6_EEENSE_IJSB_SB_EEENS0_18inequality_wrapperIN6hipcub16HIPCUB_304000_NS8EqualityEEEPlJS6_EEE10hipError_tPvRmT3_T4_T5_T6_T7_T9_mT8_P12ihipStream_tbDpT10_ENKUlT_T0_E_clISt17integral_constantIbLb1EES16_IbLb0EEEEDaS12_S13_EUlS12_E_NS1_11comp_targetILNS1_3genE3ELNS1_11target_archE908ELNS1_3gpuE7ELNS1_3repE0EEENS1_30default_config_static_selectorELNS0_4arch9wavefront6targetE1EEEvT1_,comdat
.Lfunc_end291:
	.size	_ZN7rocprim17ROCPRIM_400000_NS6detail17trampoline_kernelINS0_14default_configENS1_25partition_config_selectorILNS1_17partition_subalgoE8EdNS0_10empty_typeEbEEZZNS1_14partition_implILS5_8ELb0ES3_jPKdPS6_PKS6_NS0_5tupleIJPdS6_EEENSE_IJSB_SB_EEENS0_18inequality_wrapperIN6hipcub16HIPCUB_304000_NS8EqualityEEEPlJS6_EEE10hipError_tPvRmT3_T4_T5_T6_T7_T9_mT8_P12ihipStream_tbDpT10_ENKUlT_T0_E_clISt17integral_constantIbLb1EES16_IbLb0EEEEDaS12_S13_EUlS12_E_NS1_11comp_targetILNS1_3genE3ELNS1_11target_archE908ELNS1_3gpuE7ELNS1_3repE0EEENS1_30default_config_static_selectorELNS0_4arch9wavefront6targetE1EEEvT1_, .Lfunc_end291-_ZN7rocprim17ROCPRIM_400000_NS6detail17trampoline_kernelINS0_14default_configENS1_25partition_config_selectorILNS1_17partition_subalgoE8EdNS0_10empty_typeEbEEZZNS1_14partition_implILS5_8ELb0ES3_jPKdPS6_PKS6_NS0_5tupleIJPdS6_EEENSE_IJSB_SB_EEENS0_18inequality_wrapperIN6hipcub16HIPCUB_304000_NS8EqualityEEEPlJS6_EEE10hipError_tPvRmT3_T4_T5_T6_T7_T9_mT8_P12ihipStream_tbDpT10_ENKUlT_T0_E_clISt17integral_constantIbLb1EES16_IbLb0EEEEDaS12_S13_EUlS12_E_NS1_11comp_targetILNS1_3genE3ELNS1_11target_archE908ELNS1_3gpuE7ELNS1_3repE0EEENS1_30default_config_static_selectorELNS0_4arch9wavefront6targetE1EEEvT1_
                                        ; -- End function
	.section	.AMDGPU.csdata,"",@progbits
; Kernel info:
; codeLenInByte = 0
; NumSgprs: 4
; NumVgprs: 0
; NumAgprs: 0
; TotalNumVgprs: 0
; ScratchSize: 0
; MemoryBound: 0
; FloatMode: 240
; IeeeMode: 1
; LDSByteSize: 0 bytes/workgroup (compile time only)
; SGPRBlocks: 0
; VGPRBlocks: 0
; NumSGPRsForWavesPerEU: 4
; NumVGPRsForWavesPerEU: 1
; AccumOffset: 4
; Occupancy: 8
; WaveLimiterHint : 0
; COMPUTE_PGM_RSRC2:SCRATCH_EN: 0
; COMPUTE_PGM_RSRC2:USER_SGPR: 6
; COMPUTE_PGM_RSRC2:TRAP_HANDLER: 0
; COMPUTE_PGM_RSRC2:TGID_X_EN: 1
; COMPUTE_PGM_RSRC2:TGID_Y_EN: 0
; COMPUTE_PGM_RSRC2:TGID_Z_EN: 0
; COMPUTE_PGM_RSRC2:TIDIG_COMP_CNT: 0
; COMPUTE_PGM_RSRC3_GFX90A:ACCUM_OFFSET: 0
; COMPUTE_PGM_RSRC3_GFX90A:TG_SPLIT: 0
	.section	.text._ZN7rocprim17ROCPRIM_400000_NS6detail17trampoline_kernelINS0_14default_configENS1_25partition_config_selectorILNS1_17partition_subalgoE8EdNS0_10empty_typeEbEEZZNS1_14partition_implILS5_8ELb0ES3_jPKdPS6_PKS6_NS0_5tupleIJPdS6_EEENSE_IJSB_SB_EEENS0_18inequality_wrapperIN6hipcub16HIPCUB_304000_NS8EqualityEEEPlJS6_EEE10hipError_tPvRmT3_T4_T5_T6_T7_T9_mT8_P12ihipStream_tbDpT10_ENKUlT_T0_E_clISt17integral_constantIbLb1EES16_IbLb0EEEEDaS12_S13_EUlS12_E_NS1_11comp_targetILNS1_3genE2ELNS1_11target_archE906ELNS1_3gpuE6ELNS1_3repE0EEENS1_30default_config_static_selectorELNS0_4arch9wavefront6targetE1EEEvT1_,"axG",@progbits,_ZN7rocprim17ROCPRIM_400000_NS6detail17trampoline_kernelINS0_14default_configENS1_25partition_config_selectorILNS1_17partition_subalgoE8EdNS0_10empty_typeEbEEZZNS1_14partition_implILS5_8ELb0ES3_jPKdPS6_PKS6_NS0_5tupleIJPdS6_EEENSE_IJSB_SB_EEENS0_18inequality_wrapperIN6hipcub16HIPCUB_304000_NS8EqualityEEEPlJS6_EEE10hipError_tPvRmT3_T4_T5_T6_T7_T9_mT8_P12ihipStream_tbDpT10_ENKUlT_T0_E_clISt17integral_constantIbLb1EES16_IbLb0EEEEDaS12_S13_EUlS12_E_NS1_11comp_targetILNS1_3genE2ELNS1_11target_archE906ELNS1_3gpuE6ELNS1_3repE0EEENS1_30default_config_static_selectorELNS0_4arch9wavefront6targetE1EEEvT1_,comdat
	.protected	_ZN7rocprim17ROCPRIM_400000_NS6detail17trampoline_kernelINS0_14default_configENS1_25partition_config_selectorILNS1_17partition_subalgoE8EdNS0_10empty_typeEbEEZZNS1_14partition_implILS5_8ELb0ES3_jPKdPS6_PKS6_NS0_5tupleIJPdS6_EEENSE_IJSB_SB_EEENS0_18inequality_wrapperIN6hipcub16HIPCUB_304000_NS8EqualityEEEPlJS6_EEE10hipError_tPvRmT3_T4_T5_T6_T7_T9_mT8_P12ihipStream_tbDpT10_ENKUlT_T0_E_clISt17integral_constantIbLb1EES16_IbLb0EEEEDaS12_S13_EUlS12_E_NS1_11comp_targetILNS1_3genE2ELNS1_11target_archE906ELNS1_3gpuE6ELNS1_3repE0EEENS1_30default_config_static_selectorELNS0_4arch9wavefront6targetE1EEEvT1_ ; -- Begin function _ZN7rocprim17ROCPRIM_400000_NS6detail17trampoline_kernelINS0_14default_configENS1_25partition_config_selectorILNS1_17partition_subalgoE8EdNS0_10empty_typeEbEEZZNS1_14partition_implILS5_8ELb0ES3_jPKdPS6_PKS6_NS0_5tupleIJPdS6_EEENSE_IJSB_SB_EEENS0_18inequality_wrapperIN6hipcub16HIPCUB_304000_NS8EqualityEEEPlJS6_EEE10hipError_tPvRmT3_T4_T5_T6_T7_T9_mT8_P12ihipStream_tbDpT10_ENKUlT_T0_E_clISt17integral_constantIbLb1EES16_IbLb0EEEEDaS12_S13_EUlS12_E_NS1_11comp_targetILNS1_3genE2ELNS1_11target_archE906ELNS1_3gpuE6ELNS1_3repE0EEENS1_30default_config_static_selectorELNS0_4arch9wavefront6targetE1EEEvT1_
	.globl	_ZN7rocprim17ROCPRIM_400000_NS6detail17trampoline_kernelINS0_14default_configENS1_25partition_config_selectorILNS1_17partition_subalgoE8EdNS0_10empty_typeEbEEZZNS1_14partition_implILS5_8ELb0ES3_jPKdPS6_PKS6_NS0_5tupleIJPdS6_EEENSE_IJSB_SB_EEENS0_18inequality_wrapperIN6hipcub16HIPCUB_304000_NS8EqualityEEEPlJS6_EEE10hipError_tPvRmT3_T4_T5_T6_T7_T9_mT8_P12ihipStream_tbDpT10_ENKUlT_T0_E_clISt17integral_constantIbLb1EES16_IbLb0EEEEDaS12_S13_EUlS12_E_NS1_11comp_targetILNS1_3genE2ELNS1_11target_archE906ELNS1_3gpuE6ELNS1_3repE0EEENS1_30default_config_static_selectorELNS0_4arch9wavefront6targetE1EEEvT1_
	.p2align	8
	.type	_ZN7rocprim17ROCPRIM_400000_NS6detail17trampoline_kernelINS0_14default_configENS1_25partition_config_selectorILNS1_17partition_subalgoE8EdNS0_10empty_typeEbEEZZNS1_14partition_implILS5_8ELb0ES3_jPKdPS6_PKS6_NS0_5tupleIJPdS6_EEENSE_IJSB_SB_EEENS0_18inequality_wrapperIN6hipcub16HIPCUB_304000_NS8EqualityEEEPlJS6_EEE10hipError_tPvRmT3_T4_T5_T6_T7_T9_mT8_P12ihipStream_tbDpT10_ENKUlT_T0_E_clISt17integral_constantIbLb1EES16_IbLb0EEEEDaS12_S13_EUlS12_E_NS1_11comp_targetILNS1_3genE2ELNS1_11target_archE906ELNS1_3gpuE6ELNS1_3repE0EEENS1_30default_config_static_selectorELNS0_4arch9wavefront6targetE1EEEvT1_,@function
_ZN7rocprim17ROCPRIM_400000_NS6detail17trampoline_kernelINS0_14default_configENS1_25partition_config_selectorILNS1_17partition_subalgoE8EdNS0_10empty_typeEbEEZZNS1_14partition_implILS5_8ELb0ES3_jPKdPS6_PKS6_NS0_5tupleIJPdS6_EEENSE_IJSB_SB_EEENS0_18inequality_wrapperIN6hipcub16HIPCUB_304000_NS8EqualityEEEPlJS6_EEE10hipError_tPvRmT3_T4_T5_T6_T7_T9_mT8_P12ihipStream_tbDpT10_ENKUlT_T0_E_clISt17integral_constantIbLb1EES16_IbLb0EEEEDaS12_S13_EUlS12_E_NS1_11comp_targetILNS1_3genE2ELNS1_11target_archE906ELNS1_3gpuE6ELNS1_3repE0EEENS1_30default_config_static_selectorELNS0_4arch9wavefront6targetE1EEEvT1_: ; @_ZN7rocprim17ROCPRIM_400000_NS6detail17trampoline_kernelINS0_14default_configENS1_25partition_config_selectorILNS1_17partition_subalgoE8EdNS0_10empty_typeEbEEZZNS1_14partition_implILS5_8ELb0ES3_jPKdPS6_PKS6_NS0_5tupleIJPdS6_EEENSE_IJSB_SB_EEENS0_18inequality_wrapperIN6hipcub16HIPCUB_304000_NS8EqualityEEEPlJS6_EEE10hipError_tPvRmT3_T4_T5_T6_T7_T9_mT8_P12ihipStream_tbDpT10_ENKUlT_T0_E_clISt17integral_constantIbLb1EES16_IbLb0EEEEDaS12_S13_EUlS12_E_NS1_11comp_targetILNS1_3genE2ELNS1_11target_archE906ELNS1_3gpuE6ELNS1_3repE0EEENS1_30default_config_static_selectorELNS0_4arch9wavefront6targetE1EEEvT1_
; %bb.0:
	.section	.rodata,"a",@progbits
	.p2align	6, 0x0
	.amdhsa_kernel _ZN7rocprim17ROCPRIM_400000_NS6detail17trampoline_kernelINS0_14default_configENS1_25partition_config_selectorILNS1_17partition_subalgoE8EdNS0_10empty_typeEbEEZZNS1_14partition_implILS5_8ELb0ES3_jPKdPS6_PKS6_NS0_5tupleIJPdS6_EEENSE_IJSB_SB_EEENS0_18inequality_wrapperIN6hipcub16HIPCUB_304000_NS8EqualityEEEPlJS6_EEE10hipError_tPvRmT3_T4_T5_T6_T7_T9_mT8_P12ihipStream_tbDpT10_ENKUlT_T0_E_clISt17integral_constantIbLb1EES16_IbLb0EEEEDaS12_S13_EUlS12_E_NS1_11comp_targetILNS1_3genE2ELNS1_11target_archE906ELNS1_3gpuE6ELNS1_3repE0EEENS1_30default_config_static_selectorELNS0_4arch9wavefront6targetE1EEEvT1_
		.amdhsa_group_segment_fixed_size 0
		.amdhsa_private_segment_fixed_size 0
		.amdhsa_kernarg_size 112
		.amdhsa_user_sgpr_count 6
		.amdhsa_user_sgpr_private_segment_buffer 1
		.amdhsa_user_sgpr_dispatch_ptr 0
		.amdhsa_user_sgpr_queue_ptr 0
		.amdhsa_user_sgpr_kernarg_segment_ptr 1
		.amdhsa_user_sgpr_dispatch_id 0
		.amdhsa_user_sgpr_flat_scratch_init 0
		.amdhsa_user_sgpr_kernarg_preload_length 0
		.amdhsa_user_sgpr_kernarg_preload_offset 0
		.amdhsa_user_sgpr_private_segment_size 0
		.amdhsa_uses_dynamic_stack 0
		.amdhsa_system_sgpr_private_segment_wavefront_offset 0
		.amdhsa_system_sgpr_workgroup_id_x 1
		.amdhsa_system_sgpr_workgroup_id_y 0
		.amdhsa_system_sgpr_workgroup_id_z 0
		.amdhsa_system_sgpr_workgroup_info 0
		.amdhsa_system_vgpr_workitem_id 0
		.amdhsa_next_free_vgpr 1
		.amdhsa_next_free_sgpr 0
		.amdhsa_accum_offset 4
		.amdhsa_reserve_vcc 0
		.amdhsa_reserve_flat_scratch 0
		.amdhsa_float_round_mode_32 0
		.amdhsa_float_round_mode_16_64 0
		.amdhsa_float_denorm_mode_32 3
		.amdhsa_float_denorm_mode_16_64 3
		.amdhsa_dx10_clamp 1
		.amdhsa_ieee_mode 1
		.amdhsa_fp16_overflow 0
		.amdhsa_tg_split 0
		.amdhsa_exception_fp_ieee_invalid_op 0
		.amdhsa_exception_fp_denorm_src 0
		.amdhsa_exception_fp_ieee_div_zero 0
		.amdhsa_exception_fp_ieee_overflow 0
		.amdhsa_exception_fp_ieee_underflow 0
		.amdhsa_exception_fp_ieee_inexact 0
		.amdhsa_exception_int_div_zero 0
	.end_amdhsa_kernel
	.section	.text._ZN7rocprim17ROCPRIM_400000_NS6detail17trampoline_kernelINS0_14default_configENS1_25partition_config_selectorILNS1_17partition_subalgoE8EdNS0_10empty_typeEbEEZZNS1_14partition_implILS5_8ELb0ES3_jPKdPS6_PKS6_NS0_5tupleIJPdS6_EEENSE_IJSB_SB_EEENS0_18inequality_wrapperIN6hipcub16HIPCUB_304000_NS8EqualityEEEPlJS6_EEE10hipError_tPvRmT3_T4_T5_T6_T7_T9_mT8_P12ihipStream_tbDpT10_ENKUlT_T0_E_clISt17integral_constantIbLb1EES16_IbLb0EEEEDaS12_S13_EUlS12_E_NS1_11comp_targetILNS1_3genE2ELNS1_11target_archE906ELNS1_3gpuE6ELNS1_3repE0EEENS1_30default_config_static_selectorELNS0_4arch9wavefront6targetE1EEEvT1_,"axG",@progbits,_ZN7rocprim17ROCPRIM_400000_NS6detail17trampoline_kernelINS0_14default_configENS1_25partition_config_selectorILNS1_17partition_subalgoE8EdNS0_10empty_typeEbEEZZNS1_14partition_implILS5_8ELb0ES3_jPKdPS6_PKS6_NS0_5tupleIJPdS6_EEENSE_IJSB_SB_EEENS0_18inequality_wrapperIN6hipcub16HIPCUB_304000_NS8EqualityEEEPlJS6_EEE10hipError_tPvRmT3_T4_T5_T6_T7_T9_mT8_P12ihipStream_tbDpT10_ENKUlT_T0_E_clISt17integral_constantIbLb1EES16_IbLb0EEEEDaS12_S13_EUlS12_E_NS1_11comp_targetILNS1_3genE2ELNS1_11target_archE906ELNS1_3gpuE6ELNS1_3repE0EEENS1_30default_config_static_selectorELNS0_4arch9wavefront6targetE1EEEvT1_,comdat
.Lfunc_end292:
	.size	_ZN7rocprim17ROCPRIM_400000_NS6detail17trampoline_kernelINS0_14default_configENS1_25partition_config_selectorILNS1_17partition_subalgoE8EdNS0_10empty_typeEbEEZZNS1_14partition_implILS5_8ELb0ES3_jPKdPS6_PKS6_NS0_5tupleIJPdS6_EEENSE_IJSB_SB_EEENS0_18inequality_wrapperIN6hipcub16HIPCUB_304000_NS8EqualityEEEPlJS6_EEE10hipError_tPvRmT3_T4_T5_T6_T7_T9_mT8_P12ihipStream_tbDpT10_ENKUlT_T0_E_clISt17integral_constantIbLb1EES16_IbLb0EEEEDaS12_S13_EUlS12_E_NS1_11comp_targetILNS1_3genE2ELNS1_11target_archE906ELNS1_3gpuE6ELNS1_3repE0EEENS1_30default_config_static_selectorELNS0_4arch9wavefront6targetE1EEEvT1_, .Lfunc_end292-_ZN7rocprim17ROCPRIM_400000_NS6detail17trampoline_kernelINS0_14default_configENS1_25partition_config_selectorILNS1_17partition_subalgoE8EdNS0_10empty_typeEbEEZZNS1_14partition_implILS5_8ELb0ES3_jPKdPS6_PKS6_NS0_5tupleIJPdS6_EEENSE_IJSB_SB_EEENS0_18inequality_wrapperIN6hipcub16HIPCUB_304000_NS8EqualityEEEPlJS6_EEE10hipError_tPvRmT3_T4_T5_T6_T7_T9_mT8_P12ihipStream_tbDpT10_ENKUlT_T0_E_clISt17integral_constantIbLb1EES16_IbLb0EEEEDaS12_S13_EUlS12_E_NS1_11comp_targetILNS1_3genE2ELNS1_11target_archE906ELNS1_3gpuE6ELNS1_3repE0EEENS1_30default_config_static_selectorELNS0_4arch9wavefront6targetE1EEEvT1_
                                        ; -- End function
	.section	.AMDGPU.csdata,"",@progbits
; Kernel info:
; codeLenInByte = 0
; NumSgprs: 4
; NumVgprs: 0
; NumAgprs: 0
; TotalNumVgprs: 0
; ScratchSize: 0
; MemoryBound: 0
; FloatMode: 240
; IeeeMode: 1
; LDSByteSize: 0 bytes/workgroup (compile time only)
; SGPRBlocks: 0
; VGPRBlocks: 0
; NumSGPRsForWavesPerEU: 4
; NumVGPRsForWavesPerEU: 1
; AccumOffset: 4
; Occupancy: 8
; WaveLimiterHint : 0
; COMPUTE_PGM_RSRC2:SCRATCH_EN: 0
; COMPUTE_PGM_RSRC2:USER_SGPR: 6
; COMPUTE_PGM_RSRC2:TRAP_HANDLER: 0
; COMPUTE_PGM_RSRC2:TGID_X_EN: 1
; COMPUTE_PGM_RSRC2:TGID_Y_EN: 0
; COMPUTE_PGM_RSRC2:TGID_Z_EN: 0
; COMPUTE_PGM_RSRC2:TIDIG_COMP_CNT: 0
; COMPUTE_PGM_RSRC3_GFX90A:ACCUM_OFFSET: 0
; COMPUTE_PGM_RSRC3_GFX90A:TG_SPLIT: 0
	.section	.text._ZN7rocprim17ROCPRIM_400000_NS6detail17trampoline_kernelINS0_14default_configENS1_25partition_config_selectorILNS1_17partition_subalgoE8EdNS0_10empty_typeEbEEZZNS1_14partition_implILS5_8ELb0ES3_jPKdPS6_PKS6_NS0_5tupleIJPdS6_EEENSE_IJSB_SB_EEENS0_18inequality_wrapperIN6hipcub16HIPCUB_304000_NS8EqualityEEEPlJS6_EEE10hipError_tPvRmT3_T4_T5_T6_T7_T9_mT8_P12ihipStream_tbDpT10_ENKUlT_T0_E_clISt17integral_constantIbLb1EES16_IbLb0EEEEDaS12_S13_EUlS12_E_NS1_11comp_targetILNS1_3genE10ELNS1_11target_archE1200ELNS1_3gpuE4ELNS1_3repE0EEENS1_30default_config_static_selectorELNS0_4arch9wavefront6targetE1EEEvT1_,"axG",@progbits,_ZN7rocprim17ROCPRIM_400000_NS6detail17trampoline_kernelINS0_14default_configENS1_25partition_config_selectorILNS1_17partition_subalgoE8EdNS0_10empty_typeEbEEZZNS1_14partition_implILS5_8ELb0ES3_jPKdPS6_PKS6_NS0_5tupleIJPdS6_EEENSE_IJSB_SB_EEENS0_18inequality_wrapperIN6hipcub16HIPCUB_304000_NS8EqualityEEEPlJS6_EEE10hipError_tPvRmT3_T4_T5_T6_T7_T9_mT8_P12ihipStream_tbDpT10_ENKUlT_T0_E_clISt17integral_constantIbLb1EES16_IbLb0EEEEDaS12_S13_EUlS12_E_NS1_11comp_targetILNS1_3genE10ELNS1_11target_archE1200ELNS1_3gpuE4ELNS1_3repE0EEENS1_30default_config_static_selectorELNS0_4arch9wavefront6targetE1EEEvT1_,comdat
	.protected	_ZN7rocprim17ROCPRIM_400000_NS6detail17trampoline_kernelINS0_14default_configENS1_25partition_config_selectorILNS1_17partition_subalgoE8EdNS0_10empty_typeEbEEZZNS1_14partition_implILS5_8ELb0ES3_jPKdPS6_PKS6_NS0_5tupleIJPdS6_EEENSE_IJSB_SB_EEENS0_18inequality_wrapperIN6hipcub16HIPCUB_304000_NS8EqualityEEEPlJS6_EEE10hipError_tPvRmT3_T4_T5_T6_T7_T9_mT8_P12ihipStream_tbDpT10_ENKUlT_T0_E_clISt17integral_constantIbLb1EES16_IbLb0EEEEDaS12_S13_EUlS12_E_NS1_11comp_targetILNS1_3genE10ELNS1_11target_archE1200ELNS1_3gpuE4ELNS1_3repE0EEENS1_30default_config_static_selectorELNS0_4arch9wavefront6targetE1EEEvT1_ ; -- Begin function _ZN7rocprim17ROCPRIM_400000_NS6detail17trampoline_kernelINS0_14default_configENS1_25partition_config_selectorILNS1_17partition_subalgoE8EdNS0_10empty_typeEbEEZZNS1_14partition_implILS5_8ELb0ES3_jPKdPS6_PKS6_NS0_5tupleIJPdS6_EEENSE_IJSB_SB_EEENS0_18inequality_wrapperIN6hipcub16HIPCUB_304000_NS8EqualityEEEPlJS6_EEE10hipError_tPvRmT3_T4_T5_T6_T7_T9_mT8_P12ihipStream_tbDpT10_ENKUlT_T0_E_clISt17integral_constantIbLb1EES16_IbLb0EEEEDaS12_S13_EUlS12_E_NS1_11comp_targetILNS1_3genE10ELNS1_11target_archE1200ELNS1_3gpuE4ELNS1_3repE0EEENS1_30default_config_static_selectorELNS0_4arch9wavefront6targetE1EEEvT1_
	.globl	_ZN7rocprim17ROCPRIM_400000_NS6detail17trampoline_kernelINS0_14default_configENS1_25partition_config_selectorILNS1_17partition_subalgoE8EdNS0_10empty_typeEbEEZZNS1_14partition_implILS5_8ELb0ES3_jPKdPS6_PKS6_NS0_5tupleIJPdS6_EEENSE_IJSB_SB_EEENS0_18inequality_wrapperIN6hipcub16HIPCUB_304000_NS8EqualityEEEPlJS6_EEE10hipError_tPvRmT3_T4_T5_T6_T7_T9_mT8_P12ihipStream_tbDpT10_ENKUlT_T0_E_clISt17integral_constantIbLb1EES16_IbLb0EEEEDaS12_S13_EUlS12_E_NS1_11comp_targetILNS1_3genE10ELNS1_11target_archE1200ELNS1_3gpuE4ELNS1_3repE0EEENS1_30default_config_static_selectorELNS0_4arch9wavefront6targetE1EEEvT1_
	.p2align	8
	.type	_ZN7rocprim17ROCPRIM_400000_NS6detail17trampoline_kernelINS0_14default_configENS1_25partition_config_selectorILNS1_17partition_subalgoE8EdNS0_10empty_typeEbEEZZNS1_14partition_implILS5_8ELb0ES3_jPKdPS6_PKS6_NS0_5tupleIJPdS6_EEENSE_IJSB_SB_EEENS0_18inequality_wrapperIN6hipcub16HIPCUB_304000_NS8EqualityEEEPlJS6_EEE10hipError_tPvRmT3_T4_T5_T6_T7_T9_mT8_P12ihipStream_tbDpT10_ENKUlT_T0_E_clISt17integral_constantIbLb1EES16_IbLb0EEEEDaS12_S13_EUlS12_E_NS1_11comp_targetILNS1_3genE10ELNS1_11target_archE1200ELNS1_3gpuE4ELNS1_3repE0EEENS1_30default_config_static_selectorELNS0_4arch9wavefront6targetE1EEEvT1_,@function
_ZN7rocprim17ROCPRIM_400000_NS6detail17trampoline_kernelINS0_14default_configENS1_25partition_config_selectorILNS1_17partition_subalgoE8EdNS0_10empty_typeEbEEZZNS1_14partition_implILS5_8ELb0ES3_jPKdPS6_PKS6_NS0_5tupleIJPdS6_EEENSE_IJSB_SB_EEENS0_18inequality_wrapperIN6hipcub16HIPCUB_304000_NS8EqualityEEEPlJS6_EEE10hipError_tPvRmT3_T4_T5_T6_T7_T9_mT8_P12ihipStream_tbDpT10_ENKUlT_T0_E_clISt17integral_constantIbLb1EES16_IbLb0EEEEDaS12_S13_EUlS12_E_NS1_11comp_targetILNS1_3genE10ELNS1_11target_archE1200ELNS1_3gpuE4ELNS1_3repE0EEENS1_30default_config_static_selectorELNS0_4arch9wavefront6targetE1EEEvT1_: ; @_ZN7rocprim17ROCPRIM_400000_NS6detail17trampoline_kernelINS0_14default_configENS1_25partition_config_selectorILNS1_17partition_subalgoE8EdNS0_10empty_typeEbEEZZNS1_14partition_implILS5_8ELb0ES3_jPKdPS6_PKS6_NS0_5tupleIJPdS6_EEENSE_IJSB_SB_EEENS0_18inequality_wrapperIN6hipcub16HIPCUB_304000_NS8EqualityEEEPlJS6_EEE10hipError_tPvRmT3_T4_T5_T6_T7_T9_mT8_P12ihipStream_tbDpT10_ENKUlT_T0_E_clISt17integral_constantIbLb1EES16_IbLb0EEEEDaS12_S13_EUlS12_E_NS1_11comp_targetILNS1_3genE10ELNS1_11target_archE1200ELNS1_3gpuE4ELNS1_3repE0EEENS1_30default_config_static_selectorELNS0_4arch9wavefront6targetE1EEEvT1_
; %bb.0:
	.section	.rodata,"a",@progbits
	.p2align	6, 0x0
	.amdhsa_kernel _ZN7rocprim17ROCPRIM_400000_NS6detail17trampoline_kernelINS0_14default_configENS1_25partition_config_selectorILNS1_17partition_subalgoE8EdNS0_10empty_typeEbEEZZNS1_14partition_implILS5_8ELb0ES3_jPKdPS6_PKS6_NS0_5tupleIJPdS6_EEENSE_IJSB_SB_EEENS0_18inequality_wrapperIN6hipcub16HIPCUB_304000_NS8EqualityEEEPlJS6_EEE10hipError_tPvRmT3_T4_T5_T6_T7_T9_mT8_P12ihipStream_tbDpT10_ENKUlT_T0_E_clISt17integral_constantIbLb1EES16_IbLb0EEEEDaS12_S13_EUlS12_E_NS1_11comp_targetILNS1_3genE10ELNS1_11target_archE1200ELNS1_3gpuE4ELNS1_3repE0EEENS1_30default_config_static_selectorELNS0_4arch9wavefront6targetE1EEEvT1_
		.amdhsa_group_segment_fixed_size 0
		.amdhsa_private_segment_fixed_size 0
		.amdhsa_kernarg_size 112
		.amdhsa_user_sgpr_count 6
		.amdhsa_user_sgpr_private_segment_buffer 1
		.amdhsa_user_sgpr_dispatch_ptr 0
		.amdhsa_user_sgpr_queue_ptr 0
		.amdhsa_user_sgpr_kernarg_segment_ptr 1
		.amdhsa_user_sgpr_dispatch_id 0
		.amdhsa_user_sgpr_flat_scratch_init 0
		.amdhsa_user_sgpr_kernarg_preload_length 0
		.amdhsa_user_sgpr_kernarg_preload_offset 0
		.amdhsa_user_sgpr_private_segment_size 0
		.amdhsa_uses_dynamic_stack 0
		.amdhsa_system_sgpr_private_segment_wavefront_offset 0
		.amdhsa_system_sgpr_workgroup_id_x 1
		.amdhsa_system_sgpr_workgroup_id_y 0
		.amdhsa_system_sgpr_workgroup_id_z 0
		.amdhsa_system_sgpr_workgroup_info 0
		.amdhsa_system_vgpr_workitem_id 0
		.amdhsa_next_free_vgpr 1
		.amdhsa_next_free_sgpr 0
		.amdhsa_accum_offset 4
		.amdhsa_reserve_vcc 0
		.amdhsa_reserve_flat_scratch 0
		.amdhsa_float_round_mode_32 0
		.amdhsa_float_round_mode_16_64 0
		.amdhsa_float_denorm_mode_32 3
		.amdhsa_float_denorm_mode_16_64 3
		.amdhsa_dx10_clamp 1
		.amdhsa_ieee_mode 1
		.amdhsa_fp16_overflow 0
		.amdhsa_tg_split 0
		.amdhsa_exception_fp_ieee_invalid_op 0
		.amdhsa_exception_fp_denorm_src 0
		.amdhsa_exception_fp_ieee_div_zero 0
		.amdhsa_exception_fp_ieee_overflow 0
		.amdhsa_exception_fp_ieee_underflow 0
		.amdhsa_exception_fp_ieee_inexact 0
		.amdhsa_exception_int_div_zero 0
	.end_amdhsa_kernel
	.section	.text._ZN7rocprim17ROCPRIM_400000_NS6detail17trampoline_kernelINS0_14default_configENS1_25partition_config_selectorILNS1_17partition_subalgoE8EdNS0_10empty_typeEbEEZZNS1_14partition_implILS5_8ELb0ES3_jPKdPS6_PKS6_NS0_5tupleIJPdS6_EEENSE_IJSB_SB_EEENS0_18inequality_wrapperIN6hipcub16HIPCUB_304000_NS8EqualityEEEPlJS6_EEE10hipError_tPvRmT3_T4_T5_T6_T7_T9_mT8_P12ihipStream_tbDpT10_ENKUlT_T0_E_clISt17integral_constantIbLb1EES16_IbLb0EEEEDaS12_S13_EUlS12_E_NS1_11comp_targetILNS1_3genE10ELNS1_11target_archE1200ELNS1_3gpuE4ELNS1_3repE0EEENS1_30default_config_static_selectorELNS0_4arch9wavefront6targetE1EEEvT1_,"axG",@progbits,_ZN7rocprim17ROCPRIM_400000_NS6detail17trampoline_kernelINS0_14default_configENS1_25partition_config_selectorILNS1_17partition_subalgoE8EdNS0_10empty_typeEbEEZZNS1_14partition_implILS5_8ELb0ES3_jPKdPS6_PKS6_NS0_5tupleIJPdS6_EEENSE_IJSB_SB_EEENS0_18inequality_wrapperIN6hipcub16HIPCUB_304000_NS8EqualityEEEPlJS6_EEE10hipError_tPvRmT3_T4_T5_T6_T7_T9_mT8_P12ihipStream_tbDpT10_ENKUlT_T0_E_clISt17integral_constantIbLb1EES16_IbLb0EEEEDaS12_S13_EUlS12_E_NS1_11comp_targetILNS1_3genE10ELNS1_11target_archE1200ELNS1_3gpuE4ELNS1_3repE0EEENS1_30default_config_static_selectorELNS0_4arch9wavefront6targetE1EEEvT1_,comdat
.Lfunc_end293:
	.size	_ZN7rocprim17ROCPRIM_400000_NS6detail17trampoline_kernelINS0_14default_configENS1_25partition_config_selectorILNS1_17partition_subalgoE8EdNS0_10empty_typeEbEEZZNS1_14partition_implILS5_8ELb0ES3_jPKdPS6_PKS6_NS0_5tupleIJPdS6_EEENSE_IJSB_SB_EEENS0_18inequality_wrapperIN6hipcub16HIPCUB_304000_NS8EqualityEEEPlJS6_EEE10hipError_tPvRmT3_T4_T5_T6_T7_T9_mT8_P12ihipStream_tbDpT10_ENKUlT_T0_E_clISt17integral_constantIbLb1EES16_IbLb0EEEEDaS12_S13_EUlS12_E_NS1_11comp_targetILNS1_3genE10ELNS1_11target_archE1200ELNS1_3gpuE4ELNS1_3repE0EEENS1_30default_config_static_selectorELNS0_4arch9wavefront6targetE1EEEvT1_, .Lfunc_end293-_ZN7rocprim17ROCPRIM_400000_NS6detail17trampoline_kernelINS0_14default_configENS1_25partition_config_selectorILNS1_17partition_subalgoE8EdNS0_10empty_typeEbEEZZNS1_14partition_implILS5_8ELb0ES3_jPKdPS6_PKS6_NS0_5tupleIJPdS6_EEENSE_IJSB_SB_EEENS0_18inequality_wrapperIN6hipcub16HIPCUB_304000_NS8EqualityEEEPlJS6_EEE10hipError_tPvRmT3_T4_T5_T6_T7_T9_mT8_P12ihipStream_tbDpT10_ENKUlT_T0_E_clISt17integral_constantIbLb1EES16_IbLb0EEEEDaS12_S13_EUlS12_E_NS1_11comp_targetILNS1_3genE10ELNS1_11target_archE1200ELNS1_3gpuE4ELNS1_3repE0EEENS1_30default_config_static_selectorELNS0_4arch9wavefront6targetE1EEEvT1_
                                        ; -- End function
	.section	.AMDGPU.csdata,"",@progbits
; Kernel info:
; codeLenInByte = 0
; NumSgprs: 4
; NumVgprs: 0
; NumAgprs: 0
; TotalNumVgprs: 0
; ScratchSize: 0
; MemoryBound: 0
; FloatMode: 240
; IeeeMode: 1
; LDSByteSize: 0 bytes/workgroup (compile time only)
; SGPRBlocks: 0
; VGPRBlocks: 0
; NumSGPRsForWavesPerEU: 4
; NumVGPRsForWavesPerEU: 1
; AccumOffset: 4
; Occupancy: 8
; WaveLimiterHint : 0
; COMPUTE_PGM_RSRC2:SCRATCH_EN: 0
; COMPUTE_PGM_RSRC2:USER_SGPR: 6
; COMPUTE_PGM_RSRC2:TRAP_HANDLER: 0
; COMPUTE_PGM_RSRC2:TGID_X_EN: 1
; COMPUTE_PGM_RSRC2:TGID_Y_EN: 0
; COMPUTE_PGM_RSRC2:TGID_Z_EN: 0
; COMPUTE_PGM_RSRC2:TIDIG_COMP_CNT: 0
; COMPUTE_PGM_RSRC3_GFX90A:ACCUM_OFFSET: 0
; COMPUTE_PGM_RSRC3_GFX90A:TG_SPLIT: 0
	.section	.text._ZN7rocprim17ROCPRIM_400000_NS6detail17trampoline_kernelINS0_14default_configENS1_25partition_config_selectorILNS1_17partition_subalgoE8EdNS0_10empty_typeEbEEZZNS1_14partition_implILS5_8ELb0ES3_jPKdPS6_PKS6_NS0_5tupleIJPdS6_EEENSE_IJSB_SB_EEENS0_18inequality_wrapperIN6hipcub16HIPCUB_304000_NS8EqualityEEEPlJS6_EEE10hipError_tPvRmT3_T4_T5_T6_T7_T9_mT8_P12ihipStream_tbDpT10_ENKUlT_T0_E_clISt17integral_constantIbLb1EES16_IbLb0EEEEDaS12_S13_EUlS12_E_NS1_11comp_targetILNS1_3genE9ELNS1_11target_archE1100ELNS1_3gpuE3ELNS1_3repE0EEENS1_30default_config_static_selectorELNS0_4arch9wavefront6targetE1EEEvT1_,"axG",@progbits,_ZN7rocprim17ROCPRIM_400000_NS6detail17trampoline_kernelINS0_14default_configENS1_25partition_config_selectorILNS1_17partition_subalgoE8EdNS0_10empty_typeEbEEZZNS1_14partition_implILS5_8ELb0ES3_jPKdPS6_PKS6_NS0_5tupleIJPdS6_EEENSE_IJSB_SB_EEENS0_18inequality_wrapperIN6hipcub16HIPCUB_304000_NS8EqualityEEEPlJS6_EEE10hipError_tPvRmT3_T4_T5_T6_T7_T9_mT8_P12ihipStream_tbDpT10_ENKUlT_T0_E_clISt17integral_constantIbLb1EES16_IbLb0EEEEDaS12_S13_EUlS12_E_NS1_11comp_targetILNS1_3genE9ELNS1_11target_archE1100ELNS1_3gpuE3ELNS1_3repE0EEENS1_30default_config_static_selectorELNS0_4arch9wavefront6targetE1EEEvT1_,comdat
	.protected	_ZN7rocprim17ROCPRIM_400000_NS6detail17trampoline_kernelINS0_14default_configENS1_25partition_config_selectorILNS1_17partition_subalgoE8EdNS0_10empty_typeEbEEZZNS1_14partition_implILS5_8ELb0ES3_jPKdPS6_PKS6_NS0_5tupleIJPdS6_EEENSE_IJSB_SB_EEENS0_18inequality_wrapperIN6hipcub16HIPCUB_304000_NS8EqualityEEEPlJS6_EEE10hipError_tPvRmT3_T4_T5_T6_T7_T9_mT8_P12ihipStream_tbDpT10_ENKUlT_T0_E_clISt17integral_constantIbLb1EES16_IbLb0EEEEDaS12_S13_EUlS12_E_NS1_11comp_targetILNS1_3genE9ELNS1_11target_archE1100ELNS1_3gpuE3ELNS1_3repE0EEENS1_30default_config_static_selectorELNS0_4arch9wavefront6targetE1EEEvT1_ ; -- Begin function _ZN7rocprim17ROCPRIM_400000_NS6detail17trampoline_kernelINS0_14default_configENS1_25partition_config_selectorILNS1_17partition_subalgoE8EdNS0_10empty_typeEbEEZZNS1_14partition_implILS5_8ELb0ES3_jPKdPS6_PKS6_NS0_5tupleIJPdS6_EEENSE_IJSB_SB_EEENS0_18inequality_wrapperIN6hipcub16HIPCUB_304000_NS8EqualityEEEPlJS6_EEE10hipError_tPvRmT3_T4_T5_T6_T7_T9_mT8_P12ihipStream_tbDpT10_ENKUlT_T0_E_clISt17integral_constantIbLb1EES16_IbLb0EEEEDaS12_S13_EUlS12_E_NS1_11comp_targetILNS1_3genE9ELNS1_11target_archE1100ELNS1_3gpuE3ELNS1_3repE0EEENS1_30default_config_static_selectorELNS0_4arch9wavefront6targetE1EEEvT1_
	.globl	_ZN7rocprim17ROCPRIM_400000_NS6detail17trampoline_kernelINS0_14default_configENS1_25partition_config_selectorILNS1_17partition_subalgoE8EdNS0_10empty_typeEbEEZZNS1_14partition_implILS5_8ELb0ES3_jPKdPS6_PKS6_NS0_5tupleIJPdS6_EEENSE_IJSB_SB_EEENS0_18inequality_wrapperIN6hipcub16HIPCUB_304000_NS8EqualityEEEPlJS6_EEE10hipError_tPvRmT3_T4_T5_T6_T7_T9_mT8_P12ihipStream_tbDpT10_ENKUlT_T0_E_clISt17integral_constantIbLb1EES16_IbLb0EEEEDaS12_S13_EUlS12_E_NS1_11comp_targetILNS1_3genE9ELNS1_11target_archE1100ELNS1_3gpuE3ELNS1_3repE0EEENS1_30default_config_static_selectorELNS0_4arch9wavefront6targetE1EEEvT1_
	.p2align	8
	.type	_ZN7rocprim17ROCPRIM_400000_NS6detail17trampoline_kernelINS0_14default_configENS1_25partition_config_selectorILNS1_17partition_subalgoE8EdNS0_10empty_typeEbEEZZNS1_14partition_implILS5_8ELb0ES3_jPKdPS6_PKS6_NS0_5tupleIJPdS6_EEENSE_IJSB_SB_EEENS0_18inequality_wrapperIN6hipcub16HIPCUB_304000_NS8EqualityEEEPlJS6_EEE10hipError_tPvRmT3_T4_T5_T6_T7_T9_mT8_P12ihipStream_tbDpT10_ENKUlT_T0_E_clISt17integral_constantIbLb1EES16_IbLb0EEEEDaS12_S13_EUlS12_E_NS1_11comp_targetILNS1_3genE9ELNS1_11target_archE1100ELNS1_3gpuE3ELNS1_3repE0EEENS1_30default_config_static_selectorELNS0_4arch9wavefront6targetE1EEEvT1_,@function
_ZN7rocprim17ROCPRIM_400000_NS6detail17trampoline_kernelINS0_14default_configENS1_25partition_config_selectorILNS1_17partition_subalgoE8EdNS0_10empty_typeEbEEZZNS1_14partition_implILS5_8ELb0ES3_jPKdPS6_PKS6_NS0_5tupleIJPdS6_EEENSE_IJSB_SB_EEENS0_18inequality_wrapperIN6hipcub16HIPCUB_304000_NS8EqualityEEEPlJS6_EEE10hipError_tPvRmT3_T4_T5_T6_T7_T9_mT8_P12ihipStream_tbDpT10_ENKUlT_T0_E_clISt17integral_constantIbLb1EES16_IbLb0EEEEDaS12_S13_EUlS12_E_NS1_11comp_targetILNS1_3genE9ELNS1_11target_archE1100ELNS1_3gpuE3ELNS1_3repE0EEENS1_30default_config_static_selectorELNS0_4arch9wavefront6targetE1EEEvT1_: ; @_ZN7rocprim17ROCPRIM_400000_NS6detail17trampoline_kernelINS0_14default_configENS1_25partition_config_selectorILNS1_17partition_subalgoE8EdNS0_10empty_typeEbEEZZNS1_14partition_implILS5_8ELb0ES3_jPKdPS6_PKS6_NS0_5tupleIJPdS6_EEENSE_IJSB_SB_EEENS0_18inequality_wrapperIN6hipcub16HIPCUB_304000_NS8EqualityEEEPlJS6_EEE10hipError_tPvRmT3_T4_T5_T6_T7_T9_mT8_P12ihipStream_tbDpT10_ENKUlT_T0_E_clISt17integral_constantIbLb1EES16_IbLb0EEEEDaS12_S13_EUlS12_E_NS1_11comp_targetILNS1_3genE9ELNS1_11target_archE1100ELNS1_3gpuE3ELNS1_3repE0EEENS1_30default_config_static_selectorELNS0_4arch9wavefront6targetE1EEEvT1_
; %bb.0:
	.section	.rodata,"a",@progbits
	.p2align	6, 0x0
	.amdhsa_kernel _ZN7rocprim17ROCPRIM_400000_NS6detail17trampoline_kernelINS0_14default_configENS1_25partition_config_selectorILNS1_17partition_subalgoE8EdNS0_10empty_typeEbEEZZNS1_14partition_implILS5_8ELb0ES3_jPKdPS6_PKS6_NS0_5tupleIJPdS6_EEENSE_IJSB_SB_EEENS0_18inequality_wrapperIN6hipcub16HIPCUB_304000_NS8EqualityEEEPlJS6_EEE10hipError_tPvRmT3_T4_T5_T6_T7_T9_mT8_P12ihipStream_tbDpT10_ENKUlT_T0_E_clISt17integral_constantIbLb1EES16_IbLb0EEEEDaS12_S13_EUlS12_E_NS1_11comp_targetILNS1_3genE9ELNS1_11target_archE1100ELNS1_3gpuE3ELNS1_3repE0EEENS1_30default_config_static_selectorELNS0_4arch9wavefront6targetE1EEEvT1_
		.amdhsa_group_segment_fixed_size 0
		.amdhsa_private_segment_fixed_size 0
		.amdhsa_kernarg_size 112
		.amdhsa_user_sgpr_count 6
		.amdhsa_user_sgpr_private_segment_buffer 1
		.amdhsa_user_sgpr_dispatch_ptr 0
		.amdhsa_user_sgpr_queue_ptr 0
		.amdhsa_user_sgpr_kernarg_segment_ptr 1
		.amdhsa_user_sgpr_dispatch_id 0
		.amdhsa_user_sgpr_flat_scratch_init 0
		.amdhsa_user_sgpr_kernarg_preload_length 0
		.amdhsa_user_sgpr_kernarg_preload_offset 0
		.amdhsa_user_sgpr_private_segment_size 0
		.amdhsa_uses_dynamic_stack 0
		.amdhsa_system_sgpr_private_segment_wavefront_offset 0
		.amdhsa_system_sgpr_workgroup_id_x 1
		.amdhsa_system_sgpr_workgroup_id_y 0
		.amdhsa_system_sgpr_workgroup_id_z 0
		.amdhsa_system_sgpr_workgroup_info 0
		.amdhsa_system_vgpr_workitem_id 0
		.amdhsa_next_free_vgpr 1
		.amdhsa_next_free_sgpr 0
		.amdhsa_accum_offset 4
		.amdhsa_reserve_vcc 0
		.amdhsa_reserve_flat_scratch 0
		.amdhsa_float_round_mode_32 0
		.amdhsa_float_round_mode_16_64 0
		.amdhsa_float_denorm_mode_32 3
		.amdhsa_float_denorm_mode_16_64 3
		.amdhsa_dx10_clamp 1
		.amdhsa_ieee_mode 1
		.amdhsa_fp16_overflow 0
		.amdhsa_tg_split 0
		.amdhsa_exception_fp_ieee_invalid_op 0
		.amdhsa_exception_fp_denorm_src 0
		.amdhsa_exception_fp_ieee_div_zero 0
		.amdhsa_exception_fp_ieee_overflow 0
		.amdhsa_exception_fp_ieee_underflow 0
		.amdhsa_exception_fp_ieee_inexact 0
		.amdhsa_exception_int_div_zero 0
	.end_amdhsa_kernel
	.section	.text._ZN7rocprim17ROCPRIM_400000_NS6detail17trampoline_kernelINS0_14default_configENS1_25partition_config_selectorILNS1_17partition_subalgoE8EdNS0_10empty_typeEbEEZZNS1_14partition_implILS5_8ELb0ES3_jPKdPS6_PKS6_NS0_5tupleIJPdS6_EEENSE_IJSB_SB_EEENS0_18inequality_wrapperIN6hipcub16HIPCUB_304000_NS8EqualityEEEPlJS6_EEE10hipError_tPvRmT3_T4_T5_T6_T7_T9_mT8_P12ihipStream_tbDpT10_ENKUlT_T0_E_clISt17integral_constantIbLb1EES16_IbLb0EEEEDaS12_S13_EUlS12_E_NS1_11comp_targetILNS1_3genE9ELNS1_11target_archE1100ELNS1_3gpuE3ELNS1_3repE0EEENS1_30default_config_static_selectorELNS0_4arch9wavefront6targetE1EEEvT1_,"axG",@progbits,_ZN7rocprim17ROCPRIM_400000_NS6detail17trampoline_kernelINS0_14default_configENS1_25partition_config_selectorILNS1_17partition_subalgoE8EdNS0_10empty_typeEbEEZZNS1_14partition_implILS5_8ELb0ES3_jPKdPS6_PKS6_NS0_5tupleIJPdS6_EEENSE_IJSB_SB_EEENS0_18inequality_wrapperIN6hipcub16HIPCUB_304000_NS8EqualityEEEPlJS6_EEE10hipError_tPvRmT3_T4_T5_T6_T7_T9_mT8_P12ihipStream_tbDpT10_ENKUlT_T0_E_clISt17integral_constantIbLb1EES16_IbLb0EEEEDaS12_S13_EUlS12_E_NS1_11comp_targetILNS1_3genE9ELNS1_11target_archE1100ELNS1_3gpuE3ELNS1_3repE0EEENS1_30default_config_static_selectorELNS0_4arch9wavefront6targetE1EEEvT1_,comdat
.Lfunc_end294:
	.size	_ZN7rocprim17ROCPRIM_400000_NS6detail17trampoline_kernelINS0_14default_configENS1_25partition_config_selectorILNS1_17partition_subalgoE8EdNS0_10empty_typeEbEEZZNS1_14partition_implILS5_8ELb0ES3_jPKdPS6_PKS6_NS0_5tupleIJPdS6_EEENSE_IJSB_SB_EEENS0_18inequality_wrapperIN6hipcub16HIPCUB_304000_NS8EqualityEEEPlJS6_EEE10hipError_tPvRmT3_T4_T5_T6_T7_T9_mT8_P12ihipStream_tbDpT10_ENKUlT_T0_E_clISt17integral_constantIbLb1EES16_IbLb0EEEEDaS12_S13_EUlS12_E_NS1_11comp_targetILNS1_3genE9ELNS1_11target_archE1100ELNS1_3gpuE3ELNS1_3repE0EEENS1_30default_config_static_selectorELNS0_4arch9wavefront6targetE1EEEvT1_, .Lfunc_end294-_ZN7rocprim17ROCPRIM_400000_NS6detail17trampoline_kernelINS0_14default_configENS1_25partition_config_selectorILNS1_17partition_subalgoE8EdNS0_10empty_typeEbEEZZNS1_14partition_implILS5_8ELb0ES3_jPKdPS6_PKS6_NS0_5tupleIJPdS6_EEENSE_IJSB_SB_EEENS0_18inequality_wrapperIN6hipcub16HIPCUB_304000_NS8EqualityEEEPlJS6_EEE10hipError_tPvRmT3_T4_T5_T6_T7_T9_mT8_P12ihipStream_tbDpT10_ENKUlT_T0_E_clISt17integral_constantIbLb1EES16_IbLb0EEEEDaS12_S13_EUlS12_E_NS1_11comp_targetILNS1_3genE9ELNS1_11target_archE1100ELNS1_3gpuE3ELNS1_3repE0EEENS1_30default_config_static_selectorELNS0_4arch9wavefront6targetE1EEEvT1_
                                        ; -- End function
	.section	.AMDGPU.csdata,"",@progbits
; Kernel info:
; codeLenInByte = 0
; NumSgprs: 4
; NumVgprs: 0
; NumAgprs: 0
; TotalNumVgprs: 0
; ScratchSize: 0
; MemoryBound: 0
; FloatMode: 240
; IeeeMode: 1
; LDSByteSize: 0 bytes/workgroup (compile time only)
; SGPRBlocks: 0
; VGPRBlocks: 0
; NumSGPRsForWavesPerEU: 4
; NumVGPRsForWavesPerEU: 1
; AccumOffset: 4
; Occupancy: 8
; WaveLimiterHint : 0
; COMPUTE_PGM_RSRC2:SCRATCH_EN: 0
; COMPUTE_PGM_RSRC2:USER_SGPR: 6
; COMPUTE_PGM_RSRC2:TRAP_HANDLER: 0
; COMPUTE_PGM_RSRC2:TGID_X_EN: 1
; COMPUTE_PGM_RSRC2:TGID_Y_EN: 0
; COMPUTE_PGM_RSRC2:TGID_Z_EN: 0
; COMPUTE_PGM_RSRC2:TIDIG_COMP_CNT: 0
; COMPUTE_PGM_RSRC3_GFX90A:ACCUM_OFFSET: 0
; COMPUTE_PGM_RSRC3_GFX90A:TG_SPLIT: 0
	.section	.text._ZN7rocprim17ROCPRIM_400000_NS6detail17trampoline_kernelINS0_14default_configENS1_25partition_config_selectorILNS1_17partition_subalgoE8EdNS0_10empty_typeEbEEZZNS1_14partition_implILS5_8ELb0ES3_jPKdPS6_PKS6_NS0_5tupleIJPdS6_EEENSE_IJSB_SB_EEENS0_18inequality_wrapperIN6hipcub16HIPCUB_304000_NS8EqualityEEEPlJS6_EEE10hipError_tPvRmT3_T4_T5_T6_T7_T9_mT8_P12ihipStream_tbDpT10_ENKUlT_T0_E_clISt17integral_constantIbLb1EES16_IbLb0EEEEDaS12_S13_EUlS12_E_NS1_11comp_targetILNS1_3genE8ELNS1_11target_archE1030ELNS1_3gpuE2ELNS1_3repE0EEENS1_30default_config_static_selectorELNS0_4arch9wavefront6targetE1EEEvT1_,"axG",@progbits,_ZN7rocprim17ROCPRIM_400000_NS6detail17trampoline_kernelINS0_14default_configENS1_25partition_config_selectorILNS1_17partition_subalgoE8EdNS0_10empty_typeEbEEZZNS1_14partition_implILS5_8ELb0ES3_jPKdPS6_PKS6_NS0_5tupleIJPdS6_EEENSE_IJSB_SB_EEENS0_18inequality_wrapperIN6hipcub16HIPCUB_304000_NS8EqualityEEEPlJS6_EEE10hipError_tPvRmT3_T4_T5_T6_T7_T9_mT8_P12ihipStream_tbDpT10_ENKUlT_T0_E_clISt17integral_constantIbLb1EES16_IbLb0EEEEDaS12_S13_EUlS12_E_NS1_11comp_targetILNS1_3genE8ELNS1_11target_archE1030ELNS1_3gpuE2ELNS1_3repE0EEENS1_30default_config_static_selectorELNS0_4arch9wavefront6targetE1EEEvT1_,comdat
	.protected	_ZN7rocprim17ROCPRIM_400000_NS6detail17trampoline_kernelINS0_14default_configENS1_25partition_config_selectorILNS1_17partition_subalgoE8EdNS0_10empty_typeEbEEZZNS1_14partition_implILS5_8ELb0ES3_jPKdPS6_PKS6_NS0_5tupleIJPdS6_EEENSE_IJSB_SB_EEENS0_18inequality_wrapperIN6hipcub16HIPCUB_304000_NS8EqualityEEEPlJS6_EEE10hipError_tPvRmT3_T4_T5_T6_T7_T9_mT8_P12ihipStream_tbDpT10_ENKUlT_T0_E_clISt17integral_constantIbLb1EES16_IbLb0EEEEDaS12_S13_EUlS12_E_NS1_11comp_targetILNS1_3genE8ELNS1_11target_archE1030ELNS1_3gpuE2ELNS1_3repE0EEENS1_30default_config_static_selectorELNS0_4arch9wavefront6targetE1EEEvT1_ ; -- Begin function _ZN7rocprim17ROCPRIM_400000_NS6detail17trampoline_kernelINS0_14default_configENS1_25partition_config_selectorILNS1_17partition_subalgoE8EdNS0_10empty_typeEbEEZZNS1_14partition_implILS5_8ELb0ES3_jPKdPS6_PKS6_NS0_5tupleIJPdS6_EEENSE_IJSB_SB_EEENS0_18inequality_wrapperIN6hipcub16HIPCUB_304000_NS8EqualityEEEPlJS6_EEE10hipError_tPvRmT3_T4_T5_T6_T7_T9_mT8_P12ihipStream_tbDpT10_ENKUlT_T0_E_clISt17integral_constantIbLb1EES16_IbLb0EEEEDaS12_S13_EUlS12_E_NS1_11comp_targetILNS1_3genE8ELNS1_11target_archE1030ELNS1_3gpuE2ELNS1_3repE0EEENS1_30default_config_static_selectorELNS0_4arch9wavefront6targetE1EEEvT1_
	.globl	_ZN7rocprim17ROCPRIM_400000_NS6detail17trampoline_kernelINS0_14default_configENS1_25partition_config_selectorILNS1_17partition_subalgoE8EdNS0_10empty_typeEbEEZZNS1_14partition_implILS5_8ELb0ES3_jPKdPS6_PKS6_NS0_5tupleIJPdS6_EEENSE_IJSB_SB_EEENS0_18inequality_wrapperIN6hipcub16HIPCUB_304000_NS8EqualityEEEPlJS6_EEE10hipError_tPvRmT3_T4_T5_T6_T7_T9_mT8_P12ihipStream_tbDpT10_ENKUlT_T0_E_clISt17integral_constantIbLb1EES16_IbLb0EEEEDaS12_S13_EUlS12_E_NS1_11comp_targetILNS1_3genE8ELNS1_11target_archE1030ELNS1_3gpuE2ELNS1_3repE0EEENS1_30default_config_static_selectorELNS0_4arch9wavefront6targetE1EEEvT1_
	.p2align	8
	.type	_ZN7rocprim17ROCPRIM_400000_NS6detail17trampoline_kernelINS0_14default_configENS1_25partition_config_selectorILNS1_17partition_subalgoE8EdNS0_10empty_typeEbEEZZNS1_14partition_implILS5_8ELb0ES3_jPKdPS6_PKS6_NS0_5tupleIJPdS6_EEENSE_IJSB_SB_EEENS0_18inequality_wrapperIN6hipcub16HIPCUB_304000_NS8EqualityEEEPlJS6_EEE10hipError_tPvRmT3_T4_T5_T6_T7_T9_mT8_P12ihipStream_tbDpT10_ENKUlT_T0_E_clISt17integral_constantIbLb1EES16_IbLb0EEEEDaS12_S13_EUlS12_E_NS1_11comp_targetILNS1_3genE8ELNS1_11target_archE1030ELNS1_3gpuE2ELNS1_3repE0EEENS1_30default_config_static_selectorELNS0_4arch9wavefront6targetE1EEEvT1_,@function
_ZN7rocprim17ROCPRIM_400000_NS6detail17trampoline_kernelINS0_14default_configENS1_25partition_config_selectorILNS1_17partition_subalgoE8EdNS0_10empty_typeEbEEZZNS1_14partition_implILS5_8ELb0ES3_jPKdPS6_PKS6_NS0_5tupleIJPdS6_EEENSE_IJSB_SB_EEENS0_18inequality_wrapperIN6hipcub16HIPCUB_304000_NS8EqualityEEEPlJS6_EEE10hipError_tPvRmT3_T4_T5_T6_T7_T9_mT8_P12ihipStream_tbDpT10_ENKUlT_T0_E_clISt17integral_constantIbLb1EES16_IbLb0EEEEDaS12_S13_EUlS12_E_NS1_11comp_targetILNS1_3genE8ELNS1_11target_archE1030ELNS1_3gpuE2ELNS1_3repE0EEENS1_30default_config_static_selectorELNS0_4arch9wavefront6targetE1EEEvT1_: ; @_ZN7rocprim17ROCPRIM_400000_NS6detail17trampoline_kernelINS0_14default_configENS1_25partition_config_selectorILNS1_17partition_subalgoE8EdNS0_10empty_typeEbEEZZNS1_14partition_implILS5_8ELb0ES3_jPKdPS6_PKS6_NS0_5tupleIJPdS6_EEENSE_IJSB_SB_EEENS0_18inequality_wrapperIN6hipcub16HIPCUB_304000_NS8EqualityEEEPlJS6_EEE10hipError_tPvRmT3_T4_T5_T6_T7_T9_mT8_P12ihipStream_tbDpT10_ENKUlT_T0_E_clISt17integral_constantIbLb1EES16_IbLb0EEEEDaS12_S13_EUlS12_E_NS1_11comp_targetILNS1_3genE8ELNS1_11target_archE1030ELNS1_3gpuE2ELNS1_3repE0EEENS1_30default_config_static_selectorELNS0_4arch9wavefront6targetE1EEEvT1_
; %bb.0:
	.section	.rodata,"a",@progbits
	.p2align	6, 0x0
	.amdhsa_kernel _ZN7rocprim17ROCPRIM_400000_NS6detail17trampoline_kernelINS0_14default_configENS1_25partition_config_selectorILNS1_17partition_subalgoE8EdNS0_10empty_typeEbEEZZNS1_14partition_implILS5_8ELb0ES3_jPKdPS6_PKS6_NS0_5tupleIJPdS6_EEENSE_IJSB_SB_EEENS0_18inequality_wrapperIN6hipcub16HIPCUB_304000_NS8EqualityEEEPlJS6_EEE10hipError_tPvRmT3_T4_T5_T6_T7_T9_mT8_P12ihipStream_tbDpT10_ENKUlT_T0_E_clISt17integral_constantIbLb1EES16_IbLb0EEEEDaS12_S13_EUlS12_E_NS1_11comp_targetILNS1_3genE8ELNS1_11target_archE1030ELNS1_3gpuE2ELNS1_3repE0EEENS1_30default_config_static_selectorELNS0_4arch9wavefront6targetE1EEEvT1_
		.amdhsa_group_segment_fixed_size 0
		.amdhsa_private_segment_fixed_size 0
		.amdhsa_kernarg_size 112
		.amdhsa_user_sgpr_count 6
		.amdhsa_user_sgpr_private_segment_buffer 1
		.amdhsa_user_sgpr_dispatch_ptr 0
		.amdhsa_user_sgpr_queue_ptr 0
		.amdhsa_user_sgpr_kernarg_segment_ptr 1
		.amdhsa_user_sgpr_dispatch_id 0
		.amdhsa_user_sgpr_flat_scratch_init 0
		.amdhsa_user_sgpr_kernarg_preload_length 0
		.amdhsa_user_sgpr_kernarg_preload_offset 0
		.amdhsa_user_sgpr_private_segment_size 0
		.amdhsa_uses_dynamic_stack 0
		.amdhsa_system_sgpr_private_segment_wavefront_offset 0
		.amdhsa_system_sgpr_workgroup_id_x 1
		.amdhsa_system_sgpr_workgroup_id_y 0
		.amdhsa_system_sgpr_workgroup_id_z 0
		.amdhsa_system_sgpr_workgroup_info 0
		.amdhsa_system_vgpr_workitem_id 0
		.amdhsa_next_free_vgpr 1
		.amdhsa_next_free_sgpr 0
		.amdhsa_accum_offset 4
		.amdhsa_reserve_vcc 0
		.amdhsa_reserve_flat_scratch 0
		.amdhsa_float_round_mode_32 0
		.amdhsa_float_round_mode_16_64 0
		.amdhsa_float_denorm_mode_32 3
		.amdhsa_float_denorm_mode_16_64 3
		.amdhsa_dx10_clamp 1
		.amdhsa_ieee_mode 1
		.amdhsa_fp16_overflow 0
		.amdhsa_tg_split 0
		.amdhsa_exception_fp_ieee_invalid_op 0
		.amdhsa_exception_fp_denorm_src 0
		.amdhsa_exception_fp_ieee_div_zero 0
		.amdhsa_exception_fp_ieee_overflow 0
		.amdhsa_exception_fp_ieee_underflow 0
		.amdhsa_exception_fp_ieee_inexact 0
		.amdhsa_exception_int_div_zero 0
	.end_amdhsa_kernel
	.section	.text._ZN7rocprim17ROCPRIM_400000_NS6detail17trampoline_kernelINS0_14default_configENS1_25partition_config_selectorILNS1_17partition_subalgoE8EdNS0_10empty_typeEbEEZZNS1_14partition_implILS5_8ELb0ES3_jPKdPS6_PKS6_NS0_5tupleIJPdS6_EEENSE_IJSB_SB_EEENS0_18inequality_wrapperIN6hipcub16HIPCUB_304000_NS8EqualityEEEPlJS6_EEE10hipError_tPvRmT3_T4_T5_T6_T7_T9_mT8_P12ihipStream_tbDpT10_ENKUlT_T0_E_clISt17integral_constantIbLb1EES16_IbLb0EEEEDaS12_S13_EUlS12_E_NS1_11comp_targetILNS1_3genE8ELNS1_11target_archE1030ELNS1_3gpuE2ELNS1_3repE0EEENS1_30default_config_static_selectorELNS0_4arch9wavefront6targetE1EEEvT1_,"axG",@progbits,_ZN7rocprim17ROCPRIM_400000_NS6detail17trampoline_kernelINS0_14default_configENS1_25partition_config_selectorILNS1_17partition_subalgoE8EdNS0_10empty_typeEbEEZZNS1_14partition_implILS5_8ELb0ES3_jPKdPS6_PKS6_NS0_5tupleIJPdS6_EEENSE_IJSB_SB_EEENS0_18inequality_wrapperIN6hipcub16HIPCUB_304000_NS8EqualityEEEPlJS6_EEE10hipError_tPvRmT3_T4_T5_T6_T7_T9_mT8_P12ihipStream_tbDpT10_ENKUlT_T0_E_clISt17integral_constantIbLb1EES16_IbLb0EEEEDaS12_S13_EUlS12_E_NS1_11comp_targetILNS1_3genE8ELNS1_11target_archE1030ELNS1_3gpuE2ELNS1_3repE0EEENS1_30default_config_static_selectorELNS0_4arch9wavefront6targetE1EEEvT1_,comdat
.Lfunc_end295:
	.size	_ZN7rocprim17ROCPRIM_400000_NS6detail17trampoline_kernelINS0_14default_configENS1_25partition_config_selectorILNS1_17partition_subalgoE8EdNS0_10empty_typeEbEEZZNS1_14partition_implILS5_8ELb0ES3_jPKdPS6_PKS6_NS0_5tupleIJPdS6_EEENSE_IJSB_SB_EEENS0_18inequality_wrapperIN6hipcub16HIPCUB_304000_NS8EqualityEEEPlJS6_EEE10hipError_tPvRmT3_T4_T5_T6_T7_T9_mT8_P12ihipStream_tbDpT10_ENKUlT_T0_E_clISt17integral_constantIbLb1EES16_IbLb0EEEEDaS12_S13_EUlS12_E_NS1_11comp_targetILNS1_3genE8ELNS1_11target_archE1030ELNS1_3gpuE2ELNS1_3repE0EEENS1_30default_config_static_selectorELNS0_4arch9wavefront6targetE1EEEvT1_, .Lfunc_end295-_ZN7rocprim17ROCPRIM_400000_NS6detail17trampoline_kernelINS0_14default_configENS1_25partition_config_selectorILNS1_17partition_subalgoE8EdNS0_10empty_typeEbEEZZNS1_14partition_implILS5_8ELb0ES3_jPKdPS6_PKS6_NS0_5tupleIJPdS6_EEENSE_IJSB_SB_EEENS0_18inequality_wrapperIN6hipcub16HIPCUB_304000_NS8EqualityEEEPlJS6_EEE10hipError_tPvRmT3_T4_T5_T6_T7_T9_mT8_P12ihipStream_tbDpT10_ENKUlT_T0_E_clISt17integral_constantIbLb1EES16_IbLb0EEEEDaS12_S13_EUlS12_E_NS1_11comp_targetILNS1_3genE8ELNS1_11target_archE1030ELNS1_3gpuE2ELNS1_3repE0EEENS1_30default_config_static_selectorELNS0_4arch9wavefront6targetE1EEEvT1_
                                        ; -- End function
	.section	.AMDGPU.csdata,"",@progbits
; Kernel info:
; codeLenInByte = 0
; NumSgprs: 4
; NumVgprs: 0
; NumAgprs: 0
; TotalNumVgprs: 0
; ScratchSize: 0
; MemoryBound: 0
; FloatMode: 240
; IeeeMode: 1
; LDSByteSize: 0 bytes/workgroup (compile time only)
; SGPRBlocks: 0
; VGPRBlocks: 0
; NumSGPRsForWavesPerEU: 4
; NumVGPRsForWavesPerEU: 1
; AccumOffset: 4
; Occupancy: 8
; WaveLimiterHint : 0
; COMPUTE_PGM_RSRC2:SCRATCH_EN: 0
; COMPUTE_PGM_RSRC2:USER_SGPR: 6
; COMPUTE_PGM_RSRC2:TRAP_HANDLER: 0
; COMPUTE_PGM_RSRC2:TGID_X_EN: 1
; COMPUTE_PGM_RSRC2:TGID_Y_EN: 0
; COMPUTE_PGM_RSRC2:TGID_Z_EN: 0
; COMPUTE_PGM_RSRC2:TIDIG_COMP_CNT: 0
; COMPUTE_PGM_RSRC3_GFX90A:ACCUM_OFFSET: 0
; COMPUTE_PGM_RSRC3_GFX90A:TG_SPLIT: 0
	.section	.text._ZN7rocprim17ROCPRIM_400000_NS6detail17trampoline_kernelINS0_14default_configENS1_25partition_config_selectorILNS1_17partition_subalgoE8EdNS0_10empty_typeEbEEZZNS1_14partition_implILS5_8ELb0ES3_jPKdPS6_PKS6_NS0_5tupleIJPdS6_EEENSE_IJSB_SB_EEENS0_18inequality_wrapperIN6hipcub16HIPCUB_304000_NS8EqualityEEEPlJS6_EEE10hipError_tPvRmT3_T4_T5_T6_T7_T9_mT8_P12ihipStream_tbDpT10_ENKUlT_T0_E_clISt17integral_constantIbLb0EES16_IbLb1EEEEDaS12_S13_EUlS12_E_NS1_11comp_targetILNS1_3genE0ELNS1_11target_archE4294967295ELNS1_3gpuE0ELNS1_3repE0EEENS1_30default_config_static_selectorELNS0_4arch9wavefront6targetE1EEEvT1_,"axG",@progbits,_ZN7rocprim17ROCPRIM_400000_NS6detail17trampoline_kernelINS0_14default_configENS1_25partition_config_selectorILNS1_17partition_subalgoE8EdNS0_10empty_typeEbEEZZNS1_14partition_implILS5_8ELb0ES3_jPKdPS6_PKS6_NS0_5tupleIJPdS6_EEENSE_IJSB_SB_EEENS0_18inequality_wrapperIN6hipcub16HIPCUB_304000_NS8EqualityEEEPlJS6_EEE10hipError_tPvRmT3_T4_T5_T6_T7_T9_mT8_P12ihipStream_tbDpT10_ENKUlT_T0_E_clISt17integral_constantIbLb0EES16_IbLb1EEEEDaS12_S13_EUlS12_E_NS1_11comp_targetILNS1_3genE0ELNS1_11target_archE4294967295ELNS1_3gpuE0ELNS1_3repE0EEENS1_30default_config_static_selectorELNS0_4arch9wavefront6targetE1EEEvT1_,comdat
	.protected	_ZN7rocprim17ROCPRIM_400000_NS6detail17trampoline_kernelINS0_14default_configENS1_25partition_config_selectorILNS1_17partition_subalgoE8EdNS0_10empty_typeEbEEZZNS1_14partition_implILS5_8ELb0ES3_jPKdPS6_PKS6_NS0_5tupleIJPdS6_EEENSE_IJSB_SB_EEENS0_18inequality_wrapperIN6hipcub16HIPCUB_304000_NS8EqualityEEEPlJS6_EEE10hipError_tPvRmT3_T4_T5_T6_T7_T9_mT8_P12ihipStream_tbDpT10_ENKUlT_T0_E_clISt17integral_constantIbLb0EES16_IbLb1EEEEDaS12_S13_EUlS12_E_NS1_11comp_targetILNS1_3genE0ELNS1_11target_archE4294967295ELNS1_3gpuE0ELNS1_3repE0EEENS1_30default_config_static_selectorELNS0_4arch9wavefront6targetE1EEEvT1_ ; -- Begin function _ZN7rocprim17ROCPRIM_400000_NS6detail17trampoline_kernelINS0_14default_configENS1_25partition_config_selectorILNS1_17partition_subalgoE8EdNS0_10empty_typeEbEEZZNS1_14partition_implILS5_8ELb0ES3_jPKdPS6_PKS6_NS0_5tupleIJPdS6_EEENSE_IJSB_SB_EEENS0_18inequality_wrapperIN6hipcub16HIPCUB_304000_NS8EqualityEEEPlJS6_EEE10hipError_tPvRmT3_T4_T5_T6_T7_T9_mT8_P12ihipStream_tbDpT10_ENKUlT_T0_E_clISt17integral_constantIbLb0EES16_IbLb1EEEEDaS12_S13_EUlS12_E_NS1_11comp_targetILNS1_3genE0ELNS1_11target_archE4294967295ELNS1_3gpuE0ELNS1_3repE0EEENS1_30default_config_static_selectorELNS0_4arch9wavefront6targetE1EEEvT1_
	.globl	_ZN7rocprim17ROCPRIM_400000_NS6detail17trampoline_kernelINS0_14default_configENS1_25partition_config_selectorILNS1_17partition_subalgoE8EdNS0_10empty_typeEbEEZZNS1_14partition_implILS5_8ELb0ES3_jPKdPS6_PKS6_NS0_5tupleIJPdS6_EEENSE_IJSB_SB_EEENS0_18inequality_wrapperIN6hipcub16HIPCUB_304000_NS8EqualityEEEPlJS6_EEE10hipError_tPvRmT3_T4_T5_T6_T7_T9_mT8_P12ihipStream_tbDpT10_ENKUlT_T0_E_clISt17integral_constantIbLb0EES16_IbLb1EEEEDaS12_S13_EUlS12_E_NS1_11comp_targetILNS1_3genE0ELNS1_11target_archE4294967295ELNS1_3gpuE0ELNS1_3repE0EEENS1_30default_config_static_selectorELNS0_4arch9wavefront6targetE1EEEvT1_
	.p2align	8
	.type	_ZN7rocprim17ROCPRIM_400000_NS6detail17trampoline_kernelINS0_14default_configENS1_25partition_config_selectorILNS1_17partition_subalgoE8EdNS0_10empty_typeEbEEZZNS1_14partition_implILS5_8ELb0ES3_jPKdPS6_PKS6_NS0_5tupleIJPdS6_EEENSE_IJSB_SB_EEENS0_18inequality_wrapperIN6hipcub16HIPCUB_304000_NS8EqualityEEEPlJS6_EEE10hipError_tPvRmT3_T4_T5_T6_T7_T9_mT8_P12ihipStream_tbDpT10_ENKUlT_T0_E_clISt17integral_constantIbLb0EES16_IbLb1EEEEDaS12_S13_EUlS12_E_NS1_11comp_targetILNS1_3genE0ELNS1_11target_archE4294967295ELNS1_3gpuE0ELNS1_3repE0EEENS1_30default_config_static_selectorELNS0_4arch9wavefront6targetE1EEEvT1_,@function
_ZN7rocprim17ROCPRIM_400000_NS6detail17trampoline_kernelINS0_14default_configENS1_25partition_config_selectorILNS1_17partition_subalgoE8EdNS0_10empty_typeEbEEZZNS1_14partition_implILS5_8ELb0ES3_jPKdPS6_PKS6_NS0_5tupleIJPdS6_EEENSE_IJSB_SB_EEENS0_18inequality_wrapperIN6hipcub16HIPCUB_304000_NS8EqualityEEEPlJS6_EEE10hipError_tPvRmT3_T4_T5_T6_T7_T9_mT8_P12ihipStream_tbDpT10_ENKUlT_T0_E_clISt17integral_constantIbLb0EES16_IbLb1EEEEDaS12_S13_EUlS12_E_NS1_11comp_targetILNS1_3genE0ELNS1_11target_archE4294967295ELNS1_3gpuE0ELNS1_3repE0EEENS1_30default_config_static_selectorELNS0_4arch9wavefront6targetE1EEEvT1_: ; @_ZN7rocprim17ROCPRIM_400000_NS6detail17trampoline_kernelINS0_14default_configENS1_25partition_config_selectorILNS1_17partition_subalgoE8EdNS0_10empty_typeEbEEZZNS1_14partition_implILS5_8ELb0ES3_jPKdPS6_PKS6_NS0_5tupleIJPdS6_EEENSE_IJSB_SB_EEENS0_18inequality_wrapperIN6hipcub16HIPCUB_304000_NS8EqualityEEEPlJS6_EEE10hipError_tPvRmT3_T4_T5_T6_T7_T9_mT8_P12ihipStream_tbDpT10_ENKUlT_T0_E_clISt17integral_constantIbLb0EES16_IbLb1EEEEDaS12_S13_EUlS12_E_NS1_11comp_targetILNS1_3genE0ELNS1_11target_archE4294967295ELNS1_3gpuE0ELNS1_3repE0EEENS1_30default_config_static_selectorELNS0_4arch9wavefront6targetE1EEEvT1_
; %bb.0:
	.section	.rodata,"a",@progbits
	.p2align	6, 0x0
	.amdhsa_kernel _ZN7rocprim17ROCPRIM_400000_NS6detail17trampoline_kernelINS0_14default_configENS1_25partition_config_selectorILNS1_17partition_subalgoE8EdNS0_10empty_typeEbEEZZNS1_14partition_implILS5_8ELb0ES3_jPKdPS6_PKS6_NS0_5tupleIJPdS6_EEENSE_IJSB_SB_EEENS0_18inequality_wrapperIN6hipcub16HIPCUB_304000_NS8EqualityEEEPlJS6_EEE10hipError_tPvRmT3_T4_T5_T6_T7_T9_mT8_P12ihipStream_tbDpT10_ENKUlT_T0_E_clISt17integral_constantIbLb0EES16_IbLb1EEEEDaS12_S13_EUlS12_E_NS1_11comp_targetILNS1_3genE0ELNS1_11target_archE4294967295ELNS1_3gpuE0ELNS1_3repE0EEENS1_30default_config_static_selectorELNS0_4arch9wavefront6targetE1EEEvT1_
		.amdhsa_group_segment_fixed_size 0
		.amdhsa_private_segment_fixed_size 0
		.amdhsa_kernarg_size 128
		.amdhsa_user_sgpr_count 6
		.amdhsa_user_sgpr_private_segment_buffer 1
		.amdhsa_user_sgpr_dispatch_ptr 0
		.amdhsa_user_sgpr_queue_ptr 0
		.amdhsa_user_sgpr_kernarg_segment_ptr 1
		.amdhsa_user_sgpr_dispatch_id 0
		.amdhsa_user_sgpr_flat_scratch_init 0
		.amdhsa_user_sgpr_kernarg_preload_length 0
		.amdhsa_user_sgpr_kernarg_preload_offset 0
		.amdhsa_user_sgpr_private_segment_size 0
		.amdhsa_uses_dynamic_stack 0
		.amdhsa_system_sgpr_private_segment_wavefront_offset 0
		.amdhsa_system_sgpr_workgroup_id_x 1
		.amdhsa_system_sgpr_workgroup_id_y 0
		.amdhsa_system_sgpr_workgroup_id_z 0
		.amdhsa_system_sgpr_workgroup_info 0
		.amdhsa_system_vgpr_workitem_id 0
		.amdhsa_next_free_vgpr 1
		.amdhsa_next_free_sgpr 0
		.amdhsa_accum_offset 4
		.amdhsa_reserve_vcc 0
		.amdhsa_reserve_flat_scratch 0
		.amdhsa_float_round_mode_32 0
		.amdhsa_float_round_mode_16_64 0
		.amdhsa_float_denorm_mode_32 3
		.amdhsa_float_denorm_mode_16_64 3
		.amdhsa_dx10_clamp 1
		.amdhsa_ieee_mode 1
		.amdhsa_fp16_overflow 0
		.amdhsa_tg_split 0
		.amdhsa_exception_fp_ieee_invalid_op 0
		.amdhsa_exception_fp_denorm_src 0
		.amdhsa_exception_fp_ieee_div_zero 0
		.amdhsa_exception_fp_ieee_overflow 0
		.amdhsa_exception_fp_ieee_underflow 0
		.amdhsa_exception_fp_ieee_inexact 0
		.amdhsa_exception_int_div_zero 0
	.end_amdhsa_kernel
	.section	.text._ZN7rocprim17ROCPRIM_400000_NS6detail17trampoline_kernelINS0_14default_configENS1_25partition_config_selectorILNS1_17partition_subalgoE8EdNS0_10empty_typeEbEEZZNS1_14partition_implILS5_8ELb0ES3_jPKdPS6_PKS6_NS0_5tupleIJPdS6_EEENSE_IJSB_SB_EEENS0_18inequality_wrapperIN6hipcub16HIPCUB_304000_NS8EqualityEEEPlJS6_EEE10hipError_tPvRmT3_T4_T5_T6_T7_T9_mT8_P12ihipStream_tbDpT10_ENKUlT_T0_E_clISt17integral_constantIbLb0EES16_IbLb1EEEEDaS12_S13_EUlS12_E_NS1_11comp_targetILNS1_3genE0ELNS1_11target_archE4294967295ELNS1_3gpuE0ELNS1_3repE0EEENS1_30default_config_static_selectorELNS0_4arch9wavefront6targetE1EEEvT1_,"axG",@progbits,_ZN7rocprim17ROCPRIM_400000_NS6detail17trampoline_kernelINS0_14default_configENS1_25partition_config_selectorILNS1_17partition_subalgoE8EdNS0_10empty_typeEbEEZZNS1_14partition_implILS5_8ELb0ES3_jPKdPS6_PKS6_NS0_5tupleIJPdS6_EEENSE_IJSB_SB_EEENS0_18inequality_wrapperIN6hipcub16HIPCUB_304000_NS8EqualityEEEPlJS6_EEE10hipError_tPvRmT3_T4_T5_T6_T7_T9_mT8_P12ihipStream_tbDpT10_ENKUlT_T0_E_clISt17integral_constantIbLb0EES16_IbLb1EEEEDaS12_S13_EUlS12_E_NS1_11comp_targetILNS1_3genE0ELNS1_11target_archE4294967295ELNS1_3gpuE0ELNS1_3repE0EEENS1_30default_config_static_selectorELNS0_4arch9wavefront6targetE1EEEvT1_,comdat
.Lfunc_end296:
	.size	_ZN7rocprim17ROCPRIM_400000_NS6detail17trampoline_kernelINS0_14default_configENS1_25partition_config_selectorILNS1_17partition_subalgoE8EdNS0_10empty_typeEbEEZZNS1_14partition_implILS5_8ELb0ES3_jPKdPS6_PKS6_NS0_5tupleIJPdS6_EEENSE_IJSB_SB_EEENS0_18inequality_wrapperIN6hipcub16HIPCUB_304000_NS8EqualityEEEPlJS6_EEE10hipError_tPvRmT3_T4_T5_T6_T7_T9_mT8_P12ihipStream_tbDpT10_ENKUlT_T0_E_clISt17integral_constantIbLb0EES16_IbLb1EEEEDaS12_S13_EUlS12_E_NS1_11comp_targetILNS1_3genE0ELNS1_11target_archE4294967295ELNS1_3gpuE0ELNS1_3repE0EEENS1_30default_config_static_selectorELNS0_4arch9wavefront6targetE1EEEvT1_, .Lfunc_end296-_ZN7rocprim17ROCPRIM_400000_NS6detail17trampoline_kernelINS0_14default_configENS1_25partition_config_selectorILNS1_17partition_subalgoE8EdNS0_10empty_typeEbEEZZNS1_14partition_implILS5_8ELb0ES3_jPKdPS6_PKS6_NS0_5tupleIJPdS6_EEENSE_IJSB_SB_EEENS0_18inequality_wrapperIN6hipcub16HIPCUB_304000_NS8EqualityEEEPlJS6_EEE10hipError_tPvRmT3_T4_T5_T6_T7_T9_mT8_P12ihipStream_tbDpT10_ENKUlT_T0_E_clISt17integral_constantIbLb0EES16_IbLb1EEEEDaS12_S13_EUlS12_E_NS1_11comp_targetILNS1_3genE0ELNS1_11target_archE4294967295ELNS1_3gpuE0ELNS1_3repE0EEENS1_30default_config_static_selectorELNS0_4arch9wavefront6targetE1EEEvT1_
                                        ; -- End function
	.section	.AMDGPU.csdata,"",@progbits
; Kernel info:
; codeLenInByte = 0
; NumSgprs: 4
; NumVgprs: 0
; NumAgprs: 0
; TotalNumVgprs: 0
; ScratchSize: 0
; MemoryBound: 0
; FloatMode: 240
; IeeeMode: 1
; LDSByteSize: 0 bytes/workgroup (compile time only)
; SGPRBlocks: 0
; VGPRBlocks: 0
; NumSGPRsForWavesPerEU: 4
; NumVGPRsForWavesPerEU: 1
; AccumOffset: 4
; Occupancy: 8
; WaveLimiterHint : 0
; COMPUTE_PGM_RSRC2:SCRATCH_EN: 0
; COMPUTE_PGM_RSRC2:USER_SGPR: 6
; COMPUTE_PGM_RSRC2:TRAP_HANDLER: 0
; COMPUTE_PGM_RSRC2:TGID_X_EN: 1
; COMPUTE_PGM_RSRC2:TGID_Y_EN: 0
; COMPUTE_PGM_RSRC2:TGID_Z_EN: 0
; COMPUTE_PGM_RSRC2:TIDIG_COMP_CNT: 0
; COMPUTE_PGM_RSRC3_GFX90A:ACCUM_OFFSET: 0
; COMPUTE_PGM_RSRC3_GFX90A:TG_SPLIT: 0
	.section	.text._ZN7rocprim17ROCPRIM_400000_NS6detail17trampoline_kernelINS0_14default_configENS1_25partition_config_selectorILNS1_17partition_subalgoE8EdNS0_10empty_typeEbEEZZNS1_14partition_implILS5_8ELb0ES3_jPKdPS6_PKS6_NS0_5tupleIJPdS6_EEENSE_IJSB_SB_EEENS0_18inequality_wrapperIN6hipcub16HIPCUB_304000_NS8EqualityEEEPlJS6_EEE10hipError_tPvRmT3_T4_T5_T6_T7_T9_mT8_P12ihipStream_tbDpT10_ENKUlT_T0_E_clISt17integral_constantIbLb0EES16_IbLb1EEEEDaS12_S13_EUlS12_E_NS1_11comp_targetILNS1_3genE5ELNS1_11target_archE942ELNS1_3gpuE9ELNS1_3repE0EEENS1_30default_config_static_selectorELNS0_4arch9wavefront6targetE1EEEvT1_,"axG",@progbits,_ZN7rocprim17ROCPRIM_400000_NS6detail17trampoline_kernelINS0_14default_configENS1_25partition_config_selectorILNS1_17partition_subalgoE8EdNS0_10empty_typeEbEEZZNS1_14partition_implILS5_8ELb0ES3_jPKdPS6_PKS6_NS0_5tupleIJPdS6_EEENSE_IJSB_SB_EEENS0_18inequality_wrapperIN6hipcub16HIPCUB_304000_NS8EqualityEEEPlJS6_EEE10hipError_tPvRmT3_T4_T5_T6_T7_T9_mT8_P12ihipStream_tbDpT10_ENKUlT_T0_E_clISt17integral_constantIbLb0EES16_IbLb1EEEEDaS12_S13_EUlS12_E_NS1_11comp_targetILNS1_3genE5ELNS1_11target_archE942ELNS1_3gpuE9ELNS1_3repE0EEENS1_30default_config_static_selectorELNS0_4arch9wavefront6targetE1EEEvT1_,comdat
	.protected	_ZN7rocprim17ROCPRIM_400000_NS6detail17trampoline_kernelINS0_14default_configENS1_25partition_config_selectorILNS1_17partition_subalgoE8EdNS0_10empty_typeEbEEZZNS1_14partition_implILS5_8ELb0ES3_jPKdPS6_PKS6_NS0_5tupleIJPdS6_EEENSE_IJSB_SB_EEENS0_18inequality_wrapperIN6hipcub16HIPCUB_304000_NS8EqualityEEEPlJS6_EEE10hipError_tPvRmT3_T4_T5_T6_T7_T9_mT8_P12ihipStream_tbDpT10_ENKUlT_T0_E_clISt17integral_constantIbLb0EES16_IbLb1EEEEDaS12_S13_EUlS12_E_NS1_11comp_targetILNS1_3genE5ELNS1_11target_archE942ELNS1_3gpuE9ELNS1_3repE0EEENS1_30default_config_static_selectorELNS0_4arch9wavefront6targetE1EEEvT1_ ; -- Begin function _ZN7rocprim17ROCPRIM_400000_NS6detail17trampoline_kernelINS0_14default_configENS1_25partition_config_selectorILNS1_17partition_subalgoE8EdNS0_10empty_typeEbEEZZNS1_14partition_implILS5_8ELb0ES3_jPKdPS6_PKS6_NS0_5tupleIJPdS6_EEENSE_IJSB_SB_EEENS0_18inequality_wrapperIN6hipcub16HIPCUB_304000_NS8EqualityEEEPlJS6_EEE10hipError_tPvRmT3_T4_T5_T6_T7_T9_mT8_P12ihipStream_tbDpT10_ENKUlT_T0_E_clISt17integral_constantIbLb0EES16_IbLb1EEEEDaS12_S13_EUlS12_E_NS1_11comp_targetILNS1_3genE5ELNS1_11target_archE942ELNS1_3gpuE9ELNS1_3repE0EEENS1_30default_config_static_selectorELNS0_4arch9wavefront6targetE1EEEvT1_
	.globl	_ZN7rocprim17ROCPRIM_400000_NS6detail17trampoline_kernelINS0_14default_configENS1_25partition_config_selectorILNS1_17partition_subalgoE8EdNS0_10empty_typeEbEEZZNS1_14partition_implILS5_8ELb0ES3_jPKdPS6_PKS6_NS0_5tupleIJPdS6_EEENSE_IJSB_SB_EEENS0_18inequality_wrapperIN6hipcub16HIPCUB_304000_NS8EqualityEEEPlJS6_EEE10hipError_tPvRmT3_T4_T5_T6_T7_T9_mT8_P12ihipStream_tbDpT10_ENKUlT_T0_E_clISt17integral_constantIbLb0EES16_IbLb1EEEEDaS12_S13_EUlS12_E_NS1_11comp_targetILNS1_3genE5ELNS1_11target_archE942ELNS1_3gpuE9ELNS1_3repE0EEENS1_30default_config_static_selectorELNS0_4arch9wavefront6targetE1EEEvT1_
	.p2align	8
	.type	_ZN7rocprim17ROCPRIM_400000_NS6detail17trampoline_kernelINS0_14default_configENS1_25partition_config_selectorILNS1_17partition_subalgoE8EdNS0_10empty_typeEbEEZZNS1_14partition_implILS5_8ELb0ES3_jPKdPS6_PKS6_NS0_5tupleIJPdS6_EEENSE_IJSB_SB_EEENS0_18inequality_wrapperIN6hipcub16HIPCUB_304000_NS8EqualityEEEPlJS6_EEE10hipError_tPvRmT3_T4_T5_T6_T7_T9_mT8_P12ihipStream_tbDpT10_ENKUlT_T0_E_clISt17integral_constantIbLb0EES16_IbLb1EEEEDaS12_S13_EUlS12_E_NS1_11comp_targetILNS1_3genE5ELNS1_11target_archE942ELNS1_3gpuE9ELNS1_3repE0EEENS1_30default_config_static_selectorELNS0_4arch9wavefront6targetE1EEEvT1_,@function
_ZN7rocprim17ROCPRIM_400000_NS6detail17trampoline_kernelINS0_14default_configENS1_25partition_config_selectorILNS1_17partition_subalgoE8EdNS0_10empty_typeEbEEZZNS1_14partition_implILS5_8ELb0ES3_jPKdPS6_PKS6_NS0_5tupleIJPdS6_EEENSE_IJSB_SB_EEENS0_18inequality_wrapperIN6hipcub16HIPCUB_304000_NS8EqualityEEEPlJS6_EEE10hipError_tPvRmT3_T4_T5_T6_T7_T9_mT8_P12ihipStream_tbDpT10_ENKUlT_T0_E_clISt17integral_constantIbLb0EES16_IbLb1EEEEDaS12_S13_EUlS12_E_NS1_11comp_targetILNS1_3genE5ELNS1_11target_archE942ELNS1_3gpuE9ELNS1_3repE0EEENS1_30default_config_static_selectorELNS0_4arch9wavefront6targetE1EEEvT1_: ; @_ZN7rocprim17ROCPRIM_400000_NS6detail17trampoline_kernelINS0_14default_configENS1_25partition_config_selectorILNS1_17partition_subalgoE8EdNS0_10empty_typeEbEEZZNS1_14partition_implILS5_8ELb0ES3_jPKdPS6_PKS6_NS0_5tupleIJPdS6_EEENSE_IJSB_SB_EEENS0_18inequality_wrapperIN6hipcub16HIPCUB_304000_NS8EqualityEEEPlJS6_EEE10hipError_tPvRmT3_T4_T5_T6_T7_T9_mT8_P12ihipStream_tbDpT10_ENKUlT_T0_E_clISt17integral_constantIbLb0EES16_IbLb1EEEEDaS12_S13_EUlS12_E_NS1_11comp_targetILNS1_3genE5ELNS1_11target_archE942ELNS1_3gpuE9ELNS1_3repE0EEENS1_30default_config_static_selectorELNS0_4arch9wavefront6targetE1EEEvT1_
; %bb.0:
	.section	.rodata,"a",@progbits
	.p2align	6, 0x0
	.amdhsa_kernel _ZN7rocprim17ROCPRIM_400000_NS6detail17trampoline_kernelINS0_14default_configENS1_25partition_config_selectorILNS1_17partition_subalgoE8EdNS0_10empty_typeEbEEZZNS1_14partition_implILS5_8ELb0ES3_jPKdPS6_PKS6_NS0_5tupleIJPdS6_EEENSE_IJSB_SB_EEENS0_18inequality_wrapperIN6hipcub16HIPCUB_304000_NS8EqualityEEEPlJS6_EEE10hipError_tPvRmT3_T4_T5_T6_T7_T9_mT8_P12ihipStream_tbDpT10_ENKUlT_T0_E_clISt17integral_constantIbLb0EES16_IbLb1EEEEDaS12_S13_EUlS12_E_NS1_11comp_targetILNS1_3genE5ELNS1_11target_archE942ELNS1_3gpuE9ELNS1_3repE0EEENS1_30default_config_static_selectorELNS0_4arch9wavefront6targetE1EEEvT1_
		.amdhsa_group_segment_fixed_size 0
		.amdhsa_private_segment_fixed_size 0
		.amdhsa_kernarg_size 128
		.amdhsa_user_sgpr_count 6
		.amdhsa_user_sgpr_private_segment_buffer 1
		.amdhsa_user_sgpr_dispatch_ptr 0
		.amdhsa_user_sgpr_queue_ptr 0
		.amdhsa_user_sgpr_kernarg_segment_ptr 1
		.amdhsa_user_sgpr_dispatch_id 0
		.amdhsa_user_sgpr_flat_scratch_init 0
		.amdhsa_user_sgpr_kernarg_preload_length 0
		.amdhsa_user_sgpr_kernarg_preload_offset 0
		.amdhsa_user_sgpr_private_segment_size 0
		.amdhsa_uses_dynamic_stack 0
		.amdhsa_system_sgpr_private_segment_wavefront_offset 0
		.amdhsa_system_sgpr_workgroup_id_x 1
		.amdhsa_system_sgpr_workgroup_id_y 0
		.amdhsa_system_sgpr_workgroup_id_z 0
		.amdhsa_system_sgpr_workgroup_info 0
		.amdhsa_system_vgpr_workitem_id 0
		.amdhsa_next_free_vgpr 1
		.amdhsa_next_free_sgpr 0
		.amdhsa_accum_offset 4
		.amdhsa_reserve_vcc 0
		.amdhsa_reserve_flat_scratch 0
		.amdhsa_float_round_mode_32 0
		.amdhsa_float_round_mode_16_64 0
		.amdhsa_float_denorm_mode_32 3
		.amdhsa_float_denorm_mode_16_64 3
		.amdhsa_dx10_clamp 1
		.amdhsa_ieee_mode 1
		.amdhsa_fp16_overflow 0
		.amdhsa_tg_split 0
		.amdhsa_exception_fp_ieee_invalid_op 0
		.amdhsa_exception_fp_denorm_src 0
		.amdhsa_exception_fp_ieee_div_zero 0
		.amdhsa_exception_fp_ieee_overflow 0
		.amdhsa_exception_fp_ieee_underflow 0
		.amdhsa_exception_fp_ieee_inexact 0
		.amdhsa_exception_int_div_zero 0
	.end_amdhsa_kernel
	.section	.text._ZN7rocprim17ROCPRIM_400000_NS6detail17trampoline_kernelINS0_14default_configENS1_25partition_config_selectorILNS1_17partition_subalgoE8EdNS0_10empty_typeEbEEZZNS1_14partition_implILS5_8ELb0ES3_jPKdPS6_PKS6_NS0_5tupleIJPdS6_EEENSE_IJSB_SB_EEENS0_18inequality_wrapperIN6hipcub16HIPCUB_304000_NS8EqualityEEEPlJS6_EEE10hipError_tPvRmT3_T4_T5_T6_T7_T9_mT8_P12ihipStream_tbDpT10_ENKUlT_T0_E_clISt17integral_constantIbLb0EES16_IbLb1EEEEDaS12_S13_EUlS12_E_NS1_11comp_targetILNS1_3genE5ELNS1_11target_archE942ELNS1_3gpuE9ELNS1_3repE0EEENS1_30default_config_static_selectorELNS0_4arch9wavefront6targetE1EEEvT1_,"axG",@progbits,_ZN7rocprim17ROCPRIM_400000_NS6detail17trampoline_kernelINS0_14default_configENS1_25partition_config_selectorILNS1_17partition_subalgoE8EdNS0_10empty_typeEbEEZZNS1_14partition_implILS5_8ELb0ES3_jPKdPS6_PKS6_NS0_5tupleIJPdS6_EEENSE_IJSB_SB_EEENS0_18inequality_wrapperIN6hipcub16HIPCUB_304000_NS8EqualityEEEPlJS6_EEE10hipError_tPvRmT3_T4_T5_T6_T7_T9_mT8_P12ihipStream_tbDpT10_ENKUlT_T0_E_clISt17integral_constantIbLb0EES16_IbLb1EEEEDaS12_S13_EUlS12_E_NS1_11comp_targetILNS1_3genE5ELNS1_11target_archE942ELNS1_3gpuE9ELNS1_3repE0EEENS1_30default_config_static_selectorELNS0_4arch9wavefront6targetE1EEEvT1_,comdat
.Lfunc_end297:
	.size	_ZN7rocprim17ROCPRIM_400000_NS6detail17trampoline_kernelINS0_14default_configENS1_25partition_config_selectorILNS1_17partition_subalgoE8EdNS0_10empty_typeEbEEZZNS1_14partition_implILS5_8ELb0ES3_jPKdPS6_PKS6_NS0_5tupleIJPdS6_EEENSE_IJSB_SB_EEENS0_18inequality_wrapperIN6hipcub16HIPCUB_304000_NS8EqualityEEEPlJS6_EEE10hipError_tPvRmT3_T4_T5_T6_T7_T9_mT8_P12ihipStream_tbDpT10_ENKUlT_T0_E_clISt17integral_constantIbLb0EES16_IbLb1EEEEDaS12_S13_EUlS12_E_NS1_11comp_targetILNS1_3genE5ELNS1_11target_archE942ELNS1_3gpuE9ELNS1_3repE0EEENS1_30default_config_static_selectorELNS0_4arch9wavefront6targetE1EEEvT1_, .Lfunc_end297-_ZN7rocprim17ROCPRIM_400000_NS6detail17trampoline_kernelINS0_14default_configENS1_25partition_config_selectorILNS1_17partition_subalgoE8EdNS0_10empty_typeEbEEZZNS1_14partition_implILS5_8ELb0ES3_jPKdPS6_PKS6_NS0_5tupleIJPdS6_EEENSE_IJSB_SB_EEENS0_18inequality_wrapperIN6hipcub16HIPCUB_304000_NS8EqualityEEEPlJS6_EEE10hipError_tPvRmT3_T4_T5_T6_T7_T9_mT8_P12ihipStream_tbDpT10_ENKUlT_T0_E_clISt17integral_constantIbLb0EES16_IbLb1EEEEDaS12_S13_EUlS12_E_NS1_11comp_targetILNS1_3genE5ELNS1_11target_archE942ELNS1_3gpuE9ELNS1_3repE0EEENS1_30default_config_static_selectorELNS0_4arch9wavefront6targetE1EEEvT1_
                                        ; -- End function
	.section	.AMDGPU.csdata,"",@progbits
; Kernel info:
; codeLenInByte = 0
; NumSgprs: 4
; NumVgprs: 0
; NumAgprs: 0
; TotalNumVgprs: 0
; ScratchSize: 0
; MemoryBound: 0
; FloatMode: 240
; IeeeMode: 1
; LDSByteSize: 0 bytes/workgroup (compile time only)
; SGPRBlocks: 0
; VGPRBlocks: 0
; NumSGPRsForWavesPerEU: 4
; NumVGPRsForWavesPerEU: 1
; AccumOffset: 4
; Occupancy: 8
; WaveLimiterHint : 0
; COMPUTE_PGM_RSRC2:SCRATCH_EN: 0
; COMPUTE_PGM_RSRC2:USER_SGPR: 6
; COMPUTE_PGM_RSRC2:TRAP_HANDLER: 0
; COMPUTE_PGM_RSRC2:TGID_X_EN: 1
; COMPUTE_PGM_RSRC2:TGID_Y_EN: 0
; COMPUTE_PGM_RSRC2:TGID_Z_EN: 0
; COMPUTE_PGM_RSRC2:TIDIG_COMP_CNT: 0
; COMPUTE_PGM_RSRC3_GFX90A:ACCUM_OFFSET: 0
; COMPUTE_PGM_RSRC3_GFX90A:TG_SPLIT: 0
	.section	.text._ZN7rocprim17ROCPRIM_400000_NS6detail17trampoline_kernelINS0_14default_configENS1_25partition_config_selectorILNS1_17partition_subalgoE8EdNS0_10empty_typeEbEEZZNS1_14partition_implILS5_8ELb0ES3_jPKdPS6_PKS6_NS0_5tupleIJPdS6_EEENSE_IJSB_SB_EEENS0_18inequality_wrapperIN6hipcub16HIPCUB_304000_NS8EqualityEEEPlJS6_EEE10hipError_tPvRmT3_T4_T5_T6_T7_T9_mT8_P12ihipStream_tbDpT10_ENKUlT_T0_E_clISt17integral_constantIbLb0EES16_IbLb1EEEEDaS12_S13_EUlS12_E_NS1_11comp_targetILNS1_3genE4ELNS1_11target_archE910ELNS1_3gpuE8ELNS1_3repE0EEENS1_30default_config_static_selectorELNS0_4arch9wavefront6targetE1EEEvT1_,"axG",@progbits,_ZN7rocprim17ROCPRIM_400000_NS6detail17trampoline_kernelINS0_14default_configENS1_25partition_config_selectorILNS1_17partition_subalgoE8EdNS0_10empty_typeEbEEZZNS1_14partition_implILS5_8ELb0ES3_jPKdPS6_PKS6_NS0_5tupleIJPdS6_EEENSE_IJSB_SB_EEENS0_18inequality_wrapperIN6hipcub16HIPCUB_304000_NS8EqualityEEEPlJS6_EEE10hipError_tPvRmT3_T4_T5_T6_T7_T9_mT8_P12ihipStream_tbDpT10_ENKUlT_T0_E_clISt17integral_constantIbLb0EES16_IbLb1EEEEDaS12_S13_EUlS12_E_NS1_11comp_targetILNS1_3genE4ELNS1_11target_archE910ELNS1_3gpuE8ELNS1_3repE0EEENS1_30default_config_static_selectorELNS0_4arch9wavefront6targetE1EEEvT1_,comdat
	.protected	_ZN7rocprim17ROCPRIM_400000_NS6detail17trampoline_kernelINS0_14default_configENS1_25partition_config_selectorILNS1_17partition_subalgoE8EdNS0_10empty_typeEbEEZZNS1_14partition_implILS5_8ELb0ES3_jPKdPS6_PKS6_NS0_5tupleIJPdS6_EEENSE_IJSB_SB_EEENS0_18inequality_wrapperIN6hipcub16HIPCUB_304000_NS8EqualityEEEPlJS6_EEE10hipError_tPvRmT3_T4_T5_T6_T7_T9_mT8_P12ihipStream_tbDpT10_ENKUlT_T0_E_clISt17integral_constantIbLb0EES16_IbLb1EEEEDaS12_S13_EUlS12_E_NS1_11comp_targetILNS1_3genE4ELNS1_11target_archE910ELNS1_3gpuE8ELNS1_3repE0EEENS1_30default_config_static_selectorELNS0_4arch9wavefront6targetE1EEEvT1_ ; -- Begin function _ZN7rocprim17ROCPRIM_400000_NS6detail17trampoline_kernelINS0_14default_configENS1_25partition_config_selectorILNS1_17partition_subalgoE8EdNS0_10empty_typeEbEEZZNS1_14partition_implILS5_8ELb0ES3_jPKdPS6_PKS6_NS0_5tupleIJPdS6_EEENSE_IJSB_SB_EEENS0_18inequality_wrapperIN6hipcub16HIPCUB_304000_NS8EqualityEEEPlJS6_EEE10hipError_tPvRmT3_T4_T5_T6_T7_T9_mT8_P12ihipStream_tbDpT10_ENKUlT_T0_E_clISt17integral_constantIbLb0EES16_IbLb1EEEEDaS12_S13_EUlS12_E_NS1_11comp_targetILNS1_3genE4ELNS1_11target_archE910ELNS1_3gpuE8ELNS1_3repE0EEENS1_30default_config_static_selectorELNS0_4arch9wavefront6targetE1EEEvT1_
	.globl	_ZN7rocprim17ROCPRIM_400000_NS6detail17trampoline_kernelINS0_14default_configENS1_25partition_config_selectorILNS1_17partition_subalgoE8EdNS0_10empty_typeEbEEZZNS1_14partition_implILS5_8ELb0ES3_jPKdPS6_PKS6_NS0_5tupleIJPdS6_EEENSE_IJSB_SB_EEENS0_18inequality_wrapperIN6hipcub16HIPCUB_304000_NS8EqualityEEEPlJS6_EEE10hipError_tPvRmT3_T4_T5_T6_T7_T9_mT8_P12ihipStream_tbDpT10_ENKUlT_T0_E_clISt17integral_constantIbLb0EES16_IbLb1EEEEDaS12_S13_EUlS12_E_NS1_11comp_targetILNS1_3genE4ELNS1_11target_archE910ELNS1_3gpuE8ELNS1_3repE0EEENS1_30default_config_static_selectorELNS0_4arch9wavefront6targetE1EEEvT1_
	.p2align	8
	.type	_ZN7rocprim17ROCPRIM_400000_NS6detail17trampoline_kernelINS0_14default_configENS1_25partition_config_selectorILNS1_17partition_subalgoE8EdNS0_10empty_typeEbEEZZNS1_14partition_implILS5_8ELb0ES3_jPKdPS6_PKS6_NS0_5tupleIJPdS6_EEENSE_IJSB_SB_EEENS0_18inequality_wrapperIN6hipcub16HIPCUB_304000_NS8EqualityEEEPlJS6_EEE10hipError_tPvRmT3_T4_T5_T6_T7_T9_mT8_P12ihipStream_tbDpT10_ENKUlT_T0_E_clISt17integral_constantIbLb0EES16_IbLb1EEEEDaS12_S13_EUlS12_E_NS1_11comp_targetILNS1_3genE4ELNS1_11target_archE910ELNS1_3gpuE8ELNS1_3repE0EEENS1_30default_config_static_selectorELNS0_4arch9wavefront6targetE1EEEvT1_,@function
_ZN7rocprim17ROCPRIM_400000_NS6detail17trampoline_kernelINS0_14default_configENS1_25partition_config_selectorILNS1_17partition_subalgoE8EdNS0_10empty_typeEbEEZZNS1_14partition_implILS5_8ELb0ES3_jPKdPS6_PKS6_NS0_5tupleIJPdS6_EEENSE_IJSB_SB_EEENS0_18inequality_wrapperIN6hipcub16HIPCUB_304000_NS8EqualityEEEPlJS6_EEE10hipError_tPvRmT3_T4_T5_T6_T7_T9_mT8_P12ihipStream_tbDpT10_ENKUlT_T0_E_clISt17integral_constantIbLb0EES16_IbLb1EEEEDaS12_S13_EUlS12_E_NS1_11comp_targetILNS1_3genE4ELNS1_11target_archE910ELNS1_3gpuE8ELNS1_3repE0EEENS1_30default_config_static_selectorELNS0_4arch9wavefront6targetE1EEEvT1_: ; @_ZN7rocprim17ROCPRIM_400000_NS6detail17trampoline_kernelINS0_14default_configENS1_25partition_config_selectorILNS1_17partition_subalgoE8EdNS0_10empty_typeEbEEZZNS1_14partition_implILS5_8ELb0ES3_jPKdPS6_PKS6_NS0_5tupleIJPdS6_EEENSE_IJSB_SB_EEENS0_18inequality_wrapperIN6hipcub16HIPCUB_304000_NS8EqualityEEEPlJS6_EEE10hipError_tPvRmT3_T4_T5_T6_T7_T9_mT8_P12ihipStream_tbDpT10_ENKUlT_T0_E_clISt17integral_constantIbLb0EES16_IbLb1EEEEDaS12_S13_EUlS12_E_NS1_11comp_targetILNS1_3genE4ELNS1_11target_archE910ELNS1_3gpuE8ELNS1_3repE0EEENS1_30default_config_static_selectorELNS0_4arch9wavefront6targetE1EEEvT1_
; %bb.0:
	s_load_dwordx2 s[18:19], s[4:5], 0x28
	s_load_dwordx4 s[20:23], s[4:5], 0x40
	s_load_dwordx2 s[6:7], s[4:5], 0x50
	s_load_dwordx2 s[26:27], s[4:5], 0x60
	v_cmp_ne_u32_e64 s[2:3], 0, v0
	v_cmp_eq_u32_e64 s[0:1], 0, v0
	s_and_saveexec_b64 s[8:9], s[0:1]
	s_cbranch_execz .LBB298_4
; %bb.1:
	s_mov_b64 s[12:13], exec
	v_mbcnt_lo_u32_b32 v1, s12, 0
	v_mbcnt_hi_u32_b32 v1, s13, v1
	v_cmp_eq_u32_e32 vcc, 0, v1
                                        ; implicit-def: $vgpr2
	s_and_saveexec_b64 s[10:11], vcc
	s_cbranch_execz .LBB298_3
; %bb.2:
	s_load_dwordx2 s[14:15], s[4:5], 0x70
	s_bcnt1_i32_b64 s12, s[12:13]
	v_mov_b32_e32 v2, 0
	v_mov_b32_e32 v3, s12
	s_waitcnt lgkmcnt(0)
	global_atomic_add v2, v2, v3, s[14:15] glc
.LBB298_3:
	s_or_b64 exec, exec, s[10:11]
	s_waitcnt vmcnt(0)
	v_readfirstlane_b32 s10, v2
	v_add_u32_e32 v1, s10, v1
	v_mov_b32_e32 v2, 0
	ds_write_b32 v2, v1
.LBB298_4:
	s_or_b64 exec, exec, s[8:9]
	v_mov_b32_e32 v3, 0
	s_load_dwordx4 s[8:11], s[4:5], 0x8
	s_load_dword s12, s[4:5], 0x68
	s_waitcnt lgkmcnt(0)
	s_barrier
	ds_read_b32 v1, v3
	s_waitcnt lgkmcnt(0)
	s_barrier
	global_load_dwordx2 v[18:19], v3, s[22:23]
	s_lshl_b64 s[4:5], s[10:11], 3
	v_mov_b32_e32 v5, s7
	s_add_u32 s7, s8, s4
	s_movk_i32 s4, 0x500
	v_mul_lo_u32 v2, v1, s4
	s_mul_i32 s4, s12, 0x500
	s_addc_u32 s8, s9, s5
	s_add_i32 s5, s4, s10
	s_add_i32 s9, s12, -1
	s_sub_i32 s28, s6, s5
	s_add_u32 s4, s10, s4
	v_readfirstlane_b32 s33, v1
	s_addc_u32 s5, s11, 0
	v_mov_b32_e32 v4, s6
	s_cmp_eq_u32 s33, s9
	v_cmp_ge_u64_e32 vcc, s[4:5], v[4:5]
	s_cselect_b64 s[22:23], -1, 0
	v_lshlrev_b64 v[2:3], 3, v[2:3]
	s_and_b64 s[12:13], vcc, s[22:23]
	v_mov_b32_e32 v1, s8
	v_add_co_u32_e32 v20, vcc, s7, v2
	s_xor_b64 s[24:25], s[12:13], -1
	v_addc_co_u32_e32 v21, vcc, v1, v3, vcc
	s_mov_b64 s[4:5], -1
	s_and_b64 vcc, exec, s[24:25]
	s_cbranch_vccz .LBB298_6
; %bb.5:
	v_lshlrev_b32_e32 v1, 3, v0
	v_add_co_u32_e32 v12, vcc, v20, v1
	v_addc_co_u32_e32 v13, vcc, 0, v21, vcc
	v_add_co_u32_e32 v2, vcc, 0x1000, v12
	v_readfirstlane_b32 s4, v20
	v_readfirstlane_b32 s5, v21
	v_addc_co_u32_e32 v3, vcc, 0, v13, vcc
	s_nop 3
	global_load_dwordx2 v[4:5], v1, s[4:5]
	global_load_dwordx2 v[6:7], v1, s[4:5] offset:2048
	global_load_dwordx2 v[8:9], v[2:3], off
	global_load_dwordx2 v[10:11], v[2:3], off offset:2048
	v_add_co_u32_e32 v2, vcc, 0x2000, v12
	v_addc_co_u32_e32 v3, vcc, 0, v13, vcc
	global_load_dwordx2 v[2:3], v[2:3], off
	s_mov_b64 s[4:5], 0
	s_waitcnt vmcnt(3)
	ds_write2st64_b64 v1, v[4:5], v[6:7] offset1:4
	s_waitcnt vmcnt(1)
	ds_write2st64_b64 v1, v[8:9], v[10:11] offset0:8 offset1:12
	s_waitcnt vmcnt(0)
	ds_write_b64 v1, v[2:3] offset:8192
	s_waitcnt lgkmcnt(0)
	s_barrier
.LBB298_6:
	s_andn2_b64 vcc, exec, s[4:5]
	s_addk_i32 s28, 0x500
	s_cbranch_vccnz .LBB298_18
; %bb.7:
	v_cmp_gt_u32_e32 vcc, s28, v0
                                        ; implicit-def: $vgpr2_vgpr3_vgpr4_vgpr5_vgpr6_vgpr7_vgpr8_vgpr9_vgpr10_vgpr11_vgpr12_vgpr13_vgpr14_vgpr15_vgpr16_vgpr17
	s_and_saveexec_b64 s[4:5], vcc
	s_cbranch_execz .LBB298_9
; %bb.8:
	v_lshlrev_b32_e32 v1, 3, v0
	v_readfirstlane_b32 s6, v20
	v_readfirstlane_b32 s7, v21
	s_nop 4
	global_load_dwordx2 v[2:3], v1, s[6:7]
.LBB298_9:
	s_or_b64 exec, exec, s[4:5]
	v_or_b32_e32 v1, 0x100, v0
	v_cmp_gt_u32_e32 vcc, s28, v1
	s_and_saveexec_b64 s[4:5], vcc
	s_cbranch_execz .LBB298_11
; %bb.10:
	v_lshlrev_b32_e32 v1, 3, v0
	v_readfirstlane_b32 s6, v20
	v_readfirstlane_b32 s7, v21
	s_nop 4
	global_load_dwordx2 v[4:5], v1, s[6:7] offset:2048
.LBB298_11:
	s_or_b64 exec, exec, s[4:5]
	v_or_b32_e32 v1, 0x200, v0
	v_cmp_gt_u32_e32 vcc, s28, v1
	s_and_saveexec_b64 s[4:5], vcc
	s_cbranch_execz .LBB298_13
; %bb.12:
	v_lshlrev_b32_e32 v1, 3, v1
	v_readfirstlane_b32 s6, v20
	v_readfirstlane_b32 s7, v21
	s_nop 4
	global_load_dwordx2 v[6:7], v1, s[6:7]
.LBB298_13:
	s_or_b64 exec, exec, s[4:5]
	v_or_b32_e32 v1, 0x300, v0
	v_cmp_gt_u32_e32 vcc, s28, v1
	s_and_saveexec_b64 s[4:5], vcc
	s_cbranch_execz .LBB298_15
; %bb.14:
	v_lshlrev_b32_e32 v1, 3, v1
	v_readfirstlane_b32 s6, v20
	v_readfirstlane_b32 s7, v21
	s_nop 4
	global_load_dwordx2 v[8:9], v1, s[6:7]
.LBB298_15:
	s_or_b64 exec, exec, s[4:5]
	v_or_b32_e32 v1, 0x400, v0
	v_cmp_gt_u32_e32 vcc, s28, v1
	s_and_saveexec_b64 s[4:5], vcc
	s_cbranch_execz .LBB298_17
; %bb.16:
	v_lshlrev_b32_e32 v1, 3, v1
	v_readfirstlane_b32 s6, v20
	v_readfirstlane_b32 s7, v21
	s_nop 4
	global_load_dwordx2 v[10:11], v1, s[6:7]
.LBB298_17:
	s_or_b64 exec, exec, s[4:5]
	v_lshlrev_b32_e32 v1, 3, v0
	s_waitcnt vmcnt(0)
	ds_write2st64_b64 v1, v[2:3], v[4:5] offset1:4
	ds_write2st64_b64 v1, v[6:7], v[8:9] offset0:8 offset1:12
	ds_write_b64 v1, v[10:11] offset:8192
	s_waitcnt lgkmcnt(0)
	s_barrier
.LBB298_18:
	v_mul_u32_u24_e32 v22, 5, v0
	v_lshlrev_b32_e32 v1, 3, v22
	ds_read2_b64 v[6:9], v1 offset1:1
	ds_read2_b64 v[2:5], v1 offset0:2 offset1:3
	ds_read_b64 v[10:11], v1 offset:32
	s_cmp_lg_u32 s33, 0
	s_cselect_b64 s[16:17], -1, 0
	s_cmp_lg_u64 s[10:11], 0
	s_cselect_b64 s[4:5], -1, 0
	s_or_b64 s[4:5], s[4:5], s[16:17]
	v_mad_u32_u24 v25, v0, 5, 1
	v_mad_u32_u24 v23, v0, 5, 2
	;; [unrolled: 1-line block ×4, first 2 shown]
	s_mov_b64 s[14:15], 0
	s_and_b64 vcc, exec, s[4:5]
	s_waitcnt lgkmcnt(0)
	s_barrier
	s_cbranch_vccz .LBB298_23
; %bb.19:
	global_load_dwordx2 v[14:15], v[20:21], off offset:-8
	v_lshlrev_b32_e32 v12, 3, v0
	s_and_b64 vcc, exec, s[24:25]
	ds_write_b64 v12, v[10:11]
	s_cbranch_vccz .LBB298_24
; %bb.20:
	s_waitcnt vmcnt(0)
	v_pk_mov_b32 v[16:17], v[14:15], v[14:15] op_sel:[0,1]
	s_waitcnt lgkmcnt(0)
	s_barrier
	s_and_saveexec_b64 s[4:5], s[2:3]
	s_cbranch_execz .LBB298_22
; %bb.21:
	v_add_u32_e32 v13, -8, v12
	ds_read_b64 v[16:17], v13
.LBB298_22:
	s_or_b64 exec, exec, s[4:5]
	v_cmp_neq_f64_e32 vcc, v[4:5], v[10:11]
	v_cndmask_b32_e64 v13, 0, 1, vcc
	v_cmp_neq_f64_e32 vcc, v[2:3], v[4:5]
	v_cndmask_b32_e64 v20, 0, 1, vcc
	v_cmp_neq_f64_e32 vcc, v[8:9], v[2:3]
	v_cndmask_b32_e64 v21, 0, 1, vcc
	v_cmp_neq_f64_e32 vcc, v[6:7], v[8:9]
	v_cndmask_b32_e64 v27, 0, 1, vcc
	s_waitcnt lgkmcnt(0)
	v_cmp_neq_f64_e64 s[4:5], v[16:17], v[6:7]
	v_lshlrev_b16_e32 v16, 8, v20
	v_or_b32_sdwa v16, v21, v16 dst_sel:WORD_1 dst_unused:UNUSED_PAD src0_sel:DWORD src1_sel:DWORD
	v_lshlrev_b16_e32 v17, 8, v27
	v_or_b32_e32 v16, v17, v16
	s_branch .LBB298_28
.LBB298_23:
                                        ; implicit-def: $sgpr4_sgpr5
                                        ; implicit-def: $vgpr13
                                        ; implicit-def: $vgpr16
	s_branch .LBB298_29
.LBB298_24:
                                        ; implicit-def: $sgpr4_sgpr5
                                        ; implicit-def: $vgpr13
                                        ; implicit-def: $vgpr16
	s_cbranch_execz .LBB298_28
; %bb.25:
	s_waitcnt lgkmcnt(0)
	s_barrier
	s_and_saveexec_b64 s[4:5], s[2:3]
	s_cbranch_execz .LBB298_27
; %bb.26:
	v_add_u32_e32 v12, -8, v12
	s_waitcnt vmcnt(0)
	ds_read_b64 v[14:15], v12
.LBB298_27:
	s_or_b64 exec, exec, s[4:5]
	v_cmp_gt_u32_e32 vcc, s28, v24
	v_cmp_neq_f64_e64 s[4:5], v[4:5], v[10:11]
	s_and_b64 s[4:5], vcc, s[4:5]
	v_cndmask_b32_e64 v13, 0, 1, s[4:5]
	v_cmp_gt_u32_e32 vcc, s28, v26
	v_cmp_neq_f64_e64 s[4:5], v[2:3], v[4:5]
	s_and_b64 s[4:5], vcc, s[4:5]
	v_cndmask_b32_e64 v12, 0, 1, s[4:5]
	;; [unrolled: 4-line block ×4, first 2 shown]
	v_lshlrev_b16_e32 v12, 8, v12
	v_cmp_gt_u32_e32 vcc, s28, v22
	s_waitcnt vmcnt(0) lgkmcnt(0)
	v_cmp_neq_f64_e64 s[4:5], v[14:15], v[6:7]
	v_or_b32_sdwa v12, v16, v12 dst_sel:WORD_1 dst_unused:UNUSED_PAD src0_sel:DWORD src1_sel:DWORD
	v_lshlrev_b16_e32 v14, 8, v17
	s_and_b64 s[4:5], vcc, s[4:5]
	v_or_b32_e32 v16, v14, v12
.LBB298_28:
	s_mov_b64 s[14:15], -1
	s_cbranch_execnz .LBB298_37
.LBB298_29:
	v_lshlrev_b32_e32 v12, 5, v0
	s_waitcnt vmcnt(0)
	v_sub_u32_e32 v14, v1, v12
	s_and_b64 vcc, exec, s[24:25]
	v_cmp_neq_f64_e64 s[4:5], v[4:5], v[10:11]
	v_cmp_neq_f64_e64 s[6:7], v[2:3], v[4:5]
	;; [unrolled: 1-line block ×4, first 2 shown]
	ds_write_b64 v14, v[10:11]
	s_cbranch_vccz .LBB298_33
; %bb.30:
	v_cndmask_b32_e64 v12, 0, 1, s[6:7]
	v_cndmask_b32_e64 v13, 0, 1, s[8:9]
	;; [unrolled: 1-line block ×3, first 2 shown]
	v_lshlrev_b16_e32 v12, 8, v12
	v_or_b32_sdwa v12, v13, v12 dst_sel:WORD_1 dst_unused:UNUSED_PAD src0_sel:DWORD src1_sel:DWORD
	v_lshlrev_b16_e32 v13, 8, v15
	v_or_b32_e32 v13, 1, v13
	v_or_b32_sdwa v12, v13, v12 dst_sel:DWORD dst_unused:UNUSED_PAD src0_sel:WORD_0 src1_sel:DWORD
	v_cndmask_b32_e64 v13, 0, 1, s[4:5]
	s_waitcnt lgkmcnt(0)
	s_barrier
	s_waitcnt lgkmcnt(0)
                                        ; implicit-def: $sgpr4_sgpr5
                                        ; implicit-def: $vgpr16
	s_and_saveexec_b64 s[6:7], s[2:3]
	s_xor_b64 s[6:7], exec, s[6:7]
	s_cbranch_execz .LBB298_32
; %bb.31:
	v_add_u32_e32 v15, -8, v14
	ds_read_b64 v[20:21], v15
	s_mov_b32 s4, 0x3020104
	v_perm_b32 v16, v12, v12, s4
	s_or_b64 s[14:15], s[14:15], exec
	s_waitcnt lgkmcnt(0)
	v_cmp_neq_f64_e32 vcc, v[20:21], v[6:7]
	s_and_b64 s[4:5], vcc, exec
.LBB298_32:
	s_or_b64 exec, exec, s[6:7]
	s_branch .LBB298_37
.LBB298_33:
                                        ; implicit-def: $sgpr4_sgpr5
                                        ; implicit-def: $vgpr13
                                        ; implicit-def: $vgpr16
	s_cbranch_execz .LBB298_37
; %bb.34:
	v_cmp_gt_u32_e64 s[6:7], s28, v26
	v_cmp_neq_f64_e64 s[8:9], v[2:3], v[4:5]
	s_and_b64 s[6:7], s[6:7], s[8:9]
	v_cndmask_b32_e64 v12, 0, 1, s[6:7]
	v_cmp_gt_u32_e64 s[6:7], s28, v23
	v_cmp_neq_f64_e64 s[8:9], v[8:9], v[2:3]
	s_and_b64 s[6:7], s[6:7], s[8:9]
	v_cndmask_b32_e64 v13, 0, 1, s[6:7]
	;; [unrolled: 4-line block ×3, first 2 shown]
	v_lshlrev_b16_e32 v12, 8, v12
	v_cmp_gt_u32_e32 vcc, s28, v24
	v_cmp_neq_f64_e64 s[4:5], v[4:5], v[10:11]
	v_or_b32_sdwa v12, v13, v12 dst_sel:WORD_1 dst_unused:UNUSED_PAD src0_sel:DWORD src1_sel:DWORD
	v_lshlrev_b16_e32 v13, 8, v15
	v_or_b32_e32 v13, 1, v13
	s_and_b64 s[4:5], vcc, s[4:5]
	v_or_b32_sdwa v12, v13, v12 dst_sel:DWORD dst_unused:UNUSED_PAD src0_sel:WORD_0 src1_sel:DWORD
	v_cndmask_b32_e64 v13, 0, 1, s[4:5]
	s_waitcnt lgkmcnt(0)
	s_barrier
	s_waitcnt lgkmcnt(0)
                                        ; implicit-def: $sgpr4_sgpr5
                                        ; implicit-def: $vgpr16
	s_and_saveexec_b64 s[6:7], s[2:3]
	s_cbranch_execz .LBB298_36
; %bb.35:
	v_add_u32_e32 v14, -8, v14
	ds_read_b64 v[14:15], v14
	s_mov_b32 s2, 0x3020104
	v_cmp_gt_u32_e32 vcc, s28, v22
	v_perm_b32 v16, v12, v12, s2
	s_or_b64 s[14:15], s[14:15], exec
	s_waitcnt lgkmcnt(0)
	v_cmp_neq_f64_e64 s[2:3], v[14:15], v[6:7]
	s_and_b64 s[2:3], vcc, s[2:3]
	s_and_b64 s[4:5], s[2:3], exec
.LBB298_36:
	s_or_b64 exec, exec, s[6:7]
.LBB298_37:
	s_and_saveexec_b64 s[2:3], s[14:15]
	s_cbranch_execz .LBB298_39
; %bb.38:
	v_cndmask_b32_e64 v12, 0, 1, s[4:5]
	s_waitcnt vmcnt(0)
	v_lshrrev_b32_e32 v14, 24, v16
	s_movk_i32 s4, 0xff
	v_lshlrev_b16_e32 v14, 8, v14
	v_and_b32_sdwa v15, v16, s4 dst_sel:DWORD dst_unused:UNUSED_PAD src0_sel:WORD_1 src1_sel:DWORD
	v_or_b32_sdwa v14, v15, v14 dst_sel:WORD_1 dst_unused:UNUSED_PAD src0_sel:DWORD src1_sel:DWORD
	v_mov_b32_e32 v15, 8
	v_lshrrev_b32_sdwa v15, v15, v16 dst_sel:BYTE_1 dst_unused:UNUSED_PAD src0_sel:DWORD src1_sel:DWORD
	v_or_b32_e32 v12, v12, v15
	s_mov_b32 s4, 0xffff
	v_or_b32_sdwa v12, v12, v14 dst_sel:DWORD dst_unused:UNUSED_PAD src0_sel:WORD_0 src1_sel:DWORD
	v_and_b32_sdwa v13, s4, v13 dst_sel:DWORD dst_unused:UNUSED_PAD src0_sel:DWORD src1_sel:BYTE_0
.LBB298_39:
	s_or_b64 exec, exec, s[2:3]
	s_andn2_b64 vcc, exec, s[12:13]
	s_cbranch_vccnz .LBB298_41
; %bb.40:
	v_cmp_gt_u32_e32 vcc, s28, v22
	s_waitcnt vmcnt(0)
	v_cndmask_b32_e32 v14, 0, v12, vcc
	v_and_b32_e32 v14, 0xffff00ff, v14
	v_cmp_gt_u32_e64 s[2:3], s28, v25
	v_cndmask_b32_e64 v14, v14, v12, s[2:3]
	v_lshrrev_b32_e32 v15, 24, v14
	s_mov_b32 s4, 0x40c0100
	v_perm_b32 v14, v15, v14, s4
	v_cmp_gt_u32_e64 s[4:5], s28, v23
	v_cmp_gt_u32_e64 s[6:7], s28, v26
	v_cndmask_b32_e64 v14, v14, v12, s[4:5]
	s_or_b64 s[4:5], s[6:7], s[4:5]
	s_or_b64 s[2:3], s[4:5], s[2:3]
	s_or_b64 vcc, s[2:3], vcc
	v_and_b32_e32 v14, 0xffffff, v14
	v_cndmask_b32_e32 v15, 0, v13, vcc
	v_cndmask_b32_e64 v14, v14, v12, s[6:7]
	v_and_b32_e32 v15, 0xffffff00, v15
	v_cmp_gt_u32_e32 vcc, s28, v24
	v_cndmask_b32_e32 v12, v14, v12, vcc
	v_cndmask_b32_e32 v13, v15, v13, vcc
	s_mov_b32 s2, 0x3020104
	v_and_b32_e32 v13, 0xff, v13
	v_perm_b32 v12, v12, v12, s2
.LBB298_41:
	v_and_b32_e32 v27, 0xff, v12
	v_bfe_u32 v29, v12, 8, 8
	v_bfe_u32 v30, v12, 16, 8
	s_waitcnt vmcnt(0)
	v_alignbit_b32 v14, v13, v12, 24
	v_and_b32_e32 v31, 0xff, v14
	v_and_b32_e32 v14, 0xff, v13
	v_add3_u32 v15, v29, v27, v30
	v_add3_u32 v34, v15, v31, v14
	v_mbcnt_lo_u32_b32 v14, -1, 0
	v_mbcnt_hi_u32_b32 v32, -1, v14
	v_and_b32_e32 v14, 15, v32
	v_cmp_eq_u32_e64 s[14:15], 0, v14
	v_cmp_lt_u32_e64 s[12:13], 1, v14
	v_cmp_lt_u32_e64 s[10:11], 3, v14
	v_cmp_lt_u32_e64 s[8:9], 7, v14
	v_and_b32_e32 v14, 16, v32
	v_cmp_eq_u32_e64 s[6:7], 0, v14
	v_or_b32_e32 v14, 63, v0
	v_cmp_lt_u32_e64 s[2:3], 31, v32
	v_lshrrev_b32_e32 v33, 6, v0
	v_cmp_eq_u32_e64 s[4:5], v14, v0
	s_and_b64 vcc, exec, s[16:17]
	s_waitcnt lgkmcnt(0)
	s_barrier
	s_cbranch_vccz .LBB298_68
; %bb.42:
	v_mov_b32_dpp v14, v34 row_shr:1 row_mask:0xf bank_mask:0xf
	v_cndmask_b32_e64 v14, v14, 0, s[14:15]
	v_add_u32_e32 v14, v14, v34
	s_nop 1
	v_mov_b32_dpp v15, v14 row_shr:2 row_mask:0xf bank_mask:0xf
	v_cndmask_b32_e64 v15, 0, v15, s[12:13]
	v_add_u32_e32 v14, v14, v15
	s_nop 1
	;; [unrolled: 4-line block ×4, first 2 shown]
	v_mov_b32_dpp v15, v14 row_bcast:15 row_mask:0xf bank_mask:0xf
	v_cndmask_b32_e64 v15, v15, 0, s[6:7]
	v_add_u32_e32 v14, v14, v15
	s_nop 1
	v_mov_b32_dpp v15, v14 row_bcast:31 row_mask:0xf bank_mask:0xf
	v_cndmask_b32_e64 v15, 0, v15, s[2:3]
	v_add_u32_e32 v14, v14, v15
	s_and_saveexec_b64 s[16:17], s[4:5]
	s_cbranch_execz .LBB298_44
; %bb.43:
	v_lshlrev_b32_e32 v15, 2, v33
	ds_write_b32 v15, v14
.LBB298_44:
	s_or_b64 exec, exec, s[16:17]
	v_cmp_gt_u32_e32 vcc, 4, v0
	s_waitcnt lgkmcnt(0)
	s_barrier
	s_and_saveexec_b64 s[16:17], vcc
	s_cbranch_execz .LBB298_46
; %bb.45:
	v_lshlrev_b32_e32 v15, 2, v0
	ds_read_b32 v16, v15
	v_and_b32_e32 v17, 3, v32
	v_cmp_ne_u32_e32 vcc, 0, v17
	s_waitcnt lgkmcnt(0)
	v_mov_b32_dpp v20, v16 row_shr:1 row_mask:0xf bank_mask:0xf
	v_cndmask_b32_e32 v20, 0, v20, vcc
	v_add_u32_e32 v16, v20, v16
	v_cmp_lt_u32_e32 vcc, 1, v17
	s_nop 0
	v_mov_b32_dpp v20, v16 row_shr:2 row_mask:0xf bank_mask:0xf
	v_cndmask_b32_e32 v17, 0, v20, vcc
	v_add_u32_e32 v16, v16, v17
	ds_write_b32 v15, v16
.LBB298_46:
	s_or_b64 exec, exec, s[16:17]
	v_cmp_gt_u32_e32 vcc, 64, v0
	v_cmp_lt_u32_e64 s[16:17], 63, v0
	s_waitcnt lgkmcnt(0)
	s_barrier
	s_waitcnt lgkmcnt(0)
                                        ; implicit-def: $vgpr26
	s_and_saveexec_b64 s[28:29], s[16:17]
	s_cbranch_execz .LBB298_48
; %bb.47:
	v_lshl_add_u32 v15, v33, 2, -4
	ds_read_b32 v26, v15
	s_waitcnt lgkmcnt(0)
	v_add_u32_e32 v14, v26, v14
.LBB298_48:
	s_or_b64 exec, exec, s[28:29]
	v_add_u32_e32 v15, -1, v32
	v_and_b32_e32 v16, 64, v32
	v_cmp_lt_i32_e64 s[16:17], v15, v16
	v_cndmask_b32_e64 v15, v15, v32, s[16:17]
	v_lshlrev_b32_e32 v15, 2, v15
	ds_bpermute_b32 v28, v15, v14
	v_cmp_eq_u32_e64 s[16:17], 0, v32
	s_and_saveexec_b64 s[28:29], vcc
	s_cbranch_execz .LBB298_67
; %bb.49:
	v_mov_b32_e32 v23, 0
	ds_read_b32 v14, v23 offset:12
	s_and_saveexec_b64 s[30:31], s[16:17]
	s_cbranch_execz .LBB298_51
; %bb.50:
	s_add_i32 s34, s33, 64
	s_mov_b32 s35, 0
	s_lshl_b64 s[34:35], s[34:35], 3
	s_add_u32 s34, s26, s34
	v_mov_b32_e32 v15, 1
	s_addc_u32 s35, s27, s35
	s_waitcnt lgkmcnt(0)
	global_store_dwordx2 v23, v[14:15], s[34:35]
.LBB298_51:
	s_or_b64 exec, exec, s[30:31]
	v_xad_u32 v16, v32, -1, s33
	v_add_u32_e32 v22, 64, v16
	v_lshlrev_b64 v[20:21], 3, v[22:23]
	v_mov_b32_e32 v15, s27
	v_add_co_u32_e32 v24, vcc, s26, v20
	v_addc_co_u32_e32 v25, vcc, v15, v21, vcc
	global_load_dwordx2 v[20:21], v[24:25], off glc
	s_waitcnt vmcnt(0)
	v_cmp_eq_u16_sdwa s[34:35], v21, v23 src0_sel:BYTE_0 src1_sel:DWORD
	s_and_saveexec_b64 s[30:31], s[34:35]
	s_cbranch_execz .LBB298_55
; %bb.52:
	s_mov_b64 s[34:35], 0
	v_mov_b32_e32 v15, 0
.LBB298_53:                             ; =>This Inner Loop Header: Depth=1
	global_load_dwordx2 v[20:21], v[24:25], off glc
	s_waitcnt vmcnt(0)
	v_cmp_ne_u16_sdwa s[36:37], v21, v15 src0_sel:BYTE_0 src1_sel:DWORD
	s_or_b64 s[34:35], s[36:37], s[34:35]
	s_andn2_b64 exec, exec, s[34:35]
	s_cbranch_execnz .LBB298_53
; %bb.54:
	s_or_b64 exec, exec, s[34:35]
.LBB298_55:
	s_or_b64 exec, exec, s[30:31]
	v_and_b32_e32 v36, 63, v32
	v_mov_b32_e32 v35, 2
	v_cmp_ne_u32_e32 vcc, 63, v36
	v_cmp_eq_u16_sdwa s[30:31], v21, v35 src0_sel:BYTE_0 src1_sel:DWORD
	v_lshlrev_b64 v[22:23], v32, -1
	v_addc_co_u32_e32 v24, vcc, 0, v32, vcc
	v_and_b32_e32 v15, s31, v23
	v_lshlrev_b32_e32 v37, 2, v24
	v_or_b32_e32 v15, 0x80000000, v15
	ds_bpermute_b32 v24, v37, v20
	v_and_b32_e32 v17, s30, v22
	v_ffbl_b32_e32 v15, v15
	v_add_u32_e32 v15, 32, v15
	v_ffbl_b32_e32 v17, v17
	v_min_u32_e32 v15, v17, v15
	v_cmp_lt_u32_e32 vcc, v36, v15
	s_waitcnt lgkmcnt(0)
	v_cndmask_b32_e32 v17, 0, v24, vcc
	v_cmp_gt_u32_e32 vcc, 62, v36
	v_add_u32_e32 v17, v17, v20
	v_cndmask_b32_e64 v20, 0, 1, vcc
	v_lshlrev_b32_e32 v20, 1, v20
	v_add_lshl_u32 v38, v20, v32, 2
	ds_bpermute_b32 v20, v38, v17
	v_add_u32_e32 v39, 2, v36
	v_cmp_le_u32_e32 vcc, v39, v15
	v_add_u32_e32 v41, 4, v36
	v_add_u32_e32 v43, 8, v36
	s_waitcnt lgkmcnt(0)
	v_cndmask_b32_e32 v20, 0, v20, vcc
	v_cmp_gt_u32_e32 vcc, 60, v36
	v_add_u32_e32 v17, v17, v20
	v_cndmask_b32_e64 v20, 0, 1, vcc
	v_lshlrev_b32_e32 v20, 2, v20
	v_add_lshl_u32 v40, v20, v32, 2
	ds_bpermute_b32 v20, v40, v17
	v_cmp_le_u32_e32 vcc, v41, v15
	v_add_u32_e32 v45, 16, v36
	v_add_u32_e32 v47, 32, v36
	s_waitcnt lgkmcnt(0)
	v_cndmask_b32_e32 v20, 0, v20, vcc
	v_cmp_gt_u32_e32 vcc, 56, v36
	v_add_u32_e32 v17, v17, v20
	v_cndmask_b32_e64 v20, 0, 1, vcc
	v_lshlrev_b32_e32 v20, 3, v20
	v_add_lshl_u32 v42, v20, v32, 2
	ds_bpermute_b32 v20, v42, v17
	v_cmp_le_u32_e32 vcc, v43, v15
	s_waitcnt lgkmcnt(0)
	v_cndmask_b32_e32 v20, 0, v20, vcc
	v_cmp_gt_u32_e32 vcc, 48, v36
	v_add_u32_e32 v17, v17, v20
	v_cndmask_b32_e64 v20, 0, 1, vcc
	v_lshlrev_b32_e32 v20, 4, v20
	v_add_lshl_u32 v44, v20, v32, 2
	ds_bpermute_b32 v20, v44, v17
	v_cmp_le_u32_e32 vcc, v45, v15
	;; [unrolled: 9-line block ×3, first 2 shown]
	s_waitcnt lgkmcnt(0)
	v_cndmask_b32_e32 v15, 0, v20, vcc
	v_add_u32_e32 v20, v17, v15
	v_mov_b32_e32 v17, 0
	s_branch .LBB298_57
.LBB298_56:                             ;   in Loop: Header=BB298_57 Depth=1
	s_or_b64 exec, exec, s[30:31]
	v_cmp_eq_u16_sdwa s[30:31], v21, v35 src0_sel:BYTE_0 src1_sel:DWORD
	v_and_b32_e32 v24, s31, v23
	v_or_b32_e32 v24, 0x80000000, v24
	ds_bpermute_b32 v48, v37, v20
	v_and_b32_e32 v25, s30, v22
	v_ffbl_b32_e32 v24, v24
	v_add_u32_e32 v24, 32, v24
	v_ffbl_b32_e32 v25, v25
	v_min_u32_e32 v24, v25, v24
	v_cmp_lt_u32_e32 vcc, v36, v24
	s_waitcnt lgkmcnt(0)
	v_cndmask_b32_e32 v25, 0, v48, vcc
	v_add_u32_e32 v20, v25, v20
	ds_bpermute_b32 v25, v38, v20
	v_cmp_le_u32_e32 vcc, v39, v24
	v_subrev_u32_e32 v16, 64, v16
	s_waitcnt lgkmcnt(0)
	v_cndmask_b32_e32 v25, 0, v25, vcc
	v_add_u32_e32 v20, v20, v25
	ds_bpermute_b32 v25, v40, v20
	v_cmp_le_u32_e32 vcc, v41, v24
	s_waitcnt lgkmcnt(0)
	v_cndmask_b32_e32 v25, 0, v25, vcc
	v_add_u32_e32 v20, v20, v25
	ds_bpermute_b32 v25, v42, v20
	v_cmp_le_u32_e32 vcc, v43, v24
	s_waitcnt lgkmcnt(0)
	v_cndmask_b32_e32 v25, 0, v25, vcc
	v_add_u32_e32 v20, v20, v25
	ds_bpermute_b32 v25, v44, v20
	v_cmp_le_u32_e32 vcc, v45, v24
	s_waitcnt lgkmcnt(0)
	v_cndmask_b32_e32 v25, 0, v25, vcc
	v_add_u32_e32 v20, v20, v25
	ds_bpermute_b32 v25, v46, v20
	v_cmp_le_u32_e32 vcc, v47, v24
	s_waitcnt lgkmcnt(0)
	v_cndmask_b32_e32 v24, 0, v25, vcc
	v_add3_u32 v20, v24, v15, v20
.LBB298_57:                             ; =>This Loop Header: Depth=1
                                        ;     Child Loop BB298_60 Depth 2
	v_cmp_ne_u16_sdwa s[30:31], v21, v35 src0_sel:BYTE_0 src1_sel:DWORD
	v_cndmask_b32_e64 v15, 0, 1, s[30:31]
	;;#ASMSTART
	;;#ASMEND
	v_cmp_ne_u32_e32 vcc, 0, v15
	s_cmp_lg_u64 vcc, exec
	v_mov_b32_e32 v15, v20
	s_cbranch_scc1 .LBB298_62
; %bb.58:                               ;   in Loop: Header=BB298_57 Depth=1
	v_lshlrev_b64 v[20:21], 3, v[16:17]
	v_mov_b32_e32 v25, s27
	v_add_co_u32_e32 v24, vcc, s26, v20
	v_addc_co_u32_e32 v25, vcc, v25, v21, vcc
	global_load_dwordx2 v[20:21], v[24:25], off glc
	s_waitcnt vmcnt(0)
	v_cmp_eq_u16_sdwa s[34:35], v21, v17 src0_sel:BYTE_0 src1_sel:DWORD
	s_and_saveexec_b64 s[30:31], s[34:35]
	s_cbranch_execz .LBB298_56
; %bb.59:                               ;   in Loop: Header=BB298_57 Depth=1
	s_mov_b64 s[34:35], 0
.LBB298_60:                             ;   Parent Loop BB298_57 Depth=1
                                        ; =>  This Inner Loop Header: Depth=2
	global_load_dwordx2 v[20:21], v[24:25], off glc
	s_waitcnt vmcnt(0)
	v_cmp_ne_u16_sdwa s[36:37], v21, v17 src0_sel:BYTE_0 src1_sel:DWORD
	s_or_b64 s[34:35], s[36:37], s[34:35]
	s_andn2_b64 exec, exec, s[34:35]
	s_cbranch_execnz .LBB298_60
; %bb.61:                               ;   in Loop: Header=BB298_57 Depth=1
	s_or_b64 exec, exec, s[34:35]
	s_branch .LBB298_56
.LBB298_62:                             ;   in Loop: Header=BB298_57 Depth=1
                                        ; implicit-def: $vgpr20
                                        ; implicit-def: $vgpr21
	s_cbranch_execz .LBB298_57
; %bb.63:
	s_and_saveexec_b64 s[30:31], s[16:17]
	s_cbranch_execz .LBB298_65
; %bb.64:
	s_add_i32 s34, s33, 64
	s_mov_b32 s35, 0
	s_lshl_b64 s[34:35], s[34:35], 3
	s_add_u32 s34, s26, s34
	v_add_u32_e32 v16, v15, v14
	v_mov_b32_e32 v17, 2
	s_addc_u32 s35, s27, s35
	v_mov_b32_e32 v20, 0
	global_store_dwordx2 v20, v[16:17], s[34:35]
	ds_write_b64 v20, v[14:15] offset:10240
.LBB298_65:
	s_or_b64 exec, exec, s[30:31]
	s_and_b64 exec, exec, s[0:1]
	s_cbranch_execz .LBB298_67
; %bb.66:
	v_mov_b32_e32 v14, 0
	ds_write_b32 v14, v15 offset:12
.LBB298_67:
	s_or_b64 exec, exec, s[28:29]
	v_mov_b32_e32 v14, 0
	s_waitcnt lgkmcnt(0)
	s_barrier
	ds_read_b32 v15, v14 offset:12
	v_cndmask_b32_e64 v16, v28, v26, s[16:17]
	v_cndmask_b32_e64 v16, v16, 0, s[0:1]
	s_waitcnt lgkmcnt(0)
	s_barrier
	v_add_u32_e32 v28, v15, v16
	ds_read_b64 v[14:15], v14 offset:10240
	v_add_u32_e32 v26, v28, v27
	v_add_u32_e32 v24, v26, v29
	;; [unrolled: 1-line block ×4, first 2 shown]
	v_lshrrev_b64 v[16:17], 24, v[12:13]
	s_branch .LBB298_78
.LBB298_68:
                                        ; implicit-def: $vgpr15
                                        ; implicit-def: $vgpr20
                                        ; implicit-def: $vgpr22
                                        ; implicit-def: $vgpr24
                                        ; implicit-def: $vgpr26
                                        ; implicit-def: $vgpr28
	v_lshrrev_b64 v[16:17], 24, v[12:13]
	s_cbranch_execz .LBB298_78
; %bb.69:
	s_waitcnt lgkmcnt(0)
	v_mov_b32_dpp v14, v34 row_shr:1 row_mask:0xf bank_mask:0xf
	v_cndmask_b32_e64 v14, v14, 0, s[14:15]
	v_add_u32_e32 v14, v14, v34
	s_nop 1
	v_mov_b32_dpp v15, v14 row_shr:2 row_mask:0xf bank_mask:0xf
	v_cndmask_b32_e64 v15, 0, v15, s[12:13]
	v_add_u32_e32 v14, v14, v15
	s_nop 1
	;; [unrolled: 4-line block ×4, first 2 shown]
	v_mov_b32_dpp v15, v14 row_bcast:15 row_mask:0xf bank_mask:0xf
	v_cndmask_b32_e64 v15, v15, 0, s[6:7]
	v_add_u32_e32 v14, v14, v15
	s_nop 1
	v_mov_b32_dpp v15, v14 row_bcast:31 row_mask:0xf bank_mask:0xf
	v_cndmask_b32_e64 v15, 0, v15, s[2:3]
	v_add_u32_e32 v14, v14, v15
	s_and_saveexec_b64 s[2:3], s[4:5]
	s_cbranch_execz .LBB298_71
; %bb.70:
	v_lshlrev_b32_e32 v15, 2, v33
	ds_write_b32 v15, v14
.LBB298_71:
	s_or_b64 exec, exec, s[2:3]
	v_cmp_gt_u32_e32 vcc, 4, v0
	s_waitcnt lgkmcnt(0)
	s_barrier
	s_and_saveexec_b64 s[2:3], vcc
	s_cbranch_execz .LBB298_73
; %bb.72:
	s_movk_i32 s4, 0xffdc
	v_mad_i32_i24 v1, v0, s4, v1
	ds_read_b32 v15, v1
	v_and_b32_e32 v17, 3, v32
	v_cmp_ne_u32_e32 vcc, 0, v17
	s_waitcnt lgkmcnt(0)
	v_mov_b32_dpp v20, v15 row_shr:1 row_mask:0xf bank_mask:0xf
	v_cndmask_b32_e32 v20, 0, v20, vcc
	v_add_u32_e32 v15, v20, v15
	v_cmp_lt_u32_e32 vcc, 1, v17
	s_nop 0
	v_mov_b32_dpp v20, v15 row_shr:2 row_mask:0xf bank_mask:0xf
	v_cndmask_b32_e32 v17, 0, v20, vcc
	v_add_u32_e32 v15, v15, v17
	ds_write_b32 v1, v15
.LBB298_73:
	s_or_b64 exec, exec, s[2:3]
	v_cmp_lt_u32_e32 vcc, 63, v0
	v_mov_b32_e32 v15, 0
	v_mov_b32_e32 v1, 0
	s_waitcnt lgkmcnt(0)
	s_barrier
	s_and_saveexec_b64 s[2:3], vcc
	s_cbranch_execz .LBB298_75
; %bb.74:
	v_lshl_add_u32 v1, v33, 2, -4
	ds_read_b32 v1, v1
.LBB298_75:
	s_or_b64 exec, exec, s[2:3]
	v_add_u32_e32 v17, -1, v32
	v_and_b32_e32 v20, 64, v32
	v_cmp_lt_i32_e32 vcc, v17, v20
	v_cndmask_b32_e32 v17, v17, v32, vcc
	s_waitcnt lgkmcnt(0)
	v_add_u32_e32 v14, v1, v14
	v_lshlrev_b32_e32 v17, 2, v17
	ds_bpermute_b32 v17, v17, v14
	ds_read_b32 v14, v15 offset:12
	s_and_saveexec_b64 s[2:3], s[0:1]
	s_cbranch_execz .LBB298_77
; %bb.76:
	v_mov_b32_e32 v20, 0
	v_mov_b32_e32 v15, 2
	s_waitcnt lgkmcnt(0)
	global_store_dwordx2 v20, v[14:15], s[26:27] offset:512
.LBB298_77:
	s_or_b64 exec, exec, s[2:3]
	v_cmp_eq_u32_e32 vcc, 0, v32
	s_waitcnt lgkmcnt(1)
	v_cndmask_b32_e32 v1, v17, v1, vcc
	v_cndmask_b32_e64 v28, v1, 0, s[0:1]
	v_add_u32_e32 v26, v28, v27
	v_add_u32_e32 v24, v26, v29
	;; [unrolled: 1-line block ×3, first 2 shown]
	v_mov_b32_e32 v15, 0
	v_add_u32_e32 v20, v22, v31
	s_waitcnt lgkmcnt(0)
	s_barrier
.LBB298_78:
	s_movk_i32 s2, 0x101
	s_waitcnt lgkmcnt(0)
	v_cmp_gt_u32_e32 vcc, s2, v14
	v_lshrrev_b32_e32 v1, 8, v12
	s_mov_b64 s[2:3], -1
	s_cbranch_vccnz .LBB298_82
; %bb.79:
	s_and_b64 vcc, exec, s[2:3]
	s_cbranch_vccnz .LBB298_98
.LBB298_80:
	s_and_b64 s[0:1], s[0:1], s[22:23]
	s_and_saveexec_b64 s[2:3], s[0:1]
	s_cbranch_execnz .LBB298_112
.LBB298_81:
	s_endpgm
.LBB298_82:
	v_lshlrev_b64 v[30:31], 3, v[18:19]
	v_mov_b32_e32 v23, s19
	v_add_co_u32_e32 v17, vcc, s18, v30
	v_add_u32_e32 v21, v15, v14
	v_addc_co_u32_e32 v30, vcc, v23, v31, vcc
	v_cmp_lt_u32_e32 vcc, v28, v21
	s_or_b64 s[4:5], s[24:25], vcc
	s_and_saveexec_b64 s[2:3], s[4:5]
	s_cbranch_execz .LBB298_85
; %bb.83:
	v_and_b32_e32 v23, 1, v12
	v_cmp_eq_u32_e32 vcc, 1, v23
	s_and_b64 exec, exec, vcc
	s_cbranch_execz .LBB298_85
; %bb.84:
	v_mov_b32_e32 v29, 0
	v_lshlrev_b64 v[32:33], 3, v[28:29]
	v_add_co_u32_e32 v32, vcc, v17, v32
	v_addc_co_u32_e32 v33, vcc, v30, v33, vcc
	global_store_dwordx2 v[32:33], v[6:7], off
.LBB298_85:
	s_or_b64 exec, exec, s[2:3]
	v_cmp_lt_u32_e32 vcc, v26, v21
	s_or_b64 s[4:5], s[24:25], vcc
	s_and_saveexec_b64 s[2:3], s[4:5]
	s_cbranch_execz .LBB298_88
; %bb.86:
	v_and_b32_e32 v23, 1, v1
	v_cmp_eq_u32_e32 vcc, 1, v23
	s_and_b64 exec, exec, vcc
	s_cbranch_execz .LBB298_88
; %bb.87:
	v_mov_b32_e32 v27, 0
	v_lshlrev_b64 v[32:33], 3, v[26:27]
	v_add_co_u32_e32 v32, vcc, v17, v32
	v_addc_co_u32_e32 v33, vcc, v30, v33, vcc
	global_store_dwordx2 v[32:33], v[8:9], off
.LBB298_88:
	s_or_b64 exec, exec, s[2:3]
	v_cmp_lt_u32_e32 vcc, v24, v21
	s_or_b64 s[4:5], s[24:25], vcc
	s_and_saveexec_b64 s[2:3], s[4:5]
	s_cbranch_execz .LBB298_91
; %bb.89:
	v_mov_b32_e32 v23, 1
	v_and_b32_sdwa v23, v23, v12 dst_sel:DWORD dst_unused:UNUSED_PAD src0_sel:DWORD src1_sel:WORD_1
	v_cmp_eq_u32_e32 vcc, 1, v23
	s_and_b64 exec, exec, vcc
	s_cbranch_execz .LBB298_91
; %bb.90:
	v_mov_b32_e32 v25, 0
	v_lshlrev_b64 v[32:33], 3, v[24:25]
	v_add_co_u32_e32 v32, vcc, v17, v32
	v_addc_co_u32_e32 v33, vcc, v30, v33, vcc
	global_store_dwordx2 v[32:33], v[2:3], off
.LBB298_91:
	s_or_b64 exec, exec, s[2:3]
	v_cmp_lt_u32_e32 vcc, v22, v21
	s_or_b64 s[4:5], s[24:25], vcc
	s_and_saveexec_b64 s[2:3], s[4:5]
	s_cbranch_execz .LBB298_94
; %bb.92:
	v_and_b32_e32 v23, 1, v16
	v_cmp_eq_u32_e32 vcc, 1, v23
	s_and_b64 exec, exec, vcc
	s_cbranch_execz .LBB298_94
; %bb.93:
	v_mov_b32_e32 v23, 0
	v_lshlrev_b64 v[32:33], 3, v[22:23]
	v_add_co_u32_e32 v32, vcc, v17, v32
	v_addc_co_u32_e32 v33, vcc, v30, v33, vcc
	global_store_dwordx2 v[32:33], v[4:5], off
.LBB298_94:
	s_or_b64 exec, exec, s[2:3]
	v_cmp_lt_u32_e32 vcc, v20, v21
	s_or_b64 s[4:5], s[24:25], vcc
	s_and_saveexec_b64 s[2:3], s[4:5]
	s_cbranch_execz .LBB298_97
; %bb.95:
	v_and_b32_e32 v21, 1, v13
	v_cmp_eq_u32_e32 vcc, 1, v21
	s_and_b64 exec, exec, vcc
	s_cbranch_execz .LBB298_97
; %bb.96:
	v_mov_b32_e32 v21, 0
	v_lshlrev_b64 v[32:33], 3, v[20:21]
	v_add_co_u32_e32 v32, vcc, v17, v32
	v_addc_co_u32_e32 v33, vcc, v30, v33, vcc
	global_store_dwordx2 v[32:33], v[10:11], off
.LBB298_97:
	s_or_b64 exec, exec, s[2:3]
	s_branch .LBB298_80
.LBB298_98:
	v_and_b32_e32 v17, 1, v12
	v_cmp_eq_u32_e32 vcc, 1, v17
	s_and_saveexec_b64 s[2:3], vcc
	s_cbranch_execz .LBB298_100
; %bb.99:
	v_sub_u32_e32 v17, v28, v15
	v_lshlrev_b32_e32 v17, 3, v17
	ds_write_b64 v17, v[6:7]
.LBB298_100:
	s_or_b64 exec, exec, s[2:3]
	v_and_b32_e32 v1, 1, v1
	v_cmp_eq_u32_e32 vcc, 1, v1
	s_and_saveexec_b64 s[2:3], vcc
	s_cbranch_execz .LBB298_102
; %bb.101:
	v_sub_u32_e32 v1, v26, v15
	v_lshlrev_b32_e32 v1, 3, v1
	ds_write_b64 v1, v[8:9]
.LBB298_102:
	s_or_b64 exec, exec, s[2:3]
	v_mov_b32_e32 v1, 1
	v_and_b32_sdwa v1, v1, v12 dst_sel:DWORD dst_unused:UNUSED_PAD src0_sel:DWORD src1_sel:WORD_1
	v_cmp_eq_u32_e32 vcc, 1, v1
	s_and_saveexec_b64 s[2:3], vcc
	s_cbranch_execz .LBB298_104
; %bb.103:
	v_sub_u32_e32 v1, v24, v15
	v_lshlrev_b32_e32 v1, 3, v1
	ds_write_b64 v1, v[2:3]
.LBB298_104:
	s_or_b64 exec, exec, s[2:3]
	v_and_b32_e32 v1, 1, v16
	v_cmp_eq_u32_e32 vcc, 1, v1
	s_and_saveexec_b64 s[2:3], vcc
	s_cbranch_execz .LBB298_106
; %bb.105:
	v_sub_u32_e32 v1, v22, v15
	v_lshlrev_b32_e32 v1, 3, v1
	ds_write_b64 v1, v[4:5]
.LBB298_106:
	s_or_b64 exec, exec, s[2:3]
	v_and_b32_e32 v1, 1, v13
	v_cmp_eq_u32_e32 vcc, 1, v1
	s_and_saveexec_b64 s[2:3], vcc
	s_cbranch_execz .LBB298_108
; %bb.107:
	v_sub_u32_e32 v1, v20, v15
	v_lshlrev_b32_e32 v1, 3, v1
	ds_write_b64 v1, v[10:11]
.LBB298_108:
	s_or_b64 exec, exec, s[2:3]
	v_cmp_lt_u32_e32 vcc, v0, v14
	s_waitcnt lgkmcnt(0)
	s_barrier
	s_and_saveexec_b64 s[2:3], vcc
	s_cbranch_execz .LBB298_111
; %bb.109:
	v_mov_b32_e32 v1, 0
	v_lshlrev_b64 v[4:5], 3, v[18:19]
	v_mov_b32_e32 v2, v15
	v_mov_b32_e32 v3, v1
	;; [unrolled: 1-line block ×3, first 2 shown]
	v_add_co_u32_e32 v4, vcc, s18, v4
	v_addc_co_u32_e32 v5, vcc, v6, v5, vcc
	v_lshlrev_b64 v[2:3], 3, v[2:3]
	v_add_co_u32_e32 v2, vcc, v4, v2
	v_addc_co_u32_e32 v3, vcc, v5, v3, vcc
	v_lshlrev_b32_e32 v4, 3, v0
	s_mov_b64 s[4:5], 0
.LBB298_110:                            ; =>This Inner Loop Header: Depth=1
	ds_read_b64 v[6:7], v4
	v_lshlrev_b64 v[8:9], 3, v[0:1]
	v_add_co_u32_e32 v8, vcc, v2, v8
	v_add_u32_e32 v0, 0x100, v0
	v_addc_co_u32_e32 v9, vcc, v3, v9, vcc
	v_cmp_ge_u32_e32 vcc, v0, v14
	v_add_u32_e32 v4, 0x800, v4
	s_or_b64 s[4:5], vcc, s[4:5]
	s_waitcnt lgkmcnt(0)
	global_store_dwordx2 v[8:9], v[6:7], off
	s_andn2_b64 exec, exec, s[4:5]
	s_cbranch_execnz .LBB298_110
.LBB298_111:
	s_or_b64 exec, exec, s[2:3]
	s_and_b64 s[0:1], s[0:1], s[22:23]
	s_and_saveexec_b64 s[2:3], s[0:1]
	s_cbranch_execz .LBB298_81
.LBB298_112:
	v_add_co_u32_e32 v0, vcc, v18, v14
	v_addc_co_u32_e32 v1, vcc, 0, v19, vcc
	v_add_co_u32_e32 v0, vcc, v0, v15
	v_mov_b32_e32 v2, 0
	v_addc_co_u32_e32 v1, vcc, 0, v1, vcc
	global_store_dwordx2 v2, v[0:1], s[20:21]
	s_endpgm
	.section	.rodata,"a",@progbits
	.p2align	6, 0x0
	.amdhsa_kernel _ZN7rocprim17ROCPRIM_400000_NS6detail17trampoline_kernelINS0_14default_configENS1_25partition_config_selectorILNS1_17partition_subalgoE8EdNS0_10empty_typeEbEEZZNS1_14partition_implILS5_8ELb0ES3_jPKdPS6_PKS6_NS0_5tupleIJPdS6_EEENSE_IJSB_SB_EEENS0_18inequality_wrapperIN6hipcub16HIPCUB_304000_NS8EqualityEEEPlJS6_EEE10hipError_tPvRmT3_T4_T5_T6_T7_T9_mT8_P12ihipStream_tbDpT10_ENKUlT_T0_E_clISt17integral_constantIbLb0EES16_IbLb1EEEEDaS12_S13_EUlS12_E_NS1_11comp_targetILNS1_3genE4ELNS1_11target_archE910ELNS1_3gpuE8ELNS1_3repE0EEENS1_30default_config_static_selectorELNS0_4arch9wavefront6targetE1EEEvT1_
		.amdhsa_group_segment_fixed_size 10248
		.amdhsa_private_segment_fixed_size 0
		.amdhsa_kernarg_size 128
		.amdhsa_user_sgpr_count 6
		.amdhsa_user_sgpr_private_segment_buffer 1
		.amdhsa_user_sgpr_dispatch_ptr 0
		.amdhsa_user_sgpr_queue_ptr 0
		.amdhsa_user_sgpr_kernarg_segment_ptr 1
		.amdhsa_user_sgpr_dispatch_id 0
		.amdhsa_user_sgpr_flat_scratch_init 0
		.amdhsa_user_sgpr_kernarg_preload_length 0
		.amdhsa_user_sgpr_kernarg_preload_offset 0
		.amdhsa_user_sgpr_private_segment_size 0
		.amdhsa_uses_dynamic_stack 0
		.amdhsa_system_sgpr_private_segment_wavefront_offset 0
		.amdhsa_system_sgpr_workgroup_id_x 1
		.amdhsa_system_sgpr_workgroup_id_y 0
		.amdhsa_system_sgpr_workgroup_id_z 0
		.amdhsa_system_sgpr_workgroup_info 0
		.amdhsa_system_vgpr_workitem_id 0
		.amdhsa_next_free_vgpr 49
		.amdhsa_next_free_sgpr 38
		.amdhsa_accum_offset 52
		.amdhsa_reserve_vcc 1
		.amdhsa_reserve_flat_scratch 0
		.amdhsa_float_round_mode_32 0
		.amdhsa_float_round_mode_16_64 0
		.amdhsa_float_denorm_mode_32 3
		.amdhsa_float_denorm_mode_16_64 3
		.amdhsa_dx10_clamp 1
		.amdhsa_ieee_mode 1
		.amdhsa_fp16_overflow 0
		.amdhsa_tg_split 0
		.amdhsa_exception_fp_ieee_invalid_op 0
		.amdhsa_exception_fp_denorm_src 0
		.amdhsa_exception_fp_ieee_div_zero 0
		.amdhsa_exception_fp_ieee_overflow 0
		.amdhsa_exception_fp_ieee_underflow 0
		.amdhsa_exception_fp_ieee_inexact 0
		.amdhsa_exception_int_div_zero 0
	.end_amdhsa_kernel
	.section	.text._ZN7rocprim17ROCPRIM_400000_NS6detail17trampoline_kernelINS0_14default_configENS1_25partition_config_selectorILNS1_17partition_subalgoE8EdNS0_10empty_typeEbEEZZNS1_14partition_implILS5_8ELb0ES3_jPKdPS6_PKS6_NS0_5tupleIJPdS6_EEENSE_IJSB_SB_EEENS0_18inequality_wrapperIN6hipcub16HIPCUB_304000_NS8EqualityEEEPlJS6_EEE10hipError_tPvRmT3_T4_T5_T6_T7_T9_mT8_P12ihipStream_tbDpT10_ENKUlT_T0_E_clISt17integral_constantIbLb0EES16_IbLb1EEEEDaS12_S13_EUlS12_E_NS1_11comp_targetILNS1_3genE4ELNS1_11target_archE910ELNS1_3gpuE8ELNS1_3repE0EEENS1_30default_config_static_selectorELNS0_4arch9wavefront6targetE1EEEvT1_,"axG",@progbits,_ZN7rocprim17ROCPRIM_400000_NS6detail17trampoline_kernelINS0_14default_configENS1_25partition_config_selectorILNS1_17partition_subalgoE8EdNS0_10empty_typeEbEEZZNS1_14partition_implILS5_8ELb0ES3_jPKdPS6_PKS6_NS0_5tupleIJPdS6_EEENSE_IJSB_SB_EEENS0_18inequality_wrapperIN6hipcub16HIPCUB_304000_NS8EqualityEEEPlJS6_EEE10hipError_tPvRmT3_T4_T5_T6_T7_T9_mT8_P12ihipStream_tbDpT10_ENKUlT_T0_E_clISt17integral_constantIbLb0EES16_IbLb1EEEEDaS12_S13_EUlS12_E_NS1_11comp_targetILNS1_3genE4ELNS1_11target_archE910ELNS1_3gpuE8ELNS1_3repE0EEENS1_30default_config_static_selectorELNS0_4arch9wavefront6targetE1EEEvT1_,comdat
.Lfunc_end298:
	.size	_ZN7rocprim17ROCPRIM_400000_NS6detail17trampoline_kernelINS0_14default_configENS1_25partition_config_selectorILNS1_17partition_subalgoE8EdNS0_10empty_typeEbEEZZNS1_14partition_implILS5_8ELb0ES3_jPKdPS6_PKS6_NS0_5tupleIJPdS6_EEENSE_IJSB_SB_EEENS0_18inequality_wrapperIN6hipcub16HIPCUB_304000_NS8EqualityEEEPlJS6_EEE10hipError_tPvRmT3_T4_T5_T6_T7_T9_mT8_P12ihipStream_tbDpT10_ENKUlT_T0_E_clISt17integral_constantIbLb0EES16_IbLb1EEEEDaS12_S13_EUlS12_E_NS1_11comp_targetILNS1_3genE4ELNS1_11target_archE910ELNS1_3gpuE8ELNS1_3repE0EEENS1_30default_config_static_selectorELNS0_4arch9wavefront6targetE1EEEvT1_, .Lfunc_end298-_ZN7rocprim17ROCPRIM_400000_NS6detail17trampoline_kernelINS0_14default_configENS1_25partition_config_selectorILNS1_17partition_subalgoE8EdNS0_10empty_typeEbEEZZNS1_14partition_implILS5_8ELb0ES3_jPKdPS6_PKS6_NS0_5tupleIJPdS6_EEENSE_IJSB_SB_EEENS0_18inequality_wrapperIN6hipcub16HIPCUB_304000_NS8EqualityEEEPlJS6_EEE10hipError_tPvRmT3_T4_T5_T6_T7_T9_mT8_P12ihipStream_tbDpT10_ENKUlT_T0_E_clISt17integral_constantIbLb0EES16_IbLb1EEEEDaS12_S13_EUlS12_E_NS1_11comp_targetILNS1_3genE4ELNS1_11target_archE910ELNS1_3gpuE8ELNS1_3repE0EEENS1_30default_config_static_selectorELNS0_4arch9wavefront6targetE1EEEvT1_
                                        ; -- End function
	.section	.AMDGPU.csdata,"",@progbits
; Kernel info:
; codeLenInByte = 4664
; NumSgprs: 42
; NumVgprs: 49
; NumAgprs: 0
; TotalNumVgprs: 49
; ScratchSize: 0
; MemoryBound: 0
; FloatMode: 240
; IeeeMode: 1
; LDSByteSize: 10248 bytes/workgroup (compile time only)
; SGPRBlocks: 5
; VGPRBlocks: 6
; NumSGPRsForWavesPerEU: 42
; NumVGPRsForWavesPerEU: 49
; AccumOffset: 52
; Occupancy: 6
; WaveLimiterHint : 1
; COMPUTE_PGM_RSRC2:SCRATCH_EN: 0
; COMPUTE_PGM_RSRC2:USER_SGPR: 6
; COMPUTE_PGM_RSRC2:TRAP_HANDLER: 0
; COMPUTE_PGM_RSRC2:TGID_X_EN: 1
; COMPUTE_PGM_RSRC2:TGID_Y_EN: 0
; COMPUTE_PGM_RSRC2:TGID_Z_EN: 0
; COMPUTE_PGM_RSRC2:TIDIG_COMP_CNT: 0
; COMPUTE_PGM_RSRC3_GFX90A:ACCUM_OFFSET: 12
; COMPUTE_PGM_RSRC3_GFX90A:TG_SPLIT: 0
	.section	.text._ZN7rocprim17ROCPRIM_400000_NS6detail17trampoline_kernelINS0_14default_configENS1_25partition_config_selectorILNS1_17partition_subalgoE8EdNS0_10empty_typeEbEEZZNS1_14partition_implILS5_8ELb0ES3_jPKdPS6_PKS6_NS0_5tupleIJPdS6_EEENSE_IJSB_SB_EEENS0_18inequality_wrapperIN6hipcub16HIPCUB_304000_NS8EqualityEEEPlJS6_EEE10hipError_tPvRmT3_T4_T5_T6_T7_T9_mT8_P12ihipStream_tbDpT10_ENKUlT_T0_E_clISt17integral_constantIbLb0EES16_IbLb1EEEEDaS12_S13_EUlS12_E_NS1_11comp_targetILNS1_3genE3ELNS1_11target_archE908ELNS1_3gpuE7ELNS1_3repE0EEENS1_30default_config_static_selectorELNS0_4arch9wavefront6targetE1EEEvT1_,"axG",@progbits,_ZN7rocprim17ROCPRIM_400000_NS6detail17trampoline_kernelINS0_14default_configENS1_25partition_config_selectorILNS1_17partition_subalgoE8EdNS0_10empty_typeEbEEZZNS1_14partition_implILS5_8ELb0ES3_jPKdPS6_PKS6_NS0_5tupleIJPdS6_EEENSE_IJSB_SB_EEENS0_18inequality_wrapperIN6hipcub16HIPCUB_304000_NS8EqualityEEEPlJS6_EEE10hipError_tPvRmT3_T4_T5_T6_T7_T9_mT8_P12ihipStream_tbDpT10_ENKUlT_T0_E_clISt17integral_constantIbLb0EES16_IbLb1EEEEDaS12_S13_EUlS12_E_NS1_11comp_targetILNS1_3genE3ELNS1_11target_archE908ELNS1_3gpuE7ELNS1_3repE0EEENS1_30default_config_static_selectorELNS0_4arch9wavefront6targetE1EEEvT1_,comdat
	.protected	_ZN7rocprim17ROCPRIM_400000_NS6detail17trampoline_kernelINS0_14default_configENS1_25partition_config_selectorILNS1_17partition_subalgoE8EdNS0_10empty_typeEbEEZZNS1_14partition_implILS5_8ELb0ES3_jPKdPS6_PKS6_NS0_5tupleIJPdS6_EEENSE_IJSB_SB_EEENS0_18inequality_wrapperIN6hipcub16HIPCUB_304000_NS8EqualityEEEPlJS6_EEE10hipError_tPvRmT3_T4_T5_T6_T7_T9_mT8_P12ihipStream_tbDpT10_ENKUlT_T0_E_clISt17integral_constantIbLb0EES16_IbLb1EEEEDaS12_S13_EUlS12_E_NS1_11comp_targetILNS1_3genE3ELNS1_11target_archE908ELNS1_3gpuE7ELNS1_3repE0EEENS1_30default_config_static_selectorELNS0_4arch9wavefront6targetE1EEEvT1_ ; -- Begin function _ZN7rocprim17ROCPRIM_400000_NS6detail17trampoline_kernelINS0_14default_configENS1_25partition_config_selectorILNS1_17partition_subalgoE8EdNS0_10empty_typeEbEEZZNS1_14partition_implILS5_8ELb0ES3_jPKdPS6_PKS6_NS0_5tupleIJPdS6_EEENSE_IJSB_SB_EEENS0_18inequality_wrapperIN6hipcub16HIPCUB_304000_NS8EqualityEEEPlJS6_EEE10hipError_tPvRmT3_T4_T5_T6_T7_T9_mT8_P12ihipStream_tbDpT10_ENKUlT_T0_E_clISt17integral_constantIbLb0EES16_IbLb1EEEEDaS12_S13_EUlS12_E_NS1_11comp_targetILNS1_3genE3ELNS1_11target_archE908ELNS1_3gpuE7ELNS1_3repE0EEENS1_30default_config_static_selectorELNS0_4arch9wavefront6targetE1EEEvT1_
	.globl	_ZN7rocprim17ROCPRIM_400000_NS6detail17trampoline_kernelINS0_14default_configENS1_25partition_config_selectorILNS1_17partition_subalgoE8EdNS0_10empty_typeEbEEZZNS1_14partition_implILS5_8ELb0ES3_jPKdPS6_PKS6_NS0_5tupleIJPdS6_EEENSE_IJSB_SB_EEENS0_18inequality_wrapperIN6hipcub16HIPCUB_304000_NS8EqualityEEEPlJS6_EEE10hipError_tPvRmT3_T4_T5_T6_T7_T9_mT8_P12ihipStream_tbDpT10_ENKUlT_T0_E_clISt17integral_constantIbLb0EES16_IbLb1EEEEDaS12_S13_EUlS12_E_NS1_11comp_targetILNS1_3genE3ELNS1_11target_archE908ELNS1_3gpuE7ELNS1_3repE0EEENS1_30default_config_static_selectorELNS0_4arch9wavefront6targetE1EEEvT1_
	.p2align	8
	.type	_ZN7rocprim17ROCPRIM_400000_NS6detail17trampoline_kernelINS0_14default_configENS1_25partition_config_selectorILNS1_17partition_subalgoE8EdNS0_10empty_typeEbEEZZNS1_14partition_implILS5_8ELb0ES3_jPKdPS6_PKS6_NS0_5tupleIJPdS6_EEENSE_IJSB_SB_EEENS0_18inequality_wrapperIN6hipcub16HIPCUB_304000_NS8EqualityEEEPlJS6_EEE10hipError_tPvRmT3_T4_T5_T6_T7_T9_mT8_P12ihipStream_tbDpT10_ENKUlT_T0_E_clISt17integral_constantIbLb0EES16_IbLb1EEEEDaS12_S13_EUlS12_E_NS1_11comp_targetILNS1_3genE3ELNS1_11target_archE908ELNS1_3gpuE7ELNS1_3repE0EEENS1_30default_config_static_selectorELNS0_4arch9wavefront6targetE1EEEvT1_,@function
_ZN7rocprim17ROCPRIM_400000_NS6detail17trampoline_kernelINS0_14default_configENS1_25partition_config_selectorILNS1_17partition_subalgoE8EdNS0_10empty_typeEbEEZZNS1_14partition_implILS5_8ELb0ES3_jPKdPS6_PKS6_NS0_5tupleIJPdS6_EEENSE_IJSB_SB_EEENS0_18inequality_wrapperIN6hipcub16HIPCUB_304000_NS8EqualityEEEPlJS6_EEE10hipError_tPvRmT3_T4_T5_T6_T7_T9_mT8_P12ihipStream_tbDpT10_ENKUlT_T0_E_clISt17integral_constantIbLb0EES16_IbLb1EEEEDaS12_S13_EUlS12_E_NS1_11comp_targetILNS1_3genE3ELNS1_11target_archE908ELNS1_3gpuE7ELNS1_3repE0EEENS1_30default_config_static_selectorELNS0_4arch9wavefront6targetE1EEEvT1_: ; @_ZN7rocprim17ROCPRIM_400000_NS6detail17trampoline_kernelINS0_14default_configENS1_25partition_config_selectorILNS1_17partition_subalgoE8EdNS0_10empty_typeEbEEZZNS1_14partition_implILS5_8ELb0ES3_jPKdPS6_PKS6_NS0_5tupleIJPdS6_EEENSE_IJSB_SB_EEENS0_18inequality_wrapperIN6hipcub16HIPCUB_304000_NS8EqualityEEEPlJS6_EEE10hipError_tPvRmT3_T4_T5_T6_T7_T9_mT8_P12ihipStream_tbDpT10_ENKUlT_T0_E_clISt17integral_constantIbLb0EES16_IbLb1EEEEDaS12_S13_EUlS12_E_NS1_11comp_targetILNS1_3genE3ELNS1_11target_archE908ELNS1_3gpuE7ELNS1_3repE0EEENS1_30default_config_static_selectorELNS0_4arch9wavefront6targetE1EEEvT1_
; %bb.0:
	.section	.rodata,"a",@progbits
	.p2align	6, 0x0
	.amdhsa_kernel _ZN7rocprim17ROCPRIM_400000_NS6detail17trampoline_kernelINS0_14default_configENS1_25partition_config_selectorILNS1_17partition_subalgoE8EdNS0_10empty_typeEbEEZZNS1_14partition_implILS5_8ELb0ES3_jPKdPS6_PKS6_NS0_5tupleIJPdS6_EEENSE_IJSB_SB_EEENS0_18inequality_wrapperIN6hipcub16HIPCUB_304000_NS8EqualityEEEPlJS6_EEE10hipError_tPvRmT3_T4_T5_T6_T7_T9_mT8_P12ihipStream_tbDpT10_ENKUlT_T0_E_clISt17integral_constantIbLb0EES16_IbLb1EEEEDaS12_S13_EUlS12_E_NS1_11comp_targetILNS1_3genE3ELNS1_11target_archE908ELNS1_3gpuE7ELNS1_3repE0EEENS1_30default_config_static_selectorELNS0_4arch9wavefront6targetE1EEEvT1_
		.amdhsa_group_segment_fixed_size 0
		.amdhsa_private_segment_fixed_size 0
		.amdhsa_kernarg_size 128
		.amdhsa_user_sgpr_count 6
		.amdhsa_user_sgpr_private_segment_buffer 1
		.amdhsa_user_sgpr_dispatch_ptr 0
		.amdhsa_user_sgpr_queue_ptr 0
		.amdhsa_user_sgpr_kernarg_segment_ptr 1
		.amdhsa_user_sgpr_dispatch_id 0
		.amdhsa_user_sgpr_flat_scratch_init 0
		.amdhsa_user_sgpr_kernarg_preload_length 0
		.amdhsa_user_sgpr_kernarg_preload_offset 0
		.amdhsa_user_sgpr_private_segment_size 0
		.amdhsa_uses_dynamic_stack 0
		.amdhsa_system_sgpr_private_segment_wavefront_offset 0
		.amdhsa_system_sgpr_workgroup_id_x 1
		.amdhsa_system_sgpr_workgroup_id_y 0
		.amdhsa_system_sgpr_workgroup_id_z 0
		.amdhsa_system_sgpr_workgroup_info 0
		.amdhsa_system_vgpr_workitem_id 0
		.amdhsa_next_free_vgpr 1
		.amdhsa_next_free_sgpr 0
		.amdhsa_accum_offset 4
		.amdhsa_reserve_vcc 0
		.amdhsa_reserve_flat_scratch 0
		.amdhsa_float_round_mode_32 0
		.amdhsa_float_round_mode_16_64 0
		.amdhsa_float_denorm_mode_32 3
		.amdhsa_float_denorm_mode_16_64 3
		.amdhsa_dx10_clamp 1
		.amdhsa_ieee_mode 1
		.amdhsa_fp16_overflow 0
		.amdhsa_tg_split 0
		.amdhsa_exception_fp_ieee_invalid_op 0
		.amdhsa_exception_fp_denorm_src 0
		.amdhsa_exception_fp_ieee_div_zero 0
		.amdhsa_exception_fp_ieee_overflow 0
		.amdhsa_exception_fp_ieee_underflow 0
		.amdhsa_exception_fp_ieee_inexact 0
		.amdhsa_exception_int_div_zero 0
	.end_amdhsa_kernel
	.section	.text._ZN7rocprim17ROCPRIM_400000_NS6detail17trampoline_kernelINS0_14default_configENS1_25partition_config_selectorILNS1_17partition_subalgoE8EdNS0_10empty_typeEbEEZZNS1_14partition_implILS5_8ELb0ES3_jPKdPS6_PKS6_NS0_5tupleIJPdS6_EEENSE_IJSB_SB_EEENS0_18inequality_wrapperIN6hipcub16HIPCUB_304000_NS8EqualityEEEPlJS6_EEE10hipError_tPvRmT3_T4_T5_T6_T7_T9_mT8_P12ihipStream_tbDpT10_ENKUlT_T0_E_clISt17integral_constantIbLb0EES16_IbLb1EEEEDaS12_S13_EUlS12_E_NS1_11comp_targetILNS1_3genE3ELNS1_11target_archE908ELNS1_3gpuE7ELNS1_3repE0EEENS1_30default_config_static_selectorELNS0_4arch9wavefront6targetE1EEEvT1_,"axG",@progbits,_ZN7rocprim17ROCPRIM_400000_NS6detail17trampoline_kernelINS0_14default_configENS1_25partition_config_selectorILNS1_17partition_subalgoE8EdNS0_10empty_typeEbEEZZNS1_14partition_implILS5_8ELb0ES3_jPKdPS6_PKS6_NS0_5tupleIJPdS6_EEENSE_IJSB_SB_EEENS0_18inequality_wrapperIN6hipcub16HIPCUB_304000_NS8EqualityEEEPlJS6_EEE10hipError_tPvRmT3_T4_T5_T6_T7_T9_mT8_P12ihipStream_tbDpT10_ENKUlT_T0_E_clISt17integral_constantIbLb0EES16_IbLb1EEEEDaS12_S13_EUlS12_E_NS1_11comp_targetILNS1_3genE3ELNS1_11target_archE908ELNS1_3gpuE7ELNS1_3repE0EEENS1_30default_config_static_selectorELNS0_4arch9wavefront6targetE1EEEvT1_,comdat
.Lfunc_end299:
	.size	_ZN7rocprim17ROCPRIM_400000_NS6detail17trampoline_kernelINS0_14default_configENS1_25partition_config_selectorILNS1_17partition_subalgoE8EdNS0_10empty_typeEbEEZZNS1_14partition_implILS5_8ELb0ES3_jPKdPS6_PKS6_NS0_5tupleIJPdS6_EEENSE_IJSB_SB_EEENS0_18inequality_wrapperIN6hipcub16HIPCUB_304000_NS8EqualityEEEPlJS6_EEE10hipError_tPvRmT3_T4_T5_T6_T7_T9_mT8_P12ihipStream_tbDpT10_ENKUlT_T0_E_clISt17integral_constantIbLb0EES16_IbLb1EEEEDaS12_S13_EUlS12_E_NS1_11comp_targetILNS1_3genE3ELNS1_11target_archE908ELNS1_3gpuE7ELNS1_3repE0EEENS1_30default_config_static_selectorELNS0_4arch9wavefront6targetE1EEEvT1_, .Lfunc_end299-_ZN7rocprim17ROCPRIM_400000_NS6detail17trampoline_kernelINS0_14default_configENS1_25partition_config_selectorILNS1_17partition_subalgoE8EdNS0_10empty_typeEbEEZZNS1_14partition_implILS5_8ELb0ES3_jPKdPS6_PKS6_NS0_5tupleIJPdS6_EEENSE_IJSB_SB_EEENS0_18inequality_wrapperIN6hipcub16HIPCUB_304000_NS8EqualityEEEPlJS6_EEE10hipError_tPvRmT3_T4_T5_T6_T7_T9_mT8_P12ihipStream_tbDpT10_ENKUlT_T0_E_clISt17integral_constantIbLb0EES16_IbLb1EEEEDaS12_S13_EUlS12_E_NS1_11comp_targetILNS1_3genE3ELNS1_11target_archE908ELNS1_3gpuE7ELNS1_3repE0EEENS1_30default_config_static_selectorELNS0_4arch9wavefront6targetE1EEEvT1_
                                        ; -- End function
	.section	.AMDGPU.csdata,"",@progbits
; Kernel info:
; codeLenInByte = 0
; NumSgprs: 4
; NumVgprs: 0
; NumAgprs: 0
; TotalNumVgprs: 0
; ScratchSize: 0
; MemoryBound: 0
; FloatMode: 240
; IeeeMode: 1
; LDSByteSize: 0 bytes/workgroup (compile time only)
; SGPRBlocks: 0
; VGPRBlocks: 0
; NumSGPRsForWavesPerEU: 4
; NumVGPRsForWavesPerEU: 1
; AccumOffset: 4
; Occupancy: 8
; WaveLimiterHint : 0
; COMPUTE_PGM_RSRC2:SCRATCH_EN: 0
; COMPUTE_PGM_RSRC2:USER_SGPR: 6
; COMPUTE_PGM_RSRC2:TRAP_HANDLER: 0
; COMPUTE_PGM_RSRC2:TGID_X_EN: 1
; COMPUTE_PGM_RSRC2:TGID_Y_EN: 0
; COMPUTE_PGM_RSRC2:TGID_Z_EN: 0
; COMPUTE_PGM_RSRC2:TIDIG_COMP_CNT: 0
; COMPUTE_PGM_RSRC3_GFX90A:ACCUM_OFFSET: 0
; COMPUTE_PGM_RSRC3_GFX90A:TG_SPLIT: 0
	.section	.text._ZN7rocprim17ROCPRIM_400000_NS6detail17trampoline_kernelINS0_14default_configENS1_25partition_config_selectorILNS1_17partition_subalgoE8EdNS0_10empty_typeEbEEZZNS1_14partition_implILS5_8ELb0ES3_jPKdPS6_PKS6_NS0_5tupleIJPdS6_EEENSE_IJSB_SB_EEENS0_18inequality_wrapperIN6hipcub16HIPCUB_304000_NS8EqualityEEEPlJS6_EEE10hipError_tPvRmT3_T4_T5_T6_T7_T9_mT8_P12ihipStream_tbDpT10_ENKUlT_T0_E_clISt17integral_constantIbLb0EES16_IbLb1EEEEDaS12_S13_EUlS12_E_NS1_11comp_targetILNS1_3genE2ELNS1_11target_archE906ELNS1_3gpuE6ELNS1_3repE0EEENS1_30default_config_static_selectorELNS0_4arch9wavefront6targetE1EEEvT1_,"axG",@progbits,_ZN7rocprim17ROCPRIM_400000_NS6detail17trampoline_kernelINS0_14default_configENS1_25partition_config_selectorILNS1_17partition_subalgoE8EdNS0_10empty_typeEbEEZZNS1_14partition_implILS5_8ELb0ES3_jPKdPS6_PKS6_NS0_5tupleIJPdS6_EEENSE_IJSB_SB_EEENS0_18inequality_wrapperIN6hipcub16HIPCUB_304000_NS8EqualityEEEPlJS6_EEE10hipError_tPvRmT3_T4_T5_T6_T7_T9_mT8_P12ihipStream_tbDpT10_ENKUlT_T0_E_clISt17integral_constantIbLb0EES16_IbLb1EEEEDaS12_S13_EUlS12_E_NS1_11comp_targetILNS1_3genE2ELNS1_11target_archE906ELNS1_3gpuE6ELNS1_3repE0EEENS1_30default_config_static_selectorELNS0_4arch9wavefront6targetE1EEEvT1_,comdat
	.protected	_ZN7rocprim17ROCPRIM_400000_NS6detail17trampoline_kernelINS0_14default_configENS1_25partition_config_selectorILNS1_17partition_subalgoE8EdNS0_10empty_typeEbEEZZNS1_14partition_implILS5_8ELb0ES3_jPKdPS6_PKS6_NS0_5tupleIJPdS6_EEENSE_IJSB_SB_EEENS0_18inequality_wrapperIN6hipcub16HIPCUB_304000_NS8EqualityEEEPlJS6_EEE10hipError_tPvRmT3_T4_T5_T6_T7_T9_mT8_P12ihipStream_tbDpT10_ENKUlT_T0_E_clISt17integral_constantIbLb0EES16_IbLb1EEEEDaS12_S13_EUlS12_E_NS1_11comp_targetILNS1_3genE2ELNS1_11target_archE906ELNS1_3gpuE6ELNS1_3repE0EEENS1_30default_config_static_selectorELNS0_4arch9wavefront6targetE1EEEvT1_ ; -- Begin function _ZN7rocprim17ROCPRIM_400000_NS6detail17trampoline_kernelINS0_14default_configENS1_25partition_config_selectorILNS1_17partition_subalgoE8EdNS0_10empty_typeEbEEZZNS1_14partition_implILS5_8ELb0ES3_jPKdPS6_PKS6_NS0_5tupleIJPdS6_EEENSE_IJSB_SB_EEENS0_18inequality_wrapperIN6hipcub16HIPCUB_304000_NS8EqualityEEEPlJS6_EEE10hipError_tPvRmT3_T4_T5_T6_T7_T9_mT8_P12ihipStream_tbDpT10_ENKUlT_T0_E_clISt17integral_constantIbLb0EES16_IbLb1EEEEDaS12_S13_EUlS12_E_NS1_11comp_targetILNS1_3genE2ELNS1_11target_archE906ELNS1_3gpuE6ELNS1_3repE0EEENS1_30default_config_static_selectorELNS0_4arch9wavefront6targetE1EEEvT1_
	.globl	_ZN7rocprim17ROCPRIM_400000_NS6detail17trampoline_kernelINS0_14default_configENS1_25partition_config_selectorILNS1_17partition_subalgoE8EdNS0_10empty_typeEbEEZZNS1_14partition_implILS5_8ELb0ES3_jPKdPS6_PKS6_NS0_5tupleIJPdS6_EEENSE_IJSB_SB_EEENS0_18inequality_wrapperIN6hipcub16HIPCUB_304000_NS8EqualityEEEPlJS6_EEE10hipError_tPvRmT3_T4_T5_T6_T7_T9_mT8_P12ihipStream_tbDpT10_ENKUlT_T0_E_clISt17integral_constantIbLb0EES16_IbLb1EEEEDaS12_S13_EUlS12_E_NS1_11comp_targetILNS1_3genE2ELNS1_11target_archE906ELNS1_3gpuE6ELNS1_3repE0EEENS1_30default_config_static_selectorELNS0_4arch9wavefront6targetE1EEEvT1_
	.p2align	8
	.type	_ZN7rocprim17ROCPRIM_400000_NS6detail17trampoline_kernelINS0_14default_configENS1_25partition_config_selectorILNS1_17partition_subalgoE8EdNS0_10empty_typeEbEEZZNS1_14partition_implILS5_8ELb0ES3_jPKdPS6_PKS6_NS0_5tupleIJPdS6_EEENSE_IJSB_SB_EEENS0_18inequality_wrapperIN6hipcub16HIPCUB_304000_NS8EqualityEEEPlJS6_EEE10hipError_tPvRmT3_T4_T5_T6_T7_T9_mT8_P12ihipStream_tbDpT10_ENKUlT_T0_E_clISt17integral_constantIbLb0EES16_IbLb1EEEEDaS12_S13_EUlS12_E_NS1_11comp_targetILNS1_3genE2ELNS1_11target_archE906ELNS1_3gpuE6ELNS1_3repE0EEENS1_30default_config_static_selectorELNS0_4arch9wavefront6targetE1EEEvT1_,@function
_ZN7rocprim17ROCPRIM_400000_NS6detail17trampoline_kernelINS0_14default_configENS1_25partition_config_selectorILNS1_17partition_subalgoE8EdNS0_10empty_typeEbEEZZNS1_14partition_implILS5_8ELb0ES3_jPKdPS6_PKS6_NS0_5tupleIJPdS6_EEENSE_IJSB_SB_EEENS0_18inequality_wrapperIN6hipcub16HIPCUB_304000_NS8EqualityEEEPlJS6_EEE10hipError_tPvRmT3_T4_T5_T6_T7_T9_mT8_P12ihipStream_tbDpT10_ENKUlT_T0_E_clISt17integral_constantIbLb0EES16_IbLb1EEEEDaS12_S13_EUlS12_E_NS1_11comp_targetILNS1_3genE2ELNS1_11target_archE906ELNS1_3gpuE6ELNS1_3repE0EEENS1_30default_config_static_selectorELNS0_4arch9wavefront6targetE1EEEvT1_: ; @_ZN7rocprim17ROCPRIM_400000_NS6detail17trampoline_kernelINS0_14default_configENS1_25partition_config_selectorILNS1_17partition_subalgoE8EdNS0_10empty_typeEbEEZZNS1_14partition_implILS5_8ELb0ES3_jPKdPS6_PKS6_NS0_5tupleIJPdS6_EEENSE_IJSB_SB_EEENS0_18inequality_wrapperIN6hipcub16HIPCUB_304000_NS8EqualityEEEPlJS6_EEE10hipError_tPvRmT3_T4_T5_T6_T7_T9_mT8_P12ihipStream_tbDpT10_ENKUlT_T0_E_clISt17integral_constantIbLb0EES16_IbLb1EEEEDaS12_S13_EUlS12_E_NS1_11comp_targetILNS1_3genE2ELNS1_11target_archE906ELNS1_3gpuE6ELNS1_3repE0EEENS1_30default_config_static_selectorELNS0_4arch9wavefront6targetE1EEEvT1_
; %bb.0:
	.section	.rodata,"a",@progbits
	.p2align	6, 0x0
	.amdhsa_kernel _ZN7rocprim17ROCPRIM_400000_NS6detail17trampoline_kernelINS0_14default_configENS1_25partition_config_selectorILNS1_17partition_subalgoE8EdNS0_10empty_typeEbEEZZNS1_14partition_implILS5_8ELb0ES3_jPKdPS6_PKS6_NS0_5tupleIJPdS6_EEENSE_IJSB_SB_EEENS0_18inequality_wrapperIN6hipcub16HIPCUB_304000_NS8EqualityEEEPlJS6_EEE10hipError_tPvRmT3_T4_T5_T6_T7_T9_mT8_P12ihipStream_tbDpT10_ENKUlT_T0_E_clISt17integral_constantIbLb0EES16_IbLb1EEEEDaS12_S13_EUlS12_E_NS1_11comp_targetILNS1_3genE2ELNS1_11target_archE906ELNS1_3gpuE6ELNS1_3repE0EEENS1_30default_config_static_selectorELNS0_4arch9wavefront6targetE1EEEvT1_
		.amdhsa_group_segment_fixed_size 0
		.amdhsa_private_segment_fixed_size 0
		.amdhsa_kernarg_size 128
		.amdhsa_user_sgpr_count 6
		.amdhsa_user_sgpr_private_segment_buffer 1
		.amdhsa_user_sgpr_dispatch_ptr 0
		.amdhsa_user_sgpr_queue_ptr 0
		.amdhsa_user_sgpr_kernarg_segment_ptr 1
		.amdhsa_user_sgpr_dispatch_id 0
		.amdhsa_user_sgpr_flat_scratch_init 0
		.amdhsa_user_sgpr_kernarg_preload_length 0
		.amdhsa_user_sgpr_kernarg_preload_offset 0
		.amdhsa_user_sgpr_private_segment_size 0
		.amdhsa_uses_dynamic_stack 0
		.amdhsa_system_sgpr_private_segment_wavefront_offset 0
		.amdhsa_system_sgpr_workgroup_id_x 1
		.amdhsa_system_sgpr_workgroup_id_y 0
		.amdhsa_system_sgpr_workgroup_id_z 0
		.amdhsa_system_sgpr_workgroup_info 0
		.amdhsa_system_vgpr_workitem_id 0
		.amdhsa_next_free_vgpr 1
		.amdhsa_next_free_sgpr 0
		.amdhsa_accum_offset 4
		.amdhsa_reserve_vcc 0
		.amdhsa_reserve_flat_scratch 0
		.amdhsa_float_round_mode_32 0
		.amdhsa_float_round_mode_16_64 0
		.amdhsa_float_denorm_mode_32 3
		.amdhsa_float_denorm_mode_16_64 3
		.amdhsa_dx10_clamp 1
		.amdhsa_ieee_mode 1
		.amdhsa_fp16_overflow 0
		.amdhsa_tg_split 0
		.amdhsa_exception_fp_ieee_invalid_op 0
		.amdhsa_exception_fp_denorm_src 0
		.amdhsa_exception_fp_ieee_div_zero 0
		.amdhsa_exception_fp_ieee_overflow 0
		.amdhsa_exception_fp_ieee_underflow 0
		.amdhsa_exception_fp_ieee_inexact 0
		.amdhsa_exception_int_div_zero 0
	.end_amdhsa_kernel
	.section	.text._ZN7rocprim17ROCPRIM_400000_NS6detail17trampoline_kernelINS0_14default_configENS1_25partition_config_selectorILNS1_17partition_subalgoE8EdNS0_10empty_typeEbEEZZNS1_14partition_implILS5_8ELb0ES3_jPKdPS6_PKS6_NS0_5tupleIJPdS6_EEENSE_IJSB_SB_EEENS0_18inequality_wrapperIN6hipcub16HIPCUB_304000_NS8EqualityEEEPlJS6_EEE10hipError_tPvRmT3_T4_T5_T6_T7_T9_mT8_P12ihipStream_tbDpT10_ENKUlT_T0_E_clISt17integral_constantIbLb0EES16_IbLb1EEEEDaS12_S13_EUlS12_E_NS1_11comp_targetILNS1_3genE2ELNS1_11target_archE906ELNS1_3gpuE6ELNS1_3repE0EEENS1_30default_config_static_selectorELNS0_4arch9wavefront6targetE1EEEvT1_,"axG",@progbits,_ZN7rocprim17ROCPRIM_400000_NS6detail17trampoline_kernelINS0_14default_configENS1_25partition_config_selectorILNS1_17partition_subalgoE8EdNS0_10empty_typeEbEEZZNS1_14partition_implILS5_8ELb0ES3_jPKdPS6_PKS6_NS0_5tupleIJPdS6_EEENSE_IJSB_SB_EEENS0_18inequality_wrapperIN6hipcub16HIPCUB_304000_NS8EqualityEEEPlJS6_EEE10hipError_tPvRmT3_T4_T5_T6_T7_T9_mT8_P12ihipStream_tbDpT10_ENKUlT_T0_E_clISt17integral_constantIbLb0EES16_IbLb1EEEEDaS12_S13_EUlS12_E_NS1_11comp_targetILNS1_3genE2ELNS1_11target_archE906ELNS1_3gpuE6ELNS1_3repE0EEENS1_30default_config_static_selectorELNS0_4arch9wavefront6targetE1EEEvT1_,comdat
.Lfunc_end300:
	.size	_ZN7rocprim17ROCPRIM_400000_NS6detail17trampoline_kernelINS0_14default_configENS1_25partition_config_selectorILNS1_17partition_subalgoE8EdNS0_10empty_typeEbEEZZNS1_14partition_implILS5_8ELb0ES3_jPKdPS6_PKS6_NS0_5tupleIJPdS6_EEENSE_IJSB_SB_EEENS0_18inequality_wrapperIN6hipcub16HIPCUB_304000_NS8EqualityEEEPlJS6_EEE10hipError_tPvRmT3_T4_T5_T6_T7_T9_mT8_P12ihipStream_tbDpT10_ENKUlT_T0_E_clISt17integral_constantIbLb0EES16_IbLb1EEEEDaS12_S13_EUlS12_E_NS1_11comp_targetILNS1_3genE2ELNS1_11target_archE906ELNS1_3gpuE6ELNS1_3repE0EEENS1_30default_config_static_selectorELNS0_4arch9wavefront6targetE1EEEvT1_, .Lfunc_end300-_ZN7rocprim17ROCPRIM_400000_NS6detail17trampoline_kernelINS0_14default_configENS1_25partition_config_selectorILNS1_17partition_subalgoE8EdNS0_10empty_typeEbEEZZNS1_14partition_implILS5_8ELb0ES3_jPKdPS6_PKS6_NS0_5tupleIJPdS6_EEENSE_IJSB_SB_EEENS0_18inequality_wrapperIN6hipcub16HIPCUB_304000_NS8EqualityEEEPlJS6_EEE10hipError_tPvRmT3_T4_T5_T6_T7_T9_mT8_P12ihipStream_tbDpT10_ENKUlT_T0_E_clISt17integral_constantIbLb0EES16_IbLb1EEEEDaS12_S13_EUlS12_E_NS1_11comp_targetILNS1_3genE2ELNS1_11target_archE906ELNS1_3gpuE6ELNS1_3repE0EEENS1_30default_config_static_selectorELNS0_4arch9wavefront6targetE1EEEvT1_
                                        ; -- End function
	.section	.AMDGPU.csdata,"",@progbits
; Kernel info:
; codeLenInByte = 0
; NumSgprs: 4
; NumVgprs: 0
; NumAgprs: 0
; TotalNumVgprs: 0
; ScratchSize: 0
; MemoryBound: 0
; FloatMode: 240
; IeeeMode: 1
; LDSByteSize: 0 bytes/workgroup (compile time only)
; SGPRBlocks: 0
; VGPRBlocks: 0
; NumSGPRsForWavesPerEU: 4
; NumVGPRsForWavesPerEU: 1
; AccumOffset: 4
; Occupancy: 8
; WaveLimiterHint : 0
; COMPUTE_PGM_RSRC2:SCRATCH_EN: 0
; COMPUTE_PGM_RSRC2:USER_SGPR: 6
; COMPUTE_PGM_RSRC2:TRAP_HANDLER: 0
; COMPUTE_PGM_RSRC2:TGID_X_EN: 1
; COMPUTE_PGM_RSRC2:TGID_Y_EN: 0
; COMPUTE_PGM_RSRC2:TGID_Z_EN: 0
; COMPUTE_PGM_RSRC2:TIDIG_COMP_CNT: 0
; COMPUTE_PGM_RSRC3_GFX90A:ACCUM_OFFSET: 0
; COMPUTE_PGM_RSRC3_GFX90A:TG_SPLIT: 0
	.section	.text._ZN7rocprim17ROCPRIM_400000_NS6detail17trampoline_kernelINS0_14default_configENS1_25partition_config_selectorILNS1_17partition_subalgoE8EdNS0_10empty_typeEbEEZZNS1_14partition_implILS5_8ELb0ES3_jPKdPS6_PKS6_NS0_5tupleIJPdS6_EEENSE_IJSB_SB_EEENS0_18inequality_wrapperIN6hipcub16HIPCUB_304000_NS8EqualityEEEPlJS6_EEE10hipError_tPvRmT3_T4_T5_T6_T7_T9_mT8_P12ihipStream_tbDpT10_ENKUlT_T0_E_clISt17integral_constantIbLb0EES16_IbLb1EEEEDaS12_S13_EUlS12_E_NS1_11comp_targetILNS1_3genE10ELNS1_11target_archE1200ELNS1_3gpuE4ELNS1_3repE0EEENS1_30default_config_static_selectorELNS0_4arch9wavefront6targetE1EEEvT1_,"axG",@progbits,_ZN7rocprim17ROCPRIM_400000_NS6detail17trampoline_kernelINS0_14default_configENS1_25partition_config_selectorILNS1_17partition_subalgoE8EdNS0_10empty_typeEbEEZZNS1_14partition_implILS5_8ELb0ES3_jPKdPS6_PKS6_NS0_5tupleIJPdS6_EEENSE_IJSB_SB_EEENS0_18inequality_wrapperIN6hipcub16HIPCUB_304000_NS8EqualityEEEPlJS6_EEE10hipError_tPvRmT3_T4_T5_T6_T7_T9_mT8_P12ihipStream_tbDpT10_ENKUlT_T0_E_clISt17integral_constantIbLb0EES16_IbLb1EEEEDaS12_S13_EUlS12_E_NS1_11comp_targetILNS1_3genE10ELNS1_11target_archE1200ELNS1_3gpuE4ELNS1_3repE0EEENS1_30default_config_static_selectorELNS0_4arch9wavefront6targetE1EEEvT1_,comdat
	.protected	_ZN7rocprim17ROCPRIM_400000_NS6detail17trampoline_kernelINS0_14default_configENS1_25partition_config_selectorILNS1_17partition_subalgoE8EdNS0_10empty_typeEbEEZZNS1_14partition_implILS5_8ELb0ES3_jPKdPS6_PKS6_NS0_5tupleIJPdS6_EEENSE_IJSB_SB_EEENS0_18inequality_wrapperIN6hipcub16HIPCUB_304000_NS8EqualityEEEPlJS6_EEE10hipError_tPvRmT3_T4_T5_T6_T7_T9_mT8_P12ihipStream_tbDpT10_ENKUlT_T0_E_clISt17integral_constantIbLb0EES16_IbLb1EEEEDaS12_S13_EUlS12_E_NS1_11comp_targetILNS1_3genE10ELNS1_11target_archE1200ELNS1_3gpuE4ELNS1_3repE0EEENS1_30default_config_static_selectorELNS0_4arch9wavefront6targetE1EEEvT1_ ; -- Begin function _ZN7rocprim17ROCPRIM_400000_NS6detail17trampoline_kernelINS0_14default_configENS1_25partition_config_selectorILNS1_17partition_subalgoE8EdNS0_10empty_typeEbEEZZNS1_14partition_implILS5_8ELb0ES3_jPKdPS6_PKS6_NS0_5tupleIJPdS6_EEENSE_IJSB_SB_EEENS0_18inequality_wrapperIN6hipcub16HIPCUB_304000_NS8EqualityEEEPlJS6_EEE10hipError_tPvRmT3_T4_T5_T6_T7_T9_mT8_P12ihipStream_tbDpT10_ENKUlT_T0_E_clISt17integral_constantIbLb0EES16_IbLb1EEEEDaS12_S13_EUlS12_E_NS1_11comp_targetILNS1_3genE10ELNS1_11target_archE1200ELNS1_3gpuE4ELNS1_3repE0EEENS1_30default_config_static_selectorELNS0_4arch9wavefront6targetE1EEEvT1_
	.globl	_ZN7rocprim17ROCPRIM_400000_NS6detail17trampoline_kernelINS0_14default_configENS1_25partition_config_selectorILNS1_17partition_subalgoE8EdNS0_10empty_typeEbEEZZNS1_14partition_implILS5_8ELb0ES3_jPKdPS6_PKS6_NS0_5tupleIJPdS6_EEENSE_IJSB_SB_EEENS0_18inequality_wrapperIN6hipcub16HIPCUB_304000_NS8EqualityEEEPlJS6_EEE10hipError_tPvRmT3_T4_T5_T6_T7_T9_mT8_P12ihipStream_tbDpT10_ENKUlT_T0_E_clISt17integral_constantIbLb0EES16_IbLb1EEEEDaS12_S13_EUlS12_E_NS1_11comp_targetILNS1_3genE10ELNS1_11target_archE1200ELNS1_3gpuE4ELNS1_3repE0EEENS1_30default_config_static_selectorELNS0_4arch9wavefront6targetE1EEEvT1_
	.p2align	8
	.type	_ZN7rocprim17ROCPRIM_400000_NS6detail17trampoline_kernelINS0_14default_configENS1_25partition_config_selectorILNS1_17partition_subalgoE8EdNS0_10empty_typeEbEEZZNS1_14partition_implILS5_8ELb0ES3_jPKdPS6_PKS6_NS0_5tupleIJPdS6_EEENSE_IJSB_SB_EEENS0_18inequality_wrapperIN6hipcub16HIPCUB_304000_NS8EqualityEEEPlJS6_EEE10hipError_tPvRmT3_T4_T5_T6_T7_T9_mT8_P12ihipStream_tbDpT10_ENKUlT_T0_E_clISt17integral_constantIbLb0EES16_IbLb1EEEEDaS12_S13_EUlS12_E_NS1_11comp_targetILNS1_3genE10ELNS1_11target_archE1200ELNS1_3gpuE4ELNS1_3repE0EEENS1_30default_config_static_selectorELNS0_4arch9wavefront6targetE1EEEvT1_,@function
_ZN7rocprim17ROCPRIM_400000_NS6detail17trampoline_kernelINS0_14default_configENS1_25partition_config_selectorILNS1_17partition_subalgoE8EdNS0_10empty_typeEbEEZZNS1_14partition_implILS5_8ELb0ES3_jPKdPS6_PKS6_NS0_5tupleIJPdS6_EEENSE_IJSB_SB_EEENS0_18inequality_wrapperIN6hipcub16HIPCUB_304000_NS8EqualityEEEPlJS6_EEE10hipError_tPvRmT3_T4_T5_T6_T7_T9_mT8_P12ihipStream_tbDpT10_ENKUlT_T0_E_clISt17integral_constantIbLb0EES16_IbLb1EEEEDaS12_S13_EUlS12_E_NS1_11comp_targetILNS1_3genE10ELNS1_11target_archE1200ELNS1_3gpuE4ELNS1_3repE0EEENS1_30default_config_static_selectorELNS0_4arch9wavefront6targetE1EEEvT1_: ; @_ZN7rocprim17ROCPRIM_400000_NS6detail17trampoline_kernelINS0_14default_configENS1_25partition_config_selectorILNS1_17partition_subalgoE8EdNS0_10empty_typeEbEEZZNS1_14partition_implILS5_8ELb0ES3_jPKdPS6_PKS6_NS0_5tupleIJPdS6_EEENSE_IJSB_SB_EEENS0_18inequality_wrapperIN6hipcub16HIPCUB_304000_NS8EqualityEEEPlJS6_EEE10hipError_tPvRmT3_T4_T5_T6_T7_T9_mT8_P12ihipStream_tbDpT10_ENKUlT_T0_E_clISt17integral_constantIbLb0EES16_IbLb1EEEEDaS12_S13_EUlS12_E_NS1_11comp_targetILNS1_3genE10ELNS1_11target_archE1200ELNS1_3gpuE4ELNS1_3repE0EEENS1_30default_config_static_selectorELNS0_4arch9wavefront6targetE1EEEvT1_
; %bb.0:
	.section	.rodata,"a",@progbits
	.p2align	6, 0x0
	.amdhsa_kernel _ZN7rocprim17ROCPRIM_400000_NS6detail17trampoline_kernelINS0_14default_configENS1_25partition_config_selectorILNS1_17partition_subalgoE8EdNS0_10empty_typeEbEEZZNS1_14partition_implILS5_8ELb0ES3_jPKdPS6_PKS6_NS0_5tupleIJPdS6_EEENSE_IJSB_SB_EEENS0_18inequality_wrapperIN6hipcub16HIPCUB_304000_NS8EqualityEEEPlJS6_EEE10hipError_tPvRmT3_T4_T5_T6_T7_T9_mT8_P12ihipStream_tbDpT10_ENKUlT_T0_E_clISt17integral_constantIbLb0EES16_IbLb1EEEEDaS12_S13_EUlS12_E_NS1_11comp_targetILNS1_3genE10ELNS1_11target_archE1200ELNS1_3gpuE4ELNS1_3repE0EEENS1_30default_config_static_selectorELNS0_4arch9wavefront6targetE1EEEvT1_
		.amdhsa_group_segment_fixed_size 0
		.amdhsa_private_segment_fixed_size 0
		.amdhsa_kernarg_size 128
		.amdhsa_user_sgpr_count 6
		.amdhsa_user_sgpr_private_segment_buffer 1
		.amdhsa_user_sgpr_dispatch_ptr 0
		.amdhsa_user_sgpr_queue_ptr 0
		.amdhsa_user_sgpr_kernarg_segment_ptr 1
		.amdhsa_user_sgpr_dispatch_id 0
		.amdhsa_user_sgpr_flat_scratch_init 0
		.amdhsa_user_sgpr_kernarg_preload_length 0
		.amdhsa_user_sgpr_kernarg_preload_offset 0
		.amdhsa_user_sgpr_private_segment_size 0
		.amdhsa_uses_dynamic_stack 0
		.amdhsa_system_sgpr_private_segment_wavefront_offset 0
		.amdhsa_system_sgpr_workgroup_id_x 1
		.amdhsa_system_sgpr_workgroup_id_y 0
		.amdhsa_system_sgpr_workgroup_id_z 0
		.amdhsa_system_sgpr_workgroup_info 0
		.amdhsa_system_vgpr_workitem_id 0
		.amdhsa_next_free_vgpr 1
		.amdhsa_next_free_sgpr 0
		.amdhsa_accum_offset 4
		.amdhsa_reserve_vcc 0
		.amdhsa_reserve_flat_scratch 0
		.amdhsa_float_round_mode_32 0
		.amdhsa_float_round_mode_16_64 0
		.amdhsa_float_denorm_mode_32 3
		.amdhsa_float_denorm_mode_16_64 3
		.amdhsa_dx10_clamp 1
		.amdhsa_ieee_mode 1
		.amdhsa_fp16_overflow 0
		.amdhsa_tg_split 0
		.amdhsa_exception_fp_ieee_invalid_op 0
		.amdhsa_exception_fp_denorm_src 0
		.amdhsa_exception_fp_ieee_div_zero 0
		.amdhsa_exception_fp_ieee_overflow 0
		.amdhsa_exception_fp_ieee_underflow 0
		.amdhsa_exception_fp_ieee_inexact 0
		.amdhsa_exception_int_div_zero 0
	.end_amdhsa_kernel
	.section	.text._ZN7rocprim17ROCPRIM_400000_NS6detail17trampoline_kernelINS0_14default_configENS1_25partition_config_selectorILNS1_17partition_subalgoE8EdNS0_10empty_typeEbEEZZNS1_14partition_implILS5_8ELb0ES3_jPKdPS6_PKS6_NS0_5tupleIJPdS6_EEENSE_IJSB_SB_EEENS0_18inequality_wrapperIN6hipcub16HIPCUB_304000_NS8EqualityEEEPlJS6_EEE10hipError_tPvRmT3_T4_T5_T6_T7_T9_mT8_P12ihipStream_tbDpT10_ENKUlT_T0_E_clISt17integral_constantIbLb0EES16_IbLb1EEEEDaS12_S13_EUlS12_E_NS1_11comp_targetILNS1_3genE10ELNS1_11target_archE1200ELNS1_3gpuE4ELNS1_3repE0EEENS1_30default_config_static_selectorELNS0_4arch9wavefront6targetE1EEEvT1_,"axG",@progbits,_ZN7rocprim17ROCPRIM_400000_NS6detail17trampoline_kernelINS0_14default_configENS1_25partition_config_selectorILNS1_17partition_subalgoE8EdNS0_10empty_typeEbEEZZNS1_14partition_implILS5_8ELb0ES3_jPKdPS6_PKS6_NS0_5tupleIJPdS6_EEENSE_IJSB_SB_EEENS0_18inequality_wrapperIN6hipcub16HIPCUB_304000_NS8EqualityEEEPlJS6_EEE10hipError_tPvRmT3_T4_T5_T6_T7_T9_mT8_P12ihipStream_tbDpT10_ENKUlT_T0_E_clISt17integral_constantIbLb0EES16_IbLb1EEEEDaS12_S13_EUlS12_E_NS1_11comp_targetILNS1_3genE10ELNS1_11target_archE1200ELNS1_3gpuE4ELNS1_3repE0EEENS1_30default_config_static_selectorELNS0_4arch9wavefront6targetE1EEEvT1_,comdat
.Lfunc_end301:
	.size	_ZN7rocprim17ROCPRIM_400000_NS6detail17trampoline_kernelINS0_14default_configENS1_25partition_config_selectorILNS1_17partition_subalgoE8EdNS0_10empty_typeEbEEZZNS1_14partition_implILS5_8ELb0ES3_jPKdPS6_PKS6_NS0_5tupleIJPdS6_EEENSE_IJSB_SB_EEENS0_18inequality_wrapperIN6hipcub16HIPCUB_304000_NS8EqualityEEEPlJS6_EEE10hipError_tPvRmT3_T4_T5_T6_T7_T9_mT8_P12ihipStream_tbDpT10_ENKUlT_T0_E_clISt17integral_constantIbLb0EES16_IbLb1EEEEDaS12_S13_EUlS12_E_NS1_11comp_targetILNS1_3genE10ELNS1_11target_archE1200ELNS1_3gpuE4ELNS1_3repE0EEENS1_30default_config_static_selectorELNS0_4arch9wavefront6targetE1EEEvT1_, .Lfunc_end301-_ZN7rocprim17ROCPRIM_400000_NS6detail17trampoline_kernelINS0_14default_configENS1_25partition_config_selectorILNS1_17partition_subalgoE8EdNS0_10empty_typeEbEEZZNS1_14partition_implILS5_8ELb0ES3_jPKdPS6_PKS6_NS0_5tupleIJPdS6_EEENSE_IJSB_SB_EEENS0_18inequality_wrapperIN6hipcub16HIPCUB_304000_NS8EqualityEEEPlJS6_EEE10hipError_tPvRmT3_T4_T5_T6_T7_T9_mT8_P12ihipStream_tbDpT10_ENKUlT_T0_E_clISt17integral_constantIbLb0EES16_IbLb1EEEEDaS12_S13_EUlS12_E_NS1_11comp_targetILNS1_3genE10ELNS1_11target_archE1200ELNS1_3gpuE4ELNS1_3repE0EEENS1_30default_config_static_selectorELNS0_4arch9wavefront6targetE1EEEvT1_
                                        ; -- End function
	.section	.AMDGPU.csdata,"",@progbits
; Kernel info:
; codeLenInByte = 0
; NumSgprs: 4
; NumVgprs: 0
; NumAgprs: 0
; TotalNumVgprs: 0
; ScratchSize: 0
; MemoryBound: 0
; FloatMode: 240
; IeeeMode: 1
; LDSByteSize: 0 bytes/workgroup (compile time only)
; SGPRBlocks: 0
; VGPRBlocks: 0
; NumSGPRsForWavesPerEU: 4
; NumVGPRsForWavesPerEU: 1
; AccumOffset: 4
; Occupancy: 8
; WaveLimiterHint : 0
; COMPUTE_PGM_RSRC2:SCRATCH_EN: 0
; COMPUTE_PGM_RSRC2:USER_SGPR: 6
; COMPUTE_PGM_RSRC2:TRAP_HANDLER: 0
; COMPUTE_PGM_RSRC2:TGID_X_EN: 1
; COMPUTE_PGM_RSRC2:TGID_Y_EN: 0
; COMPUTE_PGM_RSRC2:TGID_Z_EN: 0
; COMPUTE_PGM_RSRC2:TIDIG_COMP_CNT: 0
; COMPUTE_PGM_RSRC3_GFX90A:ACCUM_OFFSET: 0
; COMPUTE_PGM_RSRC3_GFX90A:TG_SPLIT: 0
	.section	.text._ZN7rocprim17ROCPRIM_400000_NS6detail17trampoline_kernelINS0_14default_configENS1_25partition_config_selectorILNS1_17partition_subalgoE8EdNS0_10empty_typeEbEEZZNS1_14partition_implILS5_8ELb0ES3_jPKdPS6_PKS6_NS0_5tupleIJPdS6_EEENSE_IJSB_SB_EEENS0_18inequality_wrapperIN6hipcub16HIPCUB_304000_NS8EqualityEEEPlJS6_EEE10hipError_tPvRmT3_T4_T5_T6_T7_T9_mT8_P12ihipStream_tbDpT10_ENKUlT_T0_E_clISt17integral_constantIbLb0EES16_IbLb1EEEEDaS12_S13_EUlS12_E_NS1_11comp_targetILNS1_3genE9ELNS1_11target_archE1100ELNS1_3gpuE3ELNS1_3repE0EEENS1_30default_config_static_selectorELNS0_4arch9wavefront6targetE1EEEvT1_,"axG",@progbits,_ZN7rocprim17ROCPRIM_400000_NS6detail17trampoline_kernelINS0_14default_configENS1_25partition_config_selectorILNS1_17partition_subalgoE8EdNS0_10empty_typeEbEEZZNS1_14partition_implILS5_8ELb0ES3_jPKdPS6_PKS6_NS0_5tupleIJPdS6_EEENSE_IJSB_SB_EEENS0_18inequality_wrapperIN6hipcub16HIPCUB_304000_NS8EqualityEEEPlJS6_EEE10hipError_tPvRmT3_T4_T5_T6_T7_T9_mT8_P12ihipStream_tbDpT10_ENKUlT_T0_E_clISt17integral_constantIbLb0EES16_IbLb1EEEEDaS12_S13_EUlS12_E_NS1_11comp_targetILNS1_3genE9ELNS1_11target_archE1100ELNS1_3gpuE3ELNS1_3repE0EEENS1_30default_config_static_selectorELNS0_4arch9wavefront6targetE1EEEvT1_,comdat
	.protected	_ZN7rocprim17ROCPRIM_400000_NS6detail17trampoline_kernelINS0_14default_configENS1_25partition_config_selectorILNS1_17partition_subalgoE8EdNS0_10empty_typeEbEEZZNS1_14partition_implILS5_8ELb0ES3_jPKdPS6_PKS6_NS0_5tupleIJPdS6_EEENSE_IJSB_SB_EEENS0_18inequality_wrapperIN6hipcub16HIPCUB_304000_NS8EqualityEEEPlJS6_EEE10hipError_tPvRmT3_T4_T5_T6_T7_T9_mT8_P12ihipStream_tbDpT10_ENKUlT_T0_E_clISt17integral_constantIbLb0EES16_IbLb1EEEEDaS12_S13_EUlS12_E_NS1_11comp_targetILNS1_3genE9ELNS1_11target_archE1100ELNS1_3gpuE3ELNS1_3repE0EEENS1_30default_config_static_selectorELNS0_4arch9wavefront6targetE1EEEvT1_ ; -- Begin function _ZN7rocprim17ROCPRIM_400000_NS6detail17trampoline_kernelINS0_14default_configENS1_25partition_config_selectorILNS1_17partition_subalgoE8EdNS0_10empty_typeEbEEZZNS1_14partition_implILS5_8ELb0ES3_jPKdPS6_PKS6_NS0_5tupleIJPdS6_EEENSE_IJSB_SB_EEENS0_18inequality_wrapperIN6hipcub16HIPCUB_304000_NS8EqualityEEEPlJS6_EEE10hipError_tPvRmT3_T4_T5_T6_T7_T9_mT8_P12ihipStream_tbDpT10_ENKUlT_T0_E_clISt17integral_constantIbLb0EES16_IbLb1EEEEDaS12_S13_EUlS12_E_NS1_11comp_targetILNS1_3genE9ELNS1_11target_archE1100ELNS1_3gpuE3ELNS1_3repE0EEENS1_30default_config_static_selectorELNS0_4arch9wavefront6targetE1EEEvT1_
	.globl	_ZN7rocprim17ROCPRIM_400000_NS6detail17trampoline_kernelINS0_14default_configENS1_25partition_config_selectorILNS1_17partition_subalgoE8EdNS0_10empty_typeEbEEZZNS1_14partition_implILS5_8ELb0ES3_jPKdPS6_PKS6_NS0_5tupleIJPdS6_EEENSE_IJSB_SB_EEENS0_18inequality_wrapperIN6hipcub16HIPCUB_304000_NS8EqualityEEEPlJS6_EEE10hipError_tPvRmT3_T4_T5_T6_T7_T9_mT8_P12ihipStream_tbDpT10_ENKUlT_T0_E_clISt17integral_constantIbLb0EES16_IbLb1EEEEDaS12_S13_EUlS12_E_NS1_11comp_targetILNS1_3genE9ELNS1_11target_archE1100ELNS1_3gpuE3ELNS1_3repE0EEENS1_30default_config_static_selectorELNS0_4arch9wavefront6targetE1EEEvT1_
	.p2align	8
	.type	_ZN7rocprim17ROCPRIM_400000_NS6detail17trampoline_kernelINS0_14default_configENS1_25partition_config_selectorILNS1_17partition_subalgoE8EdNS0_10empty_typeEbEEZZNS1_14partition_implILS5_8ELb0ES3_jPKdPS6_PKS6_NS0_5tupleIJPdS6_EEENSE_IJSB_SB_EEENS0_18inequality_wrapperIN6hipcub16HIPCUB_304000_NS8EqualityEEEPlJS6_EEE10hipError_tPvRmT3_T4_T5_T6_T7_T9_mT8_P12ihipStream_tbDpT10_ENKUlT_T0_E_clISt17integral_constantIbLb0EES16_IbLb1EEEEDaS12_S13_EUlS12_E_NS1_11comp_targetILNS1_3genE9ELNS1_11target_archE1100ELNS1_3gpuE3ELNS1_3repE0EEENS1_30default_config_static_selectorELNS0_4arch9wavefront6targetE1EEEvT1_,@function
_ZN7rocprim17ROCPRIM_400000_NS6detail17trampoline_kernelINS0_14default_configENS1_25partition_config_selectorILNS1_17partition_subalgoE8EdNS0_10empty_typeEbEEZZNS1_14partition_implILS5_8ELb0ES3_jPKdPS6_PKS6_NS0_5tupleIJPdS6_EEENSE_IJSB_SB_EEENS0_18inequality_wrapperIN6hipcub16HIPCUB_304000_NS8EqualityEEEPlJS6_EEE10hipError_tPvRmT3_T4_T5_T6_T7_T9_mT8_P12ihipStream_tbDpT10_ENKUlT_T0_E_clISt17integral_constantIbLb0EES16_IbLb1EEEEDaS12_S13_EUlS12_E_NS1_11comp_targetILNS1_3genE9ELNS1_11target_archE1100ELNS1_3gpuE3ELNS1_3repE0EEENS1_30default_config_static_selectorELNS0_4arch9wavefront6targetE1EEEvT1_: ; @_ZN7rocprim17ROCPRIM_400000_NS6detail17trampoline_kernelINS0_14default_configENS1_25partition_config_selectorILNS1_17partition_subalgoE8EdNS0_10empty_typeEbEEZZNS1_14partition_implILS5_8ELb0ES3_jPKdPS6_PKS6_NS0_5tupleIJPdS6_EEENSE_IJSB_SB_EEENS0_18inequality_wrapperIN6hipcub16HIPCUB_304000_NS8EqualityEEEPlJS6_EEE10hipError_tPvRmT3_T4_T5_T6_T7_T9_mT8_P12ihipStream_tbDpT10_ENKUlT_T0_E_clISt17integral_constantIbLb0EES16_IbLb1EEEEDaS12_S13_EUlS12_E_NS1_11comp_targetILNS1_3genE9ELNS1_11target_archE1100ELNS1_3gpuE3ELNS1_3repE0EEENS1_30default_config_static_selectorELNS0_4arch9wavefront6targetE1EEEvT1_
; %bb.0:
	.section	.rodata,"a",@progbits
	.p2align	6, 0x0
	.amdhsa_kernel _ZN7rocprim17ROCPRIM_400000_NS6detail17trampoline_kernelINS0_14default_configENS1_25partition_config_selectorILNS1_17partition_subalgoE8EdNS0_10empty_typeEbEEZZNS1_14partition_implILS5_8ELb0ES3_jPKdPS6_PKS6_NS0_5tupleIJPdS6_EEENSE_IJSB_SB_EEENS0_18inequality_wrapperIN6hipcub16HIPCUB_304000_NS8EqualityEEEPlJS6_EEE10hipError_tPvRmT3_T4_T5_T6_T7_T9_mT8_P12ihipStream_tbDpT10_ENKUlT_T0_E_clISt17integral_constantIbLb0EES16_IbLb1EEEEDaS12_S13_EUlS12_E_NS1_11comp_targetILNS1_3genE9ELNS1_11target_archE1100ELNS1_3gpuE3ELNS1_3repE0EEENS1_30default_config_static_selectorELNS0_4arch9wavefront6targetE1EEEvT1_
		.amdhsa_group_segment_fixed_size 0
		.amdhsa_private_segment_fixed_size 0
		.amdhsa_kernarg_size 128
		.amdhsa_user_sgpr_count 6
		.amdhsa_user_sgpr_private_segment_buffer 1
		.amdhsa_user_sgpr_dispatch_ptr 0
		.amdhsa_user_sgpr_queue_ptr 0
		.amdhsa_user_sgpr_kernarg_segment_ptr 1
		.amdhsa_user_sgpr_dispatch_id 0
		.amdhsa_user_sgpr_flat_scratch_init 0
		.amdhsa_user_sgpr_kernarg_preload_length 0
		.amdhsa_user_sgpr_kernarg_preload_offset 0
		.amdhsa_user_sgpr_private_segment_size 0
		.amdhsa_uses_dynamic_stack 0
		.amdhsa_system_sgpr_private_segment_wavefront_offset 0
		.amdhsa_system_sgpr_workgroup_id_x 1
		.amdhsa_system_sgpr_workgroup_id_y 0
		.amdhsa_system_sgpr_workgroup_id_z 0
		.amdhsa_system_sgpr_workgroup_info 0
		.amdhsa_system_vgpr_workitem_id 0
		.amdhsa_next_free_vgpr 1
		.amdhsa_next_free_sgpr 0
		.amdhsa_accum_offset 4
		.amdhsa_reserve_vcc 0
		.amdhsa_reserve_flat_scratch 0
		.amdhsa_float_round_mode_32 0
		.amdhsa_float_round_mode_16_64 0
		.amdhsa_float_denorm_mode_32 3
		.amdhsa_float_denorm_mode_16_64 3
		.amdhsa_dx10_clamp 1
		.amdhsa_ieee_mode 1
		.amdhsa_fp16_overflow 0
		.amdhsa_tg_split 0
		.amdhsa_exception_fp_ieee_invalid_op 0
		.amdhsa_exception_fp_denorm_src 0
		.amdhsa_exception_fp_ieee_div_zero 0
		.amdhsa_exception_fp_ieee_overflow 0
		.amdhsa_exception_fp_ieee_underflow 0
		.amdhsa_exception_fp_ieee_inexact 0
		.amdhsa_exception_int_div_zero 0
	.end_amdhsa_kernel
	.section	.text._ZN7rocprim17ROCPRIM_400000_NS6detail17trampoline_kernelINS0_14default_configENS1_25partition_config_selectorILNS1_17partition_subalgoE8EdNS0_10empty_typeEbEEZZNS1_14partition_implILS5_8ELb0ES3_jPKdPS6_PKS6_NS0_5tupleIJPdS6_EEENSE_IJSB_SB_EEENS0_18inequality_wrapperIN6hipcub16HIPCUB_304000_NS8EqualityEEEPlJS6_EEE10hipError_tPvRmT3_T4_T5_T6_T7_T9_mT8_P12ihipStream_tbDpT10_ENKUlT_T0_E_clISt17integral_constantIbLb0EES16_IbLb1EEEEDaS12_S13_EUlS12_E_NS1_11comp_targetILNS1_3genE9ELNS1_11target_archE1100ELNS1_3gpuE3ELNS1_3repE0EEENS1_30default_config_static_selectorELNS0_4arch9wavefront6targetE1EEEvT1_,"axG",@progbits,_ZN7rocprim17ROCPRIM_400000_NS6detail17trampoline_kernelINS0_14default_configENS1_25partition_config_selectorILNS1_17partition_subalgoE8EdNS0_10empty_typeEbEEZZNS1_14partition_implILS5_8ELb0ES3_jPKdPS6_PKS6_NS0_5tupleIJPdS6_EEENSE_IJSB_SB_EEENS0_18inequality_wrapperIN6hipcub16HIPCUB_304000_NS8EqualityEEEPlJS6_EEE10hipError_tPvRmT3_T4_T5_T6_T7_T9_mT8_P12ihipStream_tbDpT10_ENKUlT_T0_E_clISt17integral_constantIbLb0EES16_IbLb1EEEEDaS12_S13_EUlS12_E_NS1_11comp_targetILNS1_3genE9ELNS1_11target_archE1100ELNS1_3gpuE3ELNS1_3repE0EEENS1_30default_config_static_selectorELNS0_4arch9wavefront6targetE1EEEvT1_,comdat
.Lfunc_end302:
	.size	_ZN7rocprim17ROCPRIM_400000_NS6detail17trampoline_kernelINS0_14default_configENS1_25partition_config_selectorILNS1_17partition_subalgoE8EdNS0_10empty_typeEbEEZZNS1_14partition_implILS5_8ELb0ES3_jPKdPS6_PKS6_NS0_5tupleIJPdS6_EEENSE_IJSB_SB_EEENS0_18inequality_wrapperIN6hipcub16HIPCUB_304000_NS8EqualityEEEPlJS6_EEE10hipError_tPvRmT3_T4_T5_T6_T7_T9_mT8_P12ihipStream_tbDpT10_ENKUlT_T0_E_clISt17integral_constantIbLb0EES16_IbLb1EEEEDaS12_S13_EUlS12_E_NS1_11comp_targetILNS1_3genE9ELNS1_11target_archE1100ELNS1_3gpuE3ELNS1_3repE0EEENS1_30default_config_static_selectorELNS0_4arch9wavefront6targetE1EEEvT1_, .Lfunc_end302-_ZN7rocprim17ROCPRIM_400000_NS6detail17trampoline_kernelINS0_14default_configENS1_25partition_config_selectorILNS1_17partition_subalgoE8EdNS0_10empty_typeEbEEZZNS1_14partition_implILS5_8ELb0ES3_jPKdPS6_PKS6_NS0_5tupleIJPdS6_EEENSE_IJSB_SB_EEENS0_18inequality_wrapperIN6hipcub16HIPCUB_304000_NS8EqualityEEEPlJS6_EEE10hipError_tPvRmT3_T4_T5_T6_T7_T9_mT8_P12ihipStream_tbDpT10_ENKUlT_T0_E_clISt17integral_constantIbLb0EES16_IbLb1EEEEDaS12_S13_EUlS12_E_NS1_11comp_targetILNS1_3genE9ELNS1_11target_archE1100ELNS1_3gpuE3ELNS1_3repE0EEENS1_30default_config_static_selectorELNS0_4arch9wavefront6targetE1EEEvT1_
                                        ; -- End function
	.section	.AMDGPU.csdata,"",@progbits
; Kernel info:
; codeLenInByte = 0
; NumSgprs: 4
; NumVgprs: 0
; NumAgprs: 0
; TotalNumVgprs: 0
; ScratchSize: 0
; MemoryBound: 0
; FloatMode: 240
; IeeeMode: 1
; LDSByteSize: 0 bytes/workgroup (compile time only)
; SGPRBlocks: 0
; VGPRBlocks: 0
; NumSGPRsForWavesPerEU: 4
; NumVGPRsForWavesPerEU: 1
; AccumOffset: 4
; Occupancy: 8
; WaveLimiterHint : 0
; COMPUTE_PGM_RSRC2:SCRATCH_EN: 0
; COMPUTE_PGM_RSRC2:USER_SGPR: 6
; COMPUTE_PGM_RSRC2:TRAP_HANDLER: 0
; COMPUTE_PGM_RSRC2:TGID_X_EN: 1
; COMPUTE_PGM_RSRC2:TGID_Y_EN: 0
; COMPUTE_PGM_RSRC2:TGID_Z_EN: 0
; COMPUTE_PGM_RSRC2:TIDIG_COMP_CNT: 0
; COMPUTE_PGM_RSRC3_GFX90A:ACCUM_OFFSET: 0
; COMPUTE_PGM_RSRC3_GFX90A:TG_SPLIT: 0
	.section	.text._ZN7rocprim17ROCPRIM_400000_NS6detail17trampoline_kernelINS0_14default_configENS1_25partition_config_selectorILNS1_17partition_subalgoE8EdNS0_10empty_typeEbEEZZNS1_14partition_implILS5_8ELb0ES3_jPKdPS6_PKS6_NS0_5tupleIJPdS6_EEENSE_IJSB_SB_EEENS0_18inequality_wrapperIN6hipcub16HIPCUB_304000_NS8EqualityEEEPlJS6_EEE10hipError_tPvRmT3_T4_T5_T6_T7_T9_mT8_P12ihipStream_tbDpT10_ENKUlT_T0_E_clISt17integral_constantIbLb0EES16_IbLb1EEEEDaS12_S13_EUlS12_E_NS1_11comp_targetILNS1_3genE8ELNS1_11target_archE1030ELNS1_3gpuE2ELNS1_3repE0EEENS1_30default_config_static_selectorELNS0_4arch9wavefront6targetE1EEEvT1_,"axG",@progbits,_ZN7rocprim17ROCPRIM_400000_NS6detail17trampoline_kernelINS0_14default_configENS1_25partition_config_selectorILNS1_17partition_subalgoE8EdNS0_10empty_typeEbEEZZNS1_14partition_implILS5_8ELb0ES3_jPKdPS6_PKS6_NS0_5tupleIJPdS6_EEENSE_IJSB_SB_EEENS0_18inequality_wrapperIN6hipcub16HIPCUB_304000_NS8EqualityEEEPlJS6_EEE10hipError_tPvRmT3_T4_T5_T6_T7_T9_mT8_P12ihipStream_tbDpT10_ENKUlT_T0_E_clISt17integral_constantIbLb0EES16_IbLb1EEEEDaS12_S13_EUlS12_E_NS1_11comp_targetILNS1_3genE8ELNS1_11target_archE1030ELNS1_3gpuE2ELNS1_3repE0EEENS1_30default_config_static_selectorELNS0_4arch9wavefront6targetE1EEEvT1_,comdat
	.protected	_ZN7rocprim17ROCPRIM_400000_NS6detail17trampoline_kernelINS0_14default_configENS1_25partition_config_selectorILNS1_17partition_subalgoE8EdNS0_10empty_typeEbEEZZNS1_14partition_implILS5_8ELb0ES3_jPKdPS6_PKS6_NS0_5tupleIJPdS6_EEENSE_IJSB_SB_EEENS0_18inequality_wrapperIN6hipcub16HIPCUB_304000_NS8EqualityEEEPlJS6_EEE10hipError_tPvRmT3_T4_T5_T6_T7_T9_mT8_P12ihipStream_tbDpT10_ENKUlT_T0_E_clISt17integral_constantIbLb0EES16_IbLb1EEEEDaS12_S13_EUlS12_E_NS1_11comp_targetILNS1_3genE8ELNS1_11target_archE1030ELNS1_3gpuE2ELNS1_3repE0EEENS1_30default_config_static_selectorELNS0_4arch9wavefront6targetE1EEEvT1_ ; -- Begin function _ZN7rocprim17ROCPRIM_400000_NS6detail17trampoline_kernelINS0_14default_configENS1_25partition_config_selectorILNS1_17partition_subalgoE8EdNS0_10empty_typeEbEEZZNS1_14partition_implILS5_8ELb0ES3_jPKdPS6_PKS6_NS0_5tupleIJPdS6_EEENSE_IJSB_SB_EEENS0_18inequality_wrapperIN6hipcub16HIPCUB_304000_NS8EqualityEEEPlJS6_EEE10hipError_tPvRmT3_T4_T5_T6_T7_T9_mT8_P12ihipStream_tbDpT10_ENKUlT_T0_E_clISt17integral_constantIbLb0EES16_IbLb1EEEEDaS12_S13_EUlS12_E_NS1_11comp_targetILNS1_3genE8ELNS1_11target_archE1030ELNS1_3gpuE2ELNS1_3repE0EEENS1_30default_config_static_selectorELNS0_4arch9wavefront6targetE1EEEvT1_
	.globl	_ZN7rocprim17ROCPRIM_400000_NS6detail17trampoline_kernelINS0_14default_configENS1_25partition_config_selectorILNS1_17partition_subalgoE8EdNS0_10empty_typeEbEEZZNS1_14partition_implILS5_8ELb0ES3_jPKdPS6_PKS6_NS0_5tupleIJPdS6_EEENSE_IJSB_SB_EEENS0_18inequality_wrapperIN6hipcub16HIPCUB_304000_NS8EqualityEEEPlJS6_EEE10hipError_tPvRmT3_T4_T5_T6_T7_T9_mT8_P12ihipStream_tbDpT10_ENKUlT_T0_E_clISt17integral_constantIbLb0EES16_IbLb1EEEEDaS12_S13_EUlS12_E_NS1_11comp_targetILNS1_3genE8ELNS1_11target_archE1030ELNS1_3gpuE2ELNS1_3repE0EEENS1_30default_config_static_selectorELNS0_4arch9wavefront6targetE1EEEvT1_
	.p2align	8
	.type	_ZN7rocprim17ROCPRIM_400000_NS6detail17trampoline_kernelINS0_14default_configENS1_25partition_config_selectorILNS1_17partition_subalgoE8EdNS0_10empty_typeEbEEZZNS1_14partition_implILS5_8ELb0ES3_jPKdPS6_PKS6_NS0_5tupleIJPdS6_EEENSE_IJSB_SB_EEENS0_18inequality_wrapperIN6hipcub16HIPCUB_304000_NS8EqualityEEEPlJS6_EEE10hipError_tPvRmT3_T4_T5_T6_T7_T9_mT8_P12ihipStream_tbDpT10_ENKUlT_T0_E_clISt17integral_constantIbLb0EES16_IbLb1EEEEDaS12_S13_EUlS12_E_NS1_11comp_targetILNS1_3genE8ELNS1_11target_archE1030ELNS1_3gpuE2ELNS1_3repE0EEENS1_30default_config_static_selectorELNS0_4arch9wavefront6targetE1EEEvT1_,@function
_ZN7rocprim17ROCPRIM_400000_NS6detail17trampoline_kernelINS0_14default_configENS1_25partition_config_selectorILNS1_17partition_subalgoE8EdNS0_10empty_typeEbEEZZNS1_14partition_implILS5_8ELb0ES3_jPKdPS6_PKS6_NS0_5tupleIJPdS6_EEENSE_IJSB_SB_EEENS0_18inequality_wrapperIN6hipcub16HIPCUB_304000_NS8EqualityEEEPlJS6_EEE10hipError_tPvRmT3_T4_T5_T6_T7_T9_mT8_P12ihipStream_tbDpT10_ENKUlT_T0_E_clISt17integral_constantIbLb0EES16_IbLb1EEEEDaS12_S13_EUlS12_E_NS1_11comp_targetILNS1_3genE8ELNS1_11target_archE1030ELNS1_3gpuE2ELNS1_3repE0EEENS1_30default_config_static_selectorELNS0_4arch9wavefront6targetE1EEEvT1_: ; @_ZN7rocprim17ROCPRIM_400000_NS6detail17trampoline_kernelINS0_14default_configENS1_25partition_config_selectorILNS1_17partition_subalgoE8EdNS0_10empty_typeEbEEZZNS1_14partition_implILS5_8ELb0ES3_jPKdPS6_PKS6_NS0_5tupleIJPdS6_EEENSE_IJSB_SB_EEENS0_18inequality_wrapperIN6hipcub16HIPCUB_304000_NS8EqualityEEEPlJS6_EEE10hipError_tPvRmT3_T4_T5_T6_T7_T9_mT8_P12ihipStream_tbDpT10_ENKUlT_T0_E_clISt17integral_constantIbLb0EES16_IbLb1EEEEDaS12_S13_EUlS12_E_NS1_11comp_targetILNS1_3genE8ELNS1_11target_archE1030ELNS1_3gpuE2ELNS1_3repE0EEENS1_30default_config_static_selectorELNS0_4arch9wavefront6targetE1EEEvT1_
; %bb.0:
	.section	.rodata,"a",@progbits
	.p2align	6, 0x0
	.amdhsa_kernel _ZN7rocprim17ROCPRIM_400000_NS6detail17trampoline_kernelINS0_14default_configENS1_25partition_config_selectorILNS1_17partition_subalgoE8EdNS0_10empty_typeEbEEZZNS1_14partition_implILS5_8ELb0ES3_jPKdPS6_PKS6_NS0_5tupleIJPdS6_EEENSE_IJSB_SB_EEENS0_18inequality_wrapperIN6hipcub16HIPCUB_304000_NS8EqualityEEEPlJS6_EEE10hipError_tPvRmT3_T4_T5_T6_T7_T9_mT8_P12ihipStream_tbDpT10_ENKUlT_T0_E_clISt17integral_constantIbLb0EES16_IbLb1EEEEDaS12_S13_EUlS12_E_NS1_11comp_targetILNS1_3genE8ELNS1_11target_archE1030ELNS1_3gpuE2ELNS1_3repE0EEENS1_30default_config_static_selectorELNS0_4arch9wavefront6targetE1EEEvT1_
		.amdhsa_group_segment_fixed_size 0
		.amdhsa_private_segment_fixed_size 0
		.amdhsa_kernarg_size 128
		.amdhsa_user_sgpr_count 6
		.amdhsa_user_sgpr_private_segment_buffer 1
		.amdhsa_user_sgpr_dispatch_ptr 0
		.amdhsa_user_sgpr_queue_ptr 0
		.amdhsa_user_sgpr_kernarg_segment_ptr 1
		.amdhsa_user_sgpr_dispatch_id 0
		.amdhsa_user_sgpr_flat_scratch_init 0
		.amdhsa_user_sgpr_kernarg_preload_length 0
		.amdhsa_user_sgpr_kernarg_preload_offset 0
		.amdhsa_user_sgpr_private_segment_size 0
		.amdhsa_uses_dynamic_stack 0
		.amdhsa_system_sgpr_private_segment_wavefront_offset 0
		.amdhsa_system_sgpr_workgroup_id_x 1
		.amdhsa_system_sgpr_workgroup_id_y 0
		.amdhsa_system_sgpr_workgroup_id_z 0
		.amdhsa_system_sgpr_workgroup_info 0
		.amdhsa_system_vgpr_workitem_id 0
		.amdhsa_next_free_vgpr 1
		.amdhsa_next_free_sgpr 0
		.amdhsa_accum_offset 4
		.amdhsa_reserve_vcc 0
		.amdhsa_reserve_flat_scratch 0
		.amdhsa_float_round_mode_32 0
		.amdhsa_float_round_mode_16_64 0
		.amdhsa_float_denorm_mode_32 3
		.amdhsa_float_denorm_mode_16_64 3
		.amdhsa_dx10_clamp 1
		.amdhsa_ieee_mode 1
		.amdhsa_fp16_overflow 0
		.amdhsa_tg_split 0
		.amdhsa_exception_fp_ieee_invalid_op 0
		.amdhsa_exception_fp_denorm_src 0
		.amdhsa_exception_fp_ieee_div_zero 0
		.amdhsa_exception_fp_ieee_overflow 0
		.amdhsa_exception_fp_ieee_underflow 0
		.amdhsa_exception_fp_ieee_inexact 0
		.amdhsa_exception_int_div_zero 0
	.end_amdhsa_kernel
	.section	.text._ZN7rocprim17ROCPRIM_400000_NS6detail17trampoline_kernelINS0_14default_configENS1_25partition_config_selectorILNS1_17partition_subalgoE8EdNS0_10empty_typeEbEEZZNS1_14partition_implILS5_8ELb0ES3_jPKdPS6_PKS6_NS0_5tupleIJPdS6_EEENSE_IJSB_SB_EEENS0_18inequality_wrapperIN6hipcub16HIPCUB_304000_NS8EqualityEEEPlJS6_EEE10hipError_tPvRmT3_T4_T5_T6_T7_T9_mT8_P12ihipStream_tbDpT10_ENKUlT_T0_E_clISt17integral_constantIbLb0EES16_IbLb1EEEEDaS12_S13_EUlS12_E_NS1_11comp_targetILNS1_3genE8ELNS1_11target_archE1030ELNS1_3gpuE2ELNS1_3repE0EEENS1_30default_config_static_selectorELNS0_4arch9wavefront6targetE1EEEvT1_,"axG",@progbits,_ZN7rocprim17ROCPRIM_400000_NS6detail17trampoline_kernelINS0_14default_configENS1_25partition_config_selectorILNS1_17partition_subalgoE8EdNS0_10empty_typeEbEEZZNS1_14partition_implILS5_8ELb0ES3_jPKdPS6_PKS6_NS0_5tupleIJPdS6_EEENSE_IJSB_SB_EEENS0_18inequality_wrapperIN6hipcub16HIPCUB_304000_NS8EqualityEEEPlJS6_EEE10hipError_tPvRmT3_T4_T5_T6_T7_T9_mT8_P12ihipStream_tbDpT10_ENKUlT_T0_E_clISt17integral_constantIbLb0EES16_IbLb1EEEEDaS12_S13_EUlS12_E_NS1_11comp_targetILNS1_3genE8ELNS1_11target_archE1030ELNS1_3gpuE2ELNS1_3repE0EEENS1_30default_config_static_selectorELNS0_4arch9wavefront6targetE1EEEvT1_,comdat
.Lfunc_end303:
	.size	_ZN7rocprim17ROCPRIM_400000_NS6detail17trampoline_kernelINS0_14default_configENS1_25partition_config_selectorILNS1_17partition_subalgoE8EdNS0_10empty_typeEbEEZZNS1_14partition_implILS5_8ELb0ES3_jPKdPS6_PKS6_NS0_5tupleIJPdS6_EEENSE_IJSB_SB_EEENS0_18inequality_wrapperIN6hipcub16HIPCUB_304000_NS8EqualityEEEPlJS6_EEE10hipError_tPvRmT3_T4_T5_T6_T7_T9_mT8_P12ihipStream_tbDpT10_ENKUlT_T0_E_clISt17integral_constantIbLb0EES16_IbLb1EEEEDaS12_S13_EUlS12_E_NS1_11comp_targetILNS1_3genE8ELNS1_11target_archE1030ELNS1_3gpuE2ELNS1_3repE0EEENS1_30default_config_static_selectorELNS0_4arch9wavefront6targetE1EEEvT1_, .Lfunc_end303-_ZN7rocprim17ROCPRIM_400000_NS6detail17trampoline_kernelINS0_14default_configENS1_25partition_config_selectorILNS1_17partition_subalgoE8EdNS0_10empty_typeEbEEZZNS1_14partition_implILS5_8ELb0ES3_jPKdPS6_PKS6_NS0_5tupleIJPdS6_EEENSE_IJSB_SB_EEENS0_18inequality_wrapperIN6hipcub16HIPCUB_304000_NS8EqualityEEEPlJS6_EEE10hipError_tPvRmT3_T4_T5_T6_T7_T9_mT8_P12ihipStream_tbDpT10_ENKUlT_T0_E_clISt17integral_constantIbLb0EES16_IbLb1EEEEDaS12_S13_EUlS12_E_NS1_11comp_targetILNS1_3genE8ELNS1_11target_archE1030ELNS1_3gpuE2ELNS1_3repE0EEENS1_30default_config_static_selectorELNS0_4arch9wavefront6targetE1EEEvT1_
                                        ; -- End function
	.section	.AMDGPU.csdata,"",@progbits
; Kernel info:
; codeLenInByte = 0
; NumSgprs: 4
; NumVgprs: 0
; NumAgprs: 0
; TotalNumVgprs: 0
; ScratchSize: 0
; MemoryBound: 0
; FloatMode: 240
; IeeeMode: 1
; LDSByteSize: 0 bytes/workgroup (compile time only)
; SGPRBlocks: 0
; VGPRBlocks: 0
; NumSGPRsForWavesPerEU: 4
; NumVGPRsForWavesPerEU: 1
; AccumOffset: 4
; Occupancy: 8
; WaveLimiterHint : 0
; COMPUTE_PGM_RSRC2:SCRATCH_EN: 0
; COMPUTE_PGM_RSRC2:USER_SGPR: 6
; COMPUTE_PGM_RSRC2:TRAP_HANDLER: 0
; COMPUTE_PGM_RSRC2:TGID_X_EN: 1
; COMPUTE_PGM_RSRC2:TGID_Y_EN: 0
; COMPUTE_PGM_RSRC2:TGID_Z_EN: 0
; COMPUTE_PGM_RSRC2:TIDIG_COMP_CNT: 0
; COMPUTE_PGM_RSRC3_GFX90A:ACCUM_OFFSET: 0
; COMPUTE_PGM_RSRC3_GFX90A:TG_SPLIT: 0
	.section	.text._ZN7rocprim17ROCPRIM_400000_NS6detail17trampoline_kernelINS0_14default_configENS1_33run_length_encode_config_selectorIdjNS0_4plusIjEEEEZZNS1_33reduce_by_key_impl_wrapped_configILNS1_25lookback_scan_determinismE0ES3_S7_PKdNS0_17constant_iteratorIjlEEPdPlSF_S6_NS0_8equal_toIdEEEE10hipError_tPvRmT2_T3_mT4_T5_T6_T7_T8_P12ihipStream_tbENKUlT_T0_E_clISt17integral_constantIbLb0EESZ_EEDaSU_SV_EUlSU_E_NS1_11comp_targetILNS1_3genE0ELNS1_11target_archE4294967295ELNS1_3gpuE0ELNS1_3repE0EEENS1_30default_config_static_selectorELNS0_4arch9wavefront6targetE1EEEvT1_,"axG",@progbits,_ZN7rocprim17ROCPRIM_400000_NS6detail17trampoline_kernelINS0_14default_configENS1_33run_length_encode_config_selectorIdjNS0_4plusIjEEEEZZNS1_33reduce_by_key_impl_wrapped_configILNS1_25lookback_scan_determinismE0ES3_S7_PKdNS0_17constant_iteratorIjlEEPdPlSF_S6_NS0_8equal_toIdEEEE10hipError_tPvRmT2_T3_mT4_T5_T6_T7_T8_P12ihipStream_tbENKUlT_T0_E_clISt17integral_constantIbLb0EESZ_EEDaSU_SV_EUlSU_E_NS1_11comp_targetILNS1_3genE0ELNS1_11target_archE4294967295ELNS1_3gpuE0ELNS1_3repE0EEENS1_30default_config_static_selectorELNS0_4arch9wavefront6targetE1EEEvT1_,comdat
	.protected	_ZN7rocprim17ROCPRIM_400000_NS6detail17trampoline_kernelINS0_14default_configENS1_33run_length_encode_config_selectorIdjNS0_4plusIjEEEEZZNS1_33reduce_by_key_impl_wrapped_configILNS1_25lookback_scan_determinismE0ES3_S7_PKdNS0_17constant_iteratorIjlEEPdPlSF_S6_NS0_8equal_toIdEEEE10hipError_tPvRmT2_T3_mT4_T5_T6_T7_T8_P12ihipStream_tbENKUlT_T0_E_clISt17integral_constantIbLb0EESZ_EEDaSU_SV_EUlSU_E_NS1_11comp_targetILNS1_3genE0ELNS1_11target_archE4294967295ELNS1_3gpuE0ELNS1_3repE0EEENS1_30default_config_static_selectorELNS0_4arch9wavefront6targetE1EEEvT1_ ; -- Begin function _ZN7rocprim17ROCPRIM_400000_NS6detail17trampoline_kernelINS0_14default_configENS1_33run_length_encode_config_selectorIdjNS0_4plusIjEEEEZZNS1_33reduce_by_key_impl_wrapped_configILNS1_25lookback_scan_determinismE0ES3_S7_PKdNS0_17constant_iteratorIjlEEPdPlSF_S6_NS0_8equal_toIdEEEE10hipError_tPvRmT2_T3_mT4_T5_T6_T7_T8_P12ihipStream_tbENKUlT_T0_E_clISt17integral_constantIbLb0EESZ_EEDaSU_SV_EUlSU_E_NS1_11comp_targetILNS1_3genE0ELNS1_11target_archE4294967295ELNS1_3gpuE0ELNS1_3repE0EEENS1_30default_config_static_selectorELNS0_4arch9wavefront6targetE1EEEvT1_
	.globl	_ZN7rocprim17ROCPRIM_400000_NS6detail17trampoline_kernelINS0_14default_configENS1_33run_length_encode_config_selectorIdjNS0_4plusIjEEEEZZNS1_33reduce_by_key_impl_wrapped_configILNS1_25lookback_scan_determinismE0ES3_S7_PKdNS0_17constant_iteratorIjlEEPdPlSF_S6_NS0_8equal_toIdEEEE10hipError_tPvRmT2_T3_mT4_T5_T6_T7_T8_P12ihipStream_tbENKUlT_T0_E_clISt17integral_constantIbLb0EESZ_EEDaSU_SV_EUlSU_E_NS1_11comp_targetILNS1_3genE0ELNS1_11target_archE4294967295ELNS1_3gpuE0ELNS1_3repE0EEENS1_30default_config_static_selectorELNS0_4arch9wavefront6targetE1EEEvT1_
	.p2align	8
	.type	_ZN7rocprim17ROCPRIM_400000_NS6detail17trampoline_kernelINS0_14default_configENS1_33run_length_encode_config_selectorIdjNS0_4plusIjEEEEZZNS1_33reduce_by_key_impl_wrapped_configILNS1_25lookback_scan_determinismE0ES3_S7_PKdNS0_17constant_iteratorIjlEEPdPlSF_S6_NS0_8equal_toIdEEEE10hipError_tPvRmT2_T3_mT4_T5_T6_T7_T8_P12ihipStream_tbENKUlT_T0_E_clISt17integral_constantIbLb0EESZ_EEDaSU_SV_EUlSU_E_NS1_11comp_targetILNS1_3genE0ELNS1_11target_archE4294967295ELNS1_3gpuE0ELNS1_3repE0EEENS1_30default_config_static_selectorELNS0_4arch9wavefront6targetE1EEEvT1_,@function
_ZN7rocprim17ROCPRIM_400000_NS6detail17trampoline_kernelINS0_14default_configENS1_33run_length_encode_config_selectorIdjNS0_4plusIjEEEEZZNS1_33reduce_by_key_impl_wrapped_configILNS1_25lookback_scan_determinismE0ES3_S7_PKdNS0_17constant_iteratorIjlEEPdPlSF_S6_NS0_8equal_toIdEEEE10hipError_tPvRmT2_T3_mT4_T5_T6_T7_T8_P12ihipStream_tbENKUlT_T0_E_clISt17integral_constantIbLb0EESZ_EEDaSU_SV_EUlSU_E_NS1_11comp_targetILNS1_3genE0ELNS1_11target_archE4294967295ELNS1_3gpuE0ELNS1_3repE0EEENS1_30default_config_static_selectorELNS0_4arch9wavefront6targetE1EEEvT1_: ; @_ZN7rocprim17ROCPRIM_400000_NS6detail17trampoline_kernelINS0_14default_configENS1_33run_length_encode_config_selectorIdjNS0_4plusIjEEEEZZNS1_33reduce_by_key_impl_wrapped_configILNS1_25lookback_scan_determinismE0ES3_S7_PKdNS0_17constant_iteratorIjlEEPdPlSF_S6_NS0_8equal_toIdEEEE10hipError_tPvRmT2_T3_mT4_T5_T6_T7_T8_P12ihipStream_tbENKUlT_T0_E_clISt17integral_constantIbLb0EESZ_EEDaSU_SV_EUlSU_E_NS1_11comp_targetILNS1_3genE0ELNS1_11target_archE4294967295ELNS1_3gpuE0ELNS1_3repE0EEENS1_30default_config_static_selectorELNS0_4arch9wavefront6targetE1EEEvT1_
; %bb.0:
	.section	.rodata,"a",@progbits
	.p2align	6, 0x0
	.amdhsa_kernel _ZN7rocprim17ROCPRIM_400000_NS6detail17trampoline_kernelINS0_14default_configENS1_33run_length_encode_config_selectorIdjNS0_4plusIjEEEEZZNS1_33reduce_by_key_impl_wrapped_configILNS1_25lookback_scan_determinismE0ES3_S7_PKdNS0_17constant_iteratorIjlEEPdPlSF_S6_NS0_8equal_toIdEEEE10hipError_tPvRmT2_T3_mT4_T5_T6_T7_T8_P12ihipStream_tbENKUlT_T0_E_clISt17integral_constantIbLb0EESZ_EEDaSU_SV_EUlSU_E_NS1_11comp_targetILNS1_3genE0ELNS1_11target_archE4294967295ELNS1_3gpuE0ELNS1_3repE0EEENS1_30default_config_static_selectorELNS0_4arch9wavefront6targetE1EEEvT1_
		.amdhsa_group_segment_fixed_size 0
		.amdhsa_private_segment_fixed_size 0
		.amdhsa_kernarg_size 128
		.amdhsa_user_sgpr_count 6
		.amdhsa_user_sgpr_private_segment_buffer 1
		.amdhsa_user_sgpr_dispatch_ptr 0
		.amdhsa_user_sgpr_queue_ptr 0
		.amdhsa_user_sgpr_kernarg_segment_ptr 1
		.amdhsa_user_sgpr_dispatch_id 0
		.amdhsa_user_sgpr_flat_scratch_init 0
		.amdhsa_user_sgpr_kernarg_preload_length 0
		.amdhsa_user_sgpr_kernarg_preload_offset 0
		.amdhsa_user_sgpr_private_segment_size 0
		.amdhsa_uses_dynamic_stack 0
		.amdhsa_system_sgpr_private_segment_wavefront_offset 0
		.amdhsa_system_sgpr_workgroup_id_x 1
		.amdhsa_system_sgpr_workgroup_id_y 0
		.amdhsa_system_sgpr_workgroup_id_z 0
		.amdhsa_system_sgpr_workgroup_info 0
		.amdhsa_system_vgpr_workitem_id 0
		.amdhsa_next_free_vgpr 1
		.amdhsa_next_free_sgpr 0
		.amdhsa_accum_offset 4
		.amdhsa_reserve_vcc 0
		.amdhsa_reserve_flat_scratch 0
		.amdhsa_float_round_mode_32 0
		.amdhsa_float_round_mode_16_64 0
		.amdhsa_float_denorm_mode_32 3
		.amdhsa_float_denorm_mode_16_64 3
		.amdhsa_dx10_clamp 1
		.amdhsa_ieee_mode 1
		.amdhsa_fp16_overflow 0
		.amdhsa_tg_split 0
		.amdhsa_exception_fp_ieee_invalid_op 0
		.amdhsa_exception_fp_denorm_src 0
		.amdhsa_exception_fp_ieee_div_zero 0
		.amdhsa_exception_fp_ieee_overflow 0
		.amdhsa_exception_fp_ieee_underflow 0
		.amdhsa_exception_fp_ieee_inexact 0
		.amdhsa_exception_int_div_zero 0
	.end_amdhsa_kernel
	.section	.text._ZN7rocprim17ROCPRIM_400000_NS6detail17trampoline_kernelINS0_14default_configENS1_33run_length_encode_config_selectorIdjNS0_4plusIjEEEEZZNS1_33reduce_by_key_impl_wrapped_configILNS1_25lookback_scan_determinismE0ES3_S7_PKdNS0_17constant_iteratorIjlEEPdPlSF_S6_NS0_8equal_toIdEEEE10hipError_tPvRmT2_T3_mT4_T5_T6_T7_T8_P12ihipStream_tbENKUlT_T0_E_clISt17integral_constantIbLb0EESZ_EEDaSU_SV_EUlSU_E_NS1_11comp_targetILNS1_3genE0ELNS1_11target_archE4294967295ELNS1_3gpuE0ELNS1_3repE0EEENS1_30default_config_static_selectorELNS0_4arch9wavefront6targetE1EEEvT1_,"axG",@progbits,_ZN7rocprim17ROCPRIM_400000_NS6detail17trampoline_kernelINS0_14default_configENS1_33run_length_encode_config_selectorIdjNS0_4plusIjEEEEZZNS1_33reduce_by_key_impl_wrapped_configILNS1_25lookback_scan_determinismE0ES3_S7_PKdNS0_17constant_iteratorIjlEEPdPlSF_S6_NS0_8equal_toIdEEEE10hipError_tPvRmT2_T3_mT4_T5_T6_T7_T8_P12ihipStream_tbENKUlT_T0_E_clISt17integral_constantIbLb0EESZ_EEDaSU_SV_EUlSU_E_NS1_11comp_targetILNS1_3genE0ELNS1_11target_archE4294967295ELNS1_3gpuE0ELNS1_3repE0EEENS1_30default_config_static_selectorELNS0_4arch9wavefront6targetE1EEEvT1_,comdat
.Lfunc_end304:
	.size	_ZN7rocprim17ROCPRIM_400000_NS6detail17trampoline_kernelINS0_14default_configENS1_33run_length_encode_config_selectorIdjNS0_4plusIjEEEEZZNS1_33reduce_by_key_impl_wrapped_configILNS1_25lookback_scan_determinismE0ES3_S7_PKdNS0_17constant_iteratorIjlEEPdPlSF_S6_NS0_8equal_toIdEEEE10hipError_tPvRmT2_T3_mT4_T5_T6_T7_T8_P12ihipStream_tbENKUlT_T0_E_clISt17integral_constantIbLb0EESZ_EEDaSU_SV_EUlSU_E_NS1_11comp_targetILNS1_3genE0ELNS1_11target_archE4294967295ELNS1_3gpuE0ELNS1_3repE0EEENS1_30default_config_static_selectorELNS0_4arch9wavefront6targetE1EEEvT1_, .Lfunc_end304-_ZN7rocprim17ROCPRIM_400000_NS6detail17trampoline_kernelINS0_14default_configENS1_33run_length_encode_config_selectorIdjNS0_4plusIjEEEEZZNS1_33reduce_by_key_impl_wrapped_configILNS1_25lookback_scan_determinismE0ES3_S7_PKdNS0_17constant_iteratorIjlEEPdPlSF_S6_NS0_8equal_toIdEEEE10hipError_tPvRmT2_T3_mT4_T5_T6_T7_T8_P12ihipStream_tbENKUlT_T0_E_clISt17integral_constantIbLb0EESZ_EEDaSU_SV_EUlSU_E_NS1_11comp_targetILNS1_3genE0ELNS1_11target_archE4294967295ELNS1_3gpuE0ELNS1_3repE0EEENS1_30default_config_static_selectorELNS0_4arch9wavefront6targetE1EEEvT1_
                                        ; -- End function
	.section	.AMDGPU.csdata,"",@progbits
; Kernel info:
; codeLenInByte = 0
; NumSgprs: 4
; NumVgprs: 0
; NumAgprs: 0
; TotalNumVgprs: 0
; ScratchSize: 0
; MemoryBound: 0
; FloatMode: 240
; IeeeMode: 1
; LDSByteSize: 0 bytes/workgroup (compile time only)
; SGPRBlocks: 0
; VGPRBlocks: 0
; NumSGPRsForWavesPerEU: 4
; NumVGPRsForWavesPerEU: 1
; AccumOffset: 4
; Occupancy: 8
; WaveLimiterHint : 0
; COMPUTE_PGM_RSRC2:SCRATCH_EN: 0
; COMPUTE_PGM_RSRC2:USER_SGPR: 6
; COMPUTE_PGM_RSRC2:TRAP_HANDLER: 0
; COMPUTE_PGM_RSRC2:TGID_X_EN: 1
; COMPUTE_PGM_RSRC2:TGID_Y_EN: 0
; COMPUTE_PGM_RSRC2:TGID_Z_EN: 0
; COMPUTE_PGM_RSRC2:TIDIG_COMP_CNT: 0
; COMPUTE_PGM_RSRC3_GFX90A:ACCUM_OFFSET: 0
; COMPUTE_PGM_RSRC3_GFX90A:TG_SPLIT: 0
	.section	.text._ZN7rocprim17ROCPRIM_400000_NS6detail17trampoline_kernelINS0_14default_configENS1_33run_length_encode_config_selectorIdjNS0_4plusIjEEEEZZNS1_33reduce_by_key_impl_wrapped_configILNS1_25lookback_scan_determinismE0ES3_S7_PKdNS0_17constant_iteratorIjlEEPdPlSF_S6_NS0_8equal_toIdEEEE10hipError_tPvRmT2_T3_mT4_T5_T6_T7_T8_P12ihipStream_tbENKUlT_T0_E_clISt17integral_constantIbLb0EESZ_EEDaSU_SV_EUlSU_E_NS1_11comp_targetILNS1_3genE5ELNS1_11target_archE942ELNS1_3gpuE9ELNS1_3repE0EEENS1_30default_config_static_selectorELNS0_4arch9wavefront6targetE1EEEvT1_,"axG",@progbits,_ZN7rocprim17ROCPRIM_400000_NS6detail17trampoline_kernelINS0_14default_configENS1_33run_length_encode_config_selectorIdjNS0_4plusIjEEEEZZNS1_33reduce_by_key_impl_wrapped_configILNS1_25lookback_scan_determinismE0ES3_S7_PKdNS0_17constant_iteratorIjlEEPdPlSF_S6_NS0_8equal_toIdEEEE10hipError_tPvRmT2_T3_mT4_T5_T6_T7_T8_P12ihipStream_tbENKUlT_T0_E_clISt17integral_constantIbLb0EESZ_EEDaSU_SV_EUlSU_E_NS1_11comp_targetILNS1_3genE5ELNS1_11target_archE942ELNS1_3gpuE9ELNS1_3repE0EEENS1_30default_config_static_selectorELNS0_4arch9wavefront6targetE1EEEvT1_,comdat
	.protected	_ZN7rocprim17ROCPRIM_400000_NS6detail17trampoline_kernelINS0_14default_configENS1_33run_length_encode_config_selectorIdjNS0_4plusIjEEEEZZNS1_33reduce_by_key_impl_wrapped_configILNS1_25lookback_scan_determinismE0ES3_S7_PKdNS0_17constant_iteratorIjlEEPdPlSF_S6_NS0_8equal_toIdEEEE10hipError_tPvRmT2_T3_mT4_T5_T6_T7_T8_P12ihipStream_tbENKUlT_T0_E_clISt17integral_constantIbLb0EESZ_EEDaSU_SV_EUlSU_E_NS1_11comp_targetILNS1_3genE5ELNS1_11target_archE942ELNS1_3gpuE9ELNS1_3repE0EEENS1_30default_config_static_selectorELNS0_4arch9wavefront6targetE1EEEvT1_ ; -- Begin function _ZN7rocprim17ROCPRIM_400000_NS6detail17trampoline_kernelINS0_14default_configENS1_33run_length_encode_config_selectorIdjNS0_4plusIjEEEEZZNS1_33reduce_by_key_impl_wrapped_configILNS1_25lookback_scan_determinismE0ES3_S7_PKdNS0_17constant_iteratorIjlEEPdPlSF_S6_NS0_8equal_toIdEEEE10hipError_tPvRmT2_T3_mT4_T5_T6_T7_T8_P12ihipStream_tbENKUlT_T0_E_clISt17integral_constantIbLb0EESZ_EEDaSU_SV_EUlSU_E_NS1_11comp_targetILNS1_3genE5ELNS1_11target_archE942ELNS1_3gpuE9ELNS1_3repE0EEENS1_30default_config_static_selectorELNS0_4arch9wavefront6targetE1EEEvT1_
	.globl	_ZN7rocprim17ROCPRIM_400000_NS6detail17trampoline_kernelINS0_14default_configENS1_33run_length_encode_config_selectorIdjNS0_4plusIjEEEEZZNS1_33reduce_by_key_impl_wrapped_configILNS1_25lookback_scan_determinismE0ES3_S7_PKdNS0_17constant_iteratorIjlEEPdPlSF_S6_NS0_8equal_toIdEEEE10hipError_tPvRmT2_T3_mT4_T5_T6_T7_T8_P12ihipStream_tbENKUlT_T0_E_clISt17integral_constantIbLb0EESZ_EEDaSU_SV_EUlSU_E_NS1_11comp_targetILNS1_3genE5ELNS1_11target_archE942ELNS1_3gpuE9ELNS1_3repE0EEENS1_30default_config_static_selectorELNS0_4arch9wavefront6targetE1EEEvT1_
	.p2align	8
	.type	_ZN7rocprim17ROCPRIM_400000_NS6detail17trampoline_kernelINS0_14default_configENS1_33run_length_encode_config_selectorIdjNS0_4plusIjEEEEZZNS1_33reduce_by_key_impl_wrapped_configILNS1_25lookback_scan_determinismE0ES3_S7_PKdNS0_17constant_iteratorIjlEEPdPlSF_S6_NS0_8equal_toIdEEEE10hipError_tPvRmT2_T3_mT4_T5_T6_T7_T8_P12ihipStream_tbENKUlT_T0_E_clISt17integral_constantIbLb0EESZ_EEDaSU_SV_EUlSU_E_NS1_11comp_targetILNS1_3genE5ELNS1_11target_archE942ELNS1_3gpuE9ELNS1_3repE0EEENS1_30default_config_static_selectorELNS0_4arch9wavefront6targetE1EEEvT1_,@function
_ZN7rocprim17ROCPRIM_400000_NS6detail17trampoline_kernelINS0_14default_configENS1_33run_length_encode_config_selectorIdjNS0_4plusIjEEEEZZNS1_33reduce_by_key_impl_wrapped_configILNS1_25lookback_scan_determinismE0ES3_S7_PKdNS0_17constant_iteratorIjlEEPdPlSF_S6_NS0_8equal_toIdEEEE10hipError_tPvRmT2_T3_mT4_T5_T6_T7_T8_P12ihipStream_tbENKUlT_T0_E_clISt17integral_constantIbLb0EESZ_EEDaSU_SV_EUlSU_E_NS1_11comp_targetILNS1_3genE5ELNS1_11target_archE942ELNS1_3gpuE9ELNS1_3repE0EEENS1_30default_config_static_selectorELNS0_4arch9wavefront6targetE1EEEvT1_: ; @_ZN7rocprim17ROCPRIM_400000_NS6detail17trampoline_kernelINS0_14default_configENS1_33run_length_encode_config_selectorIdjNS0_4plusIjEEEEZZNS1_33reduce_by_key_impl_wrapped_configILNS1_25lookback_scan_determinismE0ES3_S7_PKdNS0_17constant_iteratorIjlEEPdPlSF_S6_NS0_8equal_toIdEEEE10hipError_tPvRmT2_T3_mT4_T5_T6_T7_T8_P12ihipStream_tbENKUlT_T0_E_clISt17integral_constantIbLb0EESZ_EEDaSU_SV_EUlSU_E_NS1_11comp_targetILNS1_3genE5ELNS1_11target_archE942ELNS1_3gpuE9ELNS1_3repE0EEENS1_30default_config_static_selectorELNS0_4arch9wavefront6targetE1EEEvT1_
; %bb.0:
	.section	.rodata,"a",@progbits
	.p2align	6, 0x0
	.amdhsa_kernel _ZN7rocprim17ROCPRIM_400000_NS6detail17trampoline_kernelINS0_14default_configENS1_33run_length_encode_config_selectorIdjNS0_4plusIjEEEEZZNS1_33reduce_by_key_impl_wrapped_configILNS1_25lookback_scan_determinismE0ES3_S7_PKdNS0_17constant_iteratorIjlEEPdPlSF_S6_NS0_8equal_toIdEEEE10hipError_tPvRmT2_T3_mT4_T5_T6_T7_T8_P12ihipStream_tbENKUlT_T0_E_clISt17integral_constantIbLb0EESZ_EEDaSU_SV_EUlSU_E_NS1_11comp_targetILNS1_3genE5ELNS1_11target_archE942ELNS1_3gpuE9ELNS1_3repE0EEENS1_30default_config_static_selectorELNS0_4arch9wavefront6targetE1EEEvT1_
		.amdhsa_group_segment_fixed_size 0
		.amdhsa_private_segment_fixed_size 0
		.amdhsa_kernarg_size 128
		.amdhsa_user_sgpr_count 6
		.amdhsa_user_sgpr_private_segment_buffer 1
		.amdhsa_user_sgpr_dispatch_ptr 0
		.amdhsa_user_sgpr_queue_ptr 0
		.amdhsa_user_sgpr_kernarg_segment_ptr 1
		.amdhsa_user_sgpr_dispatch_id 0
		.amdhsa_user_sgpr_flat_scratch_init 0
		.amdhsa_user_sgpr_kernarg_preload_length 0
		.amdhsa_user_sgpr_kernarg_preload_offset 0
		.amdhsa_user_sgpr_private_segment_size 0
		.amdhsa_uses_dynamic_stack 0
		.amdhsa_system_sgpr_private_segment_wavefront_offset 0
		.amdhsa_system_sgpr_workgroup_id_x 1
		.amdhsa_system_sgpr_workgroup_id_y 0
		.amdhsa_system_sgpr_workgroup_id_z 0
		.amdhsa_system_sgpr_workgroup_info 0
		.amdhsa_system_vgpr_workitem_id 0
		.amdhsa_next_free_vgpr 1
		.amdhsa_next_free_sgpr 0
		.amdhsa_accum_offset 4
		.amdhsa_reserve_vcc 0
		.amdhsa_reserve_flat_scratch 0
		.amdhsa_float_round_mode_32 0
		.amdhsa_float_round_mode_16_64 0
		.amdhsa_float_denorm_mode_32 3
		.amdhsa_float_denorm_mode_16_64 3
		.amdhsa_dx10_clamp 1
		.amdhsa_ieee_mode 1
		.amdhsa_fp16_overflow 0
		.amdhsa_tg_split 0
		.amdhsa_exception_fp_ieee_invalid_op 0
		.amdhsa_exception_fp_denorm_src 0
		.amdhsa_exception_fp_ieee_div_zero 0
		.amdhsa_exception_fp_ieee_overflow 0
		.amdhsa_exception_fp_ieee_underflow 0
		.amdhsa_exception_fp_ieee_inexact 0
		.amdhsa_exception_int_div_zero 0
	.end_amdhsa_kernel
	.section	.text._ZN7rocprim17ROCPRIM_400000_NS6detail17trampoline_kernelINS0_14default_configENS1_33run_length_encode_config_selectorIdjNS0_4plusIjEEEEZZNS1_33reduce_by_key_impl_wrapped_configILNS1_25lookback_scan_determinismE0ES3_S7_PKdNS0_17constant_iteratorIjlEEPdPlSF_S6_NS0_8equal_toIdEEEE10hipError_tPvRmT2_T3_mT4_T5_T6_T7_T8_P12ihipStream_tbENKUlT_T0_E_clISt17integral_constantIbLb0EESZ_EEDaSU_SV_EUlSU_E_NS1_11comp_targetILNS1_3genE5ELNS1_11target_archE942ELNS1_3gpuE9ELNS1_3repE0EEENS1_30default_config_static_selectorELNS0_4arch9wavefront6targetE1EEEvT1_,"axG",@progbits,_ZN7rocprim17ROCPRIM_400000_NS6detail17trampoline_kernelINS0_14default_configENS1_33run_length_encode_config_selectorIdjNS0_4plusIjEEEEZZNS1_33reduce_by_key_impl_wrapped_configILNS1_25lookback_scan_determinismE0ES3_S7_PKdNS0_17constant_iteratorIjlEEPdPlSF_S6_NS0_8equal_toIdEEEE10hipError_tPvRmT2_T3_mT4_T5_T6_T7_T8_P12ihipStream_tbENKUlT_T0_E_clISt17integral_constantIbLb0EESZ_EEDaSU_SV_EUlSU_E_NS1_11comp_targetILNS1_3genE5ELNS1_11target_archE942ELNS1_3gpuE9ELNS1_3repE0EEENS1_30default_config_static_selectorELNS0_4arch9wavefront6targetE1EEEvT1_,comdat
.Lfunc_end305:
	.size	_ZN7rocprim17ROCPRIM_400000_NS6detail17trampoline_kernelINS0_14default_configENS1_33run_length_encode_config_selectorIdjNS0_4plusIjEEEEZZNS1_33reduce_by_key_impl_wrapped_configILNS1_25lookback_scan_determinismE0ES3_S7_PKdNS0_17constant_iteratorIjlEEPdPlSF_S6_NS0_8equal_toIdEEEE10hipError_tPvRmT2_T3_mT4_T5_T6_T7_T8_P12ihipStream_tbENKUlT_T0_E_clISt17integral_constantIbLb0EESZ_EEDaSU_SV_EUlSU_E_NS1_11comp_targetILNS1_3genE5ELNS1_11target_archE942ELNS1_3gpuE9ELNS1_3repE0EEENS1_30default_config_static_selectorELNS0_4arch9wavefront6targetE1EEEvT1_, .Lfunc_end305-_ZN7rocprim17ROCPRIM_400000_NS6detail17trampoline_kernelINS0_14default_configENS1_33run_length_encode_config_selectorIdjNS0_4plusIjEEEEZZNS1_33reduce_by_key_impl_wrapped_configILNS1_25lookback_scan_determinismE0ES3_S7_PKdNS0_17constant_iteratorIjlEEPdPlSF_S6_NS0_8equal_toIdEEEE10hipError_tPvRmT2_T3_mT4_T5_T6_T7_T8_P12ihipStream_tbENKUlT_T0_E_clISt17integral_constantIbLb0EESZ_EEDaSU_SV_EUlSU_E_NS1_11comp_targetILNS1_3genE5ELNS1_11target_archE942ELNS1_3gpuE9ELNS1_3repE0EEENS1_30default_config_static_selectorELNS0_4arch9wavefront6targetE1EEEvT1_
                                        ; -- End function
	.section	.AMDGPU.csdata,"",@progbits
; Kernel info:
; codeLenInByte = 0
; NumSgprs: 4
; NumVgprs: 0
; NumAgprs: 0
; TotalNumVgprs: 0
; ScratchSize: 0
; MemoryBound: 0
; FloatMode: 240
; IeeeMode: 1
; LDSByteSize: 0 bytes/workgroup (compile time only)
; SGPRBlocks: 0
; VGPRBlocks: 0
; NumSGPRsForWavesPerEU: 4
; NumVGPRsForWavesPerEU: 1
; AccumOffset: 4
; Occupancy: 8
; WaveLimiterHint : 0
; COMPUTE_PGM_RSRC2:SCRATCH_EN: 0
; COMPUTE_PGM_RSRC2:USER_SGPR: 6
; COMPUTE_PGM_RSRC2:TRAP_HANDLER: 0
; COMPUTE_PGM_RSRC2:TGID_X_EN: 1
; COMPUTE_PGM_RSRC2:TGID_Y_EN: 0
; COMPUTE_PGM_RSRC2:TGID_Z_EN: 0
; COMPUTE_PGM_RSRC2:TIDIG_COMP_CNT: 0
; COMPUTE_PGM_RSRC3_GFX90A:ACCUM_OFFSET: 0
; COMPUTE_PGM_RSRC3_GFX90A:TG_SPLIT: 0
	.section	.text._ZN7rocprim17ROCPRIM_400000_NS6detail17trampoline_kernelINS0_14default_configENS1_33run_length_encode_config_selectorIdjNS0_4plusIjEEEEZZNS1_33reduce_by_key_impl_wrapped_configILNS1_25lookback_scan_determinismE0ES3_S7_PKdNS0_17constant_iteratorIjlEEPdPlSF_S6_NS0_8equal_toIdEEEE10hipError_tPvRmT2_T3_mT4_T5_T6_T7_T8_P12ihipStream_tbENKUlT_T0_E_clISt17integral_constantIbLb0EESZ_EEDaSU_SV_EUlSU_E_NS1_11comp_targetILNS1_3genE4ELNS1_11target_archE910ELNS1_3gpuE8ELNS1_3repE0EEENS1_30default_config_static_selectorELNS0_4arch9wavefront6targetE1EEEvT1_,"axG",@progbits,_ZN7rocprim17ROCPRIM_400000_NS6detail17trampoline_kernelINS0_14default_configENS1_33run_length_encode_config_selectorIdjNS0_4plusIjEEEEZZNS1_33reduce_by_key_impl_wrapped_configILNS1_25lookback_scan_determinismE0ES3_S7_PKdNS0_17constant_iteratorIjlEEPdPlSF_S6_NS0_8equal_toIdEEEE10hipError_tPvRmT2_T3_mT4_T5_T6_T7_T8_P12ihipStream_tbENKUlT_T0_E_clISt17integral_constantIbLb0EESZ_EEDaSU_SV_EUlSU_E_NS1_11comp_targetILNS1_3genE4ELNS1_11target_archE910ELNS1_3gpuE8ELNS1_3repE0EEENS1_30default_config_static_selectorELNS0_4arch9wavefront6targetE1EEEvT1_,comdat
	.protected	_ZN7rocprim17ROCPRIM_400000_NS6detail17trampoline_kernelINS0_14default_configENS1_33run_length_encode_config_selectorIdjNS0_4plusIjEEEEZZNS1_33reduce_by_key_impl_wrapped_configILNS1_25lookback_scan_determinismE0ES3_S7_PKdNS0_17constant_iteratorIjlEEPdPlSF_S6_NS0_8equal_toIdEEEE10hipError_tPvRmT2_T3_mT4_T5_T6_T7_T8_P12ihipStream_tbENKUlT_T0_E_clISt17integral_constantIbLb0EESZ_EEDaSU_SV_EUlSU_E_NS1_11comp_targetILNS1_3genE4ELNS1_11target_archE910ELNS1_3gpuE8ELNS1_3repE0EEENS1_30default_config_static_selectorELNS0_4arch9wavefront6targetE1EEEvT1_ ; -- Begin function _ZN7rocprim17ROCPRIM_400000_NS6detail17trampoline_kernelINS0_14default_configENS1_33run_length_encode_config_selectorIdjNS0_4plusIjEEEEZZNS1_33reduce_by_key_impl_wrapped_configILNS1_25lookback_scan_determinismE0ES3_S7_PKdNS0_17constant_iteratorIjlEEPdPlSF_S6_NS0_8equal_toIdEEEE10hipError_tPvRmT2_T3_mT4_T5_T6_T7_T8_P12ihipStream_tbENKUlT_T0_E_clISt17integral_constantIbLb0EESZ_EEDaSU_SV_EUlSU_E_NS1_11comp_targetILNS1_3genE4ELNS1_11target_archE910ELNS1_3gpuE8ELNS1_3repE0EEENS1_30default_config_static_selectorELNS0_4arch9wavefront6targetE1EEEvT1_
	.globl	_ZN7rocprim17ROCPRIM_400000_NS6detail17trampoline_kernelINS0_14default_configENS1_33run_length_encode_config_selectorIdjNS0_4plusIjEEEEZZNS1_33reduce_by_key_impl_wrapped_configILNS1_25lookback_scan_determinismE0ES3_S7_PKdNS0_17constant_iteratorIjlEEPdPlSF_S6_NS0_8equal_toIdEEEE10hipError_tPvRmT2_T3_mT4_T5_T6_T7_T8_P12ihipStream_tbENKUlT_T0_E_clISt17integral_constantIbLb0EESZ_EEDaSU_SV_EUlSU_E_NS1_11comp_targetILNS1_3genE4ELNS1_11target_archE910ELNS1_3gpuE8ELNS1_3repE0EEENS1_30default_config_static_selectorELNS0_4arch9wavefront6targetE1EEEvT1_
	.p2align	8
	.type	_ZN7rocprim17ROCPRIM_400000_NS6detail17trampoline_kernelINS0_14default_configENS1_33run_length_encode_config_selectorIdjNS0_4plusIjEEEEZZNS1_33reduce_by_key_impl_wrapped_configILNS1_25lookback_scan_determinismE0ES3_S7_PKdNS0_17constant_iteratorIjlEEPdPlSF_S6_NS0_8equal_toIdEEEE10hipError_tPvRmT2_T3_mT4_T5_T6_T7_T8_P12ihipStream_tbENKUlT_T0_E_clISt17integral_constantIbLb0EESZ_EEDaSU_SV_EUlSU_E_NS1_11comp_targetILNS1_3genE4ELNS1_11target_archE910ELNS1_3gpuE8ELNS1_3repE0EEENS1_30default_config_static_selectorELNS0_4arch9wavefront6targetE1EEEvT1_,@function
_ZN7rocprim17ROCPRIM_400000_NS6detail17trampoline_kernelINS0_14default_configENS1_33run_length_encode_config_selectorIdjNS0_4plusIjEEEEZZNS1_33reduce_by_key_impl_wrapped_configILNS1_25lookback_scan_determinismE0ES3_S7_PKdNS0_17constant_iteratorIjlEEPdPlSF_S6_NS0_8equal_toIdEEEE10hipError_tPvRmT2_T3_mT4_T5_T6_T7_T8_P12ihipStream_tbENKUlT_T0_E_clISt17integral_constantIbLb0EESZ_EEDaSU_SV_EUlSU_E_NS1_11comp_targetILNS1_3genE4ELNS1_11target_archE910ELNS1_3gpuE8ELNS1_3repE0EEENS1_30default_config_static_selectorELNS0_4arch9wavefront6targetE1EEEvT1_: ; @_ZN7rocprim17ROCPRIM_400000_NS6detail17trampoline_kernelINS0_14default_configENS1_33run_length_encode_config_selectorIdjNS0_4plusIjEEEEZZNS1_33reduce_by_key_impl_wrapped_configILNS1_25lookback_scan_determinismE0ES3_S7_PKdNS0_17constant_iteratorIjlEEPdPlSF_S6_NS0_8equal_toIdEEEE10hipError_tPvRmT2_T3_mT4_T5_T6_T7_T8_P12ihipStream_tbENKUlT_T0_E_clISt17integral_constantIbLb0EESZ_EEDaSU_SV_EUlSU_E_NS1_11comp_targetILNS1_3genE4ELNS1_11target_archE910ELNS1_3gpuE8ELNS1_3repE0EEENS1_30default_config_static_selectorELNS0_4arch9wavefront6targetE1EEEvT1_
; %bb.0:
	s_load_dwordx8 s[24:31], s[4:5], 0x40
	s_load_dwordx4 s[0:3], s[4:5], 0x0
	s_load_dword s7, s[4:5], 0x10
	s_load_dwordx4 s[36:39], s[4:5], 0x60
	s_waitcnt lgkmcnt(0)
	s_mul_i32 s8, s28, s27
	s_mul_hi_u32 s9, s28, s26
	s_add_i32 s8, s9, s8
	s_mul_i32 s9, s29, s26
	s_add_i32 s8, s8, s9
	s_lshl_b64 s[2:3], s[2:3], 3
	s_add_u32 s2, s0, s2
	s_addc_u32 s3, s1, s3
	s_mul_i32 s0, s6, 0xa00
	s_mov_b32 s1, 0
	s_lshl_b64 s[0:1], s[0:1], 3
	s_mul_i32 s9, s28, s26
	s_add_u32 s28, s2, s0
	s_addc_u32 s29, s3, s1
	s_add_u32 s22, s9, s6
	s_addc_u32 s23, s8, 0
	s_add_u32 s2, s30, -1
	s_addc_u32 s3, s31, -1
	s_cmp_eq_u64 s[22:23], s[2:3]
	s_cselect_b64 s[34:35], -1, 0
	s_cmp_lg_u64 s[22:23], s[2:3]
	s_mov_b64 s[8:9], -1
	s_cselect_b64 s[0:1], -1, 0
	s_mul_i32 s33, s2, 0xfffff600
	s_and_b64 vcc, exec, s[34:35]
	s_cbranch_vccnz .LBB306_2
; %bb.1:
	v_lshlrev_b32_e32 v1, 3, v0
	v_mov_b32_e32 v2, s29
	v_add_co_u32_e32 v22, vcc, s28, v1
	v_addc_co_u32_e32 v23, vcc, 0, v2, vcc
	v_add_co_u32_e32 v2, vcc, 0x1000, v22
	v_addc_co_u32_e32 v3, vcc, 0, v23, vcc
	global_load_dwordx2 v[4:5], v1, s[28:29]
	global_load_dwordx2 v[6:7], v1, s[28:29] offset:2048
	global_load_dwordx2 v[8:9], v[2:3], off
	global_load_dwordx2 v[10:11], v[2:3], off offset:2048
	v_add_co_u32_e32 v2, vcc, 0x2000, v22
	v_addc_co_u32_e32 v3, vcc, 0, v23, vcc
	v_add_co_u32_e32 v12, vcc, 0x3000, v22
	v_addc_co_u32_e32 v13, vcc, 0, v23, vcc
	global_load_dwordx2 v[14:15], v[2:3], off
	global_load_dwordx2 v[16:17], v[2:3], off offset:2048
	global_load_dwordx2 v[18:19], v[12:13], off
	global_load_dwordx2 v[20:21], v[12:13], off offset:2048
	v_add_co_u32_e32 v2, vcc, 0x4000, v22
	v_addc_co_u32_e32 v3, vcc, 0, v23, vcc
	global_load_dwordx2 v[12:13], v[2:3], off
	global_load_dwordx2 v[22:23], v[2:3], off offset:2048
	s_movk_i32 s2, 0x48
	v_mad_u32_u24 v24, v0, s2, v1
	s_mov_b64 s[2:3], -1
	s_waitcnt vmcnt(8)
	ds_write2st64_b64 v1, v[4:5], v[6:7] offset1:4
	s_waitcnt vmcnt(6)
	ds_write2st64_b64 v1, v[8:9], v[10:11] offset0:8 offset1:12
	s_waitcnt vmcnt(4)
	ds_write2st64_b64 v1, v[14:15], v[16:17] offset0:16 offset1:20
	;; [unrolled: 2-line block ×4, first 2 shown]
	s_waitcnt lgkmcnt(0)
	s_barrier
	ds_read_b128 v[18:21], v24
	ds_read_b128 v[14:17], v24 offset:16
	ds_read_b128 v[10:13], v24 offset:32
	;; [unrolled: 1-line block ×4, first 2 shown]
	s_waitcnt lgkmcnt(4)
	v_mov_b32_e32 v26, v18
	v_mov_b32_e32 v27, v19
	s_waitcnt lgkmcnt(3)
	v_mov_b32_e32 v28, v14
	v_mov_b32_e32 v29, v15
	;; [unrolled: 3-line block ×4, first 2 shown]
	s_add_i32 s33, s33, s36
	s_cbranch_execz .LBB306_3
	s_branch .LBB306_24
.LBB306_2:
	s_mov_b64 s[2:3], 0
                                        ; implicit-def: $vgpr2_vgpr3
                                        ; implicit-def: $vgpr10_vgpr11
                                        ; implicit-def: $vgpr14_vgpr15
                                        ; implicit-def: $vgpr18_vgpr19
                                        ; implicit-def: $vgpr6_vgpr7
                                        ; implicit-def: $vgpr22_vgpr23_vgpr24_vgpr25
                                        ; implicit-def: $vgpr26_vgpr27_vgpr28_vgpr29
	s_add_i32 s33, s33, s36
	s_andn2_b64 vcc, exec, s[8:9]
	s_cbranch_vccnz .LBB306_24
.LBB306_3:
	v_cmp_gt_u32_e32 vcc, s33, v0
                                        ; implicit-def: $vgpr2_vgpr3
	s_and_saveexec_b64 s[2:3], vcc
	s_cbranch_execz .LBB306_5
; %bb.4:
	v_lshlrev_b32_e32 v1, 3, v0
	global_load_dwordx2 v[2:3], v1, s[28:29]
.LBB306_5:
	s_or_b64 exec, exec, s[2:3]
	v_or_b32_e32 v1, 0x100, v0
	v_cmp_gt_u32_e32 vcc, s33, v1
                                        ; implicit-def: $vgpr4_vgpr5
	s_and_saveexec_b64 s[2:3], vcc
	s_cbranch_execz .LBB306_7
; %bb.6:
	v_lshlrev_b32_e32 v1, 3, v0
	global_load_dwordx2 v[4:5], v1, s[28:29] offset:2048
.LBB306_7:
	s_or_b64 exec, exec, s[2:3]
	v_or_b32_e32 v1, 0x200, v0
	v_cmp_gt_u32_e32 vcc, s33, v1
                                        ; implicit-def: $vgpr6_vgpr7
	s_and_saveexec_b64 s[2:3], vcc
	s_cbranch_execz .LBB306_9
; %bb.8:
	v_lshlrev_b32_e32 v1, 3, v1
	s_waitcnt lgkmcnt(0)
	global_load_dwordx2 v[6:7], v1, s[28:29]
.LBB306_9:
	s_or_b64 exec, exec, s[2:3]
	v_or_b32_e32 v1, 0x300, v0
	v_cmp_gt_u32_e32 vcc, s33, v1
                                        ; implicit-def: $vgpr8_vgpr9
	s_and_saveexec_b64 s[2:3], vcc
	s_cbranch_execz .LBB306_11
; %bb.10:
	v_lshlrev_b32_e32 v1, 3, v1
	s_waitcnt lgkmcnt(0)
	global_load_dwordx2 v[8:9], v1, s[28:29]
.LBB306_11:
	s_or_b64 exec, exec, s[2:3]
	v_or_b32_e32 v1, 0x400, v0
	v_cmp_gt_u32_e32 vcc, s33, v1
                                        ; implicit-def: $vgpr10_vgpr11
	s_and_saveexec_b64 s[2:3], vcc
	s_cbranch_execz .LBB306_13
; %bb.12:
	v_lshlrev_b32_e32 v1, 3, v1
	global_load_dwordx2 v[10:11], v1, s[28:29]
.LBB306_13:
	s_or_b64 exec, exec, s[2:3]
	v_or_b32_e32 v1, 0x500, v0
	v_cmp_gt_u32_e32 vcc, s33, v1
                                        ; implicit-def: $vgpr12_vgpr13
	s_and_saveexec_b64 s[2:3], vcc
	s_cbranch_execz .LBB306_15
; %bb.14:
	v_lshlrev_b32_e32 v1, 3, v1
	global_load_dwordx2 v[12:13], v1, s[28:29]
.LBB306_15:
	s_or_b64 exec, exec, s[2:3]
	v_or_b32_e32 v1, 0x600, v0
	v_cmp_gt_u32_e32 vcc, s33, v1
                                        ; implicit-def: $vgpr14_vgpr15
	s_and_saveexec_b64 s[2:3], vcc
	s_cbranch_execz .LBB306_17
; %bb.16:
	v_lshlrev_b32_e32 v1, 3, v1
	global_load_dwordx2 v[14:15], v1, s[28:29]
.LBB306_17:
	s_or_b64 exec, exec, s[2:3]
	v_or_b32_e32 v1, 0x700, v0
	v_cmp_gt_u32_e32 vcc, s33, v1
                                        ; implicit-def: $vgpr16_vgpr17
	s_and_saveexec_b64 s[2:3], vcc
	s_cbranch_execz .LBB306_19
; %bb.18:
	v_lshlrev_b32_e32 v1, 3, v1
	global_load_dwordx2 v[16:17], v1, s[28:29]
.LBB306_19:
	s_or_b64 exec, exec, s[2:3]
	v_or_b32_e32 v1, 0x800, v0
	v_cmp_gt_u32_e32 vcc, s33, v1
                                        ; implicit-def: $vgpr18_vgpr19
	s_and_saveexec_b64 s[2:3], vcc
	s_cbranch_execz .LBB306_21
; %bb.20:
	v_lshlrev_b32_e32 v1, 3, v1
	global_load_dwordx2 v[18:19], v1, s[28:29]
.LBB306_21:
	s_or_b64 exec, exec, s[2:3]
	v_or_b32_e32 v1, 0x900, v0
	v_cmp_gt_u32_e32 vcc, s33, v1
                                        ; implicit-def: $vgpr20_vgpr21
	s_and_saveexec_b64 s[2:3], vcc
	s_cbranch_execz .LBB306_23
; %bb.22:
	v_lshlrev_b32_e32 v1, 3, v1
	global_load_dwordx2 v[20:21], v1, s[28:29]
.LBB306_23:
	s_or_b64 exec, exec, s[2:3]
	v_lshlrev_b32_e32 v1, 3, v0
	s_movk_i32 s2, 0x48
	s_waitcnt vmcnt(0)
	ds_write2st64_b64 v1, v[2:3], v[4:5] offset1:4
	s_waitcnt lgkmcnt(1)
	ds_write2st64_b64 v1, v[6:7], v[8:9] offset0:8 offset1:12
	ds_write2st64_b64 v1, v[10:11], v[12:13] offset0:16 offset1:20
	;; [unrolled: 1-line block ×4, first 2 shown]
	v_mad_u32_u24 v1, v0, s2, v1
	s_waitcnt lgkmcnt(0)
	s_barrier
	ds_read_b128 v[18:21], v1
	ds_read_b128 v[14:17], v1 offset:16
	ds_read_b128 v[10:13], v1 offset:32
	;; [unrolled: 1-line block ×4, first 2 shown]
	v_mad_u32_u24 v1, v0, 10, 9
	v_cmp_gt_u32_e64 s[2:3], s33, v1
	s_waitcnt lgkmcnt(4)
	v_mov_b32_e32 v26, v18
	v_mov_b32_e32 v27, v19
	s_waitcnt lgkmcnt(3)
	v_mov_b32_e32 v28, v14
	v_mov_b32_e32 v29, v15
	;; [unrolled: 3-line block ×4, first 2 shown]
.LBB306_24:
	v_mov_b32_e32 v48, s7
                                        ; implicit-def: $vgpr49
	s_and_saveexec_b64 s[8:9], s[2:3]
; %bb.25:
	v_mov_b32_e32 v49, s7
; %bb.26:
	s_or_b64 exec, exec, s[8:9]
	s_load_dwordx2 s[42:43], s[4:5], 0x70
	s_cmp_eq_u64 s[22:23], 0
	s_cselect_b64 s[40:41], -1, 0
	s_cmp_lg_u64 s[22:23], 0
	s_mov_b64 s[30:31], 0
	s_cselect_b64 s[44:45], -1, 0
	s_and_b64 vcc, exec, s[0:1]
	s_waitcnt lgkmcnt(0)
	s_barrier
	s_cbranch_vccz .LBB306_32
; %bb.27:
	s_and_b64 vcc, exec, s[44:45]
	s_cbranch_vccz .LBB306_33
; %bb.28:
	s_add_u32 s0, s28, -8
	s_addc_u32 s1, s29, -1
	s_load_dwordx2 s[30:31], s[0:1], 0x0
	v_lshlrev_b32_e32 v1, 3, v0
	v_cmp_neq_f64_e32 vcc, v[6:7], v[8:9]
	v_cmp_neq_f64_e64 s[0:1], v[4:5], v[6:7]
	v_cmp_neq_f64_e64 s[2:3], v[2:3], v[4:5]
	;; [unrolled: 1-line block ×8, first 2 shown]
	v_cmp_ne_u32_e64 s[20:21], 0, v0
	s_waitcnt lgkmcnt(0)
	v_pk_mov_b32 v[30:31], s[30:31], s[30:31] op_sel:[0,1]
	ds_write_b64 v1, v[8:9]
	s_waitcnt lgkmcnt(0)
	s_barrier
	s_and_saveexec_b64 s[30:31], s[20:21]
	s_cbranch_execz .LBB306_30
; %bb.29:
	v_add_u32_e32 v1, -8, v1
	ds_read_b64 v[30:31], v1
.LBB306_30:
	s_or_b64 exec, exec, s[30:31]
	v_cndmask_b32_e64 v1, 0, 1, vcc
	v_cndmask_b32_e64 v54, 0, 1, s[0:1]
	v_cndmask_b32_e64 v55, 0, 1, s[2:3]
	;; [unrolled: 1-line block ×8, first 2 shown]
	s_waitcnt lgkmcnt(0)
	v_cmp_neq_f64_e64 s[0:1], v[30:31], v[18:19]
	s_mov_b64 s[30:31], -1
.LBB306_31:
                                        ; implicit-def: $sgpr7
	s_branch .LBB306_45
.LBB306_32:
                                        ; implicit-def: $sgpr0_sgpr1
                                        ; implicit-def: $vgpr1
                                        ; implicit-def: $vgpr54
                                        ; implicit-def: $vgpr55
                                        ; implicit-def: $vgpr56
                                        ; implicit-def: $vgpr57
                                        ; implicit-def: $vgpr58
                                        ; implicit-def: $vgpr59
                                        ; implicit-def: $vgpr60
                                        ; implicit-def: $vgpr61
                                        ; implicit-def: $sgpr7
	s_cbranch_execnz .LBB306_37
	s_branch .LBB306_45
.LBB306_33:
                                        ; implicit-def: $sgpr0_sgpr1
                                        ; implicit-def: $vgpr1
                                        ; implicit-def: $vgpr54
                                        ; implicit-def: $vgpr55
                                        ; implicit-def: $vgpr56
                                        ; implicit-def: $vgpr57
                                        ; implicit-def: $vgpr58
                                        ; implicit-def: $vgpr59
                                        ; implicit-def: $vgpr60
                                        ; implicit-def: $vgpr61
	s_cbranch_execz .LBB306_31
; %bb.34:
	v_cmp_neq_f64_e32 vcc, v[6:7], v[8:9]
	v_cndmask_b32_e64 v1, 0, 1, vcc
	v_cmp_neq_f64_e32 vcc, v[20:21], v[26:27]
	v_cndmask_b32_e64 v61, 0, 1, vcc
	;; [unrolled: 2-line block ×8, first 2 shown]
	v_cmp_neq_f64_e32 vcc, v[6:7], v[4:5]
	v_lshlrev_b32_e32 v30, 3, v0
	v_cndmask_b32_e64 v54, 0, 1, vcc
	v_cmp_ne_u32_e32 vcc, 0, v0
	ds_write_b64 v30, v[8:9]
	s_waitcnt lgkmcnt(0)
	s_barrier
	s_waitcnt lgkmcnt(0)
                                        ; implicit-def: $sgpr0_sgpr1
	s_and_saveexec_b64 s[2:3], vcc
	s_xor_b64 s[2:3], exec, s[2:3]
	s_cbranch_execz .LBB306_36
; %bb.35:
	v_add_u32_e32 v22, -8, v30
	ds_read_b64 v[22:23], v22
	s_or_b64 s[30:31], s[30:31], exec
	s_waitcnt lgkmcnt(0)
	v_cmp_neq_f64_e32 vcc, v[22:23], v[18:19]
	s_and_b64 s[0:1], vcc, exec
.LBB306_36:
	s_or_b64 exec, exec, s[2:3]
	s_mov_b32 s7, 1
	s_branch .LBB306_45
.LBB306_37:
	s_mul_hi_u32 s1, s22, 0xfffff600
	s_mul_i32 s0, s23, 0xfffff600
	s_sub_i32 s1, s1, s22
	s_add_i32 s1, s1, s0
	s_mul_i32 s0, s22, 0xfffff600
	s_add_u32 s36, s0, s36
	s_addc_u32 s37, s1, s37
	s_and_b64 vcc, exec, s[44:45]
	v_cmp_neq_f64_e64 s[20:21], v[6:7], v[8:9]
	v_cmp_neq_f64_e64 s[18:19], v[4:5], v[6:7]
	;; [unrolled: 1-line block ×9, first 2 shown]
	v_mul_u32_u24_e32 v22, 10, v0
	v_mad_u32_u24 v24, v0, 10, 9
	v_mad_u32_u24 v38, v0, 10, 8
	;; [unrolled: 1-line block ×8, first 2 shown]
	v_cmp_ne_u32_e64 s[2:3], 0, v0
	s_cbranch_vccz .LBB306_42
; %bb.38:
	v_mov_b32_e32 v25, 0
	s_add_u32 s28, s28, -8
	v_cmp_gt_u64_e32 vcc, s[36:37], v[24:25]
	v_mov_b32_e32 v39, v25
	s_addc_u32 s29, s29, -1
	s_and_b64 s[20:21], vcc, s[20:21]
	v_cmp_gt_u64_e32 vcc, s[36:37], v[38:39]
	v_mov_b32_e32 v37, v25
	s_and_b64 s[18:19], vcc, s[18:19]
	v_cmp_gt_u64_e32 vcc, s[36:37], v[36:37]
	v_mov_b32_e32 v35, v25
	;; [unrolled: 3-line block ×3, first 2 shown]
	s_load_dwordx2 s[28:29], s[28:29], 0x0
	s_and_b64 s[14:15], vcc, s[14:15]
	v_cmp_gt_u64_e32 vcc, s[36:37], v[32:33]
	v_mov_b32_e32 v31, v25
	s_and_b64 s[12:13], vcc, s[12:13]
	v_cmp_gt_u64_e32 vcc, s[36:37], v[30:31]
	v_mov_b32_e32 v29, v25
	;; [unrolled: 3-line block ×3, first 2 shown]
	s_and_b64 s[8:9], vcc, s[8:9]
	v_cmp_gt_u64_e32 vcc, s[36:37], v[26:27]
	v_or_b32_e32 v40, 1, v22
	v_mov_b32_e32 v41, v25
	s_and_b64 s[22:23], vcc, s[22:23]
	v_cmp_gt_u64_e32 vcc, s[36:37], v[40:41]
	v_lshlrev_b32_e32 v1, 3, v0
	s_and_b64 s[0:1], vcc, s[0:1]
	s_waitcnt lgkmcnt(0)
	v_pk_mov_b32 v[40:41], s[28:29], s[28:29] op_sel:[0,1]
	ds_write_b64 v1, v[8:9]
	s_waitcnt lgkmcnt(0)
	s_barrier
	s_and_saveexec_b64 s[28:29], s[2:3]
	s_cbranch_execz .LBB306_40
; %bb.39:
	v_add_u32_e32 v1, -8, v1
	ds_read_b64 v[40:41], v1
.LBB306_40:
	s_or_b64 exec, exec, s[28:29]
	v_mov_b32_e32 v23, v25
	v_cndmask_b32_e64 v61, 0, 1, s[0:1]
	v_cmp_gt_u64_e32 vcc, s[36:37], v[22:23]
	s_waitcnt lgkmcnt(0)
	v_cmp_neq_f64_e64 s[0:1], v[40:41], v[18:19]
	v_cndmask_b32_e64 v1, 0, 1, s[20:21]
	v_cndmask_b32_e64 v54, 0, 1, s[18:19]
	v_cndmask_b32_e64 v55, 0, 1, s[16:17]
	v_cndmask_b32_e64 v56, 0, 1, s[14:15]
	v_cndmask_b32_e64 v57, 0, 1, s[12:13]
	v_cndmask_b32_e64 v58, 0, 1, s[10:11]
	v_cndmask_b32_e64 v59, 0, 1, s[8:9]
	v_cndmask_b32_e64 v60, 0, 1, s[22:23]
	s_and_b64 s[0:1], vcc, s[0:1]
	s_mov_b64 s[30:31], -1
.LBB306_41:
                                        ; implicit-def: $sgpr7
	v_mov_b32_e32 v62, s7
	s_and_saveexec_b64 s[2:3], s[30:31]
	s_cbranch_execnz .LBB306_46
	s_branch .LBB306_47
.LBB306_42:
                                        ; implicit-def: $sgpr0_sgpr1
                                        ; implicit-def: $vgpr1
                                        ; implicit-def: $vgpr54
                                        ; implicit-def: $vgpr55
                                        ; implicit-def: $vgpr56
                                        ; implicit-def: $vgpr57
                                        ; implicit-def: $vgpr58
                                        ; implicit-def: $vgpr59
                                        ; implicit-def: $vgpr60
                                        ; implicit-def: $vgpr61
	s_cbranch_execz .LBB306_41
; %bb.43:
	v_mov_b32_e32 v25, 0
	v_cmp_gt_u64_e32 vcc, s[36:37], v[24:25]
	v_cmp_neq_f64_e64 s[0:1], v[6:7], v[8:9]
	s_and_b64 s[0:1], vcc, s[0:1]
	v_mov_b32_e32 v39, v25
	v_cndmask_b32_e64 v1, 0, 1, s[0:1]
	v_cmp_gt_u64_e32 vcc, s[36:37], v[38:39]
	v_cmp_neq_f64_e64 s[0:1], v[4:5], v[6:7]
	s_and_b64 s[0:1], vcc, s[0:1]
	v_mov_b32_e32 v37, v25
	v_cndmask_b32_e64 v54, 0, 1, s[0:1]
	;; [unrolled: 5-line block ×7, first 2 shown]
	v_cmp_gt_u64_e32 vcc, s[36:37], v[26:27]
	v_cmp_neq_f64_e64 s[0:1], v[20:21], v[14:15]
	s_and_b64 s[0:1], vcc, s[0:1]
	v_or_b32_e32 v24, 1, v22
	v_cndmask_b32_e64 v60, 0, 1, s[0:1]
	v_cmp_gt_u64_e32 vcc, s[36:37], v[24:25]
	v_cmp_neq_f64_e64 s[0:1], v[18:19], v[20:21]
	s_and_b64 s[0:1], vcc, s[0:1]
	v_lshlrev_b32_e32 v23, 3, v0
	s_mov_b32 s7, 1
	v_cndmask_b32_e64 v61, 0, 1, s[0:1]
	v_cmp_ne_u32_e32 vcc, 0, v0
	ds_write_b64 v23, v[8:9]
	s_waitcnt lgkmcnt(0)
	s_barrier
	s_waitcnt lgkmcnt(0)
                                        ; implicit-def: $sgpr0_sgpr1
	s_and_saveexec_b64 s[2:3], vcc
	s_cbranch_execz .LBB306_126
; %bb.44:
	v_add_u32_e32 v23, -8, v23
	ds_read_b64 v[26:27], v23
	v_mov_b32_e32 v23, v25
	v_cmp_gt_u64_e32 vcc, s[36:37], v[22:23]
	s_or_b64 s[30:31], s[30:31], exec
	s_waitcnt lgkmcnt(0)
	v_cmp_neq_f64_e64 s[0:1], v[26:27], v[18:19]
	s_and_b64 s[0:1], vcc, s[0:1]
	s_and_b64 s[0:1], s[0:1], exec
	s_or_b64 exec, exec, s[2:3]
.LBB306_45:
	v_mov_b32_e32 v62, s7
	s_and_saveexec_b64 s[2:3], s[30:31]
.LBB306_46:
	v_cndmask_b32_e64 v62, 0, 1, s[0:1]
.LBB306_47:
	s_or_b64 exec, exec, s[2:3]
	s_load_dwordx4 s[28:31], s[4:5], 0x20
	s_load_dwordx2 s[22:23], s[4:5], 0x30
	s_cmp_eq_u64 s[26:27], 0
	v_add_u32_e32 v22, v61, v62
	s_cselect_b64 s[26:27], -1, 0
	s_cmp_lg_u32 s6, 0
	v_cmp_eq_u32_e64 s[14:15], 0, v61
	v_cmp_eq_u32_e64 s[12:13], 0, v60
	v_add3_u32 v53, v22, v60, v59
	v_cmp_eq_u32_e64 s[10:11], 0, v59
	v_cmp_eq_u32_e64 s[8:9], 0, v58
	;; [unrolled: 1-line block ×6, first 2 shown]
	v_cmp_eq_u32_e32 vcc, 0, v1
	v_mbcnt_lo_u32_b32 v52, -1, 0
	v_lshrrev_b32_e32 v50, 6, v0
	v_or_b32_e32 v51, 63, v0
	s_cbranch_scc0 .LBB306_74
; %bb.48:
	v_cndmask_b32_e64 v22, 0, v48, s[14:15]
	v_add_u32_e32 v22, v22, v48
	v_cndmask_b32_e64 v22, 0, v22, s[12:13]
	v_add_u32_e32 v22, v22, v48
	;; [unrolled: 2-line block ×7, first 2 shown]
	v_cndmask_b32_e64 v22, 0, v22, s[0:1]
	v_add3_u32 v23, v53, v58, v57
	v_add_u32_e32 v22, v22, v48
	v_add3_u32 v23, v23, v56, v55
	v_cndmask_b32_e32 v22, 0, v22, vcc
	v_add3_u32 v23, v23, v54, v1
	v_add_u32_e32 v22, v22, v49
	v_mbcnt_hi_u32_b32 v31, -1, v52
	v_and_b32_e32 v24, 15, v31
	v_mov_b32_dpp v26, v22 row_shr:1 row_mask:0xf bank_mask:0xf
	v_cmp_eq_u32_e32 vcc, 0, v23
	v_mov_b32_dpp v25, v23 row_shr:1 row_mask:0xf bank_mask:0xf
	v_cndmask_b32_e32 v26, 0, v26, vcc
	v_cmp_eq_u32_e32 vcc, 0, v24
	v_cndmask_b32_e64 v25, v25, 0, vcc
	v_add_u32_e32 v23, v25, v23
	v_cndmask_b32_e64 v25, v26, 0, vcc
	v_add_u32_e32 v22, v25, v22
	v_cmp_eq_u32_e32 vcc, 0, v23
	v_mov_b32_dpp v25, v23 row_shr:2 row_mask:0xf bank_mask:0xf
	v_cmp_lt_u32_e64 s[16:17], 1, v24
	v_mov_b32_dpp v26, v22 row_shr:2 row_mask:0xf bank_mask:0xf
	v_cndmask_b32_e64 v25, 0, v25, s[16:17]
	s_and_b64 vcc, s[16:17], vcc
	v_cndmask_b32_e32 v26, 0, v26, vcc
	v_add_u32_e32 v23, v23, v25
	v_add_u32_e32 v22, v26, v22
	v_cmp_eq_u32_e32 vcc, 0, v23
	v_mov_b32_dpp v25, v23 row_shr:4 row_mask:0xf bank_mask:0xf
	v_cmp_lt_u32_e64 s[16:17], 3, v24
	v_mov_b32_dpp v26, v22 row_shr:4 row_mask:0xf bank_mask:0xf
	v_cndmask_b32_e64 v25, 0, v25, s[16:17]
	s_and_b64 vcc, s[16:17], vcc
	v_cndmask_b32_e32 v26, 0, v26, vcc
	v_add_u32_e32 v23, v25, v23
	v_add_u32_e32 v22, v22, v26
	v_cmp_eq_u32_e32 vcc, 0, v23
	v_cmp_lt_u32_e64 s[16:17], 7, v24
	v_mov_b32_dpp v25, v23 row_shr:8 row_mask:0xf bank_mask:0xf
	v_mov_b32_dpp v26, v22 row_shr:8 row_mask:0xf bank_mask:0xf
	s_and_b64 vcc, s[16:17], vcc
	v_cndmask_b32_e64 v24, 0, v25, s[16:17]
	v_cndmask_b32_e32 v25, 0, v26, vcc
	v_add_u32_e32 v22, v25, v22
	v_add_u32_e32 v23, v24, v23
	v_bfe_i32 v26, v31, 4, 1
	v_mov_b32_dpp v25, v22 row_bcast:15 row_mask:0xf bank_mask:0xf
	v_mov_b32_dpp v24, v23 row_bcast:15 row_mask:0xf bank_mask:0xf
	v_cmp_eq_u32_e32 vcc, 0, v23
	v_cndmask_b32_e32 v25, 0, v25, vcc
	v_and_b32_e32 v24, v26, v24
	v_add_u32_e32 v23, v24, v23
	v_and_b32_e32 v24, v26, v25
	v_add_u32_e32 v24, v24, v22
	v_mov_b32_dpp v22, v23 row_bcast:31 row_mask:0xf bank_mask:0xf
	v_cmp_eq_u32_e32 vcc, 0, v23
	v_cmp_lt_u32_e64 s[16:17], 31, v31
	v_mov_b32_dpp v25, v24 row_bcast:31 row_mask:0xf bank_mask:0xf
	v_cndmask_b32_e64 v22, 0, v22, s[16:17]
	s_and_b64 vcc, s[16:17], vcc
	v_add_u32_e32 v22, v22, v23
	v_cndmask_b32_e32 v23, 0, v25, vcc
	v_add_u32_e32 v23, v23, v24
	v_cmp_eq_u32_e32 vcc, v51, v0
	v_lshlrev_b32_e32 v24, 3, v50
	s_and_saveexec_b64 s[16:17], vcc
	s_cbranch_execz .LBB306_50
; %bb.49:
	ds_write_b64 v24, v[22:23] offset:4112
.LBB306_50:
	s_or_b64 exec, exec, s[16:17]
	v_cmp_gt_u32_e32 vcc, 4, v0
	s_waitcnt lgkmcnt(0)
	s_barrier
	s_and_saveexec_b64 s[20:21], vcc
	s_cbranch_execz .LBB306_52
; %bb.51:
	v_lshlrev_b32_e32 v25, 3, v0
	ds_read_b64 v[26:27], v25 offset:4112
	v_and_b32_e32 v28, 3, v31
	v_cmp_lt_u32_e64 s[16:17], 1, v28
	s_waitcnt lgkmcnt(0)
	v_mov_b32_dpp v30, v27 row_shr:1 row_mask:0xf bank_mask:0xf
	v_cmp_eq_u32_e32 vcc, 0, v26
	v_mov_b32_dpp v29, v26 row_shr:1 row_mask:0xf bank_mask:0xf
	v_cndmask_b32_e32 v30, 0, v30, vcc
	v_cmp_eq_u32_e32 vcc, 0, v28
	v_cndmask_b32_e64 v29, v29, 0, vcc
	v_add_u32_e32 v26, v29, v26
	v_cndmask_b32_e64 v29, v30, 0, vcc
	v_add_u32_e32 v27, v29, v27
	v_cmp_eq_u32_e32 vcc, 0, v26
	v_mov_b32_dpp v29, v26 row_shr:2 row_mask:0xf bank_mask:0xf
	v_mov_b32_dpp v30, v27 row_shr:2 row_mask:0xf bank_mask:0xf
	v_cndmask_b32_e64 v28, 0, v29, s[16:17]
	s_and_b64 vcc, s[16:17], vcc
	v_add_u32_e32 v26, v28, v26
	v_cndmask_b32_e32 v28, 0, v30, vcc
	v_add_u32_e32 v27, v28, v27
	ds_write_b64 v25, v[26:27] offset:4112
.LBB306_52:
	s_or_b64 exec, exec, s[20:21]
	v_cmp_gt_u32_e32 vcc, 64, v0
	v_cmp_lt_u32_e64 s[16:17], 63, v0
	v_mov_b32_e32 v28, 0
	v_mov_b32_e32 v29, 0
	s_waitcnt lgkmcnt(0)
	s_barrier
	s_and_saveexec_b64 s[20:21], s[16:17]
	s_cbranch_execz .LBB306_54
; %bb.53:
	ds_read_b64 v[28:29], v24 offset:4104
	v_cmp_eq_u32_e64 s[16:17], 0, v22
	s_waitcnt lgkmcnt(0)
	v_add_u32_e32 v24, v28, v22
	v_cndmask_b32_e64 v22, 0, v29, s[16:17]
	v_add_u32_e32 v23, v22, v23
	v_mov_b32_e32 v22, v24
.LBB306_54:
	s_or_b64 exec, exec, s[20:21]
	v_add_u32_e32 v24, -1, v31
	v_and_b32_e32 v25, 64, v31
	v_cmp_lt_i32_e64 s[16:17], v24, v25
	v_cndmask_b32_e64 v24, v24, v31, s[16:17]
	v_lshlrev_b32_e32 v24, 2, v24
	ds_bpermute_b32 v36, v24, v22
	ds_bpermute_b32 v37, v24, v23
	v_cmp_eq_u32_e64 s[16:17], 0, v31
	s_and_saveexec_b64 s[36:37], vcc
	s_cbranch_execz .LBB306_73
; %bb.55:
	v_mov_b32_e32 v27, 0
	ds_read_b64 v[22:23], v27 offset:4136
	s_waitcnt lgkmcnt(0)
	v_readfirstlane_b32 s7, v22
	v_readfirstlane_b32 s46, v23
	s_and_saveexec_b64 s[20:21], s[16:17]
	s_cbranch_execz .LBB306_57
; %bb.56:
	s_add_i32 s44, s6, 64
	s_mov_b32 s45, 0
	s_lshl_b64 s[48:49], s[44:45], 4
	s_add_u32 s48, s24, s48
	s_addc_u32 s49, s25, s49
	s_and_b32 s51, s46, 0xff000000
	s_mov_b32 s50, s45
	s_and_b32 s53, s46, 0xff0000
	s_mov_b32 s52, s45
	s_or_b64 s[50:51], s[52:53], s[50:51]
	s_and_b32 s53, s46, 0xff00
	s_or_b64 s[50:51], s[50:51], s[52:53]
	s_and_b32 s53, s46, 0xff
	s_or_b64 s[44:45], s[50:51], s[52:53]
	v_mov_b32_e32 v24, s7
	v_mov_b32_e32 v25, s45
	v_mov_b32_e32 v26, 1
	v_pk_mov_b32 v[22:23], s[48:49], s[48:49] op_sel:[0,1]
	;;#ASMSTART
	global_store_dwordx4 v[22:23], v[24:27] off	
s_waitcnt vmcnt(0)
	;;#ASMEND
.LBB306_57:
	s_or_b64 exec, exec, s[20:21]
	v_xad_u32 v30, v31, -1, s6
	v_add_u32_e32 v26, 64, v30
	v_lshlrev_b64 v[22:23], 4, v[26:27]
	v_mov_b32_e32 v24, s25
	v_add_co_u32_e32 v32, vcc, s24, v22
	v_addc_co_u32_e32 v33, vcc, v24, v23, vcc
	;;#ASMSTART
	global_load_dwordx4 v[22:25], v[32:33] off glc	
s_waitcnt vmcnt(0)
	;;#ASMEND
	v_and_b32_e32 v25, 0xff, v23
	v_and_b32_e32 v26, 0xff00, v23
	v_or3_b32 v25, 0, v25, v26
	v_or3_b32 v22, v22, 0, 0
	v_and_b32_e32 v26, 0xff000000, v23
	v_and_b32_e32 v23, 0xff0000, v23
	v_or3_b32 v23, v25, v23, v26
	v_or3_b32 v22, v22, 0, 0
	v_cmp_eq_u16_sdwa s[44:45], v24, v27 src0_sel:BYTE_0 src1_sel:DWORD
	s_and_saveexec_b64 s[20:21], s[44:45]
	s_cbranch_execz .LBB306_61
; %bb.58:
	s_mov_b64 s[44:45], 0
	v_mov_b32_e32 v26, 0
.LBB306_59:                             ; =>This Inner Loop Header: Depth=1
	;;#ASMSTART
	global_load_dwordx4 v[22:25], v[32:33] off glc	
s_waitcnt vmcnt(0)
	;;#ASMEND
	v_cmp_ne_u16_sdwa s[48:49], v24, v26 src0_sel:BYTE_0 src1_sel:DWORD
	s_or_b64 s[44:45], s[48:49], s[44:45]
	s_andn2_b64 exec, exec, s[44:45]
	s_cbranch_execnz .LBB306_59
; %bb.60:
	s_or_b64 exec, exec, s[44:45]
.LBB306_61:
	s_or_b64 exec, exec, s[20:21]
	v_mov_b32_e32 v38, 2
	v_cmp_eq_u16_sdwa s[20:21], v24, v38 src0_sel:BYTE_0 src1_sel:DWORD
	v_lshlrev_b64 v[32:33], v31, -1
	v_and_b32_e32 v25, s21, v33
	v_and_b32_e32 v39, 63, v31
	v_or_b32_e32 v25, 0x80000000, v25
	v_cmp_ne_u32_e32 vcc, 63, v39
	v_and_b32_e32 v26, s20, v32
	v_ffbl_b32_e32 v25, v25
	v_addc_co_u32_e32 v27, vcc, 0, v31, vcc
	v_add_u32_e32 v25, 32, v25
	v_ffbl_b32_e32 v26, v26
	v_lshlrev_b32_e32 v40, 2, v27
	v_min_u32_e32 v25, v26, v25
	ds_bpermute_b32 v26, v40, v23
	v_cmp_eq_u32_e32 vcc, 0, v22
	v_cmp_lt_u32_e64 s[20:21], v39, v25
	ds_bpermute_b32 v27, v40, v22
	s_and_b64 vcc, s[20:21], vcc
	s_waitcnt lgkmcnt(1)
	v_cndmask_b32_e32 v26, 0, v26, vcc
	v_cmp_gt_u32_e32 vcc, 62, v39
	v_add_u32_e32 v23, v26, v23
	v_cndmask_b32_e64 v26, 0, 1, vcc
	v_lshlrev_b32_e32 v26, 1, v26
	v_add_lshl_u32 v41, v26, v31, 2
	s_waitcnt lgkmcnt(0)
	v_cndmask_b32_e64 v27, 0, v27, s[20:21]
	ds_bpermute_b32 v26, v41, v23
	v_add_u32_e32 v22, v27, v22
	ds_bpermute_b32 v27, v41, v22
	v_add_u32_e32 v42, 2, v39
	v_cmp_eq_u32_e32 vcc, 0, v22
	s_waitcnt lgkmcnt(1)
	v_cndmask_b32_e32 v26, 0, v26, vcc
	v_cmp_gt_u32_e32 vcc, v42, v25
	v_cndmask_b32_e64 v26, v26, 0, vcc
	v_add_u32_e32 v23, v26, v23
	s_waitcnt lgkmcnt(0)
	v_cndmask_b32_e64 v26, v27, 0, vcc
	v_cmp_gt_u32_e32 vcc, 60, v39
	v_cndmask_b32_e64 v27, 0, 1, vcc
	v_lshlrev_b32_e32 v27, 2, v27
	v_add_lshl_u32 v43, v27, v31, 2
	ds_bpermute_b32 v27, v43, v23
	v_add_u32_e32 v22, v22, v26
	ds_bpermute_b32 v26, v43, v22
	v_add_u32_e32 v44, 4, v39
	v_cmp_eq_u32_e32 vcc, 0, v22
	s_waitcnt lgkmcnt(1)
	v_cndmask_b32_e32 v27, 0, v27, vcc
	v_cmp_gt_u32_e32 vcc, v44, v25
	v_cndmask_b32_e64 v27, v27, 0, vcc
	s_waitcnt lgkmcnt(0)
	v_cndmask_b32_e64 v26, v26, 0, vcc
	v_cmp_gt_u32_e32 vcc, 56, v39
	v_add_u32_e32 v23, v23, v27
	v_cndmask_b32_e64 v27, 0, 1, vcc
	v_lshlrev_b32_e32 v27, 3, v27
	v_add_lshl_u32 v45, v27, v31, 2
	ds_bpermute_b32 v27, v45, v23
	v_add_u32_e32 v22, v22, v26
	ds_bpermute_b32 v26, v45, v22
	v_add_u32_e32 v46, 8, v39
	v_cmp_eq_u32_e32 vcc, 0, v22
	s_waitcnt lgkmcnt(1)
	v_cndmask_b32_e32 v27, 0, v27, vcc
	v_cmp_gt_u32_e32 vcc, v46, v25
	v_cndmask_b32_e64 v27, v27, 0, vcc
	s_waitcnt lgkmcnt(0)
	v_cndmask_b32_e64 v26, v26, 0, vcc
	v_cmp_gt_u32_e32 vcc, 48, v39
	v_add_u32_e32 v23, v23, v27
	;; [unrolled: 16-line block ×3, first 2 shown]
	v_cndmask_b32_e64 v27, 0, 1, vcc
	v_lshlrev_b32_e32 v27, 5, v27
	v_add_lshl_u32 v64, v27, v31, 2
	ds_bpermute_b32 v27, v64, v23
	v_add_u32_e32 v22, v22, v26
	ds_bpermute_b32 v26, v64, v22
	v_add_u32_e32 v65, 32, v39
	v_cmp_eq_u32_e32 vcc, 0, v22
	s_waitcnt lgkmcnt(1)
	v_cndmask_b32_e32 v27, 0, v27, vcc
	v_cmp_gt_u32_e32 vcc, v65, v25
	v_cndmask_b32_e64 v25, v27, 0, vcc
	v_add_u32_e32 v23, v25, v23
	s_waitcnt lgkmcnt(0)
	v_cndmask_b32_e64 v25, v26, 0, vcc
	v_add_u32_e32 v22, v25, v22
	v_mov_b32_e32 v31, 0
	s_branch .LBB306_63
.LBB306_62:                             ;   in Loop: Header=BB306_63 Depth=1
	s_or_b64 exec, exec, s[20:21]
	v_cmp_eq_u16_sdwa s[20:21], v24, v38 src0_sel:BYTE_0 src1_sel:DWORD
	v_and_b32_e32 v25, s21, v33
	v_or_b32_e32 v25, 0x80000000, v25
	v_and_b32_e32 v34, s20, v32
	v_ffbl_b32_e32 v25, v25
	v_add_u32_e32 v25, 32, v25
	v_ffbl_b32_e32 v34, v34
	v_min_u32_e32 v25, v34, v25
	ds_bpermute_b32 v34, v40, v23
	v_cmp_eq_u32_e32 vcc, 0, v22
	v_cmp_lt_u32_e64 s[20:21], v39, v25
	ds_bpermute_b32 v35, v40, v22
	s_and_b64 vcc, s[20:21], vcc
	s_waitcnt lgkmcnt(1)
	v_cndmask_b32_e32 v34, 0, v34, vcc
	v_add_u32_e32 v23, v34, v23
	ds_bpermute_b32 v34, v41, v23
	s_waitcnt lgkmcnt(1)
	v_cndmask_b32_e64 v35, 0, v35, s[20:21]
	v_add_u32_e32 v22, v35, v22
	v_cmp_eq_u32_e32 vcc, 0, v22
	ds_bpermute_b32 v35, v41, v22
	s_waitcnt lgkmcnt(1)
	v_cndmask_b32_e32 v34, 0, v34, vcc
	v_cmp_gt_u32_e32 vcc, v42, v25
	v_cndmask_b32_e64 v34, v34, 0, vcc
	v_add_u32_e32 v23, v34, v23
	ds_bpermute_b32 v34, v43, v23
	s_waitcnt lgkmcnt(1)
	v_cndmask_b32_e64 v35, v35, 0, vcc
	v_add_u32_e32 v22, v22, v35
	v_cmp_eq_u32_e32 vcc, 0, v22
	ds_bpermute_b32 v35, v43, v22
	s_waitcnt lgkmcnt(1)
	v_cndmask_b32_e32 v34, 0, v34, vcc
	v_cmp_gt_u32_e32 vcc, v44, v25
	v_cndmask_b32_e64 v34, v34, 0, vcc
	v_add_u32_e32 v23, v23, v34
	ds_bpermute_b32 v34, v45, v23
	s_waitcnt lgkmcnt(1)
	v_cndmask_b32_e64 v35, v35, 0, vcc
	v_add_u32_e32 v22, v22, v35
	ds_bpermute_b32 v35, v45, v22
	v_cmp_eq_u32_e32 vcc, 0, v22
	s_waitcnt lgkmcnt(1)
	v_cndmask_b32_e32 v34, 0, v34, vcc
	v_cmp_gt_u32_e32 vcc, v46, v25
	v_cndmask_b32_e64 v34, v34, 0, vcc
	v_add_u32_e32 v23, v23, v34
	ds_bpermute_b32 v34, v47, v23
	s_waitcnt lgkmcnt(1)
	v_cndmask_b32_e64 v35, v35, 0, vcc
	v_add_u32_e32 v22, v22, v35
	ds_bpermute_b32 v35, v47, v22
	v_cmp_eq_u32_e32 vcc, 0, v22
	;; [unrolled: 11-line block ×3, first 2 shown]
	s_waitcnt lgkmcnt(1)
	v_cndmask_b32_e32 v34, 0, v34, vcc
	v_cmp_gt_u32_e32 vcc, v65, v25
	v_cndmask_b32_e64 v25, v34, 0, vcc
	v_add_u32_e32 v23, v25, v23
	s_waitcnt lgkmcnt(0)
	v_cndmask_b32_e64 v25, v35, 0, vcc
	v_cmp_eq_u32_e32 vcc, 0, v26
	v_cndmask_b32_e32 v23, 0, v23, vcc
	v_subrev_u32_e32 v30, 64, v30
	v_add3_u32 v22, v22, v26, v25
	v_add_u32_e32 v23, v23, v27
.LBB306_63:                             ; =>This Loop Header: Depth=1
                                        ;     Child Loop BB306_66 Depth 2
	v_cmp_ne_u16_sdwa s[20:21], v24, v38 src0_sel:BYTE_0 src1_sel:DWORD
	v_mov_b32_e32 v27, v23
	v_cndmask_b32_e64 v23, 0, 1, s[20:21]
	;;#ASMSTART
	;;#ASMEND
	v_cmp_ne_u32_e32 vcc, 0, v23
	s_cmp_lg_u64 vcc, exec
	v_mov_b32_e32 v26, v22
	s_cbranch_scc1 .LBB306_68
; %bb.64:                               ;   in Loop: Header=BB306_63 Depth=1
	v_lshlrev_b64 v[22:23], 4, v[30:31]
	v_mov_b32_e32 v24, s25
	v_add_co_u32_e32 v34, vcc, s24, v22
	v_addc_co_u32_e32 v35, vcc, v24, v23, vcc
	;;#ASMSTART
	global_load_dwordx4 v[22:25], v[34:35] off glc	
s_waitcnt vmcnt(0)
	;;#ASMEND
	v_and_b32_e32 v25, 0xff, v23
	v_and_b32_e32 v66, 0xff00, v23
	v_or3_b32 v25, 0, v25, v66
	v_or3_b32 v22, v22, 0, 0
	v_and_b32_e32 v66, 0xff000000, v23
	v_and_b32_e32 v23, 0xff0000, v23
	v_or3_b32 v23, v25, v23, v66
	v_or3_b32 v22, v22, 0, 0
	v_cmp_eq_u16_sdwa s[44:45], v24, v31 src0_sel:BYTE_0 src1_sel:DWORD
	s_and_saveexec_b64 s[20:21], s[44:45]
	s_cbranch_execz .LBB306_62
; %bb.65:                               ;   in Loop: Header=BB306_63 Depth=1
	s_mov_b64 s[44:45], 0
.LBB306_66:                             ;   Parent Loop BB306_63 Depth=1
                                        ; =>  This Inner Loop Header: Depth=2
	;;#ASMSTART
	global_load_dwordx4 v[22:25], v[34:35] off glc	
s_waitcnt vmcnt(0)
	;;#ASMEND
	v_cmp_ne_u16_sdwa s[48:49], v24, v31 src0_sel:BYTE_0 src1_sel:DWORD
	s_or_b64 s[44:45], s[48:49], s[44:45]
	s_andn2_b64 exec, exec, s[44:45]
	s_cbranch_execnz .LBB306_66
; %bb.67:                               ;   in Loop: Header=BB306_63 Depth=1
	s_or_b64 exec, exec, s[44:45]
	s_branch .LBB306_62
.LBB306_68:                             ;   in Loop: Header=BB306_63 Depth=1
                                        ; implicit-def: $vgpr23
                                        ; implicit-def: $vgpr22
                                        ; implicit-def: $vgpr24
	s_cbranch_execz .LBB306_63
; %bb.69:
	s_and_saveexec_b64 s[20:21], s[16:17]
	s_cbranch_execz .LBB306_71
; %bb.70:
	s_cmp_eq_u32 s7, 0
	s_cselect_b64 vcc, -1, 0
	s_mov_b32 s45, 0
	v_cndmask_b32_e32 v22, 0, v27, vcc
	s_add_i32 s44, s6, 64
	v_add_u32_e32 v22, s46, v22
	s_lshl_b64 s[44:45], s[44:45], 4
	s_add_u32 s44, s24, s44
	v_and_b32_e32 v23, 0xff000000, v22
	v_and_b32_e32 v24, 0xff0000, v22
	s_addc_u32 s45, s25, s45
	v_or_b32_e32 v23, v24, v23
	v_and_b32_e32 v24, 0xff00, v22
	v_and_b32_e32 v22, 0xff, v22
	v_add_u32_e32 v30, s7, v26
	v_mov_b32_e32 v33, 0
	v_or3_b32 v31, v23, v24, v22
	v_mov_b32_e32 v32, 2
	v_pk_mov_b32 v[22:23], s[44:45], s[44:45] op_sel:[0,1]
	;;#ASMSTART
	global_store_dwordx4 v[22:23], v[30:33] off	
s_waitcnt vmcnt(0)
	;;#ASMEND
	v_mov_b32_e32 v24, s7
	v_mov_b32_e32 v25, s46
	ds_write_b128 v33, v[24:27] offset:4096
.LBB306_71:
	s_or_b64 exec, exec, s[20:21]
	v_cmp_eq_u32_e32 vcc, 0, v0
	s_and_b64 exec, exec, vcc
	s_cbranch_execz .LBB306_73
; %bb.72:
	v_mov_b32_e32 v22, 0
	ds_write_b64 v22, v[26:27] offset:4136
.LBB306_73:
	s_or_b64 exec, exec, s[36:37]
	v_mov_b32_e32 v24, 0
	s_waitcnt lgkmcnt(0)
	s_barrier
	ds_read_b64 v[22:23], v24 offset:4136
	v_cndmask_b32_e64 v26, v36, v28, s[16:17]
	v_cmp_eq_u32_e32 vcc, 0, v26
	v_cndmask_b32_e64 v25, v37, v29, s[16:17]
	s_waitcnt lgkmcnt(0)
	v_cndmask_b32_e32 v27, 0, v23, vcc
	v_add_u32_e32 v25, v27, v25
	v_cmp_eq_u32_e32 vcc, 0, v0
	v_cndmask_b32_e32 v47, v25, v23, vcc
	v_cndmask_b32_e64 v23, v26, 0, vcc
	v_cmp_eq_u32_e32 vcc, 0, v62
	v_add_u32_e32 v46, v22, v23
	v_cndmask_b32_e32 v22, 0, v47, vcc
	v_add_u32_e32 v45, v22, v48
	v_cndmask_b32_e64 v22, 0, v45, s[14:15]
	v_add_u32_e32 v43, v22, v48
	v_cndmask_b32_e64 v22, 0, v43, s[12:13]
	;; [unrolled: 2-line block ×5, first 2 shown]
	v_add_u32_e32 v35, v22, v48
	v_add_u32_e32 v44, v46, v62
	v_cndmask_b32_e64 v22, 0, v35, s[4:5]
	v_add_u32_e32 v42, v44, v61
	v_add_u32_e32 v33, v22, v48
	s_barrier
	ds_read_b128 v[22:25], v24 offset:4096
	v_add_u32_e32 v40, v42, v60
	v_add_u32_e32 v38, v40, v59
	;; [unrolled: 1-line block ×4, first 2 shown]
	v_cndmask_b32_e64 v26, 0, v33, s[2:3]
	v_add_u32_e32 v32, v34, v56
	v_add_u32_e32 v29, v26, v48
	s_waitcnt lgkmcnt(0)
	v_cmp_eq_u32_e32 vcc, 0, v22
	v_add_u32_e32 v28, v32, v55
	v_cndmask_b32_e64 v26, 0, v29, s[0:1]
	v_cndmask_b32_e32 v25, 0, v25, vcc
	v_add_u32_e32 v30, v28, v54
	v_add_u32_e32 v31, v26, v48
	;; [unrolled: 1-line block ×3, first 2 shown]
	s_branch .LBB306_86
.LBB306_74:
                                        ; implicit-def: $vgpr22
                                        ; implicit-def: $vgpr26
                                        ; implicit-def: $vgpr30_vgpr31
                                        ; implicit-def: $vgpr28_vgpr29
                                        ; implicit-def: $vgpr32_vgpr33
                                        ; implicit-def: $vgpr34_vgpr35
                                        ; implicit-def: $vgpr46_vgpr47
                                        ; implicit-def: $vgpr44_vgpr45
                                        ; implicit-def: $vgpr42_vgpr43
                                        ; implicit-def: $vgpr40_vgpr41
                                        ; implicit-def: $vgpr38_vgpr39
                                        ; implicit-def: $vgpr36_vgpr37
	s_cbranch_execz .LBB306_86
; %bb.75:
	s_and_b64 s[0:1], s[26:27], exec
	s_cselect_b32 s1, 0, s43
	s_cselect_b32 s0, 0, s42
	s_cmp_eq_u64 s[0:1], 0
	v_mov_b32_e32 v26, v48
	s_cbranch_scc1 .LBB306_77
; %bb.76:
	v_mov_b32_e32 v22, 0
	global_load_dword v26, v22, s[0:1]
.LBB306_77:
	v_cmp_eq_u32_e64 s[0:1], 0, v61
	v_cndmask_b32_e64 v22, 0, v48, s[0:1]
	v_add_u32_e32 v22, v22, v48
	v_cmp_eq_u32_e64 s[2:3], 0, v60
	v_cndmask_b32_e64 v22, 0, v22, s[2:3]
	v_add_u32_e32 v22, v22, v48
	;; [unrolled: 3-line block ×7, first 2 shown]
	v_cmp_eq_u32_e32 vcc, 0, v54
	v_cndmask_b32_e32 v22, 0, v22, vcc
	v_add3_u32 v23, v53, v58, v57
	v_add_u32_e32 v22, v22, v48
	v_cmp_eq_u32_e64 s[14:15], 0, v1
	v_add3_u32 v23, v23, v56, v55
	v_cndmask_b32_e64 v22, 0, v22, s[14:15]
	v_add3_u32 v23, v23, v54, v1
	v_add_u32_e32 v22, v22, v49
	v_mbcnt_hi_u32_b32 v27, -1, v52
	v_and_b32_e32 v24, 15, v27
	v_mov_b32_dpp v28, v22 row_shr:1 row_mask:0xf bank_mask:0xf
	v_cmp_eq_u32_e64 s[14:15], 0, v23
	v_mov_b32_dpp v25, v23 row_shr:1 row_mask:0xf bank_mask:0xf
	v_cndmask_b32_e64 v28, 0, v28, s[14:15]
	v_cmp_eq_u32_e64 s[14:15], 0, v24
	v_cndmask_b32_e64 v25, v25, 0, s[14:15]
	v_add_u32_e32 v23, v25, v23
	v_cndmask_b32_e64 v25, v28, 0, s[14:15]
	v_add_u32_e32 v22, v25, v22
	v_cmp_eq_u32_e64 s[14:15], 0, v23
	v_mov_b32_dpp v25, v23 row_shr:2 row_mask:0xf bank_mask:0xf
	v_cmp_lt_u32_e64 s[16:17], 1, v24
	v_mov_b32_dpp v28, v22 row_shr:2 row_mask:0xf bank_mask:0xf
	v_cndmask_b32_e64 v25, 0, v25, s[16:17]
	s_and_b64 s[14:15], s[16:17], s[14:15]
	v_cndmask_b32_e64 v28, 0, v28, s[14:15]
	v_add_u32_e32 v23, v23, v25
	v_add_u32_e32 v22, v28, v22
	v_cmp_eq_u32_e64 s[14:15], 0, v23
	v_mov_b32_dpp v25, v23 row_shr:4 row_mask:0xf bank_mask:0xf
	v_cmp_lt_u32_e64 s[16:17], 3, v24
	v_mov_b32_dpp v28, v22 row_shr:4 row_mask:0xf bank_mask:0xf
	v_cndmask_b32_e64 v25, 0, v25, s[16:17]
	s_and_b64 s[14:15], s[16:17], s[14:15]
	v_cndmask_b32_e64 v28, 0, v28, s[14:15]
	v_add_u32_e32 v23, v25, v23
	v_add_u32_e32 v22, v22, v28
	v_cmp_eq_u32_e64 s[14:15], 0, v23
	v_cmp_lt_u32_e64 s[16:17], 7, v24
	v_mov_b32_dpp v25, v23 row_shr:8 row_mask:0xf bank_mask:0xf
	v_mov_b32_dpp v28, v22 row_shr:8 row_mask:0xf bank_mask:0xf
	s_and_b64 s[14:15], s[16:17], s[14:15]
	v_cndmask_b32_e64 v24, 0, v25, s[16:17]
	v_cndmask_b32_e64 v25, 0, v28, s[14:15]
	v_add_u32_e32 v22, v25, v22
	v_add_u32_e32 v23, v24, v23
	v_bfe_i32 v28, v27, 4, 1
	v_mov_b32_dpp v25, v22 row_bcast:15 row_mask:0xf bank_mask:0xf
	v_mov_b32_dpp v24, v23 row_bcast:15 row_mask:0xf bank_mask:0xf
	v_cmp_eq_u32_e64 s[14:15], 0, v23
	v_cndmask_b32_e64 v25, 0, v25, s[14:15]
	v_and_b32_e32 v24, v28, v24
	v_add_u32_e32 v23, v24, v23
	v_and_b32_e32 v24, v28, v25
	v_add_u32_e32 v24, v24, v22
	v_mov_b32_dpp v22, v23 row_bcast:31 row_mask:0xf bank_mask:0xf
	v_cmp_eq_u32_e64 s[14:15], 0, v23
	v_cmp_lt_u32_e64 s[16:17], 31, v27
	v_mov_b32_dpp v25, v24 row_bcast:31 row_mask:0xf bank_mask:0xf
	v_cndmask_b32_e64 v22, 0, v22, s[16:17]
	s_and_b64 s[14:15], s[16:17], s[14:15]
	v_add_u32_e32 v22, v22, v23
	v_cndmask_b32_e64 v23, 0, v25, s[14:15]
	v_add_u32_e32 v23, v23, v24
	v_cmp_eq_u32_e64 s[14:15], v51, v0
	v_lshlrev_b32_e32 v25, 3, v50
	s_and_saveexec_b64 s[16:17], s[14:15]
	s_cbranch_execz .LBB306_79
; %bb.78:
	ds_write_b64 v25, v[22:23] offset:4112
.LBB306_79:
	s_or_b64 exec, exec, s[16:17]
	v_cmp_gt_u32_e64 s[14:15], 4, v0
	s_waitcnt lgkmcnt(0)
	s_barrier
	s_and_saveexec_b64 s[18:19], s[14:15]
	s_cbranch_execz .LBB306_81
; %bb.80:
	v_lshlrev_b32_e32 v24, 3, v0
	ds_read_b64 v[28:29], v24 offset:4112
	v_and_b32_e32 v30, 3, v27
	v_cmp_lt_u32_e64 s[16:17], 1, v30
	s_waitcnt lgkmcnt(0)
	v_mov_b32_dpp v32, v29 row_shr:1 row_mask:0xf bank_mask:0xf
	v_cmp_eq_u32_e64 s[14:15], 0, v28
	v_mov_b32_dpp v31, v28 row_shr:1 row_mask:0xf bank_mask:0xf
	v_cndmask_b32_e64 v32, 0, v32, s[14:15]
	v_cmp_eq_u32_e64 s[14:15], 0, v30
	v_cndmask_b32_e64 v31, v31, 0, s[14:15]
	v_add_u32_e32 v28, v31, v28
	v_cndmask_b32_e64 v31, v32, 0, s[14:15]
	v_add_u32_e32 v29, v31, v29
	v_cmp_eq_u32_e64 s[14:15], 0, v28
	v_mov_b32_dpp v31, v28 row_shr:2 row_mask:0xf bank_mask:0xf
	v_mov_b32_dpp v32, v29 row_shr:2 row_mask:0xf bank_mask:0xf
	v_cndmask_b32_e64 v30, 0, v31, s[16:17]
	s_and_b64 s[14:15], s[16:17], s[14:15]
	v_add_u32_e32 v28, v30, v28
	v_cndmask_b32_e64 v30, 0, v32, s[14:15]
	v_add_u32_e32 v29, v30, v29
	ds_write_b64 v24, v[28:29] offset:4112
.LBB306_81:
	s_or_b64 exec, exec, s[18:19]
	v_cmp_lt_u32_e64 s[14:15], 63, v0
	v_mov_b32_e32 v29, 0
	v_mov_b32_e32 v24, 0
	s_waitcnt vmcnt(0)
	v_mov_b32_e32 v28, v26
	s_waitcnt lgkmcnt(0)
	s_barrier
	s_and_saveexec_b64 s[16:17], s[14:15]
	s_cbranch_execz .LBB306_83
; %bb.82:
	ds_read_b64 v[24:25], v25 offset:4104
	s_waitcnt lgkmcnt(0)
	v_cmp_eq_u32_e64 s[14:15], 0, v24
	v_cndmask_b32_e64 v28, 0, v26, s[14:15]
	v_add_u32_e32 v28, v28, v25
.LBB306_83:
	s_or_b64 exec, exec, s[16:17]
	v_cmp_eq_u32_e64 s[14:15], 0, v22
	v_add_u32_e32 v25, v24, v22
	v_cndmask_b32_e64 v22, 0, v28, s[14:15]
	v_add_u32_e32 v22, v22, v23
	v_add_u32_e32 v23, -1, v27
	v_and_b32_e32 v30, 64, v27
	v_cmp_lt_i32_e64 s[14:15], v23, v30
	v_cndmask_b32_e64 v23, v23, v27, s[14:15]
	v_lshlrev_b32_e32 v23, 2, v23
	ds_bpermute_b32 v25, v23, v25
	ds_bpermute_b32 v22, v23, v22
	v_cmp_eq_u32_e64 s[14:15], 0, v27
	v_cmp_eq_u32_e64 s[16:17], 0, v62
	s_waitcnt lgkmcnt(1)
	v_cndmask_b32_e64 v23, v25, v24, s[14:15]
	s_waitcnt lgkmcnt(0)
	v_cndmask_b32_e64 v22, v22, v28, s[14:15]
	v_cmp_eq_u32_e64 s[14:15], 0, v0
	v_cndmask_b32_e64 v47, v22, v26, s[14:15]
	v_cndmask_b32_e64 v22, 0, v47, s[16:17]
	v_add_u32_e32 v45, v22, v48
	v_cndmask_b32_e64 v22, 0, v45, s[0:1]
	v_add_u32_e32 v43, v22, v48
	;; [unrolled: 2-line block ×5, first 2 shown]
	v_cndmask_b32_e64 v22, 0, v37, s[8:9]
	v_cndmask_b32_e64 v46, v23, 0, s[14:15]
	v_add_u32_e32 v35, v22, v48
	v_add_u32_e32 v44, v46, v62
	v_cndmask_b32_e64 v22, 0, v35, s[10:11]
	v_add_u32_e32 v42, v44, v61
	v_add_u32_e32 v33, v22, v48
	ds_read_b64 v[22:23], v29 offset:4136
	v_add_u32_e32 v40, v42, v60
	v_add_u32_e32 v38, v40, v59
	;; [unrolled: 1-line block ×3, first 2 shown]
	v_cndmask_b32_e64 v24, 0, v33, s[12:13]
	v_add_u32_e32 v34, v36, v57
	v_add_u32_e32 v29, v24, v48
	;; [unrolled: 1-line block ×3, first 2 shown]
	v_cndmask_b32_e32 v24, 0, v29, vcc
	s_waitcnt lgkmcnt(0)
	v_cmp_eq_u32_e32 vcc, 0, v22
	v_add_u32_e32 v28, v32, v55
	v_add_u32_e32 v31, v24, v48
	v_cndmask_b32_e32 v24, 0, v26, vcc
	v_add_u32_e32 v30, v28, v54
	v_add_u32_e32 v26, v24, v23
	s_and_saveexec_b64 s[0:1], s[14:15]
	s_cbranch_execz .LBB306_85
; %bb.84:
	s_add_u32 s2, s24, 0x400
	v_and_b32_e32 v23, 0xff000000, v26
	v_and_b32_e32 v24, 0xff0000, v26
	s_addc_u32 s3, s25, 0
	v_or_b32_e32 v23, v24, v23
	v_and_b32_e32 v24, 0xff00, v26
	v_and_b32_e32 v27, 0xff, v26
	v_mov_b32_e32 v25, 0
	v_or3_b32 v23, v23, v24, v27
	v_mov_b32_e32 v24, 2
	v_pk_mov_b32 v[48:49], s[2:3], s[2:3] op_sel:[0,1]
	;;#ASMSTART
	global_store_dwordx4 v[48:49], v[22:25] off	
s_waitcnt vmcnt(0)
	;;#ASMEND
.LBB306_85:
	s_or_b64 exec, exec, s[0:1]
	v_mov_b32_e32 v24, 0
.LBB306_86:
	s_and_b64 s[0:1], s[26:27], exec
	s_cselect_b32 s1, 0, s39
	s_cselect_b32 s0, 0, s38
	s_cmp_eq_u64 s[0:1], 0
	v_pk_mov_b32 v[48:49], 0, 0
	s_waitcnt lgkmcnt(0)
	s_barrier
	s_cbranch_scc1 .LBB306_88
; %bb.87:
	v_mov_b32_e32 v23, 0
	global_load_dwordx2 v[48:49], v23, s[0:1]
.LBB306_88:
	s_waitcnt vmcnt(0)
	v_lshlrev_b64 v[50:51], 3, v[48:49]
	v_mov_b32_e32 v23, s29
	v_add_co_u32_e32 v27, vcc, s28, v50
	v_mov_b32_e32 v25, 0
	v_addc_co_u32_e32 v63, vcc, v23, v51, vcc
	v_lshlrev_b64 v[52:53], 3, v[24:25]
	v_add_co_u32_e32 v23, vcc, v27, v52
	v_addc_co_u32_e32 v25, vcc, v63, v53, vcc
	v_cmp_eq_u32_e32 vcc, 0, v62
	v_cndmask_b32_e64 v27, 1, 2, vcc
	v_cmp_eq_u32_e32 vcc, 0, v61
	v_cndmask_b32_e64 v63, 1, 2, vcc
	v_cmp_eq_u32_e32 vcc, 0, v60
	v_and_b32_e32 v27, v63, v27
	v_cndmask_b32_e64 v63, 1, 2, vcc
	v_cmp_eq_u32_e32 vcc, 0, v59
	v_and_b32_e32 v27, v27, v63
	;; [unrolled: 3-line block ×8, first 2 shown]
	v_cndmask_b32_e64 v63, 1, 2, vcc
	s_movk_i32 s20, 0x100
	v_and_b32_e32 v27, v27, v63
	v_cmp_gt_u32_e32 vcc, s20, v22
	v_cmp_ne_u32_e64 s[18:19], 0, v62
	v_cmp_ne_u32_e64 s[16:17], 0, v61
	;; [unrolled: 1-line block ×10, first 2 shown]
	s_mov_b64 s[24:25], -1
	v_cmp_gt_i16_e64 s[20:21], 2, v27
	s_cbranch_vccz .LBB306_95
; %bb.89:
	s_and_saveexec_b64 s[24:25], s[20:21]
	s_cbranch_execz .LBB306_94
; %bb.90:
	v_cmp_ne_u16_e32 vcc, 1, v27
	s_mov_b64 s[26:27], 0
	s_and_saveexec_b64 s[20:21], vcc
	s_xor_b64 s[20:21], exec, s[20:21]
	s_cbranch_execnz .LBB306_127
; %bb.91:
	s_andn2_saveexec_b64 s[20:21], s[20:21]
	s_cbranch_execnz .LBB306_138
.LBB306_92:
	s_or_b64 exec, exec, s[20:21]
	s_and_b64 exec, exec, s[26:27]
	s_cbranch_execz .LBB306_94
.LBB306_93:
	v_sub_u32_e32 v64, v30, v24
	v_mov_b32_e32 v65, 0
	v_lshlrev_b64 v[64:65], 3, v[64:65]
	v_add_co_u32_e32 v64, vcc, v23, v64
	v_addc_co_u32_e32 v65, vcc, v25, v65, vcc
	global_store_dwordx2 v[64:65], v[8:9], off
.LBB306_94:
	s_or_b64 exec, exec, s[24:25]
	s_mov_b64 s[24:25], 0
.LBB306_95:
	s_and_b64 vcc, exec, s[24:25]
	s_cbranch_vccz .LBB306_105
; %bb.96:
	v_cmp_gt_i16_e32 vcc, 2, v27
	s_and_saveexec_b64 s[20:21], vcc
	s_cbranch_execz .LBB306_101
; %bb.97:
	v_cmp_ne_u16_e32 vcc, 1, v27
	s_mov_b64 s[26:27], 0
	s_and_saveexec_b64 s[24:25], vcc
	s_xor_b64 s[24:25], exec, s[24:25]
	s_cbranch_execnz .LBB306_139
; %bb.98:
	s_andn2_saveexec_b64 s[0:1], s[24:25]
	s_cbranch_execnz .LBB306_150
.LBB306_99:
	s_or_b64 exec, exec, s[0:1]
	s_and_b64 exec, exec, s[26:27]
	s_cbranch_execz .LBB306_101
.LBB306_100:
	v_sub_u32_e32 v2, v30, v24
	v_lshlrev_b32_e32 v2, 3, v2
	ds_write_b64 v2, v[8:9]
.LBB306_101:
	s_or_b64 exec, exec, s[20:21]
	v_cmp_lt_u32_e32 vcc, v0, v22
	s_waitcnt lgkmcnt(0)
	s_barrier
	s_and_saveexec_b64 s[0:1], vcc
	s_cbranch_execz .LBB306_104
; %bb.102:
	v_lshlrev_b32_e32 v4, 3, v0
	s_mov_b64 s[2:3], 0
	v_mov_b32_e32 v3, 0
	v_mov_b32_e32 v2, v0
.LBB306_103:                            ; =>This Inner Loop Header: Depth=1
	ds_read_b64 v[6:7], v4
	v_lshlrev_b64 v[8:9], 3, v[2:3]
	v_add_co_u32_e32 v8, vcc, v23, v8
	v_add_u32_e32 v2, 0x100, v2
	v_addc_co_u32_e32 v9, vcc, v25, v9, vcc
	v_cmp_ge_u32_e32 vcc, v2, v22
	v_add_u32_e32 v4, 0x800, v4
	s_or_b64 s[2:3], vcc, s[2:3]
	s_waitcnt lgkmcnt(0)
	global_store_dwordx2 v[8:9], v[6:7], off
	s_andn2_b64 exec, exec, s[2:3]
	s_cbranch_execnz .LBB306_103
.LBB306_104:
	s_or_b64 exec, exec, s[0:1]
.LBB306_105:
	s_cmpk_lg_i32 s33, 0xa00
	s_cselect_b64 s[0:1], -1, 0
	v_cndmask_b32_e64 v2, 0, 1, s[40:41]
	s_and_b64 s[0:1], s[34:35], s[0:1]
	v_cmp_eq_u32_e32 vcc, 0, v0
	v_sub_u32_e32 v3, v22, v2
	v_cndmask_b32_e64 v4, 0, 1, s[0:1]
	s_and_b64 s[0:1], vcc, s[40:41]
	v_add_u32_e32 v4, v3, v4
	v_cndmask_b32_e64 v3, v62, 0, s[0:1]
	s_mul_hi_u32 s0, s33, 0xcccccccd
	s_lshr_b32 s0, s0, 3
	v_mad_i32_i24 v5, v0, -10, s33
	v_cmp_eq_u32_e32 vcc, s0, v0
	v_cmp_ne_u32_e64 s[0:1], 0, v5
	v_cndmask_b32_e64 v6, 1, v3, s[0:1]
	v_cmp_ne_u32_e64 s[0:1], 1, v5
	v_cndmask_b32_e64 v7, 1, v61, s[0:1]
	;; [unrolled: 2-line block ×10, first 2 shown]
	s_and_b64 vcc, s[34:35], vcc
	v_cndmask_b32_e32 v15, v1, v5, vcc
	v_cndmask_b32_e32 v14, v54, v14, vcc
	;; [unrolled: 1-line block ×10, first 2 shown]
	v_mov_b32_e32 v1, s31
	v_add_co_u32_e32 v5, vcc, s30, v50
	v_addc_co_u32_e32 v6, vcc, v1, v51, vcc
	v_add_co_u32_e32 v1, vcc, v5, v52
	v_addc_co_u32_e32 v5, vcc, v6, v53, vcc
	v_lshlrev_b32_e32 v6, 3, v2
	v_add_co_u32_e32 v6, vcc, v6, v1
	v_addc_co_u32_e32 v7, vcc, 0, v5, vcc
	v_add_co_u32_e32 v6, vcc, -8, v6
	v_addc_co_u32_e32 v7, vcc, -1, v7, vcc
	v_cmp_eq_u32_e32 vcc, 0, v3
	v_cmp_ne_u32_e64 s[18:19], 0, v3
	v_cndmask_b32_e64 v3, 1, 2, vcc
	v_cmp_eq_u32_e32 vcc, 0, v16
	v_cmp_ne_u32_e64 s[16:17], 0, v16
	v_cndmask_b32_e64 v16, 1, 2, vcc
	v_cmp_eq_u32_e32 vcc, 0, v8
	v_and_b32_e32 v3, v16, v3
	v_cmp_ne_u32_e64 s[14:15], 0, v8
	v_cndmask_b32_e64 v8, 1, 2, vcc
	v_cmp_eq_u32_e32 vcc, 0, v9
	v_and_b32_e32 v3, v3, v8
	v_cndmask_b32_e64 v8, 1, 2, vcc
	v_cmp_eq_u32_e32 vcc, 0, v10
	v_and_b32_e32 v3, v3, v8
	;; [unrolled: 3-line block ×7, first 2 shown]
	v_cndmask_b32_e64 v8, 1, 2, vcc
	s_movk_i32 s20, 0x100
	v_and_b32_e32 v3, v3, v8
	v_cmp_gt_u32_e32 vcc, s20, v4
	v_add_u32_e32 v2, v24, v2
	v_cmp_ne_u32_e64 s[12:13], 0, v9
	v_cmp_ne_u32_e64 s[10:11], 0, v10
	;; [unrolled: 1-line block ×7, first 2 shown]
	s_mov_b64 s[24:25], -1
	v_cmp_gt_i16_e64 s[20:21], 2, v3
	s_barrier
	s_cbranch_vccz .LBB306_112
; %bb.106:
	s_and_saveexec_b64 s[24:25], s[20:21]
	s_cbranch_execz .LBB306_111
; %bb.107:
	v_cmp_ne_u16_e32 vcc, 1, v3
	s_mov_b64 s[26:27], 0
	s_and_saveexec_b64 s[20:21], vcc
	s_xor_b64 s[20:21], exec, s[20:21]
	s_cbranch_execnz .LBB306_151
; %bb.108:
	s_andn2_saveexec_b64 s[20:21], s[20:21]
	s_cbranch_execnz .LBB306_162
.LBB306_109:
	s_or_b64 exec, exec, s[20:21]
	s_and_b64 exec, exec, s[26:27]
	s_cbranch_execz .LBB306_111
.LBB306_110:
	v_mov_b32_e32 v9, 0
	v_sub_u32_e32 v10, v30, v2
	v_mov_b32_e32 v11, v9
	v_lshlrev_b64 v[10:11], 3, v[10:11]
	v_add_co_u32_e32 v10, vcc, v6, v10
	v_mov_b32_e32 v8, v31
	v_addc_co_u32_e32 v11, vcc, v7, v11, vcc
	global_store_dwordx2 v[10:11], v[8:9], off
.LBB306_111:
	s_or_b64 exec, exec, s[24:25]
	s_mov_b64 s[24:25], 0
.LBB306_112:
	s_and_b64 vcc, exec, s[24:25]
	s_cbranch_vccz .LBB306_122
; %bb.113:
	v_cmp_gt_i16_e32 vcc, 2, v3
	s_and_saveexec_b64 s[20:21], vcc
	s_cbranch_execz .LBB306_118
; %bb.114:
	v_cmp_ne_u16_e32 vcc, 1, v3
	s_mov_b64 s[26:27], 0
	s_and_saveexec_b64 s[24:25], vcc
	s_xor_b64 s[24:25], exec, s[24:25]
	s_cbranch_execnz .LBB306_163
; %bb.115:
	s_andn2_saveexec_b64 s[0:1], s[24:25]
	s_cbranch_execnz .LBB306_174
.LBB306_116:
	s_or_b64 exec, exec, s[0:1]
	s_and_b64 exec, exec, s[26:27]
	s_cbranch_execz .LBB306_118
.LBB306_117:
	v_sub_u32_e32 v2, v30, v2
	v_lshlrev_b32_e32 v2, 2, v2
	ds_write_b32 v2, v31
.LBB306_118:
	s_or_b64 exec, exec, s[20:21]
	v_cmp_lt_u32_e32 vcc, v0, v4
	s_waitcnt lgkmcnt(0)
	s_barrier
	s_and_saveexec_b64 s[0:1], vcc
	s_cbranch_execz .LBB306_121
; %bb.119:
	v_lshlrev_b32_e32 v8, 2, v0
	s_mov_b64 s[2:3], 0
	v_mov_b32_e32 v3, 0
	v_mov_b32_e32 v2, v0
.LBB306_120:                            ; =>This Inner Loop Header: Depth=1
	ds_read_b32 v10, v8
	v_lshlrev_b64 v[12:13], 3, v[2:3]
	v_add_co_u32_e32 v12, vcc, v6, v12
	v_add_u32_e32 v2, 0x100, v2
	v_addc_co_u32_e32 v13, vcc, v7, v13, vcc
	v_cmp_ge_u32_e32 vcc, v2, v4
	v_mov_b32_e32 v11, v3
	v_add_u32_e32 v8, 0x400, v8
	s_or_b64 s[2:3], vcc, s[2:3]
	s_waitcnt lgkmcnt(0)
	global_store_dwordx2 v[12:13], v[10:11], off
	s_andn2_b64 exec, exec, s[2:3]
	s_cbranch_execnz .LBB306_120
.LBB306_121:
	s_or_b64 exec, exec, s[0:1]
.LBB306_122:
	s_movk_i32 s0, 0xff
	v_cmp_eq_u32_e32 vcc, s0, v0
	s_and_b64 s[0:1], vcc, s[34:35]
	s_and_saveexec_b64 s[2:3], s[0:1]
	s_cbranch_execz .LBB306_125
; %bb.123:
	v_add_co_u32_e32 v0, vcc, v22, v24
	v_addc_co_u32_e64 v3, s[0:1], 0, 0, vcc
	v_add_co_u32_e32 v2, vcc, v0, v48
	v_mov_b32_e32 v23, 0
	v_addc_co_u32_e32 v3, vcc, v3, v49, vcc
	s_cmpk_lg_i32 s33, 0xa00
	global_store_dwordx2 v23, v[2:3], s[22:23]
	s_cbranch_scc1 .LBB306_125
; %bb.124:
	v_lshlrev_b64 v[2:3], 3, v[22:23]
	v_add_co_u32_e32 v0, vcc, v1, v2
	v_mov_b32_e32 v27, v23
	v_addc_co_u32_e32 v1, vcc, v5, v3, vcc
	global_store_dwordx2 v[0:1], v[26:27], off offset:-8
.LBB306_125:
	s_endpgm
.LBB306_126:
	s_or_b64 exec, exec, s[2:3]
	v_mov_b32_e32 v62, s7
	s_and_saveexec_b64 s[2:3], s[30:31]
	s_cbranch_execnz .LBB306_46
	s_branch .LBB306_47
.LBB306_127:
	s_and_saveexec_b64 s[26:27], s[18:19]
	s_cbranch_execnz .LBB306_175
; %bb.128:
	s_or_b64 exec, exec, s[26:27]
	s_and_saveexec_b64 s[26:27], s[16:17]
	s_cbranch_execnz .LBB306_176
.LBB306_129:
	s_or_b64 exec, exec, s[26:27]
	s_and_saveexec_b64 s[26:27], s[14:15]
	s_cbranch_execnz .LBB306_177
.LBB306_130:
	s_or_b64 exec, exec, s[26:27]
	s_and_saveexec_b64 s[26:27], s[12:13]
	s_cbranch_execnz .LBB306_178
.LBB306_131:
	s_or_b64 exec, exec, s[26:27]
	s_and_saveexec_b64 s[26:27], s[10:11]
	s_cbranch_execnz .LBB306_179
.LBB306_132:
	s_or_b64 exec, exec, s[26:27]
	s_and_saveexec_b64 s[26:27], s[8:9]
	s_cbranch_execnz .LBB306_180
.LBB306_133:
	s_or_b64 exec, exec, s[26:27]
	s_and_saveexec_b64 s[26:27], s[6:7]
	s_cbranch_execnz .LBB306_181
.LBB306_134:
	s_or_b64 exec, exec, s[26:27]
	s_and_saveexec_b64 s[26:27], s[4:5]
	s_cbranch_execnz .LBB306_182
.LBB306_135:
	s_or_b64 exec, exec, s[26:27]
	s_and_saveexec_b64 s[26:27], s[2:3]
	s_cbranch_execz .LBB306_137
.LBB306_136:
	v_sub_u32_e32 v64, v28, v24
	v_mov_b32_e32 v65, 0
	v_lshlrev_b64 v[64:65], 3, v[64:65]
	v_add_co_u32_e32 v64, vcc, v23, v64
	v_addc_co_u32_e32 v65, vcc, v25, v65, vcc
	global_store_dwordx2 v[64:65], v[6:7], off
.LBB306_137:
	s_or_b64 exec, exec, s[26:27]
	s_and_b64 s[26:27], s[0:1], exec
	s_andn2_saveexec_b64 s[20:21], s[20:21]
	s_cbranch_execz .LBB306_92
.LBB306_138:
	v_sub_u32_e32 v64, v46, v24
	v_mov_b32_e32 v65, 0
	v_lshlrev_b64 v[66:67], 3, v[64:65]
	v_add_co_u32_e32 v66, vcc, v23, v66
	v_addc_co_u32_e32 v67, vcc, v25, v67, vcc
	v_sub_u32_e32 v64, v44, v24
	global_store_dwordx2 v[66:67], v[18:19], off
	v_lshlrev_b64 v[66:67], 3, v[64:65]
	v_add_co_u32_e32 v66, vcc, v23, v66
	v_addc_co_u32_e32 v67, vcc, v25, v67, vcc
	v_sub_u32_e32 v64, v42, v24
	global_store_dwordx2 v[66:67], v[20:21], off
	;; [unrolled: 5-line block ×7, first 2 shown]
	v_lshlrev_b64 v[66:67], 3, v[64:65]
	v_add_co_u32_e32 v66, vcc, v23, v66
	v_sub_u32_e32 v64, v28, v24
	v_addc_co_u32_e32 v67, vcc, v25, v67, vcc
	v_lshlrev_b64 v[64:65], 3, v[64:65]
	v_add_co_u32_e32 v64, vcc, v23, v64
	v_addc_co_u32_e32 v65, vcc, v25, v65, vcc
	s_or_b64 s[26:27], s[26:27], exec
	global_store_dwordx2 v[66:67], v[4:5], off
	global_store_dwordx2 v[64:65], v[6:7], off
	s_or_b64 exec, exec, s[20:21]
	s_and_b64 exec, exec, s[26:27]
	s_cbranch_execnz .LBB306_93
	s_branch .LBB306_94
.LBB306_139:
	s_and_saveexec_b64 s[26:27], s[18:19]
	s_cbranch_execnz .LBB306_183
; %bb.140:
	s_or_b64 exec, exec, s[26:27]
	s_and_saveexec_b64 s[18:19], s[16:17]
	s_cbranch_execnz .LBB306_184
.LBB306_141:
	s_or_b64 exec, exec, s[18:19]
	s_and_saveexec_b64 s[16:17], s[14:15]
	s_cbranch_execnz .LBB306_185
.LBB306_142:
	s_or_b64 exec, exec, s[16:17]
	s_and_saveexec_b64 s[14:15], s[12:13]
	s_cbranch_execnz .LBB306_186
.LBB306_143:
	s_or_b64 exec, exec, s[14:15]
	s_and_saveexec_b64 s[12:13], s[10:11]
	s_cbranch_execnz .LBB306_187
.LBB306_144:
	s_or_b64 exec, exec, s[12:13]
	s_and_saveexec_b64 s[10:11], s[8:9]
	s_cbranch_execnz .LBB306_188
.LBB306_145:
	s_or_b64 exec, exec, s[10:11]
	s_and_saveexec_b64 s[8:9], s[6:7]
	s_cbranch_execnz .LBB306_189
.LBB306_146:
	s_or_b64 exec, exec, s[8:9]
	s_and_saveexec_b64 s[6:7], s[4:5]
	s_cbranch_execnz .LBB306_190
.LBB306_147:
	s_or_b64 exec, exec, s[6:7]
	s_and_saveexec_b64 s[4:5], s[2:3]
	s_cbranch_execz .LBB306_149
.LBB306_148:
	v_sub_u32_e32 v2, v28, v24
	v_lshlrev_b32_e32 v2, 3, v2
	ds_write_b64 v2, v[6:7]
.LBB306_149:
	s_or_b64 exec, exec, s[4:5]
	s_and_b64 s[26:27], s[0:1], exec
                                        ; implicit-def: $vgpr4_vgpr5
                                        ; implicit-def: $vgpr12_vgpr13
                                        ; implicit-def: $vgpr16_vgpr17
                                        ; implicit-def: $vgpr20_vgpr21
	s_andn2_saveexec_b64 s[0:1], s[24:25]
	s_cbranch_execz .LBB306_99
.LBB306_150:
	v_sub_u32_e32 v27, v46, v24
	v_lshlrev_b32_e32 v27, 3, v27
	ds_write_b64 v27, v[18:19]
	v_sub_u32_e32 v18, v44, v24
	v_lshlrev_b32_e32 v18, 3, v18
	ds_write_b64 v18, v[20:21]
	;; [unrolled: 3-line block ×8, first 2 shown]
	v_sub_u32_e32 v2, v28, v24
	v_lshlrev_b32_e32 v2, 3, v2
	s_or_b64 s[26:27], s[26:27], exec
	ds_write_b64 v2, v[6:7]
	s_or_b64 exec, exec, s[0:1]
	s_and_b64 exec, exec, s[26:27]
	s_cbranch_execnz .LBB306_100
	s_branch .LBB306_101
.LBB306_151:
	s_and_saveexec_b64 s[26:27], s[18:19]
	s_cbranch_execnz .LBB306_191
; %bb.152:
	s_or_b64 exec, exec, s[26:27]
	s_and_saveexec_b64 s[26:27], s[16:17]
	s_cbranch_execnz .LBB306_192
.LBB306_153:
	s_or_b64 exec, exec, s[26:27]
	s_and_saveexec_b64 s[26:27], s[14:15]
	s_cbranch_execnz .LBB306_193
.LBB306_154:
	s_or_b64 exec, exec, s[26:27]
	s_and_saveexec_b64 s[26:27], s[12:13]
	s_cbranch_execnz .LBB306_194
.LBB306_155:
	s_or_b64 exec, exec, s[26:27]
	s_and_saveexec_b64 s[26:27], s[10:11]
	s_cbranch_execnz .LBB306_195
.LBB306_156:
	s_or_b64 exec, exec, s[26:27]
	s_and_saveexec_b64 s[26:27], s[8:9]
	s_cbranch_execnz .LBB306_196
.LBB306_157:
	s_or_b64 exec, exec, s[26:27]
	s_and_saveexec_b64 s[26:27], s[6:7]
	s_cbranch_execnz .LBB306_197
.LBB306_158:
	s_or_b64 exec, exec, s[26:27]
	s_and_saveexec_b64 s[26:27], s[4:5]
	s_cbranch_execnz .LBB306_198
.LBB306_159:
	s_or_b64 exec, exec, s[26:27]
	s_and_saveexec_b64 s[26:27], s[2:3]
	s_cbranch_execz .LBB306_161
.LBB306_160:
	v_sub_u32_e32 v8, v28, v2
	v_mov_b32_e32 v9, 0
	v_lshlrev_b64 v[10:11], 3, v[8:9]
	v_add_co_u32_e32 v10, vcc, v6, v10
	v_addc_co_u32_e32 v11, vcc, v7, v11, vcc
	v_mov_b32_e32 v8, v29
	global_store_dwordx2 v[10:11], v[8:9], off
.LBB306_161:
	s_or_b64 exec, exec, s[26:27]
	s_and_b64 s[26:27], s[0:1], exec
	s_andn2_saveexec_b64 s[20:21], s[20:21]
	s_cbranch_execz .LBB306_109
.LBB306_162:
	v_mov_b32_e32 v9, 0
	v_sub_u32_e32 v10, v46, v2
	v_mov_b32_e32 v11, v9
	v_lshlrev_b64 v[10:11], 3, v[10:11]
	v_add_co_u32_e32 v10, vcc, v6, v10
	v_mov_b32_e32 v8, v47
	v_addc_co_u32_e32 v11, vcc, v7, v11, vcc
	global_store_dwordx2 v[10:11], v[8:9], off
	v_sub_u32_e32 v10, v44, v2
	v_mov_b32_e32 v11, v9
	v_lshlrev_b64 v[10:11], 3, v[10:11]
	v_add_co_u32_e32 v10, vcc, v6, v10
	v_mov_b32_e32 v8, v45
	v_addc_co_u32_e32 v11, vcc, v7, v11, vcc
	global_store_dwordx2 v[10:11], v[8:9], off
	;; [unrolled: 7-line block ×8, first 2 shown]
	v_sub_u32_e32 v10, v28, v2
	v_mov_b32_e32 v11, v9
	v_lshlrev_b64 v[10:11], 3, v[10:11]
	v_add_co_u32_e32 v10, vcc, v6, v10
	v_mov_b32_e32 v8, v29
	v_addc_co_u32_e32 v11, vcc, v7, v11, vcc
	s_or_b64 s[26:27], s[26:27], exec
	global_store_dwordx2 v[10:11], v[8:9], off
	s_or_b64 exec, exec, s[20:21]
	s_and_b64 exec, exec, s[26:27]
	s_cbranch_execnz .LBB306_110
	s_branch .LBB306_111
.LBB306_163:
	s_and_saveexec_b64 s[26:27], s[18:19]
	s_cbranch_execnz .LBB306_199
; %bb.164:
	s_or_b64 exec, exec, s[26:27]
	s_and_saveexec_b64 s[18:19], s[16:17]
	s_cbranch_execnz .LBB306_200
.LBB306_165:
	s_or_b64 exec, exec, s[18:19]
	s_and_saveexec_b64 s[16:17], s[14:15]
	s_cbranch_execnz .LBB306_201
.LBB306_166:
	s_or_b64 exec, exec, s[16:17]
	s_and_saveexec_b64 s[14:15], s[12:13]
	s_cbranch_execnz .LBB306_202
.LBB306_167:
	s_or_b64 exec, exec, s[14:15]
	s_and_saveexec_b64 s[12:13], s[10:11]
	s_cbranch_execnz .LBB306_203
.LBB306_168:
	s_or_b64 exec, exec, s[12:13]
	s_and_saveexec_b64 s[10:11], s[8:9]
	s_cbranch_execnz .LBB306_204
.LBB306_169:
	s_or_b64 exec, exec, s[10:11]
	s_and_saveexec_b64 s[8:9], s[6:7]
	s_cbranch_execnz .LBB306_205
.LBB306_170:
	s_or_b64 exec, exec, s[8:9]
	s_and_saveexec_b64 s[6:7], s[4:5]
	s_cbranch_execnz .LBB306_206
.LBB306_171:
	s_or_b64 exec, exec, s[6:7]
	s_and_saveexec_b64 s[4:5], s[2:3]
	s_cbranch_execz .LBB306_173
.LBB306_172:
	v_sub_u32_e32 v3, v28, v2
	v_lshlrev_b32_e32 v3, 2, v3
	ds_write_b32 v3, v29
.LBB306_173:
	s_or_b64 exec, exec, s[4:5]
	s_and_b64 s[26:27], s[0:1], exec
                                        ; implicit-def: $vgpr28_vgpr29
                                        ; implicit-def: $vgpr32_vgpr33
                                        ; implicit-def: $vgpr34_vgpr35
                                        ; implicit-def: $vgpr46_vgpr47
                                        ; implicit-def: $vgpr44_vgpr45
                                        ; implicit-def: $vgpr42_vgpr43
                                        ; implicit-def: $vgpr40_vgpr41
                                        ; implicit-def: $vgpr38_vgpr39
                                        ; implicit-def: $vgpr36_vgpr37
	s_andn2_saveexec_b64 s[0:1], s[24:25]
	s_cbranch_execz .LBB306_116
.LBB306_174:
	v_sub_u32_e32 v3, v46, v2
	v_lshlrev_b32_e32 v3, 2, v3
	ds_write_b32 v3, v47
	v_sub_u32_e32 v3, v44, v2
	v_lshlrev_b32_e32 v3, 2, v3
	ds_write_b32 v3, v45
	;; [unrolled: 3-line block ×8, first 2 shown]
	v_sub_u32_e32 v3, v28, v2
	v_lshlrev_b32_e32 v3, 2, v3
	s_or_b64 s[26:27], s[26:27], exec
	ds_write_b32 v3, v29
	s_or_b64 exec, exec, s[0:1]
	s_and_b64 exec, exec, s[26:27]
	s_cbranch_execnz .LBB306_117
	s_branch .LBB306_118
.LBB306_175:
	v_sub_u32_e32 v64, v46, v24
	v_mov_b32_e32 v65, 0
	v_lshlrev_b64 v[64:65], 3, v[64:65]
	v_add_co_u32_e32 v64, vcc, v23, v64
	v_addc_co_u32_e32 v65, vcc, v25, v65, vcc
	global_store_dwordx2 v[64:65], v[18:19], off
	s_or_b64 exec, exec, s[26:27]
	s_and_saveexec_b64 s[26:27], s[16:17]
	s_cbranch_execz .LBB306_129
.LBB306_176:
	v_sub_u32_e32 v64, v44, v24
	v_mov_b32_e32 v65, 0
	v_lshlrev_b64 v[64:65], 3, v[64:65]
	v_add_co_u32_e32 v64, vcc, v23, v64
	v_addc_co_u32_e32 v65, vcc, v25, v65, vcc
	global_store_dwordx2 v[64:65], v[20:21], off
	s_or_b64 exec, exec, s[26:27]
	s_and_saveexec_b64 s[26:27], s[14:15]
	s_cbranch_execz .LBB306_130
.LBB306_177:
	v_sub_u32_e32 v64, v42, v24
	v_mov_b32_e32 v65, 0
	v_lshlrev_b64 v[64:65], 3, v[64:65]
	v_add_co_u32_e32 v64, vcc, v23, v64
	v_addc_co_u32_e32 v65, vcc, v25, v65, vcc
	global_store_dwordx2 v[64:65], v[14:15], off
	s_or_b64 exec, exec, s[26:27]
	s_and_saveexec_b64 s[26:27], s[12:13]
	s_cbranch_execz .LBB306_131
.LBB306_178:
	v_sub_u32_e32 v64, v40, v24
	v_mov_b32_e32 v65, 0
	v_lshlrev_b64 v[64:65], 3, v[64:65]
	v_add_co_u32_e32 v64, vcc, v23, v64
	v_addc_co_u32_e32 v65, vcc, v25, v65, vcc
	global_store_dwordx2 v[64:65], v[16:17], off
	s_or_b64 exec, exec, s[26:27]
	s_and_saveexec_b64 s[26:27], s[10:11]
	s_cbranch_execz .LBB306_132
.LBB306_179:
	v_sub_u32_e32 v64, v38, v24
	v_mov_b32_e32 v65, 0
	v_lshlrev_b64 v[64:65], 3, v[64:65]
	v_add_co_u32_e32 v64, vcc, v23, v64
	v_addc_co_u32_e32 v65, vcc, v25, v65, vcc
	global_store_dwordx2 v[64:65], v[10:11], off
	s_or_b64 exec, exec, s[26:27]
	s_and_saveexec_b64 s[26:27], s[8:9]
	s_cbranch_execz .LBB306_133
.LBB306_180:
	v_sub_u32_e32 v64, v36, v24
	v_mov_b32_e32 v65, 0
	v_lshlrev_b64 v[64:65], 3, v[64:65]
	v_add_co_u32_e32 v64, vcc, v23, v64
	v_addc_co_u32_e32 v65, vcc, v25, v65, vcc
	global_store_dwordx2 v[64:65], v[12:13], off
	s_or_b64 exec, exec, s[26:27]
	s_and_saveexec_b64 s[26:27], s[6:7]
	s_cbranch_execz .LBB306_134
.LBB306_181:
	v_sub_u32_e32 v64, v34, v24
	v_mov_b32_e32 v65, 0
	v_lshlrev_b64 v[64:65], 3, v[64:65]
	v_add_co_u32_e32 v64, vcc, v23, v64
	v_addc_co_u32_e32 v65, vcc, v25, v65, vcc
	global_store_dwordx2 v[64:65], v[2:3], off
	s_or_b64 exec, exec, s[26:27]
	s_and_saveexec_b64 s[26:27], s[4:5]
	s_cbranch_execz .LBB306_135
.LBB306_182:
	v_sub_u32_e32 v64, v32, v24
	v_mov_b32_e32 v65, 0
	v_lshlrev_b64 v[64:65], 3, v[64:65]
	v_add_co_u32_e32 v64, vcc, v23, v64
	v_addc_co_u32_e32 v65, vcc, v25, v65, vcc
	global_store_dwordx2 v[64:65], v[4:5], off
	s_or_b64 exec, exec, s[26:27]
	s_and_saveexec_b64 s[26:27], s[2:3]
	s_cbranch_execnz .LBB306_136
	s_branch .LBB306_137
.LBB306_183:
	v_sub_u32_e32 v27, v46, v24
	v_lshlrev_b32_e32 v27, 3, v27
	ds_write_b64 v27, v[18:19]
	s_or_b64 exec, exec, s[26:27]
	s_and_saveexec_b64 s[18:19], s[16:17]
	s_cbranch_execz .LBB306_141
.LBB306_184:
	v_sub_u32_e32 v18, v44, v24
	v_lshlrev_b32_e32 v18, 3, v18
	ds_write_b64 v18, v[20:21]
	s_or_b64 exec, exec, s[18:19]
	s_and_saveexec_b64 s[16:17], s[14:15]
	s_cbranch_execz .LBB306_142
.LBB306_185:
	v_sub_u32_e32 v18, v42, v24
	v_lshlrev_b32_e32 v18, 3, v18
	ds_write_b64 v18, v[14:15]
	s_or_b64 exec, exec, s[16:17]
	s_and_saveexec_b64 s[14:15], s[12:13]
	s_cbranch_execz .LBB306_143
.LBB306_186:
	v_sub_u32_e32 v14, v40, v24
	v_lshlrev_b32_e32 v14, 3, v14
	ds_write_b64 v14, v[16:17]
	s_or_b64 exec, exec, s[14:15]
	s_and_saveexec_b64 s[12:13], s[10:11]
	s_cbranch_execz .LBB306_144
.LBB306_187:
	v_sub_u32_e32 v14, v38, v24
	v_lshlrev_b32_e32 v14, 3, v14
	ds_write_b64 v14, v[10:11]
	s_or_b64 exec, exec, s[12:13]
	s_and_saveexec_b64 s[10:11], s[8:9]
	s_cbranch_execz .LBB306_145
.LBB306_188:
	v_sub_u32_e32 v10, v36, v24
	v_lshlrev_b32_e32 v10, 3, v10
	ds_write_b64 v10, v[12:13]
	s_or_b64 exec, exec, s[10:11]
	s_and_saveexec_b64 s[8:9], s[6:7]
	s_cbranch_execz .LBB306_146
.LBB306_189:
	v_sub_u32_e32 v10, v34, v24
	v_lshlrev_b32_e32 v10, 3, v10
	ds_write_b64 v10, v[2:3]
	s_or_b64 exec, exec, s[8:9]
	s_and_saveexec_b64 s[6:7], s[4:5]
	s_cbranch_execz .LBB306_147
.LBB306_190:
	v_sub_u32_e32 v2, v32, v24
	v_lshlrev_b32_e32 v2, 3, v2
	ds_write_b64 v2, v[4:5]
	s_or_b64 exec, exec, s[6:7]
	s_and_saveexec_b64 s[4:5], s[2:3]
	s_cbranch_execnz .LBB306_148
	s_branch .LBB306_149
.LBB306_191:
	v_sub_u32_e32 v8, v46, v2
	v_mov_b32_e32 v9, 0
	v_lshlrev_b64 v[10:11], 3, v[8:9]
	v_add_co_u32_e32 v10, vcc, v6, v10
	v_addc_co_u32_e32 v11, vcc, v7, v11, vcc
	v_mov_b32_e32 v8, v47
	global_store_dwordx2 v[10:11], v[8:9], off
	s_or_b64 exec, exec, s[26:27]
	s_and_saveexec_b64 s[26:27], s[16:17]
	s_cbranch_execz .LBB306_153
.LBB306_192:
	v_sub_u32_e32 v8, v44, v2
	v_mov_b32_e32 v9, 0
	v_lshlrev_b64 v[10:11], 3, v[8:9]
	v_add_co_u32_e32 v10, vcc, v6, v10
	v_addc_co_u32_e32 v11, vcc, v7, v11, vcc
	v_mov_b32_e32 v8, v45
	global_store_dwordx2 v[10:11], v[8:9], off
	s_or_b64 exec, exec, s[26:27]
	s_and_saveexec_b64 s[26:27], s[14:15]
	s_cbranch_execz .LBB306_154
.LBB306_193:
	v_sub_u32_e32 v8, v42, v2
	v_mov_b32_e32 v9, 0
	v_lshlrev_b64 v[10:11], 3, v[8:9]
	v_add_co_u32_e32 v10, vcc, v6, v10
	v_addc_co_u32_e32 v11, vcc, v7, v11, vcc
	v_mov_b32_e32 v8, v43
	global_store_dwordx2 v[10:11], v[8:9], off
	s_or_b64 exec, exec, s[26:27]
	s_and_saveexec_b64 s[26:27], s[12:13]
	s_cbranch_execz .LBB306_155
.LBB306_194:
	v_sub_u32_e32 v8, v40, v2
	v_mov_b32_e32 v9, 0
	v_lshlrev_b64 v[10:11], 3, v[8:9]
	v_add_co_u32_e32 v10, vcc, v6, v10
	v_addc_co_u32_e32 v11, vcc, v7, v11, vcc
	v_mov_b32_e32 v8, v41
	global_store_dwordx2 v[10:11], v[8:9], off
	s_or_b64 exec, exec, s[26:27]
	s_and_saveexec_b64 s[26:27], s[10:11]
	s_cbranch_execz .LBB306_156
.LBB306_195:
	v_sub_u32_e32 v8, v38, v2
	v_mov_b32_e32 v9, 0
	v_lshlrev_b64 v[10:11], 3, v[8:9]
	v_add_co_u32_e32 v10, vcc, v6, v10
	v_addc_co_u32_e32 v11, vcc, v7, v11, vcc
	v_mov_b32_e32 v8, v39
	global_store_dwordx2 v[10:11], v[8:9], off
	s_or_b64 exec, exec, s[26:27]
	s_and_saveexec_b64 s[26:27], s[8:9]
	s_cbranch_execz .LBB306_157
.LBB306_196:
	v_sub_u32_e32 v8, v36, v2
	v_mov_b32_e32 v9, 0
	v_lshlrev_b64 v[10:11], 3, v[8:9]
	v_add_co_u32_e32 v10, vcc, v6, v10
	v_addc_co_u32_e32 v11, vcc, v7, v11, vcc
	v_mov_b32_e32 v8, v37
	global_store_dwordx2 v[10:11], v[8:9], off
	s_or_b64 exec, exec, s[26:27]
	s_and_saveexec_b64 s[26:27], s[6:7]
	s_cbranch_execz .LBB306_158
.LBB306_197:
	v_sub_u32_e32 v8, v34, v2
	v_mov_b32_e32 v9, 0
	v_lshlrev_b64 v[10:11], 3, v[8:9]
	v_add_co_u32_e32 v10, vcc, v6, v10
	v_addc_co_u32_e32 v11, vcc, v7, v11, vcc
	v_mov_b32_e32 v8, v35
	global_store_dwordx2 v[10:11], v[8:9], off
	s_or_b64 exec, exec, s[26:27]
	s_and_saveexec_b64 s[26:27], s[4:5]
	s_cbranch_execz .LBB306_159
.LBB306_198:
	v_sub_u32_e32 v8, v32, v2
	v_mov_b32_e32 v9, 0
	v_lshlrev_b64 v[10:11], 3, v[8:9]
	v_add_co_u32_e32 v10, vcc, v6, v10
	v_addc_co_u32_e32 v11, vcc, v7, v11, vcc
	v_mov_b32_e32 v8, v33
	global_store_dwordx2 v[10:11], v[8:9], off
	s_or_b64 exec, exec, s[26:27]
	s_and_saveexec_b64 s[26:27], s[2:3]
	s_cbranch_execnz .LBB306_160
	s_branch .LBB306_161
.LBB306_199:
	v_sub_u32_e32 v3, v46, v2
	v_lshlrev_b32_e32 v3, 2, v3
	ds_write_b32 v3, v47
	s_or_b64 exec, exec, s[26:27]
	s_and_saveexec_b64 s[18:19], s[16:17]
	s_cbranch_execz .LBB306_165
.LBB306_200:
	v_sub_u32_e32 v3, v44, v2
	v_lshlrev_b32_e32 v3, 2, v3
	ds_write_b32 v3, v45
	s_or_b64 exec, exec, s[18:19]
	s_and_saveexec_b64 s[16:17], s[14:15]
	s_cbranch_execz .LBB306_166
.LBB306_201:
	v_sub_u32_e32 v3, v42, v2
	v_lshlrev_b32_e32 v3, 2, v3
	ds_write_b32 v3, v43
	s_or_b64 exec, exec, s[16:17]
	s_and_saveexec_b64 s[14:15], s[12:13]
	s_cbranch_execz .LBB306_167
.LBB306_202:
	v_sub_u32_e32 v3, v40, v2
	v_lshlrev_b32_e32 v3, 2, v3
	ds_write_b32 v3, v41
	s_or_b64 exec, exec, s[14:15]
	s_and_saveexec_b64 s[12:13], s[10:11]
	s_cbranch_execz .LBB306_168
.LBB306_203:
	v_sub_u32_e32 v3, v38, v2
	v_lshlrev_b32_e32 v3, 2, v3
	ds_write_b32 v3, v39
	s_or_b64 exec, exec, s[12:13]
	s_and_saveexec_b64 s[10:11], s[8:9]
	s_cbranch_execz .LBB306_169
.LBB306_204:
	v_sub_u32_e32 v3, v36, v2
	v_lshlrev_b32_e32 v3, 2, v3
	ds_write_b32 v3, v37
	s_or_b64 exec, exec, s[10:11]
	s_and_saveexec_b64 s[8:9], s[6:7]
	s_cbranch_execz .LBB306_170
.LBB306_205:
	v_sub_u32_e32 v3, v34, v2
	v_lshlrev_b32_e32 v3, 2, v3
	ds_write_b32 v3, v35
	s_or_b64 exec, exec, s[8:9]
	s_and_saveexec_b64 s[6:7], s[4:5]
	s_cbranch_execz .LBB306_171
.LBB306_206:
	v_sub_u32_e32 v3, v32, v2
	v_lshlrev_b32_e32 v3, 2, v3
	ds_write_b32 v3, v33
	s_or_b64 exec, exec, s[6:7]
	s_and_saveexec_b64 s[4:5], s[2:3]
	s_cbranch_execnz .LBB306_172
	s_branch .LBB306_173
	.section	.rodata,"a",@progbits
	.p2align	6, 0x0
	.amdhsa_kernel _ZN7rocprim17ROCPRIM_400000_NS6detail17trampoline_kernelINS0_14default_configENS1_33run_length_encode_config_selectorIdjNS0_4plusIjEEEEZZNS1_33reduce_by_key_impl_wrapped_configILNS1_25lookback_scan_determinismE0ES3_S7_PKdNS0_17constant_iteratorIjlEEPdPlSF_S6_NS0_8equal_toIdEEEE10hipError_tPvRmT2_T3_mT4_T5_T6_T7_T8_P12ihipStream_tbENKUlT_T0_E_clISt17integral_constantIbLb0EESZ_EEDaSU_SV_EUlSU_E_NS1_11comp_targetILNS1_3genE4ELNS1_11target_archE910ELNS1_3gpuE8ELNS1_3repE0EEENS1_30default_config_static_selectorELNS0_4arch9wavefront6targetE1EEEvT1_
		.amdhsa_group_segment_fixed_size 20480
		.amdhsa_private_segment_fixed_size 0
		.amdhsa_kernarg_size 128
		.amdhsa_user_sgpr_count 6
		.amdhsa_user_sgpr_private_segment_buffer 1
		.amdhsa_user_sgpr_dispatch_ptr 0
		.amdhsa_user_sgpr_queue_ptr 0
		.amdhsa_user_sgpr_kernarg_segment_ptr 1
		.amdhsa_user_sgpr_dispatch_id 0
		.amdhsa_user_sgpr_flat_scratch_init 0
		.amdhsa_user_sgpr_kernarg_preload_length 0
		.amdhsa_user_sgpr_kernarg_preload_offset 0
		.amdhsa_user_sgpr_private_segment_size 0
		.amdhsa_uses_dynamic_stack 0
		.amdhsa_system_sgpr_private_segment_wavefront_offset 0
		.amdhsa_system_sgpr_workgroup_id_x 1
		.amdhsa_system_sgpr_workgroup_id_y 0
		.amdhsa_system_sgpr_workgroup_id_z 0
		.amdhsa_system_sgpr_workgroup_info 0
		.amdhsa_system_vgpr_workitem_id 0
		.amdhsa_next_free_vgpr 68
		.amdhsa_next_free_sgpr 54
		.amdhsa_accum_offset 68
		.amdhsa_reserve_vcc 1
		.amdhsa_reserve_flat_scratch 0
		.amdhsa_float_round_mode_32 0
		.amdhsa_float_round_mode_16_64 0
		.amdhsa_float_denorm_mode_32 3
		.amdhsa_float_denorm_mode_16_64 3
		.amdhsa_dx10_clamp 1
		.amdhsa_ieee_mode 1
		.amdhsa_fp16_overflow 0
		.amdhsa_tg_split 0
		.amdhsa_exception_fp_ieee_invalid_op 0
		.amdhsa_exception_fp_denorm_src 0
		.amdhsa_exception_fp_ieee_div_zero 0
		.amdhsa_exception_fp_ieee_overflow 0
		.amdhsa_exception_fp_ieee_underflow 0
		.amdhsa_exception_fp_ieee_inexact 0
		.amdhsa_exception_int_div_zero 0
	.end_amdhsa_kernel
	.section	.text._ZN7rocprim17ROCPRIM_400000_NS6detail17trampoline_kernelINS0_14default_configENS1_33run_length_encode_config_selectorIdjNS0_4plusIjEEEEZZNS1_33reduce_by_key_impl_wrapped_configILNS1_25lookback_scan_determinismE0ES3_S7_PKdNS0_17constant_iteratorIjlEEPdPlSF_S6_NS0_8equal_toIdEEEE10hipError_tPvRmT2_T3_mT4_T5_T6_T7_T8_P12ihipStream_tbENKUlT_T0_E_clISt17integral_constantIbLb0EESZ_EEDaSU_SV_EUlSU_E_NS1_11comp_targetILNS1_3genE4ELNS1_11target_archE910ELNS1_3gpuE8ELNS1_3repE0EEENS1_30default_config_static_selectorELNS0_4arch9wavefront6targetE1EEEvT1_,"axG",@progbits,_ZN7rocprim17ROCPRIM_400000_NS6detail17trampoline_kernelINS0_14default_configENS1_33run_length_encode_config_selectorIdjNS0_4plusIjEEEEZZNS1_33reduce_by_key_impl_wrapped_configILNS1_25lookback_scan_determinismE0ES3_S7_PKdNS0_17constant_iteratorIjlEEPdPlSF_S6_NS0_8equal_toIdEEEE10hipError_tPvRmT2_T3_mT4_T5_T6_T7_T8_P12ihipStream_tbENKUlT_T0_E_clISt17integral_constantIbLb0EESZ_EEDaSU_SV_EUlSU_E_NS1_11comp_targetILNS1_3genE4ELNS1_11target_archE910ELNS1_3gpuE8ELNS1_3repE0EEENS1_30default_config_static_selectorELNS0_4arch9wavefront6targetE1EEEvT1_,comdat
.Lfunc_end306:
	.size	_ZN7rocprim17ROCPRIM_400000_NS6detail17trampoline_kernelINS0_14default_configENS1_33run_length_encode_config_selectorIdjNS0_4plusIjEEEEZZNS1_33reduce_by_key_impl_wrapped_configILNS1_25lookback_scan_determinismE0ES3_S7_PKdNS0_17constant_iteratorIjlEEPdPlSF_S6_NS0_8equal_toIdEEEE10hipError_tPvRmT2_T3_mT4_T5_T6_T7_T8_P12ihipStream_tbENKUlT_T0_E_clISt17integral_constantIbLb0EESZ_EEDaSU_SV_EUlSU_E_NS1_11comp_targetILNS1_3genE4ELNS1_11target_archE910ELNS1_3gpuE8ELNS1_3repE0EEENS1_30default_config_static_selectorELNS0_4arch9wavefront6targetE1EEEvT1_, .Lfunc_end306-_ZN7rocprim17ROCPRIM_400000_NS6detail17trampoline_kernelINS0_14default_configENS1_33run_length_encode_config_selectorIdjNS0_4plusIjEEEEZZNS1_33reduce_by_key_impl_wrapped_configILNS1_25lookback_scan_determinismE0ES3_S7_PKdNS0_17constant_iteratorIjlEEPdPlSF_S6_NS0_8equal_toIdEEEE10hipError_tPvRmT2_T3_mT4_T5_T6_T7_T8_P12ihipStream_tbENKUlT_T0_E_clISt17integral_constantIbLb0EESZ_EEDaSU_SV_EUlSU_E_NS1_11comp_targetILNS1_3genE4ELNS1_11target_archE910ELNS1_3gpuE8ELNS1_3repE0EEENS1_30default_config_static_selectorELNS0_4arch9wavefront6targetE1EEEvT1_
                                        ; -- End function
	.section	.AMDGPU.csdata,"",@progbits
; Kernel info:
; codeLenInByte = 10888
; NumSgprs: 58
; NumVgprs: 68
; NumAgprs: 0
; TotalNumVgprs: 68
; ScratchSize: 0
; MemoryBound: 0
; FloatMode: 240
; IeeeMode: 1
; LDSByteSize: 20480 bytes/workgroup (compile time only)
; SGPRBlocks: 7
; VGPRBlocks: 8
; NumSGPRsForWavesPerEU: 58
; NumVGPRsForWavesPerEU: 68
; AccumOffset: 68
; Occupancy: 3
; WaveLimiterHint : 1
; COMPUTE_PGM_RSRC2:SCRATCH_EN: 0
; COMPUTE_PGM_RSRC2:USER_SGPR: 6
; COMPUTE_PGM_RSRC2:TRAP_HANDLER: 0
; COMPUTE_PGM_RSRC2:TGID_X_EN: 1
; COMPUTE_PGM_RSRC2:TGID_Y_EN: 0
; COMPUTE_PGM_RSRC2:TGID_Z_EN: 0
; COMPUTE_PGM_RSRC2:TIDIG_COMP_CNT: 0
; COMPUTE_PGM_RSRC3_GFX90A:ACCUM_OFFSET: 16
; COMPUTE_PGM_RSRC3_GFX90A:TG_SPLIT: 0
	.section	.text._ZN7rocprim17ROCPRIM_400000_NS6detail17trampoline_kernelINS0_14default_configENS1_33run_length_encode_config_selectorIdjNS0_4plusIjEEEEZZNS1_33reduce_by_key_impl_wrapped_configILNS1_25lookback_scan_determinismE0ES3_S7_PKdNS0_17constant_iteratorIjlEEPdPlSF_S6_NS0_8equal_toIdEEEE10hipError_tPvRmT2_T3_mT4_T5_T6_T7_T8_P12ihipStream_tbENKUlT_T0_E_clISt17integral_constantIbLb0EESZ_EEDaSU_SV_EUlSU_E_NS1_11comp_targetILNS1_3genE3ELNS1_11target_archE908ELNS1_3gpuE7ELNS1_3repE0EEENS1_30default_config_static_selectorELNS0_4arch9wavefront6targetE1EEEvT1_,"axG",@progbits,_ZN7rocprim17ROCPRIM_400000_NS6detail17trampoline_kernelINS0_14default_configENS1_33run_length_encode_config_selectorIdjNS0_4plusIjEEEEZZNS1_33reduce_by_key_impl_wrapped_configILNS1_25lookback_scan_determinismE0ES3_S7_PKdNS0_17constant_iteratorIjlEEPdPlSF_S6_NS0_8equal_toIdEEEE10hipError_tPvRmT2_T3_mT4_T5_T6_T7_T8_P12ihipStream_tbENKUlT_T0_E_clISt17integral_constantIbLb0EESZ_EEDaSU_SV_EUlSU_E_NS1_11comp_targetILNS1_3genE3ELNS1_11target_archE908ELNS1_3gpuE7ELNS1_3repE0EEENS1_30default_config_static_selectorELNS0_4arch9wavefront6targetE1EEEvT1_,comdat
	.protected	_ZN7rocprim17ROCPRIM_400000_NS6detail17trampoline_kernelINS0_14default_configENS1_33run_length_encode_config_selectorIdjNS0_4plusIjEEEEZZNS1_33reduce_by_key_impl_wrapped_configILNS1_25lookback_scan_determinismE0ES3_S7_PKdNS0_17constant_iteratorIjlEEPdPlSF_S6_NS0_8equal_toIdEEEE10hipError_tPvRmT2_T3_mT4_T5_T6_T7_T8_P12ihipStream_tbENKUlT_T0_E_clISt17integral_constantIbLb0EESZ_EEDaSU_SV_EUlSU_E_NS1_11comp_targetILNS1_3genE3ELNS1_11target_archE908ELNS1_3gpuE7ELNS1_3repE0EEENS1_30default_config_static_selectorELNS0_4arch9wavefront6targetE1EEEvT1_ ; -- Begin function _ZN7rocprim17ROCPRIM_400000_NS6detail17trampoline_kernelINS0_14default_configENS1_33run_length_encode_config_selectorIdjNS0_4plusIjEEEEZZNS1_33reduce_by_key_impl_wrapped_configILNS1_25lookback_scan_determinismE0ES3_S7_PKdNS0_17constant_iteratorIjlEEPdPlSF_S6_NS0_8equal_toIdEEEE10hipError_tPvRmT2_T3_mT4_T5_T6_T7_T8_P12ihipStream_tbENKUlT_T0_E_clISt17integral_constantIbLb0EESZ_EEDaSU_SV_EUlSU_E_NS1_11comp_targetILNS1_3genE3ELNS1_11target_archE908ELNS1_3gpuE7ELNS1_3repE0EEENS1_30default_config_static_selectorELNS0_4arch9wavefront6targetE1EEEvT1_
	.globl	_ZN7rocprim17ROCPRIM_400000_NS6detail17trampoline_kernelINS0_14default_configENS1_33run_length_encode_config_selectorIdjNS0_4plusIjEEEEZZNS1_33reduce_by_key_impl_wrapped_configILNS1_25lookback_scan_determinismE0ES3_S7_PKdNS0_17constant_iteratorIjlEEPdPlSF_S6_NS0_8equal_toIdEEEE10hipError_tPvRmT2_T3_mT4_T5_T6_T7_T8_P12ihipStream_tbENKUlT_T0_E_clISt17integral_constantIbLb0EESZ_EEDaSU_SV_EUlSU_E_NS1_11comp_targetILNS1_3genE3ELNS1_11target_archE908ELNS1_3gpuE7ELNS1_3repE0EEENS1_30default_config_static_selectorELNS0_4arch9wavefront6targetE1EEEvT1_
	.p2align	8
	.type	_ZN7rocprim17ROCPRIM_400000_NS6detail17trampoline_kernelINS0_14default_configENS1_33run_length_encode_config_selectorIdjNS0_4plusIjEEEEZZNS1_33reduce_by_key_impl_wrapped_configILNS1_25lookback_scan_determinismE0ES3_S7_PKdNS0_17constant_iteratorIjlEEPdPlSF_S6_NS0_8equal_toIdEEEE10hipError_tPvRmT2_T3_mT4_T5_T6_T7_T8_P12ihipStream_tbENKUlT_T0_E_clISt17integral_constantIbLb0EESZ_EEDaSU_SV_EUlSU_E_NS1_11comp_targetILNS1_3genE3ELNS1_11target_archE908ELNS1_3gpuE7ELNS1_3repE0EEENS1_30default_config_static_selectorELNS0_4arch9wavefront6targetE1EEEvT1_,@function
_ZN7rocprim17ROCPRIM_400000_NS6detail17trampoline_kernelINS0_14default_configENS1_33run_length_encode_config_selectorIdjNS0_4plusIjEEEEZZNS1_33reduce_by_key_impl_wrapped_configILNS1_25lookback_scan_determinismE0ES3_S7_PKdNS0_17constant_iteratorIjlEEPdPlSF_S6_NS0_8equal_toIdEEEE10hipError_tPvRmT2_T3_mT4_T5_T6_T7_T8_P12ihipStream_tbENKUlT_T0_E_clISt17integral_constantIbLb0EESZ_EEDaSU_SV_EUlSU_E_NS1_11comp_targetILNS1_3genE3ELNS1_11target_archE908ELNS1_3gpuE7ELNS1_3repE0EEENS1_30default_config_static_selectorELNS0_4arch9wavefront6targetE1EEEvT1_: ; @_ZN7rocprim17ROCPRIM_400000_NS6detail17trampoline_kernelINS0_14default_configENS1_33run_length_encode_config_selectorIdjNS0_4plusIjEEEEZZNS1_33reduce_by_key_impl_wrapped_configILNS1_25lookback_scan_determinismE0ES3_S7_PKdNS0_17constant_iteratorIjlEEPdPlSF_S6_NS0_8equal_toIdEEEE10hipError_tPvRmT2_T3_mT4_T5_T6_T7_T8_P12ihipStream_tbENKUlT_T0_E_clISt17integral_constantIbLb0EESZ_EEDaSU_SV_EUlSU_E_NS1_11comp_targetILNS1_3genE3ELNS1_11target_archE908ELNS1_3gpuE7ELNS1_3repE0EEENS1_30default_config_static_selectorELNS0_4arch9wavefront6targetE1EEEvT1_
; %bb.0:
	.section	.rodata,"a",@progbits
	.p2align	6, 0x0
	.amdhsa_kernel _ZN7rocprim17ROCPRIM_400000_NS6detail17trampoline_kernelINS0_14default_configENS1_33run_length_encode_config_selectorIdjNS0_4plusIjEEEEZZNS1_33reduce_by_key_impl_wrapped_configILNS1_25lookback_scan_determinismE0ES3_S7_PKdNS0_17constant_iteratorIjlEEPdPlSF_S6_NS0_8equal_toIdEEEE10hipError_tPvRmT2_T3_mT4_T5_T6_T7_T8_P12ihipStream_tbENKUlT_T0_E_clISt17integral_constantIbLb0EESZ_EEDaSU_SV_EUlSU_E_NS1_11comp_targetILNS1_3genE3ELNS1_11target_archE908ELNS1_3gpuE7ELNS1_3repE0EEENS1_30default_config_static_selectorELNS0_4arch9wavefront6targetE1EEEvT1_
		.amdhsa_group_segment_fixed_size 0
		.amdhsa_private_segment_fixed_size 0
		.amdhsa_kernarg_size 128
		.amdhsa_user_sgpr_count 6
		.amdhsa_user_sgpr_private_segment_buffer 1
		.amdhsa_user_sgpr_dispatch_ptr 0
		.amdhsa_user_sgpr_queue_ptr 0
		.amdhsa_user_sgpr_kernarg_segment_ptr 1
		.amdhsa_user_sgpr_dispatch_id 0
		.amdhsa_user_sgpr_flat_scratch_init 0
		.amdhsa_user_sgpr_kernarg_preload_length 0
		.amdhsa_user_sgpr_kernarg_preload_offset 0
		.amdhsa_user_sgpr_private_segment_size 0
		.amdhsa_uses_dynamic_stack 0
		.amdhsa_system_sgpr_private_segment_wavefront_offset 0
		.amdhsa_system_sgpr_workgroup_id_x 1
		.amdhsa_system_sgpr_workgroup_id_y 0
		.amdhsa_system_sgpr_workgroup_id_z 0
		.amdhsa_system_sgpr_workgroup_info 0
		.amdhsa_system_vgpr_workitem_id 0
		.amdhsa_next_free_vgpr 1
		.amdhsa_next_free_sgpr 0
		.amdhsa_accum_offset 4
		.amdhsa_reserve_vcc 0
		.amdhsa_reserve_flat_scratch 0
		.amdhsa_float_round_mode_32 0
		.amdhsa_float_round_mode_16_64 0
		.amdhsa_float_denorm_mode_32 3
		.amdhsa_float_denorm_mode_16_64 3
		.amdhsa_dx10_clamp 1
		.amdhsa_ieee_mode 1
		.amdhsa_fp16_overflow 0
		.amdhsa_tg_split 0
		.amdhsa_exception_fp_ieee_invalid_op 0
		.amdhsa_exception_fp_denorm_src 0
		.amdhsa_exception_fp_ieee_div_zero 0
		.amdhsa_exception_fp_ieee_overflow 0
		.amdhsa_exception_fp_ieee_underflow 0
		.amdhsa_exception_fp_ieee_inexact 0
		.amdhsa_exception_int_div_zero 0
	.end_amdhsa_kernel
	.section	.text._ZN7rocprim17ROCPRIM_400000_NS6detail17trampoline_kernelINS0_14default_configENS1_33run_length_encode_config_selectorIdjNS0_4plusIjEEEEZZNS1_33reduce_by_key_impl_wrapped_configILNS1_25lookback_scan_determinismE0ES3_S7_PKdNS0_17constant_iteratorIjlEEPdPlSF_S6_NS0_8equal_toIdEEEE10hipError_tPvRmT2_T3_mT4_T5_T6_T7_T8_P12ihipStream_tbENKUlT_T0_E_clISt17integral_constantIbLb0EESZ_EEDaSU_SV_EUlSU_E_NS1_11comp_targetILNS1_3genE3ELNS1_11target_archE908ELNS1_3gpuE7ELNS1_3repE0EEENS1_30default_config_static_selectorELNS0_4arch9wavefront6targetE1EEEvT1_,"axG",@progbits,_ZN7rocprim17ROCPRIM_400000_NS6detail17trampoline_kernelINS0_14default_configENS1_33run_length_encode_config_selectorIdjNS0_4plusIjEEEEZZNS1_33reduce_by_key_impl_wrapped_configILNS1_25lookback_scan_determinismE0ES3_S7_PKdNS0_17constant_iteratorIjlEEPdPlSF_S6_NS0_8equal_toIdEEEE10hipError_tPvRmT2_T3_mT4_T5_T6_T7_T8_P12ihipStream_tbENKUlT_T0_E_clISt17integral_constantIbLb0EESZ_EEDaSU_SV_EUlSU_E_NS1_11comp_targetILNS1_3genE3ELNS1_11target_archE908ELNS1_3gpuE7ELNS1_3repE0EEENS1_30default_config_static_selectorELNS0_4arch9wavefront6targetE1EEEvT1_,comdat
.Lfunc_end307:
	.size	_ZN7rocprim17ROCPRIM_400000_NS6detail17trampoline_kernelINS0_14default_configENS1_33run_length_encode_config_selectorIdjNS0_4plusIjEEEEZZNS1_33reduce_by_key_impl_wrapped_configILNS1_25lookback_scan_determinismE0ES3_S7_PKdNS0_17constant_iteratorIjlEEPdPlSF_S6_NS0_8equal_toIdEEEE10hipError_tPvRmT2_T3_mT4_T5_T6_T7_T8_P12ihipStream_tbENKUlT_T0_E_clISt17integral_constantIbLb0EESZ_EEDaSU_SV_EUlSU_E_NS1_11comp_targetILNS1_3genE3ELNS1_11target_archE908ELNS1_3gpuE7ELNS1_3repE0EEENS1_30default_config_static_selectorELNS0_4arch9wavefront6targetE1EEEvT1_, .Lfunc_end307-_ZN7rocprim17ROCPRIM_400000_NS6detail17trampoline_kernelINS0_14default_configENS1_33run_length_encode_config_selectorIdjNS0_4plusIjEEEEZZNS1_33reduce_by_key_impl_wrapped_configILNS1_25lookback_scan_determinismE0ES3_S7_PKdNS0_17constant_iteratorIjlEEPdPlSF_S6_NS0_8equal_toIdEEEE10hipError_tPvRmT2_T3_mT4_T5_T6_T7_T8_P12ihipStream_tbENKUlT_T0_E_clISt17integral_constantIbLb0EESZ_EEDaSU_SV_EUlSU_E_NS1_11comp_targetILNS1_3genE3ELNS1_11target_archE908ELNS1_3gpuE7ELNS1_3repE0EEENS1_30default_config_static_selectorELNS0_4arch9wavefront6targetE1EEEvT1_
                                        ; -- End function
	.section	.AMDGPU.csdata,"",@progbits
; Kernel info:
; codeLenInByte = 0
; NumSgprs: 4
; NumVgprs: 0
; NumAgprs: 0
; TotalNumVgprs: 0
; ScratchSize: 0
; MemoryBound: 0
; FloatMode: 240
; IeeeMode: 1
; LDSByteSize: 0 bytes/workgroup (compile time only)
; SGPRBlocks: 0
; VGPRBlocks: 0
; NumSGPRsForWavesPerEU: 4
; NumVGPRsForWavesPerEU: 1
; AccumOffset: 4
; Occupancy: 8
; WaveLimiterHint : 0
; COMPUTE_PGM_RSRC2:SCRATCH_EN: 0
; COMPUTE_PGM_RSRC2:USER_SGPR: 6
; COMPUTE_PGM_RSRC2:TRAP_HANDLER: 0
; COMPUTE_PGM_RSRC2:TGID_X_EN: 1
; COMPUTE_PGM_RSRC2:TGID_Y_EN: 0
; COMPUTE_PGM_RSRC2:TGID_Z_EN: 0
; COMPUTE_PGM_RSRC2:TIDIG_COMP_CNT: 0
; COMPUTE_PGM_RSRC3_GFX90A:ACCUM_OFFSET: 0
; COMPUTE_PGM_RSRC3_GFX90A:TG_SPLIT: 0
	.section	.text._ZN7rocprim17ROCPRIM_400000_NS6detail17trampoline_kernelINS0_14default_configENS1_33run_length_encode_config_selectorIdjNS0_4plusIjEEEEZZNS1_33reduce_by_key_impl_wrapped_configILNS1_25lookback_scan_determinismE0ES3_S7_PKdNS0_17constant_iteratorIjlEEPdPlSF_S6_NS0_8equal_toIdEEEE10hipError_tPvRmT2_T3_mT4_T5_T6_T7_T8_P12ihipStream_tbENKUlT_T0_E_clISt17integral_constantIbLb0EESZ_EEDaSU_SV_EUlSU_E_NS1_11comp_targetILNS1_3genE2ELNS1_11target_archE906ELNS1_3gpuE6ELNS1_3repE0EEENS1_30default_config_static_selectorELNS0_4arch9wavefront6targetE1EEEvT1_,"axG",@progbits,_ZN7rocprim17ROCPRIM_400000_NS6detail17trampoline_kernelINS0_14default_configENS1_33run_length_encode_config_selectorIdjNS0_4plusIjEEEEZZNS1_33reduce_by_key_impl_wrapped_configILNS1_25lookback_scan_determinismE0ES3_S7_PKdNS0_17constant_iteratorIjlEEPdPlSF_S6_NS0_8equal_toIdEEEE10hipError_tPvRmT2_T3_mT4_T5_T6_T7_T8_P12ihipStream_tbENKUlT_T0_E_clISt17integral_constantIbLb0EESZ_EEDaSU_SV_EUlSU_E_NS1_11comp_targetILNS1_3genE2ELNS1_11target_archE906ELNS1_3gpuE6ELNS1_3repE0EEENS1_30default_config_static_selectorELNS0_4arch9wavefront6targetE1EEEvT1_,comdat
	.protected	_ZN7rocprim17ROCPRIM_400000_NS6detail17trampoline_kernelINS0_14default_configENS1_33run_length_encode_config_selectorIdjNS0_4plusIjEEEEZZNS1_33reduce_by_key_impl_wrapped_configILNS1_25lookback_scan_determinismE0ES3_S7_PKdNS0_17constant_iteratorIjlEEPdPlSF_S6_NS0_8equal_toIdEEEE10hipError_tPvRmT2_T3_mT4_T5_T6_T7_T8_P12ihipStream_tbENKUlT_T0_E_clISt17integral_constantIbLb0EESZ_EEDaSU_SV_EUlSU_E_NS1_11comp_targetILNS1_3genE2ELNS1_11target_archE906ELNS1_3gpuE6ELNS1_3repE0EEENS1_30default_config_static_selectorELNS0_4arch9wavefront6targetE1EEEvT1_ ; -- Begin function _ZN7rocprim17ROCPRIM_400000_NS6detail17trampoline_kernelINS0_14default_configENS1_33run_length_encode_config_selectorIdjNS0_4plusIjEEEEZZNS1_33reduce_by_key_impl_wrapped_configILNS1_25lookback_scan_determinismE0ES3_S7_PKdNS0_17constant_iteratorIjlEEPdPlSF_S6_NS0_8equal_toIdEEEE10hipError_tPvRmT2_T3_mT4_T5_T6_T7_T8_P12ihipStream_tbENKUlT_T0_E_clISt17integral_constantIbLb0EESZ_EEDaSU_SV_EUlSU_E_NS1_11comp_targetILNS1_3genE2ELNS1_11target_archE906ELNS1_3gpuE6ELNS1_3repE0EEENS1_30default_config_static_selectorELNS0_4arch9wavefront6targetE1EEEvT1_
	.globl	_ZN7rocprim17ROCPRIM_400000_NS6detail17trampoline_kernelINS0_14default_configENS1_33run_length_encode_config_selectorIdjNS0_4plusIjEEEEZZNS1_33reduce_by_key_impl_wrapped_configILNS1_25lookback_scan_determinismE0ES3_S7_PKdNS0_17constant_iteratorIjlEEPdPlSF_S6_NS0_8equal_toIdEEEE10hipError_tPvRmT2_T3_mT4_T5_T6_T7_T8_P12ihipStream_tbENKUlT_T0_E_clISt17integral_constantIbLb0EESZ_EEDaSU_SV_EUlSU_E_NS1_11comp_targetILNS1_3genE2ELNS1_11target_archE906ELNS1_3gpuE6ELNS1_3repE0EEENS1_30default_config_static_selectorELNS0_4arch9wavefront6targetE1EEEvT1_
	.p2align	8
	.type	_ZN7rocprim17ROCPRIM_400000_NS6detail17trampoline_kernelINS0_14default_configENS1_33run_length_encode_config_selectorIdjNS0_4plusIjEEEEZZNS1_33reduce_by_key_impl_wrapped_configILNS1_25lookback_scan_determinismE0ES3_S7_PKdNS0_17constant_iteratorIjlEEPdPlSF_S6_NS0_8equal_toIdEEEE10hipError_tPvRmT2_T3_mT4_T5_T6_T7_T8_P12ihipStream_tbENKUlT_T0_E_clISt17integral_constantIbLb0EESZ_EEDaSU_SV_EUlSU_E_NS1_11comp_targetILNS1_3genE2ELNS1_11target_archE906ELNS1_3gpuE6ELNS1_3repE0EEENS1_30default_config_static_selectorELNS0_4arch9wavefront6targetE1EEEvT1_,@function
_ZN7rocprim17ROCPRIM_400000_NS6detail17trampoline_kernelINS0_14default_configENS1_33run_length_encode_config_selectorIdjNS0_4plusIjEEEEZZNS1_33reduce_by_key_impl_wrapped_configILNS1_25lookback_scan_determinismE0ES3_S7_PKdNS0_17constant_iteratorIjlEEPdPlSF_S6_NS0_8equal_toIdEEEE10hipError_tPvRmT2_T3_mT4_T5_T6_T7_T8_P12ihipStream_tbENKUlT_T0_E_clISt17integral_constantIbLb0EESZ_EEDaSU_SV_EUlSU_E_NS1_11comp_targetILNS1_3genE2ELNS1_11target_archE906ELNS1_3gpuE6ELNS1_3repE0EEENS1_30default_config_static_selectorELNS0_4arch9wavefront6targetE1EEEvT1_: ; @_ZN7rocprim17ROCPRIM_400000_NS6detail17trampoline_kernelINS0_14default_configENS1_33run_length_encode_config_selectorIdjNS0_4plusIjEEEEZZNS1_33reduce_by_key_impl_wrapped_configILNS1_25lookback_scan_determinismE0ES3_S7_PKdNS0_17constant_iteratorIjlEEPdPlSF_S6_NS0_8equal_toIdEEEE10hipError_tPvRmT2_T3_mT4_T5_T6_T7_T8_P12ihipStream_tbENKUlT_T0_E_clISt17integral_constantIbLb0EESZ_EEDaSU_SV_EUlSU_E_NS1_11comp_targetILNS1_3genE2ELNS1_11target_archE906ELNS1_3gpuE6ELNS1_3repE0EEENS1_30default_config_static_selectorELNS0_4arch9wavefront6targetE1EEEvT1_
; %bb.0:
	.section	.rodata,"a",@progbits
	.p2align	6, 0x0
	.amdhsa_kernel _ZN7rocprim17ROCPRIM_400000_NS6detail17trampoline_kernelINS0_14default_configENS1_33run_length_encode_config_selectorIdjNS0_4plusIjEEEEZZNS1_33reduce_by_key_impl_wrapped_configILNS1_25lookback_scan_determinismE0ES3_S7_PKdNS0_17constant_iteratorIjlEEPdPlSF_S6_NS0_8equal_toIdEEEE10hipError_tPvRmT2_T3_mT4_T5_T6_T7_T8_P12ihipStream_tbENKUlT_T0_E_clISt17integral_constantIbLb0EESZ_EEDaSU_SV_EUlSU_E_NS1_11comp_targetILNS1_3genE2ELNS1_11target_archE906ELNS1_3gpuE6ELNS1_3repE0EEENS1_30default_config_static_selectorELNS0_4arch9wavefront6targetE1EEEvT1_
		.amdhsa_group_segment_fixed_size 0
		.amdhsa_private_segment_fixed_size 0
		.amdhsa_kernarg_size 128
		.amdhsa_user_sgpr_count 6
		.amdhsa_user_sgpr_private_segment_buffer 1
		.amdhsa_user_sgpr_dispatch_ptr 0
		.amdhsa_user_sgpr_queue_ptr 0
		.amdhsa_user_sgpr_kernarg_segment_ptr 1
		.amdhsa_user_sgpr_dispatch_id 0
		.amdhsa_user_sgpr_flat_scratch_init 0
		.amdhsa_user_sgpr_kernarg_preload_length 0
		.amdhsa_user_sgpr_kernarg_preload_offset 0
		.amdhsa_user_sgpr_private_segment_size 0
		.amdhsa_uses_dynamic_stack 0
		.amdhsa_system_sgpr_private_segment_wavefront_offset 0
		.amdhsa_system_sgpr_workgroup_id_x 1
		.amdhsa_system_sgpr_workgroup_id_y 0
		.amdhsa_system_sgpr_workgroup_id_z 0
		.amdhsa_system_sgpr_workgroup_info 0
		.amdhsa_system_vgpr_workitem_id 0
		.amdhsa_next_free_vgpr 1
		.amdhsa_next_free_sgpr 0
		.amdhsa_accum_offset 4
		.amdhsa_reserve_vcc 0
		.amdhsa_reserve_flat_scratch 0
		.amdhsa_float_round_mode_32 0
		.amdhsa_float_round_mode_16_64 0
		.amdhsa_float_denorm_mode_32 3
		.amdhsa_float_denorm_mode_16_64 3
		.amdhsa_dx10_clamp 1
		.amdhsa_ieee_mode 1
		.amdhsa_fp16_overflow 0
		.amdhsa_tg_split 0
		.amdhsa_exception_fp_ieee_invalid_op 0
		.amdhsa_exception_fp_denorm_src 0
		.amdhsa_exception_fp_ieee_div_zero 0
		.amdhsa_exception_fp_ieee_overflow 0
		.amdhsa_exception_fp_ieee_underflow 0
		.amdhsa_exception_fp_ieee_inexact 0
		.amdhsa_exception_int_div_zero 0
	.end_amdhsa_kernel
	.section	.text._ZN7rocprim17ROCPRIM_400000_NS6detail17trampoline_kernelINS0_14default_configENS1_33run_length_encode_config_selectorIdjNS0_4plusIjEEEEZZNS1_33reduce_by_key_impl_wrapped_configILNS1_25lookback_scan_determinismE0ES3_S7_PKdNS0_17constant_iteratorIjlEEPdPlSF_S6_NS0_8equal_toIdEEEE10hipError_tPvRmT2_T3_mT4_T5_T6_T7_T8_P12ihipStream_tbENKUlT_T0_E_clISt17integral_constantIbLb0EESZ_EEDaSU_SV_EUlSU_E_NS1_11comp_targetILNS1_3genE2ELNS1_11target_archE906ELNS1_3gpuE6ELNS1_3repE0EEENS1_30default_config_static_selectorELNS0_4arch9wavefront6targetE1EEEvT1_,"axG",@progbits,_ZN7rocprim17ROCPRIM_400000_NS6detail17trampoline_kernelINS0_14default_configENS1_33run_length_encode_config_selectorIdjNS0_4plusIjEEEEZZNS1_33reduce_by_key_impl_wrapped_configILNS1_25lookback_scan_determinismE0ES3_S7_PKdNS0_17constant_iteratorIjlEEPdPlSF_S6_NS0_8equal_toIdEEEE10hipError_tPvRmT2_T3_mT4_T5_T6_T7_T8_P12ihipStream_tbENKUlT_T0_E_clISt17integral_constantIbLb0EESZ_EEDaSU_SV_EUlSU_E_NS1_11comp_targetILNS1_3genE2ELNS1_11target_archE906ELNS1_3gpuE6ELNS1_3repE0EEENS1_30default_config_static_selectorELNS0_4arch9wavefront6targetE1EEEvT1_,comdat
.Lfunc_end308:
	.size	_ZN7rocprim17ROCPRIM_400000_NS6detail17trampoline_kernelINS0_14default_configENS1_33run_length_encode_config_selectorIdjNS0_4plusIjEEEEZZNS1_33reduce_by_key_impl_wrapped_configILNS1_25lookback_scan_determinismE0ES3_S7_PKdNS0_17constant_iteratorIjlEEPdPlSF_S6_NS0_8equal_toIdEEEE10hipError_tPvRmT2_T3_mT4_T5_T6_T7_T8_P12ihipStream_tbENKUlT_T0_E_clISt17integral_constantIbLb0EESZ_EEDaSU_SV_EUlSU_E_NS1_11comp_targetILNS1_3genE2ELNS1_11target_archE906ELNS1_3gpuE6ELNS1_3repE0EEENS1_30default_config_static_selectorELNS0_4arch9wavefront6targetE1EEEvT1_, .Lfunc_end308-_ZN7rocprim17ROCPRIM_400000_NS6detail17trampoline_kernelINS0_14default_configENS1_33run_length_encode_config_selectorIdjNS0_4plusIjEEEEZZNS1_33reduce_by_key_impl_wrapped_configILNS1_25lookback_scan_determinismE0ES3_S7_PKdNS0_17constant_iteratorIjlEEPdPlSF_S6_NS0_8equal_toIdEEEE10hipError_tPvRmT2_T3_mT4_T5_T6_T7_T8_P12ihipStream_tbENKUlT_T0_E_clISt17integral_constantIbLb0EESZ_EEDaSU_SV_EUlSU_E_NS1_11comp_targetILNS1_3genE2ELNS1_11target_archE906ELNS1_3gpuE6ELNS1_3repE0EEENS1_30default_config_static_selectorELNS0_4arch9wavefront6targetE1EEEvT1_
                                        ; -- End function
	.section	.AMDGPU.csdata,"",@progbits
; Kernel info:
; codeLenInByte = 0
; NumSgprs: 4
; NumVgprs: 0
; NumAgprs: 0
; TotalNumVgprs: 0
; ScratchSize: 0
; MemoryBound: 0
; FloatMode: 240
; IeeeMode: 1
; LDSByteSize: 0 bytes/workgroup (compile time only)
; SGPRBlocks: 0
; VGPRBlocks: 0
; NumSGPRsForWavesPerEU: 4
; NumVGPRsForWavesPerEU: 1
; AccumOffset: 4
; Occupancy: 8
; WaveLimiterHint : 0
; COMPUTE_PGM_RSRC2:SCRATCH_EN: 0
; COMPUTE_PGM_RSRC2:USER_SGPR: 6
; COMPUTE_PGM_RSRC2:TRAP_HANDLER: 0
; COMPUTE_PGM_RSRC2:TGID_X_EN: 1
; COMPUTE_PGM_RSRC2:TGID_Y_EN: 0
; COMPUTE_PGM_RSRC2:TGID_Z_EN: 0
; COMPUTE_PGM_RSRC2:TIDIG_COMP_CNT: 0
; COMPUTE_PGM_RSRC3_GFX90A:ACCUM_OFFSET: 0
; COMPUTE_PGM_RSRC3_GFX90A:TG_SPLIT: 0
	.section	.text._ZN7rocprim17ROCPRIM_400000_NS6detail17trampoline_kernelINS0_14default_configENS1_33run_length_encode_config_selectorIdjNS0_4plusIjEEEEZZNS1_33reduce_by_key_impl_wrapped_configILNS1_25lookback_scan_determinismE0ES3_S7_PKdNS0_17constant_iteratorIjlEEPdPlSF_S6_NS0_8equal_toIdEEEE10hipError_tPvRmT2_T3_mT4_T5_T6_T7_T8_P12ihipStream_tbENKUlT_T0_E_clISt17integral_constantIbLb0EESZ_EEDaSU_SV_EUlSU_E_NS1_11comp_targetILNS1_3genE10ELNS1_11target_archE1201ELNS1_3gpuE5ELNS1_3repE0EEENS1_30default_config_static_selectorELNS0_4arch9wavefront6targetE1EEEvT1_,"axG",@progbits,_ZN7rocprim17ROCPRIM_400000_NS6detail17trampoline_kernelINS0_14default_configENS1_33run_length_encode_config_selectorIdjNS0_4plusIjEEEEZZNS1_33reduce_by_key_impl_wrapped_configILNS1_25lookback_scan_determinismE0ES3_S7_PKdNS0_17constant_iteratorIjlEEPdPlSF_S6_NS0_8equal_toIdEEEE10hipError_tPvRmT2_T3_mT4_T5_T6_T7_T8_P12ihipStream_tbENKUlT_T0_E_clISt17integral_constantIbLb0EESZ_EEDaSU_SV_EUlSU_E_NS1_11comp_targetILNS1_3genE10ELNS1_11target_archE1201ELNS1_3gpuE5ELNS1_3repE0EEENS1_30default_config_static_selectorELNS0_4arch9wavefront6targetE1EEEvT1_,comdat
	.protected	_ZN7rocprim17ROCPRIM_400000_NS6detail17trampoline_kernelINS0_14default_configENS1_33run_length_encode_config_selectorIdjNS0_4plusIjEEEEZZNS1_33reduce_by_key_impl_wrapped_configILNS1_25lookback_scan_determinismE0ES3_S7_PKdNS0_17constant_iteratorIjlEEPdPlSF_S6_NS0_8equal_toIdEEEE10hipError_tPvRmT2_T3_mT4_T5_T6_T7_T8_P12ihipStream_tbENKUlT_T0_E_clISt17integral_constantIbLb0EESZ_EEDaSU_SV_EUlSU_E_NS1_11comp_targetILNS1_3genE10ELNS1_11target_archE1201ELNS1_3gpuE5ELNS1_3repE0EEENS1_30default_config_static_selectorELNS0_4arch9wavefront6targetE1EEEvT1_ ; -- Begin function _ZN7rocprim17ROCPRIM_400000_NS6detail17trampoline_kernelINS0_14default_configENS1_33run_length_encode_config_selectorIdjNS0_4plusIjEEEEZZNS1_33reduce_by_key_impl_wrapped_configILNS1_25lookback_scan_determinismE0ES3_S7_PKdNS0_17constant_iteratorIjlEEPdPlSF_S6_NS0_8equal_toIdEEEE10hipError_tPvRmT2_T3_mT4_T5_T6_T7_T8_P12ihipStream_tbENKUlT_T0_E_clISt17integral_constantIbLb0EESZ_EEDaSU_SV_EUlSU_E_NS1_11comp_targetILNS1_3genE10ELNS1_11target_archE1201ELNS1_3gpuE5ELNS1_3repE0EEENS1_30default_config_static_selectorELNS0_4arch9wavefront6targetE1EEEvT1_
	.globl	_ZN7rocprim17ROCPRIM_400000_NS6detail17trampoline_kernelINS0_14default_configENS1_33run_length_encode_config_selectorIdjNS0_4plusIjEEEEZZNS1_33reduce_by_key_impl_wrapped_configILNS1_25lookback_scan_determinismE0ES3_S7_PKdNS0_17constant_iteratorIjlEEPdPlSF_S6_NS0_8equal_toIdEEEE10hipError_tPvRmT2_T3_mT4_T5_T6_T7_T8_P12ihipStream_tbENKUlT_T0_E_clISt17integral_constantIbLb0EESZ_EEDaSU_SV_EUlSU_E_NS1_11comp_targetILNS1_3genE10ELNS1_11target_archE1201ELNS1_3gpuE5ELNS1_3repE0EEENS1_30default_config_static_selectorELNS0_4arch9wavefront6targetE1EEEvT1_
	.p2align	8
	.type	_ZN7rocprim17ROCPRIM_400000_NS6detail17trampoline_kernelINS0_14default_configENS1_33run_length_encode_config_selectorIdjNS0_4plusIjEEEEZZNS1_33reduce_by_key_impl_wrapped_configILNS1_25lookback_scan_determinismE0ES3_S7_PKdNS0_17constant_iteratorIjlEEPdPlSF_S6_NS0_8equal_toIdEEEE10hipError_tPvRmT2_T3_mT4_T5_T6_T7_T8_P12ihipStream_tbENKUlT_T0_E_clISt17integral_constantIbLb0EESZ_EEDaSU_SV_EUlSU_E_NS1_11comp_targetILNS1_3genE10ELNS1_11target_archE1201ELNS1_3gpuE5ELNS1_3repE0EEENS1_30default_config_static_selectorELNS0_4arch9wavefront6targetE1EEEvT1_,@function
_ZN7rocprim17ROCPRIM_400000_NS6detail17trampoline_kernelINS0_14default_configENS1_33run_length_encode_config_selectorIdjNS0_4plusIjEEEEZZNS1_33reduce_by_key_impl_wrapped_configILNS1_25lookback_scan_determinismE0ES3_S7_PKdNS0_17constant_iteratorIjlEEPdPlSF_S6_NS0_8equal_toIdEEEE10hipError_tPvRmT2_T3_mT4_T5_T6_T7_T8_P12ihipStream_tbENKUlT_T0_E_clISt17integral_constantIbLb0EESZ_EEDaSU_SV_EUlSU_E_NS1_11comp_targetILNS1_3genE10ELNS1_11target_archE1201ELNS1_3gpuE5ELNS1_3repE0EEENS1_30default_config_static_selectorELNS0_4arch9wavefront6targetE1EEEvT1_: ; @_ZN7rocprim17ROCPRIM_400000_NS6detail17trampoline_kernelINS0_14default_configENS1_33run_length_encode_config_selectorIdjNS0_4plusIjEEEEZZNS1_33reduce_by_key_impl_wrapped_configILNS1_25lookback_scan_determinismE0ES3_S7_PKdNS0_17constant_iteratorIjlEEPdPlSF_S6_NS0_8equal_toIdEEEE10hipError_tPvRmT2_T3_mT4_T5_T6_T7_T8_P12ihipStream_tbENKUlT_T0_E_clISt17integral_constantIbLb0EESZ_EEDaSU_SV_EUlSU_E_NS1_11comp_targetILNS1_3genE10ELNS1_11target_archE1201ELNS1_3gpuE5ELNS1_3repE0EEENS1_30default_config_static_selectorELNS0_4arch9wavefront6targetE1EEEvT1_
; %bb.0:
	.section	.rodata,"a",@progbits
	.p2align	6, 0x0
	.amdhsa_kernel _ZN7rocprim17ROCPRIM_400000_NS6detail17trampoline_kernelINS0_14default_configENS1_33run_length_encode_config_selectorIdjNS0_4plusIjEEEEZZNS1_33reduce_by_key_impl_wrapped_configILNS1_25lookback_scan_determinismE0ES3_S7_PKdNS0_17constant_iteratorIjlEEPdPlSF_S6_NS0_8equal_toIdEEEE10hipError_tPvRmT2_T3_mT4_T5_T6_T7_T8_P12ihipStream_tbENKUlT_T0_E_clISt17integral_constantIbLb0EESZ_EEDaSU_SV_EUlSU_E_NS1_11comp_targetILNS1_3genE10ELNS1_11target_archE1201ELNS1_3gpuE5ELNS1_3repE0EEENS1_30default_config_static_selectorELNS0_4arch9wavefront6targetE1EEEvT1_
		.amdhsa_group_segment_fixed_size 0
		.amdhsa_private_segment_fixed_size 0
		.amdhsa_kernarg_size 128
		.amdhsa_user_sgpr_count 6
		.amdhsa_user_sgpr_private_segment_buffer 1
		.amdhsa_user_sgpr_dispatch_ptr 0
		.amdhsa_user_sgpr_queue_ptr 0
		.amdhsa_user_sgpr_kernarg_segment_ptr 1
		.amdhsa_user_sgpr_dispatch_id 0
		.amdhsa_user_sgpr_flat_scratch_init 0
		.amdhsa_user_sgpr_kernarg_preload_length 0
		.amdhsa_user_sgpr_kernarg_preload_offset 0
		.amdhsa_user_sgpr_private_segment_size 0
		.amdhsa_uses_dynamic_stack 0
		.amdhsa_system_sgpr_private_segment_wavefront_offset 0
		.amdhsa_system_sgpr_workgroup_id_x 1
		.amdhsa_system_sgpr_workgroup_id_y 0
		.amdhsa_system_sgpr_workgroup_id_z 0
		.amdhsa_system_sgpr_workgroup_info 0
		.amdhsa_system_vgpr_workitem_id 0
		.amdhsa_next_free_vgpr 1
		.amdhsa_next_free_sgpr 0
		.amdhsa_accum_offset 4
		.amdhsa_reserve_vcc 0
		.amdhsa_reserve_flat_scratch 0
		.amdhsa_float_round_mode_32 0
		.amdhsa_float_round_mode_16_64 0
		.amdhsa_float_denorm_mode_32 3
		.amdhsa_float_denorm_mode_16_64 3
		.amdhsa_dx10_clamp 1
		.amdhsa_ieee_mode 1
		.amdhsa_fp16_overflow 0
		.amdhsa_tg_split 0
		.amdhsa_exception_fp_ieee_invalid_op 0
		.amdhsa_exception_fp_denorm_src 0
		.amdhsa_exception_fp_ieee_div_zero 0
		.amdhsa_exception_fp_ieee_overflow 0
		.amdhsa_exception_fp_ieee_underflow 0
		.amdhsa_exception_fp_ieee_inexact 0
		.amdhsa_exception_int_div_zero 0
	.end_amdhsa_kernel
	.section	.text._ZN7rocprim17ROCPRIM_400000_NS6detail17trampoline_kernelINS0_14default_configENS1_33run_length_encode_config_selectorIdjNS0_4plusIjEEEEZZNS1_33reduce_by_key_impl_wrapped_configILNS1_25lookback_scan_determinismE0ES3_S7_PKdNS0_17constant_iteratorIjlEEPdPlSF_S6_NS0_8equal_toIdEEEE10hipError_tPvRmT2_T3_mT4_T5_T6_T7_T8_P12ihipStream_tbENKUlT_T0_E_clISt17integral_constantIbLb0EESZ_EEDaSU_SV_EUlSU_E_NS1_11comp_targetILNS1_3genE10ELNS1_11target_archE1201ELNS1_3gpuE5ELNS1_3repE0EEENS1_30default_config_static_selectorELNS0_4arch9wavefront6targetE1EEEvT1_,"axG",@progbits,_ZN7rocprim17ROCPRIM_400000_NS6detail17trampoline_kernelINS0_14default_configENS1_33run_length_encode_config_selectorIdjNS0_4plusIjEEEEZZNS1_33reduce_by_key_impl_wrapped_configILNS1_25lookback_scan_determinismE0ES3_S7_PKdNS0_17constant_iteratorIjlEEPdPlSF_S6_NS0_8equal_toIdEEEE10hipError_tPvRmT2_T3_mT4_T5_T6_T7_T8_P12ihipStream_tbENKUlT_T0_E_clISt17integral_constantIbLb0EESZ_EEDaSU_SV_EUlSU_E_NS1_11comp_targetILNS1_3genE10ELNS1_11target_archE1201ELNS1_3gpuE5ELNS1_3repE0EEENS1_30default_config_static_selectorELNS0_4arch9wavefront6targetE1EEEvT1_,comdat
.Lfunc_end309:
	.size	_ZN7rocprim17ROCPRIM_400000_NS6detail17trampoline_kernelINS0_14default_configENS1_33run_length_encode_config_selectorIdjNS0_4plusIjEEEEZZNS1_33reduce_by_key_impl_wrapped_configILNS1_25lookback_scan_determinismE0ES3_S7_PKdNS0_17constant_iteratorIjlEEPdPlSF_S6_NS0_8equal_toIdEEEE10hipError_tPvRmT2_T3_mT4_T5_T6_T7_T8_P12ihipStream_tbENKUlT_T0_E_clISt17integral_constantIbLb0EESZ_EEDaSU_SV_EUlSU_E_NS1_11comp_targetILNS1_3genE10ELNS1_11target_archE1201ELNS1_3gpuE5ELNS1_3repE0EEENS1_30default_config_static_selectorELNS0_4arch9wavefront6targetE1EEEvT1_, .Lfunc_end309-_ZN7rocprim17ROCPRIM_400000_NS6detail17trampoline_kernelINS0_14default_configENS1_33run_length_encode_config_selectorIdjNS0_4plusIjEEEEZZNS1_33reduce_by_key_impl_wrapped_configILNS1_25lookback_scan_determinismE0ES3_S7_PKdNS0_17constant_iteratorIjlEEPdPlSF_S6_NS0_8equal_toIdEEEE10hipError_tPvRmT2_T3_mT4_T5_T6_T7_T8_P12ihipStream_tbENKUlT_T0_E_clISt17integral_constantIbLb0EESZ_EEDaSU_SV_EUlSU_E_NS1_11comp_targetILNS1_3genE10ELNS1_11target_archE1201ELNS1_3gpuE5ELNS1_3repE0EEENS1_30default_config_static_selectorELNS0_4arch9wavefront6targetE1EEEvT1_
                                        ; -- End function
	.section	.AMDGPU.csdata,"",@progbits
; Kernel info:
; codeLenInByte = 0
; NumSgprs: 4
; NumVgprs: 0
; NumAgprs: 0
; TotalNumVgprs: 0
; ScratchSize: 0
; MemoryBound: 0
; FloatMode: 240
; IeeeMode: 1
; LDSByteSize: 0 bytes/workgroup (compile time only)
; SGPRBlocks: 0
; VGPRBlocks: 0
; NumSGPRsForWavesPerEU: 4
; NumVGPRsForWavesPerEU: 1
; AccumOffset: 4
; Occupancy: 8
; WaveLimiterHint : 0
; COMPUTE_PGM_RSRC2:SCRATCH_EN: 0
; COMPUTE_PGM_RSRC2:USER_SGPR: 6
; COMPUTE_PGM_RSRC2:TRAP_HANDLER: 0
; COMPUTE_PGM_RSRC2:TGID_X_EN: 1
; COMPUTE_PGM_RSRC2:TGID_Y_EN: 0
; COMPUTE_PGM_RSRC2:TGID_Z_EN: 0
; COMPUTE_PGM_RSRC2:TIDIG_COMP_CNT: 0
; COMPUTE_PGM_RSRC3_GFX90A:ACCUM_OFFSET: 0
; COMPUTE_PGM_RSRC3_GFX90A:TG_SPLIT: 0
	.section	.text._ZN7rocprim17ROCPRIM_400000_NS6detail17trampoline_kernelINS0_14default_configENS1_33run_length_encode_config_selectorIdjNS0_4plusIjEEEEZZNS1_33reduce_by_key_impl_wrapped_configILNS1_25lookback_scan_determinismE0ES3_S7_PKdNS0_17constant_iteratorIjlEEPdPlSF_S6_NS0_8equal_toIdEEEE10hipError_tPvRmT2_T3_mT4_T5_T6_T7_T8_P12ihipStream_tbENKUlT_T0_E_clISt17integral_constantIbLb0EESZ_EEDaSU_SV_EUlSU_E_NS1_11comp_targetILNS1_3genE10ELNS1_11target_archE1200ELNS1_3gpuE4ELNS1_3repE0EEENS1_30default_config_static_selectorELNS0_4arch9wavefront6targetE1EEEvT1_,"axG",@progbits,_ZN7rocprim17ROCPRIM_400000_NS6detail17trampoline_kernelINS0_14default_configENS1_33run_length_encode_config_selectorIdjNS0_4plusIjEEEEZZNS1_33reduce_by_key_impl_wrapped_configILNS1_25lookback_scan_determinismE0ES3_S7_PKdNS0_17constant_iteratorIjlEEPdPlSF_S6_NS0_8equal_toIdEEEE10hipError_tPvRmT2_T3_mT4_T5_T6_T7_T8_P12ihipStream_tbENKUlT_T0_E_clISt17integral_constantIbLb0EESZ_EEDaSU_SV_EUlSU_E_NS1_11comp_targetILNS1_3genE10ELNS1_11target_archE1200ELNS1_3gpuE4ELNS1_3repE0EEENS1_30default_config_static_selectorELNS0_4arch9wavefront6targetE1EEEvT1_,comdat
	.protected	_ZN7rocprim17ROCPRIM_400000_NS6detail17trampoline_kernelINS0_14default_configENS1_33run_length_encode_config_selectorIdjNS0_4plusIjEEEEZZNS1_33reduce_by_key_impl_wrapped_configILNS1_25lookback_scan_determinismE0ES3_S7_PKdNS0_17constant_iteratorIjlEEPdPlSF_S6_NS0_8equal_toIdEEEE10hipError_tPvRmT2_T3_mT4_T5_T6_T7_T8_P12ihipStream_tbENKUlT_T0_E_clISt17integral_constantIbLb0EESZ_EEDaSU_SV_EUlSU_E_NS1_11comp_targetILNS1_3genE10ELNS1_11target_archE1200ELNS1_3gpuE4ELNS1_3repE0EEENS1_30default_config_static_selectorELNS0_4arch9wavefront6targetE1EEEvT1_ ; -- Begin function _ZN7rocprim17ROCPRIM_400000_NS6detail17trampoline_kernelINS0_14default_configENS1_33run_length_encode_config_selectorIdjNS0_4plusIjEEEEZZNS1_33reduce_by_key_impl_wrapped_configILNS1_25lookback_scan_determinismE0ES3_S7_PKdNS0_17constant_iteratorIjlEEPdPlSF_S6_NS0_8equal_toIdEEEE10hipError_tPvRmT2_T3_mT4_T5_T6_T7_T8_P12ihipStream_tbENKUlT_T0_E_clISt17integral_constantIbLb0EESZ_EEDaSU_SV_EUlSU_E_NS1_11comp_targetILNS1_3genE10ELNS1_11target_archE1200ELNS1_3gpuE4ELNS1_3repE0EEENS1_30default_config_static_selectorELNS0_4arch9wavefront6targetE1EEEvT1_
	.globl	_ZN7rocprim17ROCPRIM_400000_NS6detail17trampoline_kernelINS0_14default_configENS1_33run_length_encode_config_selectorIdjNS0_4plusIjEEEEZZNS1_33reduce_by_key_impl_wrapped_configILNS1_25lookback_scan_determinismE0ES3_S7_PKdNS0_17constant_iteratorIjlEEPdPlSF_S6_NS0_8equal_toIdEEEE10hipError_tPvRmT2_T3_mT4_T5_T6_T7_T8_P12ihipStream_tbENKUlT_T0_E_clISt17integral_constantIbLb0EESZ_EEDaSU_SV_EUlSU_E_NS1_11comp_targetILNS1_3genE10ELNS1_11target_archE1200ELNS1_3gpuE4ELNS1_3repE0EEENS1_30default_config_static_selectorELNS0_4arch9wavefront6targetE1EEEvT1_
	.p2align	8
	.type	_ZN7rocprim17ROCPRIM_400000_NS6detail17trampoline_kernelINS0_14default_configENS1_33run_length_encode_config_selectorIdjNS0_4plusIjEEEEZZNS1_33reduce_by_key_impl_wrapped_configILNS1_25lookback_scan_determinismE0ES3_S7_PKdNS0_17constant_iteratorIjlEEPdPlSF_S6_NS0_8equal_toIdEEEE10hipError_tPvRmT2_T3_mT4_T5_T6_T7_T8_P12ihipStream_tbENKUlT_T0_E_clISt17integral_constantIbLb0EESZ_EEDaSU_SV_EUlSU_E_NS1_11comp_targetILNS1_3genE10ELNS1_11target_archE1200ELNS1_3gpuE4ELNS1_3repE0EEENS1_30default_config_static_selectorELNS0_4arch9wavefront6targetE1EEEvT1_,@function
_ZN7rocprim17ROCPRIM_400000_NS6detail17trampoline_kernelINS0_14default_configENS1_33run_length_encode_config_selectorIdjNS0_4plusIjEEEEZZNS1_33reduce_by_key_impl_wrapped_configILNS1_25lookback_scan_determinismE0ES3_S7_PKdNS0_17constant_iteratorIjlEEPdPlSF_S6_NS0_8equal_toIdEEEE10hipError_tPvRmT2_T3_mT4_T5_T6_T7_T8_P12ihipStream_tbENKUlT_T0_E_clISt17integral_constantIbLb0EESZ_EEDaSU_SV_EUlSU_E_NS1_11comp_targetILNS1_3genE10ELNS1_11target_archE1200ELNS1_3gpuE4ELNS1_3repE0EEENS1_30default_config_static_selectorELNS0_4arch9wavefront6targetE1EEEvT1_: ; @_ZN7rocprim17ROCPRIM_400000_NS6detail17trampoline_kernelINS0_14default_configENS1_33run_length_encode_config_selectorIdjNS0_4plusIjEEEEZZNS1_33reduce_by_key_impl_wrapped_configILNS1_25lookback_scan_determinismE0ES3_S7_PKdNS0_17constant_iteratorIjlEEPdPlSF_S6_NS0_8equal_toIdEEEE10hipError_tPvRmT2_T3_mT4_T5_T6_T7_T8_P12ihipStream_tbENKUlT_T0_E_clISt17integral_constantIbLb0EESZ_EEDaSU_SV_EUlSU_E_NS1_11comp_targetILNS1_3genE10ELNS1_11target_archE1200ELNS1_3gpuE4ELNS1_3repE0EEENS1_30default_config_static_selectorELNS0_4arch9wavefront6targetE1EEEvT1_
; %bb.0:
	.section	.rodata,"a",@progbits
	.p2align	6, 0x0
	.amdhsa_kernel _ZN7rocprim17ROCPRIM_400000_NS6detail17trampoline_kernelINS0_14default_configENS1_33run_length_encode_config_selectorIdjNS0_4plusIjEEEEZZNS1_33reduce_by_key_impl_wrapped_configILNS1_25lookback_scan_determinismE0ES3_S7_PKdNS0_17constant_iteratorIjlEEPdPlSF_S6_NS0_8equal_toIdEEEE10hipError_tPvRmT2_T3_mT4_T5_T6_T7_T8_P12ihipStream_tbENKUlT_T0_E_clISt17integral_constantIbLb0EESZ_EEDaSU_SV_EUlSU_E_NS1_11comp_targetILNS1_3genE10ELNS1_11target_archE1200ELNS1_3gpuE4ELNS1_3repE0EEENS1_30default_config_static_selectorELNS0_4arch9wavefront6targetE1EEEvT1_
		.amdhsa_group_segment_fixed_size 0
		.amdhsa_private_segment_fixed_size 0
		.amdhsa_kernarg_size 128
		.amdhsa_user_sgpr_count 6
		.amdhsa_user_sgpr_private_segment_buffer 1
		.amdhsa_user_sgpr_dispatch_ptr 0
		.amdhsa_user_sgpr_queue_ptr 0
		.amdhsa_user_sgpr_kernarg_segment_ptr 1
		.amdhsa_user_sgpr_dispatch_id 0
		.amdhsa_user_sgpr_flat_scratch_init 0
		.amdhsa_user_sgpr_kernarg_preload_length 0
		.amdhsa_user_sgpr_kernarg_preload_offset 0
		.amdhsa_user_sgpr_private_segment_size 0
		.amdhsa_uses_dynamic_stack 0
		.amdhsa_system_sgpr_private_segment_wavefront_offset 0
		.amdhsa_system_sgpr_workgroup_id_x 1
		.amdhsa_system_sgpr_workgroup_id_y 0
		.amdhsa_system_sgpr_workgroup_id_z 0
		.amdhsa_system_sgpr_workgroup_info 0
		.amdhsa_system_vgpr_workitem_id 0
		.amdhsa_next_free_vgpr 1
		.amdhsa_next_free_sgpr 0
		.amdhsa_accum_offset 4
		.amdhsa_reserve_vcc 0
		.amdhsa_reserve_flat_scratch 0
		.amdhsa_float_round_mode_32 0
		.amdhsa_float_round_mode_16_64 0
		.amdhsa_float_denorm_mode_32 3
		.amdhsa_float_denorm_mode_16_64 3
		.amdhsa_dx10_clamp 1
		.amdhsa_ieee_mode 1
		.amdhsa_fp16_overflow 0
		.amdhsa_tg_split 0
		.amdhsa_exception_fp_ieee_invalid_op 0
		.amdhsa_exception_fp_denorm_src 0
		.amdhsa_exception_fp_ieee_div_zero 0
		.amdhsa_exception_fp_ieee_overflow 0
		.amdhsa_exception_fp_ieee_underflow 0
		.amdhsa_exception_fp_ieee_inexact 0
		.amdhsa_exception_int_div_zero 0
	.end_amdhsa_kernel
	.section	.text._ZN7rocprim17ROCPRIM_400000_NS6detail17trampoline_kernelINS0_14default_configENS1_33run_length_encode_config_selectorIdjNS0_4plusIjEEEEZZNS1_33reduce_by_key_impl_wrapped_configILNS1_25lookback_scan_determinismE0ES3_S7_PKdNS0_17constant_iteratorIjlEEPdPlSF_S6_NS0_8equal_toIdEEEE10hipError_tPvRmT2_T3_mT4_T5_T6_T7_T8_P12ihipStream_tbENKUlT_T0_E_clISt17integral_constantIbLb0EESZ_EEDaSU_SV_EUlSU_E_NS1_11comp_targetILNS1_3genE10ELNS1_11target_archE1200ELNS1_3gpuE4ELNS1_3repE0EEENS1_30default_config_static_selectorELNS0_4arch9wavefront6targetE1EEEvT1_,"axG",@progbits,_ZN7rocprim17ROCPRIM_400000_NS6detail17trampoline_kernelINS0_14default_configENS1_33run_length_encode_config_selectorIdjNS0_4plusIjEEEEZZNS1_33reduce_by_key_impl_wrapped_configILNS1_25lookback_scan_determinismE0ES3_S7_PKdNS0_17constant_iteratorIjlEEPdPlSF_S6_NS0_8equal_toIdEEEE10hipError_tPvRmT2_T3_mT4_T5_T6_T7_T8_P12ihipStream_tbENKUlT_T0_E_clISt17integral_constantIbLb0EESZ_EEDaSU_SV_EUlSU_E_NS1_11comp_targetILNS1_3genE10ELNS1_11target_archE1200ELNS1_3gpuE4ELNS1_3repE0EEENS1_30default_config_static_selectorELNS0_4arch9wavefront6targetE1EEEvT1_,comdat
.Lfunc_end310:
	.size	_ZN7rocprim17ROCPRIM_400000_NS6detail17trampoline_kernelINS0_14default_configENS1_33run_length_encode_config_selectorIdjNS0_4plusIjEEEEZZNS1_33reduce_by_key_impl_wrapped_configILNS1_25lookback_scan_determinismE0ES3_S7_PKdNS0_17constant_iteratorIjlEEPdPlSF_S6_NS0_8equal_toIdEEEE10hipError_tPvRmT2_T3_mT4_T5_T6_T7_T8_P12ihipStream_tbENKUlT_T0_E_clISt17integral_constantIbLb0EESZ_EEDaSU_SV_EUlSU_E_NS1_11comp_targetILNS1_3genE10ELNS1_11target_archE1200ELNS1_3gpuE4ELNS1_3repE0EEENS1_30default_config_static_selectorELNS0_4arch9wavefront6targetE1EEEvT1_, .Lfunc_end310-_ZN7rocprim17ROCPRIM_400000_NS6detail17trampoline_kernelINS0_14default_configENS1_33run_length_encode_config_selectorIdjNS0_4plusIjEEEEZZNS1_33reduce_by_key_impl_wrapped_configILNS1_25lookback_scan_determinismE0ES3_S7_PKdNS0_17constant_iteratorIjlEEPdPlSF_S6_NS0_8equal_toIdEEEE10hipError_tPvRmT2_T3_mT4_T5_T6_T7_T8_P12ihipStream_tbENKUlT_T0_E_clISt17integral_constantIbLb0EESZ_EEDaSU_SV_EUlSU_E_NS1_11comp_targetILNS1_3genE10ELNS1_11target_archE1200ELNS1_3gpuE4ELNS1_3repE0EEENS1_30default_config_static_selectorELNS0_4arch9wavefront6targetE1EEEvT1_
                                        ; -- End function
	.section	.AMDGPU.csdata,"",@progbits
; Kernel info:
; codeLenInByte = 0
; NumSgprs: 4
; NumVgprs: 0
; NumAgprs: 0
; TotalNumVgprs: 0
; ScratchSize: 0
; MemoryBound: 0
; FloatMode: 240
; IeeeMode: 1
; LDSByteSize: 0 bytes/workgroup (compile time only)
; SGPRBlocks: 0
; VGPRBlocks: 0
; NumSGPRsForWavesPerEU: 4
; NumVGPRsForWavesPerEU: 1
; AccumOffset: 4
; Occupancy: 8
; WaveLimiterHint : 0
; COMPUTE_PGM_RSRC2:SCRATCH_EN: 0
; COMPUTE_PGM_RSRC2:USER_SGPR: 6
; COMPUTE_PGM_RSRC2:TRAP_HANDLER: 0
; COMPUTE_PGM_RSRC2:TGID_X_EN: 1
; COMPUTE_PGM_RSRC2:TGID_Y_EN: 0
; COMPUTE_PGM_RSRC2:TGID_Z_EN: 0
; COMPUTE_PGM_RSRC2:TIDIG_COMP_CNT: 0
; COMPUTE_PGM_RSRC3_GFX90A:ACCUM_OFFSET: 0
; COMPUTE_PGM_RSRC3_GFX90A:TG_SPLIT: 0
	.section	.text._ZN7rocprim17ROCPRIM_400000_NS6detail17trampoline_kernelINS0_14default_configENS1_33run_length_encode_config_selectorIdjNS0_4plusIjEEEEZZNS1_33reduce_by_key_impl_wrapped_configILNS1_25lookback_scan_determinismE0ES3_S7_PKdNS0_17constant_iteratorIjlEEPdPlSF_S6_NS0_8equal_toIdEEEE10hipError_tPvRmT2_T3_mT4_T5_T6_T7_T8_P12ihipStream_tbENKUlT_T0_E_clISt17integral_constantIbLb0EESZ_EEDaSU_SV_EUlSU_E_NS1_11comp_targetILNS1_3genE9ELNS1_11target_archE1100ELNS1_3gpuE3ELNS1_3repE0EEENS1_30default_config_static_selectorELNS0_4arch9wavefront6targetE1EEEvT1_,"axG",@progbits,_ZN7rocprim17ROCPRIM_400000_NS6detail17trampoline_kernelINS0_14default_configENS1_33run_length_encode_config_selectorIdjNS0_4plusIjEEEEZZNS1_33reduce_by_key_impl_wrapped_configILNS1_25lookback_scan_determinismE0ES3_S7_PKdNS0_17constant_iteratorIjlEEPdPlSF_S6_NS0_8equal_toIdEEEE10hipError_tPvRmT2_T3_mT4_T5_T6_T7_T8_P12ihipStream_tbENKUlT_T0_E_clISt17integral_constantIbLb0EESZ_EEDaSU_SV_EUlSU_E_NS1_11comp_targetILNS1_3genE9ELNS1_11target_archE1100ELNS1_3gpuE3ELNS1_3repE0EEENS1_30default_config_static_selectorELNS0_4arch9wavefront6targetE1EEEvT1_,comdat
	.protected	_ZN7rocprim17ROCPRIM_400000_NS6detail17trampoline_kernelINS0_14default_configENS1_33run_length_encode_config_selectorIdjNS0_4plusIjEEEEZZNS1_33reduce_by_key_impl_wrapped_configILNS1_25lookback_scan_determinismE0ES3_S7_PKdNS0_17constant_iteratorIjlEEPdPlSF_S6_NS0_8equal_toIdEEEE10hipError_tPvRmT2_T3_mT4_T5_T6_T7_T8_P12ihipStream_tbENKUlT_T0_E_clISt17integral_constantIbLb0EESZ_EEDaSU_SV_EUlSU_E_NS1_11comp_targetILNS1_3genE9ELNS1_11target_archE1100ELNS1_3gpuE3ELNS1_3repE0EEENS1_30default_config_static_selectorELNS0_4arch9wavefront6targetE1EEEvT1_ ; -- Begin function _ZN7rocprim17ROCPRIM_400000_NS6detail17trampoline_kernelINS0_14default_configENS1_33run_length_encode_config_selectorIdjNS0_4plusIjEEEEZZNS1_33reduce_by_key_impl_wrapped_configILNS1_25lookback_scan_determinismE0ES3_S7_PKdNS0_17constant_iteratorIjlEEPdPlSF_S6_NS0_8equal_toIdEEEE10hipError_tPvRmT2_T3_mT4_T5_T6_T7_T8_P12ihipStream_tbENKUlT_T0_E_clISt17integral_constantIbLb0EESZ_EEDaSU_SV_EUlSU_E_NS1_11comp_targetILNS1_3genE9ELNS1_11target_archE1100ELNS1_3gpuE3ELNS1_3repE0EEENS1_30default_config_static_selectorELNS0_4arch9wavefront6targetE1EEEvT1_
	.globl	_ZN7rocprim17ROCPRIM_400000_NS6detail17trampoline_kernelINS0_14default_configENS1_33run_length_encode_config_selectorIdjNS0_4plusIjEEEEZZNS1_33reduce_by_key_impl_wrapped_configILNS1_25lookback_scan_determinismE0ES3_S7_PKdNS0_17constant_iteratorIjlEEPdPlSF_S6_NS0_8equal_toIdEEEE10hipError_tPvRmT2_T3_mT4_T5_T6_T7_T8_P12ihipStream_tbENKUlT_T0_E_clISt17integral_constantIbLb0EESZ_EEDaSU_SV_EUlSU_E_NS1_11comp_targetILNS1_3genE9ELNS1_11target_archE1100ELNS1_3gpuE3ELNS1_3repE0EEENS1_30default_config_static_selectorELNS0_4arch9wavefront6targetE1EEEvT1_
	.p2align	8
	.type	_ZN7rocprim17ROCPRIM_400000_NS6detail17trampoline_kernelINS0_14default_configENS1_33run_length_encode_config_selectorIdjNS0_4plusIjEEEEZZNS1_33reduce_by_key_impl_wrapped_configILNS1_25lookback_scan_determinismE0ES3_S7_PKdNS0_17constant_iteratorIjlEEPdPlSF_S6_NS0_8equal_toIdEEEE10hipError_tPvRmT2_T3_mT4_T5_T6_T7_T8_P12ihipStream_tbENKUlT_T0_E_clISt17integral_constantIbLb0EESZ_EEDaSU_SV_EUlSU_E_NS1_11comp_targetILNS1_3genE9ELNS1_11target_archE1100ELNS1_3gpuE3ELNS1_3repE0EEENS1_30default_config_static_selectorELNS0_4arch9wavefront6targetE1EEEvT1_,@function
_ZN7rocprim17ROCPRIM_400000_NS6detail17trampoline_kernelINS0_14default_configENS1_33run_length_encode_config_selectorIdjNS0_4plusIjEEEEZZNS1_33reduce_by_key_impl_wrapped_configILNS1_25lookback_scan_determinismE0ES3_S7_PKdNS0_17constant_iteratorIjlEEPdPlSF_S6_NS0_8equal_toIdEEEE10hipError_tPvRmT2_T3_mT4_T5_T6_T7_T8_P12ihipStream_tbENKUlT_T0_E_clISt17integral_constantIbLb0EESZ_EEDaSU_SV_EUlSU_E_NS1_11comp_targetILNS1_3genE9ELNS1_11target_archE1100ELNS1_3gpuE3ELNS1_3repE0EEENS1_30default_config_static_selectorELNS0_4arch9wavefront6targetE1EEEvT1_: ; @_ZN7rocprim17ROCPRIM_400000_NS6detail17trampoline_kernelINS0_14default_configENS1_33run_length_encode_config_selectorIdjNS0_4plusIjEEEEZZNS1_33reduce_by_key_impl_wrapped_configILNS1_25lookback_scan_determinismE0ES3_S7_PKdNS0_17constant_iteratorIjlEEPdPlSF_S6_NS0_8equal_toIdEEEE10hipError_tPvRmT2_T3_mT4_T5_T6_T7_T8_P12ihipStream_tbENKUlT_T0_E_clISt17integral_constantIbLb0EESZ_EEDaSU_SV_EUlSU_E_NS1_11comp_targetILNS1_3genE9ELNS1_11target_archE1100ELNS1_3gpuE3ELNS1_3repE0EEENS1_30default_config_static_selectorELNS0_4arch9wavefront6targetE1EEEvT1_
; %bb.0:
	.section	.rodata,"a",@progbits
	.p2align	6, 0x0
	.amdhsa_kernel _ZN7rocprim17ROCPRIM_400000_NS6detail17trampoline_kernelINS0_14default_configENS1_33run_length_encode_config_selectorIdjNS0_4plusIjEEEEZZNS1_33reduce_by_key_impl_wrapped_configILNS1_25lookback_scan_determinismE0ES3_S7_PKdNS0_17constant_iteratorIjlEEPdPlSF_S6_NS0_8equal_toIdEEEE10hipError_tPvRmT2_T3_mT4_T5_T6_T7_T8_P12ihipStream_tbENKUlT_T0_E_clISt17integral_constantIbLb0EESZ_EEDaSU_SV_EUlSU_E_NS1_11comp_targetILNS1_3genE9ELNS1_11target_archE1100ELNS1_3gpuE3ELNS1_3repE0EEENS1_30default_config_static_selectorELNS0_4arch9wavefront6targetE1EEEvT1_
		.amdhsa_group_segment_fixed_size 0
		.amdhsa_private_segment_fixed_size 0
		.amdhsa_kernarg_size 128
		.amdhsa_user_sgpr_count 6
		.amdhsa_user_sgpr_private_segment_buffer 1
		.amdhsa_user_sgpr_dispatch_ptr 0
		.amdhsa_user_sgpr_queue_ptr 0
		.amdhsa_user_sgpr_kernarg_segment_ptr 1
		.amdhsa_user_sgpr_dispatch_id 0
		.amdhsa_user_sgpr_flat_scratch_init 0
		.amdhsa_user_sgpr_kernarg_preload_length 0
		.amdhsa_user_sgpr_kernarg_preload_offset 0
		.amdhsa_user_sgpr_private_segment_size 0
		.amdhsa_uses_dynamic_stack 0
		.amdhsa_system_sgpr_private_segment_wavefront_offset 0
		.amdhsa_system_sgpr_workgroup_id_x 1
		.amdhsa_system_sgpr_workgroup_id_y 0
		.amdhsa_system_sgpr_workgroup_id_z 0
		.amdhsa_system_sgpr_workgroup_info 0
		.amdhsa_system_vgpr_workitem_id 0
		.amdhsa_next_free_vgpr 1
		.amdhsa_next_free_sgpr 0
		.amdhsa_accum_offset 4
		.amdhsa_reserve_vcc 0
		.amdhsa_reserve_flat_scratch 0
		.amdhsa_float_round_mode_32 0
		.amdhsa_float_round_mode_16_64 0
		.amdhsa_float_denorm_mode_32 3
		.amdhsa_float_denorm_mode_16_64 3
		.amdhsa_dx10_clamp 1
		.amdhsa_ieee_mode 1
		.amdhsa_fp16_overflow 0
		.amdhsa_tg_split 0
		.amdhsa_exception_fp_ieee_invalid_op 0
		.amdhsa_exception_fp_denorm_src 0
		.amdhsa_exception_fp_ieee_div_zero 0
		.amdhsa_exception_fp_ieee_overflow 0
		.amdhsa_exception_fp_ieee_underflow 0
		.amdhsa_exception_fp_ieee_inexact 0
		.amdhsa_exception_int_div_zero 0
	.end_amdhsa_kernel
	.section	.text._ZN7rocprim17ROCPRIM_400000_NS6detail17trampoline_kernelINS0_14default_configENS1_33run_length_encode_config_selectorIdjNS0_4plusIjEEEEZZNS1_33reduce_by_key_impl_wrapped_configILNS1_25lookback_scan_determinismE0ES3_S7_PKdNS0_17constant_iteratorIjlEEPdPlSF_S6_NS0_8equal_toIdEEEE10hipError_tPvRmT2_T3_mT4_T5_T6_T7_T8_P12ihipStream_tbENKUlT_T0_E_clISt17integral_constantIbLb0EESZ_EEDaSU_SV_EUlSU_E_NS1_11comp_targetILNS1_3genE9ELNS1_11target_archE1100ELNS1_3gpuE3ELNS1_3repE0EEENS1_30default_config_static_selectorELNS0_4arch9wavefront6targetE1EEEvT1_,"axG",@progbits,_ZN7rocprim17ROCPRIM_400000_NS6detail17trampoline_kernelINS0_14default_configENS1_33run_length_encode_config_selectorIdjNS0_4plusIjEEEEZZNS1_33reduce_by_key_impl_wrapped_configILNS1_25lookback_scan_determinismE0ES3_S7_PKdNS0_17constant_iteratorIjlEEPdPlSF_S6_NS0_8equal_toIdEEEE10hipError_tPvRmT2_T3_mT4_T5_T6_T7_T8_P12ihipStream_tbENKUlT_T0_E_clISt17integral_constantIbLb0EESZ_EEDaSU_SV_EUlSU_E_NS1_11comp_targetILNS1_3genE9ELNS1_11target_archE1100ELNS1_3gpuE3ELNS1_3repE0EEENS1_30default_config_static_selectorELNS0_4arch9wavefront6targetE1EEEvT1_,comdat
.Lfunc_end311:
	.size	_ZN7rocprim17ROCPRIM_400000_NS6detail17trampoline_kernelINS0_14default_configENS1_33run_length_encode_config_selectorIdjNS0_4plusIjEEEEZZNS1_33reduce_by_key_impl_wrapped_configILNS1_25lookback_scan_determinismE0ES3_S7_PKdNS0_17constant_iteratorIjlEEPdPlSF_S6_NS0_8equal_toIdEEEE10hipError_tPvRmT2_T3_mT4_T5_T6_T7_T8_P12ihipStream_tbENKUlT_T0_E_clISt17integral_constantIbLb0EESZ_EEDaSU_SV_EUlSU_E_NS1_11comp_targetILNS1_3genE9ELNS1_11target_archE1100ELNS1_3gpuE3ELNS1_3repE0EEENS1_30default_config_static_selectorELNS0_4arch9wavefront6targetE1EEEvT1_, .Lfunc_end311-_ZN7rocprim17ROCPRIM_400000_NS6detail17trampoline_kernelINS0_14default_configENS1_33run_length_encode_config_selectorIdjNS0_4plusIjEEEEZZNS1_33reduce_by_key_impl_wrapped_configILNS1_25lookback_scan_determinismE0ES3_S7_PKdNS0_17constant_iteratorIjlEEPdPlSF_S6_NS0_8equal_toIdEEEE10hipError_tPvRmT2_T3_mT4_T5_T6_T7_T8_P12ihipStream_tbENKUlT_T0_E_clISt17integral_constantIbLb0EESZ_EEDaSU_SV_EUlSU_E_NS1_11comp_targetILNS1_3genE9ELNS1_11target_archE1100ELNS1_3gpuE3ELNS1_3repE0EEENS1_30default_config_static_selectorELNS0_4arch9wavefront6targetE1EEEvT1_
                                        ; -- End function
	.section	.AMDGPU.csdata,"",@progbits
; Kernel info:
; codeLenInByte = 0
; NumSgprs: 4
; NumVgprs: 0
; NumAgprs: 0
; TotalNumVgprs: 0
; ScratchSize: 0
; MemoryBound: 0
; FloatMode: 240
; IeeeMode: 1
; LDSByteSize: 0 bytes/workgroup (compile time only)
; SGPRBlocks: 0
; VGPRBlocks: 0
; NumSGPRsForWavesPerEU: 4
; NumVGPRsForWavesPerEU: 1
; AccumOffset: 4
; Occupancy: 8
; WaveLimiterHint : 0
; COMPUTE_PGM_RSRC2:SCRATCH_EN: 0
; COMPUTE_PGM_RSRC2:USER_SGPR: 6
; COMPUTE_PGM_RSRC2:TRAP_HANDLER: 0
; COMPUTE_PGM_RSRC2:TGID_X_EN: 1
; COMPUTE_PGM_RSRC2:TGID_Y_EN: 0
; COMPUTE_PGM_RSRC2:TGID_Z_EN: 0
; COMPUTE_PGM_RSRC2:TIDIG_COMP_CNT: 0
; COMPUTE_PGM_RSRC3_GFX90A:ACCUM_OFFSET: 0
; COMPUTE_PGM_RSRC3_GFX90A:TG_SPLIT: 0
	.section	.text._ZN7rocprim17ROCPRIM_400000_NS6detail17trampoline_kernelINS0_14default_configENS1_33run_length_encode_config_selectorIdjNS0_4plusIjEEEEZZNS1_33reduce_by_key_impl_wrapped_configILNS1_25lookback_scan_determinismE0ES3_S7_PKdNS0_17constant_iteratorIjlEEPdPlSF_S6_NS0_8equal_toIdEEEE10hipError_tPvRmT2_T3_mT4_T5_T6_T7_T8_P12ihipStream_tbENKUlT_T0_E_clISt17integral_constantIbLb0EESZ_EEDaSU_SV_EUlSU_E_NS1_11comp_targetILNS1_3genE8ELNS1_11target_archE1030ELNS1_3gpuE2ELNS1_3repE0EEENS1_30default_config_static_selectorELNS0_4arch9wavefront6targetE1EEEvT1_,"axG",@progbits,_ZN7rocprim17ROCPRIM_400000_NS6detail17trampoline_kernelINS0_14default_configENS1_33run_length_encode_config_selectorIdjNS0_4plusIjEEEEZZNS1_33reduce_by_key_impl_wrapped_configILNS1_25lookback_scan_determinismE0ES3_S7_PKdNS0_17constant_iteratorIjlEEPdPlSF_S6_NS0_8equal_toIdEEEE10hipError_tPvRmT2_T3_mT4_T5_T6_T7_T8_P12ihipStream_tbENKUlT_T0_E_clISt17integral_constantIbLb0EESZ_EEDaSU_SV_EUlSU_E_NS1_11comp_targetILNS1_3genE8ELNS1_11target_archE1030ELNS1_3gpuE2ELNS1_3repE0EEENS1_30default_config_static_selectorELNS0_4arch9wavefront6targetE1EEEvT1_,comdat
	.protected	_ZN7rocprim17ROCPRIM_400000_NS6detail17trampoline_kernelINS0_14default_configENS1_33run_length_encode_config_selectorIdjNS0_4plusIjEEEEZZNS1_33reduce_by_key_impl_wrapped_configILNS1_25lookback_scan_determinismE0ES3_S7_PKdNS0_17constant_iteratorIjlEEPdPlSF_S6_NS0_8equal_toIdEEEE10hipError_tPvRmT2_T3_mT4_T5_T6_T7_T8_P12ihipStream_tbENKUlT_T0_E_clISt17integral_constantIbLb0EESZ_EEDaSU_SV_EUlSU_E_NS1_11comp_targetILNS1_3genE8ELNS1_11target_archE1030ELNS1_3gpuE2ELNS1_3repE0EEENS1_30default_config_static_selectorELNS0_4arch9wavefront6targetE1EEEvT1_ ; -- Begin function _ZN7rocprim17ROCPRIM_400000_NS6detail17trampoline_kernelINS0_14default_configENS1_33run_length_encode_config_selectorIdjNS0_4plusIjEEEEZZNS1_33reduce_by_key_impl_wrapped_configILNS1_25lookback_scan_determinismE0ES3_S7_PKdNS0_17constant_iteratorIjlEEPdPlSF_S6_NS0_8equal_toIdEEEE10hipError_tPvRmT2_T3_mT4_T5_T6_T7_T8_P12ihipStream_tbENKUlT_T0_E_clISt17integral_constantIbLb0EESZ_EEDaSU_SV_EUlSU_E_NS1_11comp_targetILNS1_3genE8ELNS1_11target_archE1030ELNS1_3gpuE2ELNS1_3repE0EEENS1_30default_config_static_selectorELNS0_4arch9wavefront6targetE1EEEvT1_
	.globl	_ZN7rocprim17ROCPRIM_400000_NS6detail17trampoline_kernelINS0_14default_configENS1_33run_length_encode_config_selectorIdjNS0_4plusIjEEEEZZNS1_33reduce_by_key_impl_wrapped_configILNS1_25lookback_scan_determinismE0ES3_S7_PKdNS0_17constant_iteratorIjlEEPdPlSF_S6_NS0_8equal_toIdEEEE10hipError_tPvRmT2_T3_mT4_T5_T6_T7_T8_P12ihipStream_tbENKUlT_T0_E_clISt17integral_constantIbLb0EESZ_EEDaSU_SV_EUlSU_E_NS1_11comp_targetILNS1_3genE8ELNS1_11target_archE1030ELNS1_3gpuE2ELNS1_3repE0EEENS1_30default_config_static_selectorELNS0_4arch9wavefront6targetE1EEEvT1_
	.p2align	8
	.type	_ZN7rocprim17ROCPRIM_400000_NS6detail17trampoline_kernelINS0_14default_configENS1_33run_length_encode_config_selectorIdjNS0_4plusIjEEEEZZNS1_33reduce_by_key_impl_wrapped_configILNS1_25lookback_scan_determinismE0ES3_S7_PKdNS0_17constant_iteratorIjlEEPdPlSF_S6_NS0_8equal_toIdEEEE10hipError_tPvRmT2_T3_mT4_T5_T6_T7_T8_P12ihipStream_tbENKUlT_T0_E_clISt17integral_constantIbLb0EESZ_EEDaSU_SV_EUlSU_E_NS1_11comp_targetILNS1_3genE8ELNS1_11target_archE1030ELNS1_3gpuE2ELNS1_3repE0EEENS1_30default_config_static_selectorELNS0_4arch9wavefront6targetE1EEEvT1_,@function
_ZN7rocprim17ROCPRIM_400000_NS6detail17trampoline_kernelINS0_14default_configENS1_33run_length_encode_config_selectorIdjNS0_4plusIjEEEEZZNS1_33reduce_by_key_impl_wrapped_configILNS1_25lookback_scan_determinismE0ES3_S7_PKdNS0_17constant_iteratorIjlEEPdPlSF_S6_NS0_8equal_toIdEEEE10hipError_tPvRmT2_T3_mT4_T5_T6_T7_T8_P12ihipStream_tbENKUlT_T0_E_clISt17integral_constantIbLb0EESZ_EEDaSU_SV_EUlSU_E_NS1_11comp_targetILNS1_3genE8ELNS1_11target_archE1030ELNS1_3gpuE2ELNS1_3repE0EEENS1_30default_config_static_selectorELNS0_4arch9wavefront6targetE1EEEvT1_: ; @_ZN7rocprim17ROCPRIM_400000_NS6detail17trampoline_kernelINS0_14default_configENS1_33run_length_encode_config_selectorIdjNS0_4plusIjEEEEZZNS1_33reduce_by_key_impl_wrapped_configILNS1_25lookback_scan_determinismE0ES3_S7_PKdNS0_17constant_iteratorIjlEEPdPlSF_S6_NS0_8equal_toIdEEEE10hipError_tPvRmT2_T3_mT4_T5_T6_T7_T8_P12ihipStream_tbENKUlT_T0_E_clISt17integral_constantIbLb0EESZ_EEDaSU_SV_EUlSU_E_NS1_11comp_targetILNS1_3genE8ELNS1_11target_archE1030ELNS1_3gpuE2ELNS1_3repE0EEENS1_30default_config_static_selectorELNS0_4arch9wavefront6targetE1EEEvT1_
; %bb.0:
	.section	.rodata,"a",@progbits
	.p2align	6, 0x0
	.amdhsa_kernel _ZN7rocprim17ROCPRIM_400000_NS6detail17trampoline_kernelINS0_14default_configENS1_33run_length_encode_config_selectorIdjNS0_4plusIjEEEEZZNS1_33reduce_by_key_impl_wrapped_configILNS1_25lookback_scan_determinismE0ES3_S7_PKdNS0_17constant_iteratorIjlEEPdPlSF_S6_NS0_8equal_toIdEEEE10hipError_tPvRmT2_T3_mT4_T5_T6_T7_T8_P12ihipStream_tbENKUlT_T0_E_clISt17integral_constantIbLb0EESZ_EEDaSU_SV_EUlSU_E_NS1_11comp_targetILNS1_3genE8ELNS1_11target_archE1030ELNS1_3gpuE2ELNS1_3repE0EEENS1_30default_config_static_selectorELNS0_4arch9wavefront6targetE1EEEvT1_
		.amdhsa_group_segment_fixed_size 0
		.amdhsa_private_segment_fixed_size 0
		.amdhsa_kernarg_size 128
		.amdhsa_user_sgpr_count 6
		.amdhsa_user_sgpr_private_segment_buffer 1
		.amdhsa_user_sgpr_dispatch_ptr 0
		.amdhsa_user_sgpr_queue_ptr 0
		.amdhsa_user_sgpr_kernarg_segment_ptr 1
		.amdhsa_user_sgpr_dispatch_id 0
		.amdhsa_user_sgpr_flat_scratch_init 0
		.amdhsa_user_sgpr_kernarg_preload_length 0
		.amdhsa_user_sgpr_kernarg_preload_offset 0
		.amdhsa_user_sgpr_private_segment_size 0
		.amdhsa_uses_dynamic_stack 0
		.amdhsa_system_sgpr_private_segment_wavefront_offset 0
		.amdhsa_system_sgpr_workgroup_id_x 1
		.amdhsa_system_sgpr_workgroup_id_y 0
		.amdhsa_system_sgpr_workgroup_id_z 0
		.amdhsa_system_sgpr_workgroup_info 0
		.amdhsa_system_vgpr_workitem_id 0
		.amdhsa_next_free_vgpr 1
		.amdhsa_next_free_sgpr 0
		.amdhsa_accum_offset 4
		.amdhsa_reserve_vcc 0
		.amdhsa_reserve_flat_scratch 0
		.amdhsa_float_round_mode_32 0
		.amdhsa_float_round_mode_16_64 0
		.amdhsa_float_denorm_mode_32 3
		.amdhsa_float_denorm_mode_16_64 3
		.amdhsa_dx10_clamp 1
		.amdhsa_ieee_mode 1
		.amdhsa_fp16_overflow 0
		.amdhsa_tg_split 0
		.amdhsa_exception_fp_ieee_invalid_op 0
		.amdhsa_exception_fp_denorm_src 0
		.amdhsa_exception_fp_ieee_div_zero 0
		.amdhsa_exception_fp_ieee_overflow 0
		.amdhsa_exception_fp_ieee_underflow 0
		.amdhsa_exception_fp_ieee_inexact 0
		.amdhsa_exception_int_div_zero 0
	.end_amdhsa_kernel
	.section	.text._ZN7rocprim17ROCPRIM_400000_NS6detail17trampoline_kernelINS0_14default_configENS1_33run_length_encode_config_selectorIdjNS0_4plusIjEEEEZZNS1_33reduce_by_key_impl_wrapped_configILNS1_25lookback_scan_determinismE0ES3_S7_PKdNS0_17constant_iteratorIjlEEPdPlSF_S6_NS0_8equal_toIdEEEE10hipError_tPvRmT2_T3_mT4_T5_T6_T7_T8_P12ihipStream_tbENKUlT_T0_E_clISt17integral_constantIbLb0EESZ_EEDaSU_SV_EUlSU_E_NS1_11comp_targetILNS1_3genE8ELNS1_11target_archE1030ELNS1_3gpuE2ELNS1_3repE0EEENS1_30default_config_static_selectorELNS0_4arch9wavefront6targetE1EEEvT1_,"axG",@progbits,_ZN7rocprim17ROCPRIM_400000_NS6detail17trampoline_kernelINS0_14default_configENS1_33run_length_encode_config_selectorIdjNS0_4plusIjEEEEZZNS1_33reduce_by_key_impl_wrapped_configILNS1_25lookback_scan_determinismE0ES3_S7_PKdNS0_17constant_iteratorIjlEEPdPlSF_S6_NS0_8equal_toIdEEEE10hipError_tPvRmT2_T3_mT4_T5_T6_T7_T8_P12ihipStream_tbENKUlT_T0_E_clISt17integral_constantIbLb0EESZ_EEDaSU_SV_EUlSU_E_NS1_11comp_targetILNS1_3genE8ELNS1_11target_archE1030ELNS1_3gpuE2ELNS1_3repE0EEENS1_30default_config_static_selectorELNS0_4arch9wavefront6targetE1EEEvT1_,comdat
.Lfunc_end312:
	.size	_ZN7rocprim17ROCPRIM_400000_NS6detail17trampoline_kernelINS0_14default_configENS1_33run_length_encode_config_selectorIdjNS0_4plusIjEEEEZZNS1_33reduce_by_key_impl_wrapped_configILNS1_25lookback_scan_determinismE0ES3_S7_PKdNS0_17constant_iteratorIjlEEPdPlSF_S6_NS0_8equal_toIdEEEE10hipError_tPvRmT2_T3_mT4_T5_T6_T7_T8_P12ihipStream_tbENKUlT_T0_E_clISt17integral_constantIbLb0EESZ_EEDaSU_SV_EUlSU_E_NS1_11comp_targetILNS1_3genE8ELNS1_11target_archE1030ELNS1_3gpuE2ELNS1_3repE0EEENS1_30default_config_static_selectorELNS0_4arch9wavefront6targetE1EEEvT1_, .Lfunc_end312-_ZN7rocprim17ROCPRIM_400000_NS6detail17trampoline_kernelINS0_14default_configENS1_33run_length_encode_config_selectorIdjNS0_4plusIjEEEEZZNS1_33reduce_by_key_impl_wrapped_configILNS1_25lookback_scan_determinismE0ES3_S7_PKdNS0_17constant_iteratorIjlEEPdPlSF_S6_NS0_8equal_toIdEEEE10hipError_tPvRmT2_T3_mT4_T5_T6_T7_T8_P12ihipStream_tbENKUlT_T0_E_clISt17integral_constantIbLb0EESZ_EEDaSU_SV_EUlSU_E_NS1_11comp_targetILNS1_3genE8ELNS1_11target_archE1030ELNS1_3gpuE2ELNS1_3repE0EEENS1_30default_config_static_selectorELNS0_4arch9wavefront6targetE1EEEvT1_
                                        ; -- End function
	.section	.AMDGPU.csdata,"",@progbits
; Kernel info:
; codeLenInByte = 0
; NumSgprs: 4
; NumVgprs: 0
; NumAgprs: 0
; TotalNumVgprs: 0
; ScratchSize: 0
; MemoryBound: 0
; FloatMode: 240
; IeeeMode: 1
; LDSByteSize: 0 bytes/workgroup (compile time only)
; SGPRBlocks: 0
; VGPRBlocks: 0
; NumSGPRsForWavesPerEU: 4
; NumVGPRsForWavesPerEU: 1
; AccumOffset: 4
; Occupancy: 8
; WaveLimiterHint : 0
; COMPUTE_PGM_RSRC2:SCRATCH_EN: 0
; COMPUTE_PGM_RSRC2:USER_SGPR: 6
; COMPUTE_PGM_RSRC2:TRAP_HANDLER: 0
; COMPUTE_PGM_RSRC2:TGID_X_EN: 1
; COMPUTE_PGM_RSRC2:TGID_Y_EN: 0
; COMPUTE_PGM_RSRC2:TGID_Z_EN: 0
; COMPUTE_PGM_RSRC2:TIDIG_COMP_CNT: 0
; COMPUTE_PGM_RSRC3_GFX90A:ACCUM_OFFSET: 0
; COMPUTE_PGM_RSRC3_GFX90A:TG_SPLIT: 0
	.section	.text._ZN7rocprim17ROCPRIM_400000_NS6detail17trampoline_kernelINS0_14default_configENS1_33run_length_encode_config_selectorIdjNS0_4plusIjEEEEZZNS1_33reduce_by_key_impl_wrapped_configILNS1_25lookback_scan_determinismE0ES3_S7_PKdNS0_17constant_iteratorIjlEEPdPlSF_S6_NS0_8equal_toIdEEEE10hipError_tPvRmT2_T3_mT4_T5_T6_T7_T8_P12ihipStream_tbENKUlT_T0_E_clISt17integral_constantIbLb1EESZ_EEDaSU_SV_EUlSU_E_NS1_11comp_targetILNS1_3genE0ELNS1_11target_archE4294967295ELNS1_3gpuE0ELNS1_3repE0EEENS1_30default_config_static_selectorELNS0_4arch9wavefront6targetE1EEEvT1_,"axG",@progbits,_ZN7rocprim17ROCPRIM_400000_NS6detail17trampoline_kernelINS0_14default_configENS1_33run_length_encode_config_selectorIdjNS0_4plusIjEEEEZZNS1_33reduce_by_key_impl_wrapped_configILNS1_25lookback_scan_determinismE0ES3_S7_PKdNS0_17constant_iteratorIjlEEPdPlSF_S6_NS0_8equal_toIdEEEE10hipError_tPvRmT2_T3_mT4_T5_T6_T7_T8_P12ihipStream_tbENKUlT_T0_E_clISt17integral_constantIbLb1EESZ_EEDaSU_SV_EUlSU_E_NS1_11comp_targetILNS1_3genE0ELNS1_11target_archE4294967295ELNS1_3gpuE0ELNS1_3repE0EEENS1_30default_config_static_selectorELNS0_4arch9wavefront6targetE1EEEvT1_,comdat
	.protected	_ZN7rocprim17ROCPRIM_400000_NS6detail17trampoline_kernelINS0_14default_configENS1_33run_length_encode_config_selectorIdjNS0_4plusIjEEEEZZNS1_33reduce_by_key_impl_wrapped_configILNS1_25lookback_scan_determinismE0ES3_S7_PKdNS0_17constant_iteratorIjlEEPdPlSF_S6_NS0_8equal_toIdEEEE10hipError_tPvRmT2_T3_mT4_T5_T6_T7_T8_P12ihipStream_tbENKUlT_T0_E_clISt17integral_constantIbLb1EESZ_EEDaSU_SV_EUlSU_E_NS1_11comp_targetILNS1_3genE0ELNS1_11target_archE4294967295ELNS1_3gpuE0ELNS1_3repE0EEENS1_30default_config_static_selectorELNS0_4arch9wavefront6targetE1EEEvT1_ ; -- Begin function _ZN7rocprim17ROCPRIM_400000_NS6detail17trampoline_kernelINS0_14default_configENS1_33run_length_encode_config_selectorIdjNS0_4plusIjEEEEZZNS1_33reduce_by_key_impl_wrapped_configILNS1_25lookback_scan_determinismE0ES3_S7_PKdNS0_17constant_iteratorIjlEEPdPlSF_S6_NS0_8equal_toIdEEEE10hipError_tPvRmT2_T3_mT4_T5_T6_T7_T8_P12ihipStream_tbENKUlT_T0_E_clISt17integral_constantIbLb1EESZ_EEDaSU_SV_EUlSU_E_NS1_11comp_targetILNS1_3genE0ELNS1_11target_archE4294967295ELNS1_3gpuE0ELNS1_3repE0EEENS1_30default_config_static_selectorELNS0_4arch9wavefront6targetE1EEEvT1_
	.globl	_ZN7rocprim17ROCPRIM_400000_NS6detail17trampoline_kernelINS0_14default_configENS1_33run_length_encode_config_selectorIdjNS0_4plusIjEEEEZZNS1_33reduce_by_key_impl_wrapped_configILNS1_25lookback_scan_determinismE0ES3_S7_PKdNS0_17constant_iteratorIjlEEPdPlSF_S6_NS0_8equal_toIdEEEE10hipError_tPvRmT2_T3_mT4_T5_T6_T7_T8_P12ihipStream_tbENKUlT_T0_E_clISt17integral_constantIbLb1EESZ_EEDaSU_SV_EUlSU_E_NS1_11comp_targetILNS1_3genE0ELNS1_11target_archE4294967295ELNS1_3gpuE0ELNS1_3repE0EEENS1_30default_config_static_selectorELNS0_4arch9wavefront6targetE1EEEvT1_
	.p2align	8
	.type	_ZN7rocprim17ROCPRIM_400000_NS6detail17trampoline_kernelINS0_14default_configENS1_33run_length_encode_config_selectorIdjNS0_4plusIjEEEEZZNS1_33reduce_by_key_impl_wrapped_configILNS1_25lookback_scan_determinismE0ES3_S7_PKdNS0_17constant_iteratorIjlEEPdPlSF_S6_NS0_8equal_toIdEEEE10hipError_tPvRmT2_T3_mT4_T5_T6_T7_T8_P12ihipStream_tbENKUlT_T0_E_clISt17integral_constantIbLb1EESZ_EEDaSU_SV_EUlSU_E_NS1_11comp_targetILNS1_3genE0ELNS1_11target_archE4294967295ELNS1_3gpuE0ELNS1_3repE0EEENS1_30default_config_static_selectorELNS0_4arch9wavefront6targetE1EEEvT1_,@function
_ZN7rocprim17ROCPRIM_400000_NS6detail17trampoline_kernelINS0_14default_configENS1_33run_length_encode_config_selectorIdjNS0_4plusIjEEEEZZNS1_33reduce_by_key_impl_wrapped_configILNS1_25lookback_scan_determinismE0ES3_S7_PKdNS0_17constant_iteratorIjlEEPdPlSF_S6_NS0_8equal_toIdEEEE10hipError_tPvRmT2_T3_mT4_T5_T6_T7_T8_P12ihipStream_tbENKUlT_T0_E_clISt17integral_constantIbLb1EESZ_EEDaSU_SV_EUlSU_E_NS1_11comp_targetILNS1_3genE0ELNS1_11target_archE4294967295ELNS1_3gpuE0ELNS1_3repE0EEENS1_30default_config_static_selectorELNS0_4arch9wavefront6targetE1EEEvT1_: ; @_ZN7rocprim17ROCPRIM_400000_NS6detail17trampoline_kernelINS0_14default_configENS1_33run_length_encode_config_selectorIdjNS0_4plusIjEEEEZZNS1_33reduce_by_key_impl_wrapped_configILNS1_25lookback_scan_determinismE0ES3_S7_PKdNS0_17constant_iteratorIjlEEPdPlSF_S6_NS0_8equal_toIdEEEE10hipError_tPvRmT2_T3_mT4_T5_T6_T7_T8_P12ihipStream_tbENKUlT_T0_E_clISt17integral_constantIbLb1EESZ_EEDaSU_SV_EUlSU_E_NS1_11comp_targetILNS1_3genE0ELNS1_11target_archE4294967295ELNS1_3gpuE0ELNS1_3repE0EEENS1_30default_config_static_selectorELNS0_4arch9wavefront6targetE1EEEvT1_
; %bb.0:
	.section	.rodata,"a",@progbits
	.p2align	6, 0x0
	.amdhsa_kernel _ZN7rocprim17ROCPRIM_400000_NS6detail17trampoline_kernelINS0_14default_configENS1_33run_length_encode_config_selectorIdjNS0_4plusIjEEEEZZNS1_33reduce_by_key_impl_wrapped_configILNS1_25lookback_scan_determinismE0ES3_S7_PKdNS0_17constant_iteratorIjlEEPdPlSF_S6_NS0_8equal_toIdEEEE10hipError_tPvRmT2_T3_mT4_T5_T6_T7_T8_P12ihipStream_tbENKUlT_T0_E_clISt17integral_constantIbLb1EESZ_EEDaSU_SV_EUlSU_E_NS1_11comp_targetILNS1_3genE0ELNS1_11target_archE4294967295ELNS1_3gpuE0ELNS1_3repE0EEENS1_30default_config_static_selectorELNS0_4arch9wavefront6targetE1EEEvT1_
		.amdhsa_group_segment_fixed_size 0
		.amdhsa_private_segment_fixed_size 0
		.amdhsa_kernarg_size 128
		.amdhsa_user_sgpr_count 6
		.amdhsa_user_sgpr_private_segment_buffer 1
		.amdhsa_user_sgpr_dispatch_ptr 0
		.amdhsa_user_sgpr_queue_ptr 0
		.amdhsa_user_sgpr_kernarg_segment_ptr 1
		.amdhsa_user_sgpr_dispatch_id 0
		.amdhsa_user_sgpr_flat_scratch_init 0
		.amdhsa_user_sgpr_kernarg_preload_length 0
		.amdhsa_user_sgpr_kernarg_preload_offset 0
		.amdhsa_user_sgpr_private_segment_size 0
		.amdhsa_uses_dynamic_stack 0
		.amdhsa_system_sgpr_private_segment_wavefront_offset 0
		.amdhsa_system_sgpr_workgroup_id_x 1
		.amdhsa_system_sgpr_workgroup_id_y 0
		.amdhsa_system_sgpr_workgroup_id_z 0
		.amdhsa_system_sgpr_workgroup_info 0
		.amdhsa_system_vgpr_workitem_id 0
		.amdhsa_next_free_vgpr 1
		.amdhsa_next_free_sgpr 0
		.amdhsa_accum_offset 4
		.amdhsa_reserve_vcc 0
		.amdhsa_reserve_flat_scratch 0
		.amdhsa_float_round_mode_32 0
		.amdhsa_float_round_mode_16_64 0
		.amdhsa_float_denorm_mode_32 3
		.amdhsa_float_denorm_mode_16_64 3
		.amdhsa_dx10_clamp 1
		.amdhsa_ieee_mode 1
		.amdhsa_fp16_overflow 0
		.amdhsa_tg_split 0
		.amdhsa_exception_fp_ieee_invalid_op 0
		.amdhsa_exception_fp_denorm_src 0
		.amdhsa_exception_fp_ieee_div_zero 0
		.amdhsa_exception_fp_ieee_overflow 0
		.amdhsa_exception_fp_ieee_underflow 0
		.amdhsa_exception_fp_ieee_inexact 0
		.amdhsa_exception_int_div_zero 0
	.end_amdhsa_kernel
	.section	.text._ZN7rocprim17ROCPRIM_400000_NS6detail17trampoline_kernelINS0_14default_configENS1_33run_length_encode_config_selectorIdjNS0_4plusIjEEEEZZNS1_33reduce_by_key_impl_wrapped_configILNS1_25lookback_scan_determinismE0ES3_S7_PKdNS0_17constant_iteratorIjlEEPdPlSF_S6_NS0_8equal_toIdEEEE10hipError_tPvRmT2_T3_mT4_T5_T6_T7_T8_P12ihipStream_tbENKUlT_T0_E_clISt17integral_constantIbLb1EESZ_EEDaSU_SV_EUlSU_E_NS1_11comp_targetILNS1_3genE0ELNS1_11target_archE4294967295ELNS1_3gpuE0ELNS1_3repE0EEENS1_30default_config_static_selectorELNS0_4arch9wavefront6targetE1EEEvT1_,"axG",@progbits,_ZN7rocprim17ROCPRIM_400000_NS6detail17trampoline_kernelINS0_14default_configENS1_33run_length_encode_config_selectorIdjNS0_4plusIjEEEEZZNS1_33reduce_by_key_impl_wrapped_configILNS1_25lookback_scan_determinismE0ES3_S7_PKdNS0_17constant_iteratorIjlEEPdPlSF_S6_NS0_8equal_toIdEEEE10hipError_tPvRmT2_T3_mT4_T5_T6_T7_T8_P12ihipStream_tbENKUlT_T0_E_clISt17integral_constantIbLb1EESZ_EEDaSU_SV_EUlSU_E_NS1_11comp_targetILNS1_3genE0ELNS1_11target_archE4294967295ELNS1_3gpuE0ELNS1_3repE0EEENS1_30default_config_static_selectorELNS0_4arch9wavefront6targetE1EEEvT1_,comdat
.Lfunc_end313:
	.size	_ZN7rocprim17ROCPRIM_400000_NS6detail17trampoline_kernelINS0_14default_configENS1_33run_length_encode_config_selectorIdjNS0_4plusIjEEEEZZNS1_33reduce_by_key_impl_wrapped_configILNS1_25lookback_scan_determinismE0ES3_S7_PKdNS0_17constant_iteratorIjlEEPdPlSF_S6_NS0_8equal_toIdEEEE10hipError_tPvRmT2_T3_mT4_T5_T6_T7_T8_P12ihipStream_tbENKUlT_T0_E_clISt17integral_constantIbLb1EESZ_EEDaSU_SV_EUlSU_E_NS1_11comp_targetILNS1_3genE0ELNS1_11target_archE4294967295ELNS1_3gpuE0ELNS1_3repE0EEENS1_30default_config_static_selectorELNS0_4arch9wavefront6targetE1EEEvT1_, .Lfunc_end313-_ZN7rocprim17ROCPRIM_400000_NS6detail17trampoline_kernelINS0_14default_configENS1_33run_length_encode_config_selectorIdjNS0_4plusIjEEEEZZNS1_33reduce_by_key_impl_wrapped_configILNS1_25lookback_scan_determinismE0ES3_S7_PKdNS0_17constant_iteratorIjlEEPdPlSF_S6_NS0_8equal_toIdEEEE10hipError_tPvRmT2_T3_mT4_T5_T6_T7_T8_P12ihipStream_tbENKUlT_T0_E_clISt17integral_constantIbLb1EESZ_EEDaSU_SV_EUlSU_E_NS1_11comp_targetILNS1_3genE0ELNS1_11target_archE4294967295ELNS1_3gpuE0ELNS1_3repE0EEENS1_30default_config_static_selectorELNS0_4arch9wavefront6targetE1EEEvT1_
                                        ; -- End function
	.section	.AMDGPU.csdata,"",@progbits
; Kernel info:
; codeLenInByte = 0
; NumSgprs: 4
; NumVgprs: 0
; NumAgprs: 0
; TotalNumVgprs: 0
; ScratchSize: 0
; MemoryBound: 0
; FloatMode: 240
; IeeeMode: 1
; LDSByteSize: 0 bytes/workgroup (compile time only)
; SGPRBlocks: 0
; VGPRBlocks: 0
; NumSGPRsForWavesPerEU: 4
; NumVGPRsForWavesPerEU: 1
; AccumOffset: 4
; Occupancy: 8
; WaveLimiterHint : 0
; COMPUTE_PGM_RSRC2:SCRATCH_EN: 0
; COMPUTE_PGM_RSRC2:USER_SGPR: 6
; COMPUTE_PGM_RSRC2:TRAP_HANDLER: 0
; COMPUTE_PGM_RSRC2:TGID_X_EN: 1
; COMPUTE_PGM_RSRC2:TGID_Y_EN: 0
; COMPUTE_PGM_RSRC2:TGID_Z_EN: 0
; COMPUTE_PGM_RSRC2:TIDIG_COMP_CNT: 0
; COMPUTE_PGM_RSRC3_GFX90A:ACCUM_OFFSET: 0
; COMPUTE_PGM_RSRC3_GFX90A:TG_SPLIT: 0
	.section	.text._ZN7rocprim17ROCPRIM_400000_NS6detail17trampoline_kernelINS0_14default_configENS1_33run_length_encode_config_selectorIdjNS0_4plusIjEEEEZZNS1_33reduce_by_key_impl_wrapped_configILNS1_25lookback_scan_determinismE0ES3_S7_PKdNS0_17constant_iteratorIjlEEPdPlSF_S6_NS0_8equal_toIdEEEE10hipError_tPvRmT2_T3_mT4_T5_T6_T7_T8_P12ihipStream_tbENKUlT_T0_E_clISt17integral_constantIbLb1EESZ_EEDaSU_SV_EUlSU_E_NS1_11comp_targetILNS1_3genE5ELNS1_11target_archE942ELNS1_3gpuE9ELNS1_3repE0EEENS1_30default_config_static_selectorELNS0_4arch9wavefront6targetE1EEEvT1_,"axG",@progbits,_ZN7rocprim17ROCPRIM_400000_NS6detail17trampoline_kernelINS0_14default_configENS1_33run_length_encode_config_selectorIdjNS0_4plusIjEEEEZZNS1_33reduce_by_key_impl_wrapped_configILNS1_25lookback_scan_determinismE0ES3_S7_PKdNS0_17constant_iteratorIjlEEPdPlSF_S6_NS0_8equal_toIdEEEE10hipError_tPvRmT2_T3_mT4_T5_T6_T7_T8_P12ihipStream_tbENKUlT_T0_E_clISt17integral_constantIbLb1EESZ_EEDaSU_SV_EUlSU_E_NS1_11comp_targetILNS1_3genE5ELNS1_11target_archE942ELNS1_3gpuE9ELNS1_3repE0EEENS1_30default_config_static_selectorELNS0_4arch9wavefront6targetE1EEEvT1_,comdat
	.protected	_ZN7rocprim17ROCPRIM_400000_NS6detail17trampoline_kernelINS0_14default_configENS1_33run_length_encode_config_selectorIdjNS0_4plusIjEEEEZZNS1_33reduce_by_key_impl_wrapped_configILNS1_25lookback_scan_determinismE0ES3_S7_PKdNS0_17constant_iteratorIjlEEPdPlSF_S6_NS0_8equal_toIdEEEE10hipError_tPvRmT2_T3_mT4_T5_T6_T7_T8_P12ihipStream_tbENKUlT_T0_E_clISt17integral_constantIbLb1EESZ_EEDaSU_SV_EUlSU_E_NS1_11comp_targetILNS1_3genE5ELNS1_11target_archE942ELNS1_3gpuE9ELNS1_3repE0EEENS1_30default_config_static_selectorELNS0_4arch9wavefront6targetE1EEEvT1_ ; -- Begin function _ZN7rocprim17ROCPRIM_400000_NS6detail17trampoline_kernelINS0_14default_configENS1_33run_length_encode_config_selectorIdjNS0_4plusIjEEEEZZNS1_33reduce_by_key_impl_wrapped_configILNS1_25lookback_scan_determinismE0ES3_S7_PKdNS0_17constant_iteratorIjlEEPdPlSF_S6_NS0_8equal_toIdEEEE10hipError_tPvRmT2_T3_mT4_T5_T6_T7_T8_P12ihipStream_tbENKUlT_T0_E_clISt17integral_constantIbLb1EESZ_EEDaSU_SV_EUlSU_E_NS1_11comp_targetILNS1_3genE5ELNS1_11target_archE942ELNS1_3gpuE9ELNS1_3repE0EEENS1_30default_config_static_selectorELNS0_4arch9wavefront6targetE1EEEvT1_
	.globl	_ZN7rocprim17ROCPRIM_400000_NS6detail17trampoline_kernelINS0_14default_configENS1_33run_length_encode_config_selectorIdjNS0_4plusIjEEEEZZNS1_33reduce_by_key_impl_wrapped_configILNS1_25lookback_scan_determinismE0ES3_S7_PKdNS0_17constant_iteratorIjlEEPdPlSF_S6_NS0_8equal_toIdEEEE10hipError_tPvRmT2_T3_mT4_T5_T6_T7_T8_P12ihipStream_tbENKUlT_T0_E_clISt17integral_constantIbLb1EESZ_EEDaSU_SV_EUlSU_E_NS1_11comp_targetILNS1_3genE5ELNS1_11target_archE942ELNS1_3gpuE9ELNS1_3repE0EEENS1_30default_config_static_selectorELNS0_4arch9wavefront6targetE1EEEvT1_
	.p2align	8
	.type	_ZN7rocprim17ROCPRIM_400000_NS6detail17trampoline_kernelINS0_14default_configENS1_33run_length_encode_config_selectorIdjNS0_4plusIjEEEEZZNS1_33reduce_by_key_impl_wrapped_configILNS1_25lookback_scan_determinismE0ES3_S7_PKdNS0_17constant_iteratorIjlEEPdPlSF_S6_NS0_8equal_toIdEEEE10hipError_tPvRmT2_T3_mT4_T5_T6_T7_T8_P12ihipStream_tbENKUlT_T0_E_clISt17integral_constantIbLb1EESZ_EEDaSU_SV_EUlSU_E_NS1_11comp_targetILNS1_3genE5ELNS1_11target_archE942ELNS1_3gpuE9ELNS1_3repE0EEENS1_30default_config_static_selectorELNS0_4arch9wavefront6targetE1EEEvT1_,@function
_ZN7rocprim17ROCPRIM_400000_NS6detail17trampoline_kernelINS0_14default_configENS1_33run_length_encode_config_selectorIdjNS0_4plusIjEEEEZZNS1_33reduce_by_key_impl_wrapped_configILNS1_25lookback_scan_determinismE0ES3_S7_PKdNS0_17constant_iteratorIjlEEPdPlSF_S6_NS0_8equal_toIdEEEE10hipError_tPvRmT2_T3_mT4_T5_T6_T7_T8_P12ihipStream_tbENKUlT_T0_E_clISt17integral_constantIbLb1EESZ_EEDaSU_SV_EUlSU_E_NS1_11comp_targetILNS1_3genE5ELNS1_11target_archE942ELNS1_3gpuE9ELNS1_3repE0EEENS1_30default_config_static_selectorELNS0_4arch9wavefront6targetE1EEEvT1_: ; @_ZN7rocprim17ROCPRIM_400000_NS6detail17trampoline_kernelINS0_14default_configENS1_33run_length_encode_config_selectorIdjNS0_4plusIjEEEEZZNS1_33reduce_by_key_impl_wrapped_configILNS1_25lookback_scan_determinismE0ES3_S7_PKdNS0_17constant_iteratorIjlEEPdPlSF_S6_NS0_8equal_toIdEEEE10hipError_tPvRmT2_T3_mT4_T5_T6_T7_T8_P12ihipStream_tbENKUlT_T0_E_clISt17integral_constantIbLb1EESZ_EEDaSU_SV_EUlSU_E_NS1_11comp_targetILNS1_3genE5ELNS1_11target_archE942ELNS1_3gpuE9ELNS1_3repE0EEENS1_30default_config_static_selectorELNS0_4arch9wavefront6targetE1EEEvT1_
; %bb.0:
	.section	.rodata,"a",@progbits
	.p2align	6, 0x0
	.amdhsa_kernel _ZN7rocprim17ROCPRIM_400000_NS6detail17trampoline_kernelINS0_14default_configENS1_33run_length_encode_config_selectorIdjNS0_4plusIjEEEEZZNS1_33reduce_by_key_impl_wrapped_configILNS1_25lookback_scan_determinismE0ES3_S7_PKdNS0_17constant_iteratorIjlEEPdPlSF_S6_NS0_8equal_toIdEEEE10hipError_tPvRmT2_T3_mT4_T5_T6_T7_T8_P12ihipStream_tbENKUlT_T0_E_clISt17integral_constantIbLb1EESZ_EEDaSU_SV_EUlSU_E_NS1_11comp_targetILNS1_3genE5ELNS1_11target_archE942ELNS1_3gpuE9ELNS1_3repE0EEENS1_30default_config_static_selectorELNS0_4arch9wavefront6targetE1EEEvT1_
		.amdhsa_group_segment_fixed_size 0
		.amdhsa_private_segment_fixed_size 0
		.amdhsa_kernarg_size 128
		.amdhsa_user_sgpr_count 6
		.amdhsa_user_sgpr_private_segment_buffer 1
		.amdhsa_user_sgpr_dispatch_ptr 0
		.amdhsa_user_sgpr_queue_ptr 0
		.amdhsa_user_sgpr_kernarg_segment_ptr 1
		.amdhsa_user_sgpr_dispatch_id 0
		.amdhsa_user_sgpr_flat_scratch_init 0
		.amdhsa_user_sgpr_kernarg_preload_length 0
		.amdhsa_user_sgpr_kernarg_preload_offset 0
		.amdhsa_user_sgpr_private_segment_size 0
		.amdhsa_uses_dynamic_stack 0
		.amdhsa_system_sgpr_private_segment_wavefront_offset 0
		.amdhsa_system_sgpr_workgroup_id_x 1
		.amdhsa_system_sgpr_workgroup_id_y 0
		.amdhsa_system_sgpr_workgroup_id_z 0
		.amdhsa_system_sgpr_workgroup_info 0
		.amdhsa_system_vgpr_workitem_id 0
		.amdhsa_next_free_vgpr 1
		.amdhsa_next_free_sgpr 0
		.amdhsa_accum_offset 4
		.amdhsa_reserve_vcc 0
		.amdhsa_reserve_flat_scratch 0
		.amdhsa_float_round_mode_32 0
		.amdhsa_float_round_mode_16_64 0
		.amdhsa_float_denorm_mode_32 3
		.amdhsa_float_denorm_mode_16_64 3
		.amdhsa_dx10_clamp 1
		.amdhsa_ieee_mode 1
		.amdhsa_fp16_overflow 0
		.amdhsa_tg_split 0
		.amdhsa_exception_fp_ieee_invalid_op 0
		.amdhsa_exception_fp_denorm_src 0
		.amdhsa_exception_fp_ieee_div_zero 0
		.amdhsa_exception_fp_ieee_overflow 0
		.amdhsa_exception_fp_ieee_underflow 0
		.amdhsa_exception_fp_ieee_inexact 0
		.amdhsa_exception_int_div_zero 0
	.end_amdhsa_kernel
	.section	.text._ZN7rocprim17ROCPRIM_400000_NS6detail17trampoline_kernelINS0_14default_configENS1_33run_length_encode_config_selectorIdjNS0_4plusIjEEEEZZNS1_33reduce_by_key_impl_wrapped_configILNS1_25lookback_scan_determinismE0ES3_S7_PKdNS0_17constant_iteratorIjlEEPdPlSF_S6_NS0_8equal_toIdEEEE10hipError_tPvRmT2_T3_mT4_T5_T6_T7_T8_P12ihipStream_tbENKUlT_T0_E_clISt17integral_constantIbLb1EESZ_EEDaSU_SV_EUlSU_E_NS1_11comp_targetILNS1_3genE5ELNS1_11target_archE942ELNS1_3gpuE9ELNS1_3repE0EEENS1_30default_config_static_selectorELNS0_4arch9wavefront6targetE1EEEvT1_,"axG",@progbits,_ZN7rocprim17ROCPRIM_400000_NS6detail17trampoline_kernelINS0_14default_configENS1_33run_length_encode_config_selectorIdjNS0_4plusIjEEEEZZNS1_33reduce_by_key_impl_wrapped_configILNS1_25lookback_scan_determinismE0ES3_S7_PKdNS0_17constant_iteratorIjlEEPdPlSF_S6_NS0_8equal_toIdEEEE10hipError_tPvRmT2_T3_mT4_T5_T6_T7_T8_P12ihipStream_tbENKUlT_T0_E_clISt17integral_constantIbLb1EESZ_EEDaSU_SV_EUlSU_E_NS1_11comp_targetILNS1_3genE5ELNS1_11target_archE942ELNS1_3gpuE9ELNS1_3repE0EEENS1_30default_config_static_selectorELNS0_4arch9wavefront6targetE1EEEvT1_,comdat
.Lfunc_end314:
	.size	_ZN7rocprim17ROCPRIM_400000_NS6detail17trampoline_kernelINS0_14default_configENS1_33run_length_encode_config_selectorIdjNS0_4plusIjEEEEZZNS1_33reduce_by_key_impl_wrapped_configILNS1_25lookback_scan_determinismE0ES3_S7_PKdNS0_17constant_iteratorIjlEEPdPlSF_S6_NS0_8equal_toIdEEEE10hipError_tPvRmT2_T3_mT4_T5_T6_T7_T8_P12ihipStream_tbENKUlT_T0_E_clISt17integral_constantIbLb1EESZ_EEDaSU_SV_EUlSU_E_NS1_11comp_targetILNS1_3genE5ELNS1_11target_archE942ELNS1_3gpuE9ELNS1_3repE0EEENS1_30default_config_static_selectorELNS0_4arch9wavefront6targetE1EEEvT1_, .Lfunc_end314-_ZN7rocprim17ROCPRIM_400000_NS6detail17trampoline_kernelINS0_14default_configENS1_33run_length_encode_config_selectorIdjNS0_4plusIjEEEEZZNS1_33reduce_by_key_impl_wrapped_configILNS1_25lookback_scan_determinismE0ES3_S7_PKdNS0_17constant_iteratorIjlEEPdPlSF_S6_NS0_8equal_toIdEEEE10hipError_tPvRmT2_T3_mT4_T5_T6_T7_T8_P12ihipStream_tbENKUlT_T0_E_clISt17integral_constantIbLb1EESZ_EEDaSU_SV_EUlSU_E_NS1_11comp_targetILNS1_3genE5ELNS1_11target_archE942ELNS1_3gpuE9ELNS1_3repE0EEENS1_30default_config_static_selectorELNS0_4arch9wavefront6targetE1EEEvT1_
                                        ; -- End function
	.section	.AMDGPU.csdata,"",@progbits
; Kernel info:
; codeLenInByte = 0
; NumSgprs: 4
; NumVgprs: 0
; NumAgprs: 0
; TotalNumVgprs: 0
; ScratchSize: 0
; MemoryBound: 0
; FloatMode: 240
; IeeeMode: 1
; LDSByteSize: 0 bytes/workgroup (compile time only)
; SGPRBlocks: 0
; VGPRBlocks: 0
; NumSGPRsForWavesPerEU: 4
; NumVGPRsForWavesPerEU: 1
; AccumOffset: 4
; Occupancy: 8
; WaveLimiterHint : 0
; COMPUTE_PGM_RSRC2:SCRATCH_EN: 0
; COMPUTE_PGM_RSRC2:USER_SGPR: 6
; COMPUTE_PGM_RSRC2:TRAP_HANDLER: 0
; COMPUTE_PGM_RSRC2:TGID_X_EN: 1
; COMPUTE_PGM_RSRC2:TGID_Y_EN: 0
; COMPUTE_PGM_RSRC2:TGID_Z_EN: 0
; COMPUTE_PGM_RSRC2:TIDIG_COMP_CNT: 0
; COMPUTE_PGM_RSRC3_GFX90A:ACCUM_OFFSET: 0
; COMPUTE_PGM_RSRC3_GFX90A:TG_SPLIT: 0
	.section	.text._ZN7rocprim17ROCPRIM_400000_NS6detail17trampoline_kernelINS0_14default_configENS1_33run_length_encode_config_selectorIdjNS0_4plusIjEEEEZZNS1_33reduce_by_key_impl_wrapped_configILNS1_25lookback_scan_determinismE0ES3_S7_PKdNS0_17constant_iteratorIjlEEPdPlSF_S6_NS0_8equal_toIdEEEE10hipError_tPvRmT2_T3_mT4_T5_T6_T7_T8_P12ihipStream_tbENKUlT_T0_E_clISt17integral_constantIbLb1EESZ_EEDaSU_SV_EUlSU_E_NS1_11comp_targetILNS1_3genE4ELNS1_11target_archE910ELNS1_3gpuE8ELNS1_3repE0EEENS1_30default_config_static_selectorELNS0_4arch9wavefront6targetE1EEEvT1_,"axG",@progbits,_ZN7rocprim17ROCPRIM_400000_NS6detail17trampoline_kernelINS0_14default_configENS1_33run_length_encode_config_selectorIdjNS0_4plusIjEEEEZZNS1_33reduce_by_key_impl_wrapped_configILNS1_25lookback_scan_determinismE0ES3_S7_PKdNS0_17constant_iteratorIjlEEPdPlSF_S6_NS0_8equal_toIdEEEE10hipError_tPvRmT2_T3_mT4_T5_T6_T7_T8_P12ihipStream_tbENKUlT_T0_E_clISt17integral_constantIbLb1EESZ_EEDaSU_SV_EUlSU_E_NS1_11comp_targetILNS1_3genE4ELNS1_11target_archE910ELNS1_3gpuE8ELNS1_3repE0EEENS1_30default_config_static_selectorELNS0_4arch9wavefront6targetE1EEEvT1_,comdat
	.protected	_ZN7rocprim17ROCPRIM_400000_NS6detail17trampoline_kernelINS0_14default_configENS1_33run_length_encode_config_selectorIdjNS0_4plusIjEEEEZZNS1_33reduce_by_key_impl_wrapped_configILNS1_25lookback_scan_determinismE0ES3_S7_PKdNS0_17constant_iteratorIjlEEPdPlSF_S6_NS0_8equal_toIdEEEE10hipError_tPvRmT2_T3_mT4_T5_T6_T7_T8_P12ihipStream_tbENKUlT_T0_E_clISt17integral_constantIbLb1EESZ_EEDaSU_SV_EUlSU_E_NS1_11comp_targetILNS1_3genE4ELNS1_11target_archE910ELNS1_3gpuE8ELNS1_3repE0EEENS1_30default_config_static_selectorELNS0_4arch9wavefront6targetE1EEEvT1_ ; -- Begin function _ZN7rocprim17ROCPRIM_400000_NS6detail17trampoline_kernelINS0_14default_configENS1_33run_length_encode_config_selectorIdjNS0_4plusIjEEEEZZNS1_33reduce_by_key_impl_wrapped_configILNS1_25lookback_scan_determinismE0ES3_S7_PKdNS0_17constant_iteratorIjlEEPdPlSF_S6_NS0_8equal_toIdEEEE10hipError_tPvRmT2_T3_mT4_T5_T6_T7_T8_P12ihipStream_tbENKUlT_T0_E_clISt17integral_constantIbLb1EESZ_EEDaSU_SV_EUlSU_E_NS1_11comp_targetILNS1_3genE4ELNS1_11target_archE910ELNS1_3gpuE8ELNS1_3repE0EEENS1_30default_config_static_selectorELNS0_4arch9wavefront6targetE1EEEvT1_
	.globl	_ZN7rocprim17ROCPRIM_400000_NS6detail17trampoline_kernelINS0_14default_configENS1_33run_length_encode_config_selectorIdjNS0_4plusIjEEEEZZNS1_33reduce_by_key_impl_wrapped_configILNS1_25lookback_scan_determinismE0ES3_S7_PKdNS0_17constant_iteratorIjlEEPdPlSF_S6_NS0_8equal_toIdEEEE10hipError_tPvRmT2_T3_mT4_T5_T6_T7_T8_P12ihipStream_tbENKUlT_T0_E_clISt17integral_constantIbLb1EESZ_EEDaSU_SV_EUlSU_E_NS1_11comp_targetILNS1_3genE4ELNS1_11target_archE910ELNS1_3gpuE8ELNS1_3repE0EEENS1_30default_config_static_selectorELNS0_4arch9wavefront6targetE1EEEvT1_
	.p2align	8
	.type	_ZN7rocprim17ROCPRIM_400000_NS6detail17trampoline_kernelINS0_14default_configENS1_33run_length_encode_config_selectorIdjNS0_4plusIjEEEEZZNS1_33reduce_by_key_impl_wrapped_configILNS1_25lookback_scan_determinismE0ES3_S7_PKdNS0_17constant_iteratorIjlEEPdPlSF_S6_NS0_8equal_toIdEEEE10hipError_tPvRmT2_T3_mT4_T5_T6_T7_T8_P12ihipStream_tbENKUlT_T0_E_clISt17integral_constantIbLb1EESZ_EEDaSU_SV_EUlSU_E_NS1_11comp_targetILNS1_3genE4ELNS1_11target_archE910ELNS1_3gpuE8ELNS1_3repE0EEENS1_30default_config_static_selectorELNS0_4arch9wavefront6targetE1EEEvT1_,@function
_ZN7rocprim17ROCPRIM_400000_NS6detail17trampoline_kernelINS0_14default_configENS1_33run_length_encode_config_selectorIdjNS0_4plusIjEEEEZZNS1_33reduce_by_key_impl_wrapped_configILNS1_25lookback_scan_determinismE0ES3_S7_PKdNS0_17constant_iteratorIjlEEPdPlSF_S6_NS0_8equal_toIdEEEE10hipError_tPvRmT2_T3_mT4_T5_T6_T7_T8_P12ihipStream_tbENKUlT_T0_E_clISt17integral_constantIbLb1EESZ_EEDaSU_SV_EUlSU_E_NS1_11comp_targetILNS1_3genE4ELNS1_11target_archE910ELNS1_3gpuE8ELNS1_3repE0EEENS1_30default_config_static_selectorELNS0_4arch9wavefront6targetE1EEEvT1_: ; @_ZN7rocprim17ROCPRIM_400000_NS6detail17trampoline_kernelINS0_14default_configENS1_33run_length_encode_config_selectorIdjNS0_4plusIjEEEEZZNS1_33reduce_by_key_impl_wrapped_configILNS1_25lookback_scan_determinismE0ES3_S7_PKdNS0_17constant_iteratorIjlEEPdPlSF_S6_NS0_8equal_toIdEEEE10hipError_tPvRmT2_T3_mT4_T5_T6_T7_T8_P12ihipStream_tbENKUlT_T0_E_clISt17integral_constantIbLb1EESZ_EEDaSU_SV_EUlSU_E_NS1_11comp_targetILNS1_3genE4ELNS1_11target_archE910ELNS1_3gpuE8ELNS1_3repE0EEENS1_30default_config_static_selectorELNS0_4arch9wavefront6targetE1EEEvT1_
; %bb.0:
	s_load_dword s12, s[4:5], 0x10
	s_load_dwordx4 s[36:39], s[4:5], 0x20
	s_load_dwordx2 s[34:35], s[4:5], 0x30
	s_load_dwordx2 s[40:41], s[4:5], 0x70
	s_load_dwordx4 s[20:23], s[4:5], 0x60
	s_load_dwordx8 s[24:31], s[4:5], 0x40
	v_cmp_ne_u32_e64 s[2:3], 0, v0
	v_cmp_eq_u32_e64 s[0:1], 0, v0
	s_and_saveexec_b64 s[6:7], s[0:1]
	s_cbranch_execz .LBB315_4
; %bb.1:
	s_mov_b64 s[10:11], exec
	v_mbcnt_lo_u32_b32 v1, s10, 0
	v_mbcnt_hi_u32_b32 v1, s11, v1
	v_cmp_eq_u32_e32 vcc, 0, v1
                                        ; implicit-def: $vgpr2
	s_and_saveexec_b64 s[8:9], vcc
	s_cbranch_execz .LBB315_3
; %bb.2:
	s_load_dwordx2 s[14:15], s[4:5], 0x78
	s_bcnt1_i32_b64 s10, s[10:11]
	v_mov_b32_e32 v2, 0
	v_mov_b32_e32 v3, s10
	s_waitcnt lgkmcnt(0)
	global_atomic_add v2, v2, v3, s[14:15] glc
.LBB315_3:
	s_or_b64 exec, exec, s[8:9]
	s_waitcnt vmcnt(0)
	v_readfirstlane_b32 s8, v2
	v_add_u32_e32 v1, s8, v1
	v_mov_b32_e32 v2, 0
	ds_write_b32 v2, v1
.LBB315_4:
	s_or_b64 exec, exec, s[6:7]
	s_load_dwordx4 s[4:7], s[4:5], 0x0
	v_mov_b32_e32 v3, 0
	s_waitcnt lgkmcnt(0)
	s_barrier
	ds_read_b32 v1, v3
	s_mul_i32 s8, s28, s27
	s_mul_hi_u32 s9, s28, s26
	s_add_i32 s8, s9, s8
	s_mul_i32 s9, s29, s26
	s_add_i32 s8, s8, s9
	s_lshl_b64 s[6:7], s[6:7], 3
	s_add_u32 s4, s4, s6
	s_mul_i32 s9, s28, s26
	s_addc_u32 s5, s5, s7
	s_waitcnt lgkmcnt(0)
	v_readfirstlane_b32 s48, v1
	s_add_u32 s42, s9, s48
	s_movk_i32 s6, 0xa00
	s_addc_u32 s43, s8, 0
	v_mul_lo_u32 v2, v1, s6
	s_add_u32 s6, s30, -1
	v_lshlrev_b64 v[2:3], 3, v[2:3]
	s_addc_u32 s7, s31, -1
	v_mov_b32_e32 v1, s5
	v_add_co_u32_e32 v30, vcc, s4, v2
	s_cmp_eq_u64 s[42:43], s[6:7]
	v_addc_co_u32_e32 v31, vcc, v1, v3, vcc
	s_cselect_b64 s[28:29], -1, 0
	s_cmp_lg_u64 s[42:43], s[6:7]
	s_mov_b64 s[8:9], -1
	s_cselect_b64 s[4:5], -1, 0
	s_mul_i32 s33, s6, 0xfffff600
	s_and_b64 vcc, exec, s[28:29]
	s_barrier
	s_cbranch_vccnz .LBB315_6
; %bb.5:
	v_lshlrev_b32_e32 v1, 3, v0
	v_add_co_u32_e32 v22, vcc, v30, v1
	v_addc_co_u32_e32 v23, vcc, 0, v31, vcc
	v_add_co_u32_e32 v2, vcc, 0x1000, v22
	v_readfirstlane_b32 s6, v30
	v_readfirstlane_b32 s7, v31
	v_addc_co_u32_e32 v3, vcc, 0, v23, vcc
	s_nop 3
	global_load_dwordx2 v[4:5], v1, s[6:7]
	global_load_dwordx2 v[6:7], v1, s[6:7] offset:2048
	global_load_dwordx2 v[8:9], v[2:3], off
	global_load_dwordx2 v[10:11], v[2:3], off offset:2048
	v_add_co_u32_e32 v2, vcc, 0x2000, v22
	v_addc_co_u32_e32 v3, vcc, 0, v23, vcc
	v_add_co_u32_e32 v12, vcc, 0x3000, v22
	v_addc_co_u32_e32 v13, vcc, 0, v23, vcc
	global_load_dwordx2 v[14:15], v[2:3], off
	global_load_dwordx2 v[16:17], v[2:3], off offset:2048
	global_load_dwordx2 v[18:19], v[12:13], off
	global_load_dwordx2 v[20:21], v[12:13], off offset:2048
	v_add_co_u32_e32 v2, vcc, 0x4000, v22
	v_addc_co_u32_e32 v3, vcc, 0, v23, vcc
	global_load_dwordx2 v[12:13], v[2:3], off
	global_load_dwordx2 v[22:23], v[2:3], off offset:2048
	s_movk_i32 s6, 0x48
	v_mad_u32_u24 v24, v0, s6, v1
	s_mov_b64 s[6:7], -1
	s_waitcnt vmcnt(8)
	ds_write2st64_b64 v1, v[4:5], v[6:7] offset1:4
	s_waitcnt vmcnt(6)
	ds_write2st64_b64 v1, v[8:9], v[10:11] offset0:8 offset1:12
	s_waitcnt vmcnt(4)
	ds_write2st64_b64 v1, v[14:15], v[16:17] offset0:16 offset1:20
	;; [unrolled: 2-line block ×4, first 2 shown]
	s_waitcnt lgkmcnt(0)
	s_barrier
	ds_read_b128 v[18:21], v24
	ds_read_b128 v[14:17], v24 offset:16
	ds_read_b128 v[10:13], v24 offset:32
	;; [unrolled: 1-line block ×4, first 2 shown]
	s_waitcnt lgkmcnt(4)
	v_mov_b32_e32 v26, v18
	v_mov_b32_e32 v27, v19
	s_waitcnt lgkmcnt(3)
	v_mov_b32_e32 v28, v14
	v_mov_b32_e32 v29, v15
	;; [unrolled: 3-line block ×4, first 2 shown]
	s_add_i32 s33, s33, s20
	s_cbranch_execz .LBB315_7
	s_branch .LBB315_28
.LBB315_6:
	s_mov_b64 s[6:7], 0
                                        ; implicit-def: $vgpr2_vgpr3
                                        ; implicit-def: $vgpr10_vgpr11
                                        ; implicit-def: $vgpr14_vgpr15
                                        ; implicit-def: $vgpr18_vgpr19
                                        ; implicit-def: $vgpr6_vgpr7
                                        ; implicit-def: $vgpr22_vgpr23_vgpr24_vgpr25
                                        ; implicit-def: $vgpr26_vgpr27_vgpr28_vgpr29
	s_add_i32 s33, s33, s20
	s_andn2_b64 vcc, exec, s[8:9]
	s_cbranch_vccnz .LBB315_28
.LBB315_7:
	v_cmp_gt_u32_e32 vcc, s33, v0
                                        ; implicit-def: $vgpr2_vgpr3
	s_and_saveexec_b64 s[6:7], vcc
	s_cbranch_execz .LBB315_9
; %bb.8:
	v_lshlrev_b32_e32 v1, 3, v0
	v_readfirstlane_b32 s8, v30
	v_readfirstlane_b32 s9, v31
	s_nop 4
	global_load_dwordx2 v[2:3], v1, s[8:9]
.LBB315_9:
	s_or_b64 exec, exec, s[6:7]
	v_or_b32_e32 v1, 0x100, v0
	v_cmp_gt_u32_e32 vcc, s33, v1
                                        ; implicit-def: $vgpr4_vgpr5
	s_and_saveexec_b64 s[6:7], vcc
	s_cbranch_execz .LBB315_11
; %bb.10:
	v_lshlrev_b32_e32 v1, 3, v0
	v_readfirstlane_b32 s8, v30
	v_readfirstlane_b32 s9, v31
	s_nop 4
	global_load_dwordx2 v[4:5], v1, s[8:9] offset:2048
.LBB315_11:
	s_or_b64 exec, exec, s[6:7]
	v_or_b32_e32 v1, 0x200, v0
	v_cmp_gt_u32_e32 vcc, s33, v1
                                        ; implicit-def: $vgpr6_vgpr7
	s_and_saveexec_b64 s[6:7], vcc
	s_cbranch_execz .LBB315_13
; %bb.12:
	v_lshlrev_b32_e32 v1, 3, v1
	v_readfirstlane_b32 s8, v30
	v_readfirstlane_b32 s9, v31
	s_waitcnt lgkmcnt(0)
	s_nop 3
	global_load_dwordx2 v[6:7], v1, s[8:9]
.LBB315_13:
	s_or_b64 exec, exec, s[6:7]
	v_or_b32_e32 v1, 0x300, v0
	v_cmp_gt_u32_e32 vcc, s33, v1
                                        ; implicit-def: $vgpr8_vgpr9
	s_and_saveexec_b64 s[6:7], vcc
	s_cbranch_execz .LBB315_15
; %bb.14:
	v_lshlrev_b32_e32 v1, 3, v1
	v_readfirstlane_b32 s8, v30
	v_readfirstlane_b32 s9, v31
	s_waitcnt lgkmcnt(0)
	s_nop 3
	global_load_dwordx2 v[8:9], v1, s[8:9]
.LBB315_15:
	s_or_b64 exec, exec, s[6:7]
	v_or_b32_e32 v1, 0x400, v0
	v_cmp_gt_u32_e32 vcc, s33, v1
                                        ; implicit-def: $vgpr10_vgpr11
	s_and_saveexec_b64 s[6:7], vcc
	s_cbranch_execz .LBB315_17
; %bb.16:
	v_lshlrev_b32_e32 v1, 3, v1
	v_readfirstlane_b32 s8, v30
	v_readfirstlane_b32 s9, v31
	s_nop 4
	global_load_dwordx2 v[10:11], v1, s[8:9]
.LBB315_17:
	s_or_b64 exec, exec, s[6:7]
	v_or_b32_e32 v1, 0x500, v0
	v_cmp_gt_u32_e32 vcc, s33, v1
                                        ; implicit-def: $vgpr12_vgpr13
	s_and_saveexec_b64 s[6:7], vcc
	s_cbranch_execz .LBB315_19
; %bb.18:
	v_lshlrev_b32_e32 v1, 3, v1
	v_readfirstlane_b32 s8, v30
	v_readfirstlane_b32 s9, v31
	s_nop 4
	global_load_dwordx2 v[12:13], v1, s[8:9]
.LBB315_19:
	s_or_b64 exec, exec, s[6:7]
	v_or_b32_e32 v1, 0x600, v0
	v_cmp_gt_u32_e32 vcc, s33, v1
                                        ; implicit-def: $vgpr14_vgpr15
	s_and_saveexec_b64 s[6:7], vcc
	s_cbranch_execz .LBB315_21
; %bb.20:
	v_lshlrev_b32_e32 v1, 3, v1
	v_readfirstlane_b32 s8, v30
	v_readfirstlane_b32 s9, v31
	s_nop 4
	global_load_dwordx2 v[14:15], v1, s[8:9]
.LBB315_21:
	s_or_b64 exec, exec, s[6:7]
	v_or_b32_e32 v1, 0x700, v0
	v_cmp_gt_u32_e32 vcc, s33, v1
                                        ; implicit-def: $vgpr16_vgpr17
	s_and_saveexec_b64 s[6:7], vcc
	s_cbranch_execz .LBB315_23
; %bb.22:
	v_lshlrev_b32_e32 v1, 3, v1
	v_readfirstlane_b32 s8, v30
	v_readfirstlane_b32 s9, v31
	s_nop 4
	global_load_dwordx2 v[16:17], v1, s[8:9]
.LBB315_23:
	s_or_b64 exec, exec, s[6:7]
	v_or_b32_e32 v1, 0x800, v0
	v_cmp_gt_u32_e32 vcc, s33, v1
                                        ; implicit-def: $vgpr18_vgpr19
	s_and_saveexec_b64 s[6:7], vcc
	s_cbranch_execz .LBB315_25
; %bb.24:
	v_lshlrev_b32_e32 v1, 3, v1
	v_readfirstlane_b32 s8, v30
	v_readfirstlane_b32 s9, v31
	s_nop 4
	global_load_dwordx2 v[18:19], v1, s[8:9]
.LBB315_25:
	s_or_b64 exec, exec, s[6:7]
	v_or_b32_e32 v1, 0x900, v0
	v_cmp_gt_u32_e32 vcc, s33, v1
                                        ; implicit-def: $vgpr20_vgpr21
	s_and_saveexec_b64 s[6:7], vcc
	s_cbranch_execz .LBB315_27
; %bb.26:
	v_lshlrev_b32_e32 v1, 3, v1
	v_readfirstlane_b32 s8, v30
	v_readfirstlane_b32 s9, v31
	s_nop 4
	global_load_dwordx2 v[20:21], v1, s[8:9]
.LBB315_27:
	s_or_b64 exec, exec, s[6:7]
	v_lshlrev_b32_e32 v1, 3, v0
	s_movk_i32 s6, 0x48
	s_waitcnt vmcnt(0)
	ds_write2st64_b64 v1, v[2:3], v[4:5] offset1:4
	s_waitcnt lgkmcnt(1)
	ds_write2st64_b64 v1, v[6:7], v[8:9] offset0:8 offset1:12
	ds_write2st64_b64 v1, v[10:11], v[12:13] offset0:16 offset1:20
	ds_write2st64_b64 v1, v[14:15], v[16:17] offset0:24 offset1:28
	ds_write2st64_b64 v1, v[18:19], v[20:21] offset0:32 offset1:36
	v_mad_u32_u24 v1, v0, s6, v1
	s_waitcnt lgkmcnt(0)
	s_barrier
	ds_read_b128 v[18:21], v1
	ds_read_b128 v[14:17], v1 offset:16
	ds_read_b128 v[10:13], v1 offset:32
	;; [unrolled: 1-line block ×4, first 2 shown]
	v_mad_u32_u24 v1, v0, 10, 9
	v_cmp_gt_u32_e64 s[6:7], s33, v1
	s_waitcnt lgkmcnt(4)
	v_mov_b32_e32 v26, v18
	v_mov_b32_e32 v27, v19
	s_waitcnt lgkmcnt(3)
	v_mov_b32_e32 v28, v14
	v_mov_b32_e32 v29, v15
	;; [unrolled: 3-line block ×4, first 2 shown]
.LBB315_28:
	v_mov_b32_e32 v48, s12
                                        ; implicit-def: $vgpr49
	s_and_saveexec_b64 s[8:9], s[6:7]
; %bb.29:
	v_mov_b32_e32 v49, s12
; %bb.30:
	s_or_b64 exec, exec, s[8:9]
	s_cmp_eq_u64 s[42:43], 0
	s_cselect_b64 s[30:31], -1, 0
	s_cmp_lg_u64 s[42:43], 0
	s_mov_b64 s[6:7], 0
	s_cselect_b64 s[44:45], -1, 0
	s_and_b64 vcc, exec, s[4:5]
	s_waitcnt lgkmcnt(0)
	s_barrier
	s_cbranch_vccz .LBB315_36
; %bb.31:
	s_and_b64 vcc, exec, s[44:45]
	s_cbranch_vccz .LBB315_37
; %bb.32:
	global_load_dwordx2 v[32:33], v[30:31], off offset:-8
	v_lshlrev_b32_e32 v1, 3, v0
	v_cmp_neq_f64_e32 vcc, v[6:7], v[8:9]
	v_cmp_neq_f64_e64 s[4:5], v[4:5], v[6:7]
	v_cmp_neq_f64_e64 s[6:7], v[2:3], v[4:5]
	;; [unrolled: 1-line block ×8, first 2 shown]
	ds_write_b64 v1, v[8:9]
	s_waitcnt lgkmcnt(0)
	s_barrier
	s_and_saveexec_b64 s[46:47], s[2:3]
	s_cbranch_execz .LBB315_34
; %bb.33:
	v_add_u32_e32 v1, -8, v1
	s_waitcnt vmcnt(0)
	ds_read_b64 v[32:33], v1
.LBB315_34:
	s_or_b64 exec, exec, s[46:47]
	v_cndmask_b32_e64 v1, 0, 1, vcc
	v_cndmask_b32_e64 v54, 0, 1, s[4:5]
	v_cndmask_b32_e64 v55, 0, 1, s[6:7]
	;; [unrolled: 1-line block ×8, first 2 shown]
	s_waitcnt vmcnt(0) lgkmcnt(0)
	v_cmp_neq_f64_e64 s[4:5], v[32:33], v[18:19]
	s_mov_b64 s[6:7], -1
.LBB315_35:
                                        ; implicit-def: $sgpr12
	s_branch .LBB315_49
.LBB315_36:
                                        ; implicit-def: $sgpr4_sgpr5
                                        ; implicit-def: $vgpr1
                                        ; implicit-def: $vgpr54
                                        ; implicit-def: $vgpr55
                                        ; implicit-def: $vgpr56
                                        ; implicit-def: $vgpr57
                                        ; implicit-def: $vgpr58
                                        ; implicit-def: $vgpr59
                                        ; implicit-def: $vgpr60
                                        ; implicit-def: $vgpr61
                                        ; implicit-def: $sgpr12
	s_cbranch_execnz .LBB315_41
	s_branch .LBB315_49
.LBB315_37:
                                        ; implicit-def: $sgpr4_sgpr5
                                        ; implicit-def: $vgpr1
                                        ; implicit-def: $vgpr54
                                        ; implicit-def: $vgpr55
                                        ; implicit-def: $vgpr56
                                        ; implicit-def: $vgpr57
                                        ; implicit-def: $vgpr58
                                        ; implicit-def: $vgpr59
                                        ; implicit-def: $vgpr60
                                        ; implicit-def: $vgpr61
	s_cbranch_execz .LBB315_35
; %bb.38:
	v_cmp_neq_f64_e32 vcc, v[6:7], v[8:9]
	v_cndmask_b32_e64 v1, 0, 1, vcc
	v_cmp_neq_f64_e32 vcc, v[20:21], v[26:27]
	v_cndmask_b32_e64 v61, 0, 1, vcc
	;; [unrolled: 2-line block ×8, first 2 shown]
	v_cmp_neq_f64_e32 vcc, v[6:7], v[4:5]
	v_lshlrev_b32_e32 v32, 3, v0
	v_cndmask_b32_e64 v54, 0, 1, vcc
	ds_write_b64 v32, v[8:9]
	s_waitcnt lgkmcnt(0)
	s_barrier
	s_waitcnt lgkmcnt(0)
                                        ; implicit-def: $sgpr4_sgpr5
	s_and_saveexec_b64 s[8:9], s[2:3]
	s_xor_b64 s[8:9], exec, s[8:9]
	s_cbranch_execz .LBB315_40
; %bb.39:
	v_add_u32_e32 v22, -8, v32
	ds_read_b64 v[22:23], v22
	s_or_b64 s[6:7], s[6:7], exec
	s_waitcnt lgkmcnt(0)
	v_cmp_neq_f64_e32 vcc, v[22:23], v[18:19]
	s_and_b64 s[4:5], vcc, exec
.LBB315_40:
	s_or_b64 exec, exec, s[8:9]
	s_mov_b32 s12, 1
	s_branch .LBB315_49
.LBB315_41:
	s_mul_hi_u32 s5, s42, 0xfffff600
	s_mul_i32 s4, s43, 0xfffff600
	s_sub_i32 s5, s5, s42
	s_add_i32 s5, s5, s4
	s_mul_i32 s4, s42, 0xfffff600
	s_add_u32 s8, s4, s20
	s_addc_u32 s9, s5, s21
	s_and_b64 vcc, exec, s[44:45]
	s_cbranch_vccz .LBB315_46
; %bb.42:
	global_load_dwordx2 v[22:23], v[30:31], off offset:-8
	v_mad_u32_u24 v26, v0, 10, 9
	v_mov_b32_e32 v27, 0
	v_cmp_gt_u64_e32 vcc, s[8:9], v[26:27]
	v_cmp_neq_f64_e64 s[4:5], v[6:7], v[8:9]
	v_mad_u32_u24 v26, v0, 10, 8
	s_and_b64 s[6:7], vcc, s[4:5]
	v_cmp_gt_u64_e32 vcc, s[8:9], v[26:27]
	v_cmp_neq_f64_e64 s[4:5], v[4:5], v[6:7]
	v_mad_u32_u24 v26, v0, 10, 7
	s_and_b64 s[10:11], vcc, s[4:5]
	;; [unrolled: 4-line block ×5, first 2 shown]
	v_cmp_gt_u64_e32 vcc, s[8:9], v[26:27]
	v_cmp_neq_f64_e64 s[4:5], v[16:17], v[10:11]
	v_mad_u32_u24 v26, v0, 10, 3
	v_mul_u32_u24_e32 v24, 10, v0
	s_and_b64 s[18:19], vcc, s[4:5]
	v_cmp_gt_u64_e32 vcc, s[8:9], v[26:27]
	v_cmp_neq_f64_e64 s[4:5], v[14:15], v[16:17]
	v_mad_u32_u24 v26, v0, 10, 2
	s_and_b64 s[20:21], vcc, s[4:5]
	v_cmp_gt_u64_e32 vcc, s[8:9], v[26:27]
	v_cmp_neq_f64_e64 s[4:5], v[20:21], v[14:15]
	v_or_b32_e32 v26, 1, v24
	s_and_b64 s[42:43], vcc, s[4:5]
	v_cmp_gt_u64_e32 vcc, s[8:9], v[26:27]
	v_cmp_neq_f64_e64 s[4:5], v[18:19], v[20:21]
	v_lshlrev_b32_e32 v1, 3, v0
	s_and_b64 s[4:5], vcc, s[4:5]
	ds_write_b64 v1, v[8:9]
	s_waitcnt lgkmcnt(0)
	s_barrier
	s_and_saveexec_b64 s[44:45], s[2:3]
	s_cbranch_execz .LBB315_44
; %bb.43:
	v_add_u32_e32 v1, -8, v1
	s_waitcnt vmcnt(0)
	ds_read_b64 v[22:23], v1
.LBB315_44:
	s_or_b64 exec, exec, s[44:45]
	v_mov_b32_e32 v25, v27
	v_cndmask_b32_e64 v61, 0, 1, s[4:5]
	v_cmp_gt_u64_e32 vcc, s[8:9], v[24:25]
	s_waitcnt vmcnt(0) lgkmcnt(0)
	v_cmp_neq_f64_e64 s[4:5], v[22:23], v[18:19]
	v_cndmask_b32_e64 v1, 0, 1, s[6:7]
	v_cndmask_b32_e64 v54, 0, 1, s[10:11]
	;; [unrolled: 1-line block ×8, first 2 shown]
	s_and_b64 s[4:5], vcc, s[4:5]
	s_mov_b64 s[6:7], -1
.LBB315_45:
                                        ; implicit-def: $sgpr12
	v_mov_b32_e32 v62, s12
	s_and_saveexec_b64 s[2:3], s[6:7]
	s_cbranch_execnz .LBB315_50
	s_branch .LBB315_51
.LBB315_46:
                                        ; implicit-def: $sgpr4_sgpr5
                                        ; implicit-def: $vgpr1
                                        ; implicit-def: $vgpr54
                                        ; implicit-def: $vgpr55
                                        ; implicit-def: $vgpr56
                                        ; implicit-def: $vgpr57
                                        ; implicit-def: $vgpr58
                                        ; implicit-def: $vgpr59
                                        ; implicit-def: $vgpr60
                                        ; implicit-def: $vgpr61
	s_cbranch_execz .LBB315_45
; %bb.47:
	v_mad_u32_u24 v24, v0, 10, 9
	v_mov_b32_e32 v25, 0
	v_cmp_gt_u64_e32 vcc, s[8:9], v[24:25]
	v_cmp_neq_f64_e64 s[4:5], v[6:7], v[8:9]
	s_and_b64 s[4:5], vcc, s[4:5]
	v_mad_u32_u24 v24, v0, 10, 8
	v_cndmask_b32_e64 v1, 0, 1, s[4:5]
	v_cmp_gt_u64_e32 vcc, s[8:9], v[24:25]
	v_cmp_neq_f64_e64 s[4:5], v[4:5], v[6:7]
	s_and_b64 s[4:5], vcc, s[4:5]
	v_mad_u32_u24 v24, v0, 10, 7
	v_cndmask_b32_e64 v54, 0, 1, s[4:5]
	;; [unrolled: 5-line block ×6, first 2 shown]
	v_cmp_gt_u64_e32 vcc, s[8:9], v[24:25]
	v_cmp_neq_f64_e64 s[4:5], v[14:15], v[16:17]
	s_and_b64 s[4:5], vcc, s[4:5]
	v_mad_u32_u24 v24, v0, 10, 2
	v_mul_u32_u24_e32 v22, 10, v0
	v_cndmask_b32_e64 v59, 0, 1, s[4:5]
	v_cmp_gt_u64_e32 vcc, s[8:9], v[24:25]
	v_cmp_neq_f64_e64 s[4:5], v[20:21], v[14:15]
	s_and_b64 s[4:5], vcc, s[4:5]
	v_or_b32_e32 v24, 1, v22
	v_cndmask_b32_e64 v60, 0, 1, s[4:5]
	v_cmp_gt_u64_e32 vcc, s[8:9], v[24:25]
	v_cmp_neq_f64_e64 s[4:5], v[18:19], v[20:21]
	s_and_b64 s[4:5], vcc, s[4:5]
	v_lshlrev_b32_e32 v23, 3, v0
	s_mov_b32 s12, 1
	v_cndmask_b32_e64 v61, 0, 1, s[4:5]
	ds_write_b64 v23, v[8:9]
	s_waitcnt lgkmcnt(0)
	s_barrier
	s_waitcnt lgkmcnt(0)
                                        ; implicit-def: $sgpr4_sgpr5
	s_and_saveexec_b64 s[10:11], s[2:3]
	s_cbranch_execz .LBB315_134
; %bb.48:
	v_add_u32_e32 v23, -8, v23
	ds_read_b64 v[26:27], v23
	v_mov_b32_e32 v23, v25
	v_cmp_gt_u64_e32 vcc, s[8:9], v[22:23]
	s_or_b64 s[6:7], s[6:7], exec
	s_waitcnt lgkmcnt(0)
	v_cmp_neq_f64_e64 s[2:3], v[26:27], v[18:19]
	s_and_b64 s[2:3], vcc, s[2:3]
	s_and_b64 s[4:5], s[2:3], exec
	s_or_b64 exec, exec, s[10:11]
.LBB315_49:
	v_mov_b32_e32 v62, s12
	s_and_saveexec_b64 s[2:3], s[6:7]
.LBB315_50:
	v_cndmask_b32_e64 v62, 0, 1, s[4:5]
.LBB315_51:
	s_or_b64 exec, exec, s[2:3]
	s_cmp_eq_u64 s[26:27], 0
	v_add_u32_e32 v22, v61, v62
	s_cselect_b64 s[26:27], -1, 0
	s_cmp_lg_u32 s48, 0
	v_cmp_eq_u32_e64 s[16:17], 0, v61
	v_cmp_eq_u32_e64 s[14:15], 0, v60
	v_add3_u32 v53, v22, v60, v59
	v_cmp_eq_u32_e64 s[12:13], 0, v59
	v_cmp_eq_u32_e64 s[10:11], 0, v58
	;; [unrolled: 1-line block ×6, first 2 shown]
	v_cmp_eq_u32_e32 vcc, 0, v1
	v_mbcnt_lo_u32_b32 v52, -1, 0
	v_lshrrev_b32_e32 v50, 6, v0
	v_or_b32_e32 v51, 63, v0
	s_cbranch_scc0 .LBB315_82
; %bb.52:
	v_cndmask_b32_e64 v22, 0, v48, s[16:17]
	v_add_u32_e32 v22, v22, v48
	v_cndmask_b32_e64 v22, 0, v22, s[14:15]
	v_add_u32_e32 v22, v22, v48
	;; [unrolled: 2-line block ×7, first 2 shown]
	v_cndmask_b32_e64 v22, 0, v22, s[2:3]
	v_add3_u32 v23, v53, v58, v57
	v_add_u32_e32 v22, v22, v48
	v_add3_u32 v23, v23, v56, v55
	v_cndmask_b32_e32 v22, 0, v22, vcc
	v_add3_u32 v23, v23, v54, v1
	v_add_u32_e32 v22, v22, v49
	v_mbcnt_hi_u32_b32 v31, -1, v52
	v_and_b32_e32 v24, 15, v31
	v_mov_b32_dpp v26, v22 row_shr:1 row_mask:0xf bank_mask:0xf
	v_cmp_eq_u32_e32 vcc, 0, v23
	v_mov_b32_dpp v25, v23 row_shr:1 row_mask:0xf bank_mask:0xf
	v_cndmask_b32_e32 v26, 0, v26, vcc
	v_cmp_eq_u32_e32 vcc, 0, v24
	v_cndmask_b32_e64 v25, v25, 0, vcc
	v_add_u32_e32 v23, v25, v23
	v_cndmask_b32_e64 v25, v26, 0, vcc
	v_add_u32_e32 v22, v25, v22
	v_cmp_eq_u32_e32 vcc, 0, v23
	v_mov_b32_dpp v25, v23 row_shr:2 row_mask:0xf bank_mask:0xf
	v_cmp_lt_u32_e64 s[18:19], 1, v24
	v_mov_b32_dpp v26, v22 row_shr:2 row_mask:0xf bank_mask:0xf
	v_cndmask_b32_e64 v25, 0, v25, s[18:19]
	s_and_b64 vcc, s[18:19], vcc
	v_cndmask_b32_e32 v26, 0, v26, vcc
	v_add_u32_e32 v23, v23, v25
	v_add_u32_e32 v22, v26, v22
	v_cmp_eq_u32_e32 vcc, 0, v23
	v_mov_b32_dpp v25, v23 row_shr:4 row_mask:0xf bank_mask:0xf
	v_cmp_lt_u32_e64 s[18:19], 3, v24
	v_mov_b32_dpp v26, v22 row_shr:4 row_mask:0xf bank_mask:0xf
	v_cndmask_b32_e64 v25, 0, v25, s[18:19]
	s_and_b64 vcc, s[18:19], vcc
	v_cndmask_b32_e32 v26, 0, v26, vcc
	v_add_u32_e32 v23, v25, v23
	v_add_u32_e32 v22, v22, v26
	v_cmp_eq_u32_e32 vcc, 0, v23
	v_cmp_lt_u32_e64 s[18:19], 7, v24
	v_mov_b32_dpp v25, v23 row_shr:8 row_mask:0xf bank_mask:0xf
	v_mov_b32_dpp v26, v22 row_shr:8 row_mask:0xf bank_mask:0xf
	s_and_b64 vcc, s[18:19], vcc
	v_cndmask_b32_e64 v24, 0, v25, s[18:19]
	v_cndmask_b32_e32 v25, 0, v26, vcc
	v_add_u32_e32 v22, v25, v22
	v_add_u32_e32 v23, v24, v23
	v_bfe_i32 v26, v31, 4, 1
	v_mov_b32_dpp v25, v22 row_bcast:15 row_mask:0xf bank_mask:0xf
	v_mov_b32_dpp v24, v23 row_bcast:15 row_mask:0xf bank_mask:0xf
	v_cmp_eq_u32_e32 vcc, 0, v23
	v_cndmask_b32_e32 v25, 0, v25, vcc
	v_and_b32_e32 v24, v26, v24
	v_add_u32_e32 v23, v24, v23
	v_and_b32_e32 v24, v26, v25
	v_add_u32_e32 v24, v24, v22
	v_mov_b32_dpp v22, v23 row_bcast:31 row_mask:0xf bank_mask:0xf
	v_cmp_eq_u32_e32 vcc, 0, v23
	v_cmp_lt_u32_e64 s[18:19], 31, v31
	v_mov_b32_dpp v25, v24 row_bcast:31 row_mask:0xf bank_mask:0xf
	v_cndmask_b32_e64 v22, 0, v22, s[18:19]
	s_and_b64 vcc, s[18:19], vcc
	v_add_u32_e32 v22, v22, v23
	v_cndmask_b32_e32 v23, 0, v25, vcc
	v_add_u32_e32 v23, v23, v24
	v_cmp_eq_u32_e32 vcc, v51, v0
	v_lshlrev_b32_e32 v24, 3, v50
	s_and_saveexec_b64 s[18:19], vcc
	s_cbranch_execz .LBB315_54
; %bb.53:
	ds_write_b64 v24, v[22:23] offset:4112
.LBB315_54:
	s_or_b64 exec, exec, s[18:19]
	v_cmp_gt_u32_e32 vcc, 4, v0
	s_waitcnt lgkmcnt(0)
	s_barrier
	s_and_saveexec_b64 s[20:21], vcc
	s_cbranch_execz .LBB315_56
; %bb.55:
	v_lshlrev_b32_e32 v25, 3, v0
	ds_read_b64 v[26:27], v25 offset:4112
	v_and_b32_e32 v28, 3, v31
	v_cmp_lt_u32_e64 s[18:19], 1, v28
	s_waitcnt lgkmcnt(0)
	v_mov_b32_dpp v30, v27 row_shr:1 row_mask:0xf bank_mask:0xf
	v_cmp_eq_u32_e32 vcc, 0, v26
	v_mov_b32_dpp v29, v26 row_shr:1 row_mask:0xf bank_mask:0xf
	v_cndmask_b32_e32 v30, 0, v30, vcc
	v_cmp_eq_u32_e32 vcc, 0, v28
	v_cndmask_b32_e64 v29, v29, 0, vcc
	v_add_u32_e32 v26, v29, v26
	v_cndmask_b32_e64 v29, v30, 0, vcc
	v_add_u32_e32 v27, v29, v27
	v_cmp_eq_u32_e32 vcc, 0, v26
	v_mov_b32_dpp v29, v26 row_shr:2 row_mask:0xf bank_mask:0xf
	v_mov_b32_dpp v30, v27 row_shr:2 row_mask:0xf bank_mask:0xf
	v_cndmask_b32_e64 v28, 0, v29, s[18:19]
	s_and_b64 vcc, s[18:19], vcc
	v_add_u32_e32 v26, v28, v26
	v_cndmask_b32_e32 v28, 0, v30, vcc
	v_add_u32_e32 v27, v28, v27
	ds_write_b64 v25, v[26:27] offset:4112
.LBB315_56:
	s_or_b64 exec, exec, s[20:21]
	v_cmp_gt_u32_e32 vcc, 64, v0
	v_cmp_lt_u32_e64 s[18:19], 63, v0
	v_mov_b32_e32 v28, 0
	v_mov_b32_e32 v29, 0
	s_waitcnt lgkmcnt(0)
	s_barrier
	s_and_saveexec_b64 s[20:21], s[18:19]
	s_cbranch_execz .LBB315_58
; %bb.57:
	ds_read_b64 v[28:29], v24 offset:4104
	v_cmp_eq_u32_e64 s[18:19], 0, v22
	s_waitcnt lgkmcnt(0)
	v_add_u32_e32 v24, v28, v22
	v_cndmask_b32_e64 v22, 0, v29, s[18:19]
	v_add_u32_e32 v23, v22, v23
	v_mov_b32_e32 v22, v24
.LBB315_58:
	s_or_b64 exec, exec, s[20:21]
	v_add_u32_e32 v24, -1, v31
	v_and_b32_e32 v25, 64, v31
	v_cmp_lt_i32_e64 s[18:19], v24, v25
	v_cndmask_b32_e64 v24, v24, v31, s[18:19]
	v_lshlrev_b32_e32 v24, 2, v24
	ds_bpermute_b32 v36, v24, v22
	ds_bpermute_b32 v37, v24, v23
	v_cmp_eq_u32_e64 s[18:19], 0, v31
	s_and_saveexec_b64 s[42:43], vcc
	s_cbranch_execz .LBB315_81
; %bb.59:
	v_mov_b32_e32 v27, 0
	ds_read_b64 v[22:23], v27 offset:4136
	s_waitcnt lgkmcnt(0)
	v_readfirstlane_b32 s46, v22
	v_readfirstlane_b32 s47, v23
	s_and_saveexec_b64 s[20:21], s[18:19]
	s_cbranch_execz .LBB315_61
; %bb.60:
	s_add_i32 s44, s48, 64
	s_mov_b32 s45, 0
	s_lshl_b64 s[50:51], s[44:45], 4
	s_add_u32 s50, s24, s50
	s_addc_u32 s51, s25, s51
	s_and_b32 s53, s47, 0xff000000
	s_mov_b32 s52, s45
	s_and_b32 s55, s47, 0xff0000
	s_mov_b32 s54, s45
	s_or_b64 s[52:53], s[54:55], s[52:53]
	s_and_b32 s55, s47, 0xff00
	s_or_b64 s[52:53], s[52:53], s[54:55]
	s_and_b32 s55, s47, 0xff
	s_or_b64 s[44:45], s[52:53], s[54:55]
	v_mov_b32_e32 v24, s46
	v_mov_b32_e32 v25, s45
	;; [unrolled: 1-line block ×3, first 2 shown]
	v_pk_mov_b32 v[22:23], s[50:51], s[50:51] op_sel:[0,1]
	;;#ASMSTART
	global_store_dwordx4 v[22:23], v[24:27] off	
s_waitcnt vmcnt(0)
	;;#ASMEND
.LBB315_61:
	s_or_b64 exec, exec, s[20:21]
	v_xad_u32 v30, v31, -1, s48
	v_add_u32_e32 v26, 64, v30
	v_lshlrev_b64 v[22:23], 4, v[26:27]
	v_mov_b32_e32 v24, s25
	v_add_co_u32_e32 v32, vcc, s24, v22
	v_addc_co_u32_e32 v33, vcc, v24, v23, vcc
	;;#ASMSTART
	global_load_dwordx4 v[22:25], v[32:33] off glc	
s_waitcnt vmcnt(0)
	;;#ASMEND
	v_and_b32_e32 v25, 0xff, v23
	v_and_b32_e32 v26, 0xff00, v23
	v_or3_b32 v25, 0, v25, v26
	v_or3_b32 v22, v22, 0, 0
	v_and_b32_e32 v26, 0xff000000, v23
	v_and_b32_e32 v23, 0xff0000, v23
	v_or3_b32 v23, v25, v23, v26
	v_or3_b32 v22, v22, 0, 0
	v_cmp_eq_u16_sdwa s[44:45], v24, v27 src0_sel:BYTE_0 src1_sel:DWORD
	s_and_saveexec_b64 s[20:21], s[44:45]
	s_cbranch_execz .LBB315_67
; %bb.62:
	s_mov_b32 s49, 1
	s_mov_b64 s[44:45], 0
	v_mov_b32_e32 v26, 0
.LBB315_63:                             ; =>This Loop Header: Depth=1
                                        ;     Child Loop BB315_64 Depth 2
	s_max_u32 s50, s49, 1
.LBB315_64:                             ;   Parent Loop BB315_63 Depth=1
                                        ; =>  This Inner Loop Header: Depth=2
	s_add_i32 s50, s50, -1
	s_cmp_eq_u32 s50, 0
	s_sleep 1
	s_cbranch_scc0 .LBB315_64
; %bb.65:                               ;   in Loop: Header=BB315_63 Depth=1
	s_cmp_lt_u32 s49, 32
	s_cselect_b64 s[50:51], -1, 0
	s_cmp_lg_u64 s[50:51], 0
	s_addc_u32 s49, s49, 0
	;;#ASMSTART
	global_load_dwordx4 v[22:25], v[32:33] off glc	
s_waitcnt vmcnt(0)
	;;#ASMEND
	v_cmp_ne_u16_sdwa s[50:51], v24, v26 src0_sel:BYTE_0 src1_sel:DWORD
	s_or_b64 s[44:45], s[50:51], s[44:45]
	s_andn2_b64 exec, exec, s[44:45]
	s_cbranch_execnz .LBB315_63
; %bb.66:
	s_or_b64 exec, exec, s[44:45]
.LBB315_67:
	s_or_b64 exec, exec, s[20:21]
	v_mov_b32_e32 v38, 2
	v_cmp_eq_u16_sdwa s[20:21], v24, v38 src0_sel:BYTE_0 src1_sel:DWORD
	v_lshlrev_b64 v[32:33], v31, -1
	v_and_b32_e32 v25, s21, v33
	v_and_b32_e32 v39, 63, v31
	v_or_b32_e32 v25, 0x80000000, v25
	v_cmp_ne_u32_e32 vcc, 63, v39
	v_and_b32_e32 v26, s20, v32
	v_ffbl_b32_e32 v25, v25
	v_addc_co_u32_e32 v27, vcc, 0, v31, vcc
	v_add_u32_e32 v25, 32, v25
	v_ffbl_b32_e32 v26, v26
	v_lshlrev_b32_e32 v40, 2, v27
	v_min_u32_e32 v25, v26, v25
	ds_bpermute_b32 v26, v40, v23
	v_cmp_eq_u32_e32 vcc, 0, v22
	v_cmp_lt_u32_e64 s[20:21], v39, v25
	ds_bpermute_b32 v27, v40, v22
	s_and_b64 vcc, s[20:21], vcc
	s_waitcnt lgkmcnt(1)
	v_cndmask_b32_e32 v26, 0, v26, vcc
	v_cmp_gt_u32_e32 vcc, 62, v39
	v_add_u32_e32 v23, v26, v23
	v_cndmask_b32_e64 v26, 0, 1, vcc
	v_lshlrev_b32_e32 v26, 1, v26
	v_add_lshl_u32 v41, v26, v31, 2
	s_waitcnt lgkmcnt(0)
	v_cndmask_b32_e64 v27, 0, v27, s[20:21]
	ds_bpermute_b32 v26, v41, v23
	v_add_u32_e32 v22, v27, v22
	ds_bpermute_b32 v27, v41, v22
	v_add_u32_e32 v42, 2, v39
	v_cmp_eq_u32_e32 vcc, 0, v22
	s_waitcnt lgkmcnt(1)
	v_cndmask_b32_e32 v26, 0, v26, vcc
	v_cmp_gt_u32_e32 vcc, v42, v25
	v_cndmask_b32_e64 v26, v26, 0, vcc
	v_add_u32_e32 v23, v26, v23
	s_waitcnt lgkmcnt(0)
	v_cndmask_b32_e64 v26, v27, 0, vcc
	v_cmp_gt_u32_e32 vcc, 60, v39
	v_cndmask_b32_e64 v27, 0, 1, vcc
	v_lshlrev_b32_e32 v27, 2, v27
	v_add_lshl_u32 v43, v27, v31, 2
	ds_bpermute_b32 v27, v43, v23
	v_add_u32_e32 v22, v22, v26
	ds_bpermute_b32 v26, v43, v22
	v_add_u32_e32 v44, 4, v39
	v_cmp_eq_u32_e32 vcc, 0, v22
	s_waitcnt lgkmcnt(1)
	v_cndmask_b32_e32 v27, 0, v27, vcc
	v_cmp_gt_u32_e32 vcc, v44, v25
	v_cndmask_b32_e64 v27, v27, 0, vcc
	s_waitcnt lgkmcnt(0)
	v_cndmask_b32_e64 v26, v26, 0, vcc
	v_cmp_gt_u32_e32 vcc, 56, v39
	v_add_u32_e32 v23, v23, v27
	v_cndmask_b32_e64 v27, 0, 1, vcc
	v_lshlrev_b32_e32 v27, 3, v27
	v_add_lshl_u32 v45, v27, v31, 2
	ds_bpermute_b32 v27, v45, v23
	v_add_u32_e32 v22, v22, v26
	ds_bpermute_b32 v26, v45, v22
	v_add_u32_e32 v46, 8, v39
	v_cmp_eq_u32_e32 vcc, 0, v22
	s_waitcnt lgkmcnt(1)
	v_cndmask_b32_e32 v27, 0, v27, vcc
	v_cmp_gt_u32_e32 vcc, v46, v25
	v_cndmask_b32_e64 v27, v27, 0, vcc
	s_waitcnt lgkmcnt(0)
	v_cndmask_b32_e64 v26, v26, 0, vcc
	v_cmp_gt_u32_e32 vcc, 48, v39
	v_add_u32_e32 v23, v23, v27
	v_cndmask_b32_e64 v27, 0, 1, vcc
	v_lshlrev_b32_e32 v27, 4, v27
	v_add_lshl_u32 v47, v27, v31, 2
	ds_bpermute_b32 v27, v47, v23
	v_add_u32_e32 v22, v22, v26
	ds_bpermute_b32 v26, v47, v22
	v_add_u32_e32 v63, 16, v39
	v_cmp_eq_u32_e32 vcc, 0, v22
	s_waitcnt lgkmcnt(1)
	v_cndmask_b32_e32 v27, 0, v27, vcc
	v_cmp_gt_u32_e32 vcc, v63, v25
	v_cndmask_b32_e64 v27, v27, 0, vcc
	s_waitcnt lgkmcnt(0)
	v_cndmask_b32_e64 v26, v26, 0, vcc
	v_cmp_gt_u32_e32 vcc, 32, v39
	v_add_u32_e32 v23, v23, v27
	v_cndmask_b32_e64 v27, 0, 1, vcc
	v_lshlrev_b32_e32 v27, 5, v27
	v_add_lshl_u32 v64, v27, v31, 2
	ds_bpermute_b32 v27, v64, v23
	v_add_u32_e32 v22, v22, v26
	ds_bpermute_b32 v26, v64, v22
	v_add_u32_e32 v65, 32, v39
	v_cmp_eq_u32_e32 vcc, 0, v22
	s_waitcnt lgkmcnt(1)
	v_cndmask_b32_e32 v27, 0, v27, vcc
	v_cmp_gt_u32_e32 vcc, v65, v25
	v_cndmask_b32_e64 v25, v27, 0, vcc
	v_add_u32_e32 v23, v25, v23
	s_waitcnt lgkmcnt(0)
	v_cndmask_b32_e64 v25, v26, 0, vcc
	v_add_u32_e32 v22, v25, v22
	v_mov_b32_e32 v31, 0
	s_branch .LBB315_69
.LBB315_68:                             ;   in Loop: Header=BB315_69 Depth=1
	s_or_b64 exec, exec, s[20:21]
	v_cmp_eq_u16_sdwa s[20:21], v24, v38 src0_sel:BYTE_0 src1_sel:DWORD
	v_and_b32_e32 v25, s21, v33
	v_or_b32_e32 v25, 0x80000000, v25
	v_and_b32_e32 v34, s20, v32
	v_ffbl_b32_e32 v25, v25
	v_add_u32_e32 v25, 32, v25
	v_ffbl_b32_e32 v34, v34
	v_min_u32_e32 v25, v34, v25
	ds_bpermute_b32 v34, v40, v23
	v_cmp_eq_u32_e32 vcc, 0, v22
	v_cmp_lt_u32_e64 s[20:21], v39, v25
	ds_bpermute_b32 v35, v40, v22
	s_and_b64 vcc, s[20:21], vcc
	s_waitcnt lgkmcnt(1)
	v_cndmask_b32_e32 v34, 0, v34, vcc
	v_add_u32_e32 v23, v34, v23
	ds_bpermute_b32 v34, v41, v23
	s_waitcnt lgkmcnt(1)
	v_cndmask_b32_e64 v35, 0, v35, s[20:21]
	v_add_u32_e32 v22, v35, v22
	v_cmp_eq_u32_e32 vcc, 0, v22
	ds_bpermute_b32 v35, v41, v22
	s_waitcnt lgkmcnt(1)
	v_cndmask_b32_e32 v34, 0, v34, vcc
	v_cmp_gt_u32_e32 vcc, v42, v25
	v_cndmask_b32_e64 v34, v34, 0, vcc
	v_add_u32_e32 v23, v34, v23
	ds_bpermute_b32 v34, v43, v23
	s_waitcnt lgkmcnt(1)
	v_cndmask_b32_e64 v35, v35, 0, vcc
	v_add_u32_e32 v22, v22, v35
	v_cmp_eq_u32_e32 vcc, 0, v22
	ds_bpermute_b32 v35, v43, v22
	s_waitcnt lgkmcnt(1)
	v_cndmask_b32_e32 v34, 0, v34, vcc
	v_cmp_gt_u32_e32 vcc, v44, v25
	v_cndmask_b32_e64 v34, v34, 0, vcc
	v_add_u32_e32 v23, v23, v34
	ds_bpermute_b32 v34, v45, v23
	s_waitcnt lgkmcnt(1)
	v_cndmask_b32_e64 v35, v35, 0, vcc
	v_add_u32_e32 v22, v22, v35
	ds_bpermute_b32 v35, v45, v22
	v_cmp_eq_u32_e32 vcc, 0, v22
	s_waitcnt lgkmcnt(1)
	v_cndmask_b32_e32 v34, 0, v34, vcc
	v_cmp_gt_u32_e32 vcc, v46, v25
	v_cndmask_b32_e64 v34, v34, 0, vcc
	v_add_u32_e32 v23, v23, v34
	ds_bpermute_b32 v34, v47, v23
	s_waitcnt lgkmcnt(1)
	v_cndmask_b32_e64 v35, v35, 0, vcc
	v_add_u32_e32 v22, v22, v35
	ds_bpermute_b32 v35, v47, v22
	v_cmp_eq_u32_e32 vcc, 0, v22
	;; [unrolled: 11-line block ×3, first 2 shown]
	s_waitcnt lgkmcnt(1)
	v_cndmask_b32_e32 v34, 0, v34, vcc
	v_cmp_gt_u32_e32 vcc, v65, v25
	v_cndmask_b32_e64 v25, v34, 0, vcc
	v_add_u32_e32 v23, v25, v23
	s_waitcnt lgkmcnt(0)
	v_cndmask_b32_e64 v25, v35, 0, vcc
	v_cmp_eq_u32_e32 vcc, 0, v26
	v_cndmask_b32_e32 v23, 0, v23, vcc
	v_subrev_u32_e32 v30, 64, v30
	v_add3_u32 v22, v22, v26, v25
	v_add_u32_e32 v23, v23, v27
.LBB315_69:                             ; =>This Loop Header: Depth=1
                                        ;     Child Loop BB315_72 Depth 2
                                        ;       Child Loop BB315_73 Depth 3
	v_cmp_ne_u16_sdwa s[20:21], v24, v38 src0_sel:BYTE_0 src1_sel:DWORD
	v_mov_b32_e32 v27, v23
	v_cndmask_b32_e64 v23, 0, 1, s[20:21]
	;;#ASMSTART
	;;#ASMEND
	v_cmp_ne_u32_e32 vcc, 0, v23
	s_cmp_lg_u64 vcc, exec
	v_mov_b32_e32 v26, v22
	s_cbranch_scc1 .LBB315_76
; %bb.70:                               ;   in Loop: Header=BB315_69 Depth=1
	v_lshlrev_b64 v[22:23], 4, v[30:31]
	v_mov_b32_e32 v24, s25
	v_add_co_u32_e32 v34, vcc, s24, v22
	v_addc_co_u32_e32 v35, vcc, v24, v23, vcc
	;;#ASMSTART
	global_load_dwordx4 v[22:25], v[34:35] off glc	
s_waitcnt vmcnt(0)
	;;#ASMEND
	v_and_b32_e32 v25, 0xff, v23
	v_and_b32_e32 v66, 0xff00, v23
	v_or3_b32 v25, 0, v25, v66
	v_or3_b32 v22, v22, 0, 0
	v_and_b32_e32 v66, 0xff000000, v23
	v_and_b32_e32 v23, 0xff0000, v23
	v_or3_b32 v23, v25, v23, v66
	v_or3_b32 v22, v22, 0, 0
	v_cmp_eq_u16_sdwa s[44:45], v24, v31 src0_sel:BYTE_0 src1_sel:DWORD
	s_and_saveexec_b64 s[20:21], s[44:45]
	s_cbranch_execz .LBB315_68
; %bb.71:                               ;   in Loop: Header=BB315_69 Depth=1
	s_mov_b32 s49, 1
	s_mov_b64 s[44:45], 0
.LBB315_72:                             ;   Parent Loop BB315_69 Depth=1
                                        ; =>  This Loop Header: Depth=2
                                        ;       Child Loop BB315_73 Depth 3
	s_max_u32 s50, s49, 1
.LBB315_73:                             ;   Parent Loop BB315_69 Depth=1
                                        ;     Parent Loop BB315_72 Depth=2
                                        ; =>    This Inner Loop Header: Depth=3
	s_add_i32 s50, s50, -1
	s_cmp_eq_u32 s50, 0
	s_sleep 1
	s_cbranch_scc0 .LBB315_73
; %bb.74:                               ;   in Loop: Header=BB315_72 Depth=2
	s_cmp_lt_u32 s49, 32
	s_cselect_b64 s[50:51], -1, 0
	s_cmp_lg_u64 s[50:51], 0
	s_addc_u32 s49, s49, 0
	;;#ASMSTART
	global_load_dwordx4 v[22:25], v[34:35] off glc	
s_waitcnt vmcnt(0)
	;;#ASMEND
	v_cmp_ne_u16_sdwa s[50:51], v24, v31 src0_sel:BYTE_0 src1_sel:DWORD
	s_or_b64 s[44:45], s[50:51], s[44:45]
	s_andn2_b64 exec, exec, s[44:45]
	s_cbranch_execnz .LBB315_72
; %bb.75:                               ;   in Loop: Header=BB315_69 Depth=1
	s_or_b64 exec, exec, s[44:45]
	s_branch .LBB315_68
.LBB315_76:                             ;   in Loop: Header=BB315_69 Depth=1
                                        ; implicit-def: $vgpr23
                                        ; implicit-def: $vgpr22
                                        ; implicit-def: $vgpr24
	s_cbranch_execz .LBB315_69
; %bb.77:
	s_and_saveexec_b64 s[20:21], s[18:19]
	s_cbranch_execz .LBB315_79
; %bb.78:
	s_cmp_eq_u32 s46, 0
	s_cselect_b64 vcc, -1, 0
	s_mov_b32 s45, 0
	v_cndmask_b32_e32 v22, 0, v27, vcc
	s_add_i32 s44, s48, 64
	v_add_u32_e32 v22, s47, v22
	s_lshl_b64 s[44:45], s[44:45], 4
	s_add_u32 s44, s24, s44
	v_and_b32_e32 v23, 0xff000000, v22
	v_and_b32_e32 v24, 0xff0000, v22
	s_addc_u32 s45, s25, s45
	v_or_b32_e32 v23, v24, v23
	v_and_b32_e32 v24, 0xff00, v22
	v_and_b32_e32 v22, 0xff, v22
	v_add_u32_e32 v30, s46, v26
	v_mov_b32_e32 v33, 0
	v_or3_b32 v31, v23, v24, v22
	v_mov_b32_e32 v32, 2
	v_pk_mov_b32 v[22:23], s[44:45], s[44:45] op_sel:[0,1]
	;;#ASMSTART
	global_store_dwordx4 v[22:23], v[30:33] off	
s_waitcnt vmcnt(0)
	;;#ASMEND
	v_mov_b32_e32 v24, s46
	v_mov_b32_e32 v25, s47
	ds_write_b128 v33, v[24:27] offset:4096
.LBB315_79:
	s_or_b64 exec, exec, s[20:21]
	s_and_b64 exec, exec, s[0:1]
	s_cbranch_execz .LBB315_81
; %bb.80:
	v_mov_b32_e32 v22, 0
	ds_write_b64 v22, v[26:27] offset:4136
.LBB315_81:
	s_or_b64 exec, exec, s[42:43]
	v_mov_b32_e32 v24, 0
	s_waitcnt lgkmcnt(0)
	s_barrier
	ds_read_b64 v[22:23], v24 offset:4136
	v_cndmask_b32_e64 v26, v36, v28, s[18:19]
	v_cmp_eq_u32_e32 vcc, 0, v26
	v_cndmask_b32_e64 v25, v37, v29, s[18:19]
	s_waitcnt lgkmcnt(0)
	v_cndmask_b32_e32 v27, 0, v23, vcc
	v_add_u32_e32 v25, v27, v25
	v_cndmask_b32_e64 v47, v25, v23, s[0:1]
	v_cndmask_b32_e64 v23, v26, 0, s[0:1]
	v_cmp_eq_u32_e32 vcc, 0, v62
	v_add_u32_e32 v46, v22, v23
	v_cndmask_b32_e32 v22, 0, v47, vcc
	v_add_u32_e32 v45, v22, v48
	v_cndmask_b32_e64 v22, 0, v45, s[16:17]
	v_add_u32_e32 v43, v22, v48
	v_cndmask_b32_e64 v22, 0, v43, s[14:15]
	;; [unrolled: 2-line block ×5, first 2 shown]
	v_add_u32_e32 v35, v22, v48
	v_add_u32_e32 v44, v46, v62
	v_cndmask_b32_e64 v22, 0, v35, s[6:7]
	v_add_u32_e32 v42, v44, v61
	v_add_u32_e32 v33, v22, v48
	s_barrier
	ds_read_b128 v[22:25], v24 offset:4096
	v_add_u32_e32 v40, v42, v60
	v_add_u32_e32 v38, v40, v59
	;; [unrolled: 1-line block ×4, first 2 shown]
	v_cndmask_b32_e64 v26, 0, v33, s[4:5]
	v_add_u32_e32 v32, v34, v56
	v_add_u32_e32 v29, v26, v48
	s_waitcnt lgkmcnt(0)
	v_cmp_eq_u32_e32 vcc, 0, v22
	v_add_u32_e32 v28, v32, v55
	v_cndmask_b32_e64 v26, 0, v29, s[2:3]
	v_cndmask_b32_e32 v25, 0, v25, vcc
	v_add_u32_e32 v30, v28, v54
	v_add_u32_e32 v31, v26, v48
	;; [unrolled: 1-line block ×3, first 2 shown]
	s_branch .LBB315_94
.LBB315_82:
                                        ; implicit-def: $vgpr22
                                        ; implicit-def: $vgpr26
                                        ; implicit-def: $vgpr30_vgpr31
                                        ; implicit-def: $vgpr28_vgpr29
                                        ; implicit-def: $vgpr32_vgpr33
                                        ; implicit-def: $vgpr34_vgpr35
                                        ; implicit-def: $vgpr46_vgpr47
                                        ; implicit-def: $vgpr44_vgpr45
                                        ; implicit-def: $vgpr42_vgpr43
                                        ; implicit-def: $vgpr40_vgpr41
                                        ; implicit-def: $vgpr38_vgpr39
                                        ; implicit-def: $vgpr36_vgpr37
	s_cbranch_execz .LBB315_94
; %bb.83:
	s_and_b64 s[2:3], s[26:27], exec
	s_cselect_b32 s3, 0, s41
	s_cselect_b32 s2, 0, s40
	s_cmp_eq_u64 s[2:3], 0
	v_mov_b32_e32 v26, v48
	s_cbranch_scc1 .LBB315_85
; %bb.84:
	v_mov_b32_e32 v22, 0
	global_load_dword v26, v22, s[2:3]
.LBB315_85:
	v_cmp_eq_u32_e64 s[2:3], 0, v61
	v_cndmask_b32_e64 v22, 0, v48, s[2:3]
	v_add_u32_e32 v22, v22, v48
	v_cmp_eq_u32_e64 s[4:5], 0, v60
	v_cndmask_b32_e64 v22, 0, v22, s[4:5]
	v_add_u32_e32 v22, v22, v48
	;; [unrolled: 3-line block ×7, first 2 shown]
	v_cmp_eq_u32_e32 vcc, 0, v54
	v_cndmask_b32_e32 v22, 0, v22, vcc
	v_add3_u32 v23, v53, v58, v57
	v_add_u32_e32 v22, v22, v48
	v_cmp_eq_u32_e64 s[16:17], 0, v1
	v_add3_u32 v23, v23, v56, v55
	v_cndmask_b32_e64 v22, 0, v22, s[16:17]
	v_add3_u32 v23, v23, v54, v1
	v_add_u32_e32 v22, v22, v49
	v_mbcnt_hi_u32_b32 v27, -1, v52
	v_and_b32_e32 v24, 15, v27
	v_mov_b32_dpp v28, v22 row_shr:1 row_mask:0xf bank_mask:0xf
	v_cmp_eq_u32_e64 s[16:17], 0, v23
	v_mov_b32_dpp v25, v23 row_shr:1 row_mask:0xf bank_mask:0xf
	v_cndmask_b32_e64 v28, 0, v28, s[16:17]
	v_cmp_eq_u32_e64 s[16:17], 0, v24
	v_cndmask_b32_e64 v25, v25, 0, s[16:17]
	v_add_u32_e32 v23, v25, v23
	v_cndmask_b32_e64 v25, v28, 0, s[16:17]
	v_add_u32_e32 v22, v25, v22
	v_cmp_eq_u32_e64 s[16:17], 0, v23
	v_mov_b32_dpp v25, v23 row_shr:2 row_mask:0xf bank_mask:0xf
	v_cmp_lt_u32_e64 s[18:19], 1, v24
	v_mov_b32_dpp v28, v22 row_shr:2 row_mask:0xf bank_mask:0xf
	v_cndmask_b32_e64 v25, 0, v25, s[18:19]
	s_and_b64 s[16:17], s[18:19], s[16:17]
	v_cndmask_b32_e64 v28, 0, v28, s[16:17]
	v_add_u32_e32 v23, v23, v25
	v_add_u32_e32 v22, v28, v22
	v_cmp_eq_u32_e64 s[16:17], 0, v23
	v_mov_b32_dpp v25, v23 row_shr:4 row_mask:0xf bank_mask:0xf
	v_cmp_lt_u32_e64 s[18:19], 3, v24
	v_mov_b32_dpp v28, v22 row_shr:4 row_mask:0xf bank_mask:0xf
	v_cndmask_b32_e64 v25, 0, v25, s[18:19]
	s_and_b64 s[16:17], s[18:19], s[16:17]
	v_cndmask_b32_e64 v28, 0, v28, s[16:17]
	v_add_u32_e32 v23, v25, v23
	v_add_u32_e32 v22, v22, v28
	v_cmp_eq_u32_e64 s[16:17], 0, v23
	v_cmp_lt_u32_e64 s[18:19], 7, v24
	v_mov_b32_dpp v25, v23 row_shr:8 row_mask:0xf bank_mask:0xf
	v_mov_b32_dpp v28, v22 row_shr:8 row_mask:0xf bank_mask:0xf
	s_and_b64 s[16:17], s[18:19], s[16:17]
	v_cndmask_b32_e64 v24, 0, v25, s[18:19]
	v_cndmask_b32_e64 v25, 0, v28, s[16:17]
	v_add_u32_e32 v22, v25, v22
	v_add_u32_e32 v23, v24, v23
	v_bfe_i32 v28, v27, 4, 1
	v_mov_b32_dpp v25, v22 row_bcast:15 row_mask:0xf bank_mask:0xf
	v_mov_b32_dpp v24, v23 row_bcast:15 row_mask:0xf bank_mask:0xf
	v_cmp_eq_u32_e64 s[16:17], 0, v23
	v_cndmask_b32_e64 v25, 0, v25, s[16:17]
	v_and_b32_e32 v24, v28, v24
	v_add_u32_e32 v23, v24, v23
	v_and_b32_e32 v24, v28, v25
	v_add_u32_e32 v24, v24, v22
	v_mov_b32_dpp v22, v23 row_bcast:31 row_mask:0xf bank_mask:0xf
	v_cmp_eq_u32_e64 s[16:17], 0, v23
	v_cmp_lt_u32_e64 s[18:19], 31, v27
	v_mov_b32_dpp v25, v24 row_bcast:31 row_mask:0xf bank_mask:0xf
	v_cndmask_b32_e64 v22, 0, v22, s[18:19]
	s_and_b64 s[16:17], s[18:19], s[16:17]
	v_add_u32_e32 v22, v22, v23
	v_cndmask_b32_e64 v23, 0, v25, s[16:17]
	v_add_u32_e32 v23, v23, v24
	v_cmp_eq_u32_e64 s[16:17], v51, v0
	s_and_saveexec_b64 s[18:19], s[16:17]
	s_cbranch_execz .LBB315_87
; %bb.86:
	v_lshlrev_b32_e32 v24, 3, v50
	ds_write_b64 v24, v[22:23] offset:4112
.LBB315_87:
	s_or_b64 exec, exec, s[18:19]
	v_cmp_gt_u32_e64 s[16:17], 4, v0
	s_waitcnt lgkmcnt(0)
	s_barrier
	s_and_saveexec_b64 s[20:21], s[16:17]
	s_cbranch_execz .LBB315_89
; %bb.88:
	v_lshlrev_b32_e32 v28, 3, v0
	ds_read_b64 v[24:25], v28 offset:4112
	v_and_b32_e32 v29, 3, v27
	v_cmp_lt_u32_e64 s[18:19], 1, v29
	s_waitcnt lgkmcnt(0)
	v_mov_b32_dpp v31, v25 row_shr:1 row_mask:0xf bank_mask:0xf
	v_cmp_eq_u32_e64 s[16:17], 0, v24
	v_mov_b32_dpp v30, v24 row_shr:1 row_mask:0xf bank_mask:0xf
	v_cndmask_b32_e64 v31, 0, v31, s[16:17]
	v_cmp_eq_u32_e64 s[16:17], 0, v29
	v_cndmask_b32_e64 v30, v30, 0, s[16:17]
	v_add_u32_e32 v24, v30, v24
	v_cndmask_b32_e64 v30, v31, 0, s[16:17]
	v_add_u32_e32 v25, v30, v25
	v_cmp_eq_u32_e64 s[16:17], 0, v24
	v_mov_b32_dpp v30, v24 row_shr:2 row_mask:0xf bank_mask:0xf
	v_mov_b32_dpp v31, v25 row_shr:2 row_mask:0xf bank_mask:0xf
	v_cndmask_b32_e64 v29, 0, v30, s[18:19]
	s_and_b64 s[16:17], s[18:19], s[16:17]
	v_add_u32_e32 v24, v29, v24
	v_cndmask_b32_e64 v29, 0, v31, s[16:17]
	v_add_u32_e32 v25, v29, v25
	ds_write_b64 v28, v[24:25] offset:4112
.LBB315_89:
	s_or_b64 exec, exec, s[20:21]
	v_cmp_lt_u32_e64 s[16:17], 63, v0
	v_mov_b32_e32 v29, 0
	v_mov_b32_e32 v24, 0
	s_waitcnt vmcnt(0)
	v_mov_b32_e32 v25, v26
	s_waitcnt lgkmcnt(0)
	s_barrier
	s_and_saveexec_b64 s[18:19], s[16:17]
	s_cbranch_execz .LBB315_91
; %bb.90:
	v_lshlrev_b32_e32 v24, 3, v50
	ds_read_b64 v[24:25], v24 offset:4104
	s_waitcnt lgkmcnt(0)
	v_cmp_eq_u32_e64 s[16:17], 0, v24
	v_cndmask_b32_e64 v28, 0, v26, s[16:17]
	v_add_u32_e32 v25, v28, v25
.LBB315_91:
	s_or_b64 exec, exec, s[18:19]
	v_cmp_eq_u32_e64 s[16:17], 0, v22
	v_add_u32_e32 v28, v24, v22
	v_cndmask_b32_e64 v22, 0, v25, s[16:17]
	v_add_u32_e32 v22, v22, v23
	v_add_u32_e32 v23, -1, v27
	v_and_b32_e32 v30, 64, v27
	v_cmp_lt_i32_e64 s[16:17], v23, v30
	v_cndmask_b32_e64 v23, v23, v27, s[16:17]
	v_lshlrev_b32_e32 v23, 2, v23
	ds_bpermute_b32 v22, v23, v22
	ds_bpermute_b32 v28, v23, v28
	v_cmp_eq_u32_e64 s[16:17], 0, v27
	s_waitcnt lgkmcnt(1)
	v_cndmask_b32_e64 v22, v22, v25, s[16:17]
	s_waitcnt lgkmcnt(0)
	v_cndmask_b32_e64 v23, v28, v24, s[16:17]
	v_cndmask_b32_e64 v47, v22, v26, s[0:1]
	v_cmp_eq_u32_e64 s[16:17], 0, v62
	v_cndmask_b32_e64 v22, 0, v47, s[16:17]
	v_add_u32_e32 v45, v22, v48
	v_cndmask_b32_e64 v22, 0, v45, s[2:3]
	v_add_u32_e32 v43, v22, v48
	;; [unrolled: 2-line block ×5, first 2 shown]
	v_cndmask_b32_e64 v22, 0, v37, s[10:11]
	v_cndmask_b32_e64 v46, v23, 0, s[0:1]
	v_add_u32_e32 v35, v22, v48
	v_add_u32_e32 v44, v46, v62
	v_cndmask_b32_e64 v22, 0, v35, s[12:13]
	v_add_u32_e32 v42, v44, v61
	v_add_u32_e32 v33, v22, v48
	ds_read_b64 v[22:23], v29 offset:4136
	v_add_u32_e32 v40, v42, v60
	v_add_u32_e32 v38, v40, v59
	;; [unrolled: 1-line block ×3, first 2 shown]
	v_cndmask_b32_e64 v24, 0, v33, s[14:15]
	v_add_u32_e32 v34, v36, v57
	v_add_u32_e32 v29, v24, v48
	;; [unrolled: 1-line block ×3, first 2 shown]
	v_cndmask_b32_e32 v24, 0, v29, vcc
	s_waitcnt lgkmcnt(0)
	v_cmp_eq_u32_e32 vcc, 0, v22
	v_add_u32_e32 v28, v32, v55
	v_add_u32_e32 v31, v24, v48
	v_cndmask_b32_e32 v24, 0, v26, vcc
	v_add_u32_e32 v30, v28, v54
	v_add_u32_e32 v26, v24, v23
	s_and_saveexec_b64 s[2:3], s[0:1]
	s_cbranch_execz .LBB315_93
; %bb.92:
	s_add_u32 s4, s24, 0x400
	v_and_b32_e32 v23, 0xff000000, v26
	v_and_b32_e32 v24, 0xff0000, v26
	s_addc_u32 s5, s25, 0
	v_or_b32_e32 v23, v24, v23
	v_and_b32_e32 v24, 0xff00, v26
	v_and_b32_e32 v27, 0xff, v26
	v_mov_b32_e32 v25, 0
	v_or3_b32 v23, v23, v24, v27
	v_mov_b32_e32 v24, 2
	v_pk_mov_b32 v[48:49], s[4:5], s[4:5] op_sel:[0,1]
	;;#ASMSTART
	global_store_dwordx4 v[48:49], v[22:25] off	
s_waitcnt vmcnt(0)
	;;#ASMEND
.LBB315_93:
	s_or_b64 exec, exec, s[2:3]
	v_mov_b32_e32 v24, 0
.LBB315_94:
	s_and_b64 s[2:3], s[26:27], exec
	s_cselect_b32 s3, 0, s23
	s_cselect_b32 s2, 0, s22
	s_cmp_eq_u64 s[2:3], 0
	v_pk_mov_b32 v[48:49], 0, 0
	s_barrier
	s_cbranch_scc1 .LBB315_96
; %bb.95:
	v_mov_b32_e32 v23, 0
	global_load_dwordx2 v[48:49], v23, s[2:3]
.LBB315_96:
	s_waitcnt vmcnt(0)
	v_lshlrev_b64 v[50:51], 3, v[48:49]
	v_mov_b32_e32 v23, s37
	v_add_co_u32_e32 v27, vcc, s36, v50
	v_mov_b32_e32 v25, 0
	v_addc_co_u32_e32 v63, vcc, v23, v51, vcc
	v_lshlrev_b64 v[52:53], 3, v[24:25]
	v_add_co_u32_e32 v23, vcc, v27, v52
	v_addc_co_u32_e32 v25, vcc, v63, v53, vcc
	v_cmp_eq_u32_e32 vcc, 0, v62
	v_cndmask_b32_e64 v27, 1, 2, vcc
	v_cmp_eq_u32_e32 vcc, 0, v61
	v_cndmask_b32_e64 v63, 1, 2, vcc
	v_cmp_eq_u32_e32 vcc, 0, v60
	v_and_b32_e32 v27, v63, v27
	v_cndmask_b32_e64 v63, 1, 2, vcc
	v_cmp_eq_u32_e32 vcc, 0, v59
	v_and_b32_e32 v27, v27, v63
	;; [unrolled: 3-line block ×8, first 2 shown]
	v_cndmask_b32_e64 v63, 1, 2, vcc
	s_movk_i32 s22, 0x100
	v_and_b32_e32 v27, v27, v63
	v_cmp_gt_u32_e32 vcc, s22, v22
	v_cmp_ne_u32_e64 s[20:21], 0, v62
	v_cmp_ne_u32_e64 s[18:19], 0, v61
	;; [unrolled: 1-line block ×10, first 2 shown]
	s_mov_b64 s[24:25], -1
	v_cmp_gt_i16_e64 s[22:23], 2, v27
	s_cbranch_vccz .LBB315_103
; %bb.97:
	s_and_saveexec_b64 s[24:25], s[22:23]
	s_cbranch_execz .LBB315_102
; %bb.98:
	v_cmp_ne_u16_e32 vcc, 1, v27
	s_mov_b64 s[26:27], 0
	s_and_saveexec_b64 s[22:23], vcc
	s_xor_b64 s[22:23], exec, s[22:23]
	s_cbranch_execnz .LBB315_135
; %bb.99:
	s_andn2_saveexec_b64 s[22:23], s[22:23]
	s_cbranch_execnz .LBB315_146
.LBB315_100:
	s_or_b64 exec, exec, s[22:23]
	s_and_b64 exec, exec, s[26:27]
	s_cbranch_execz .LBB315_102
.LBB315_101:
	v_sub_u32_e32 v64, v30, v24
	v_mov_b32_e32 v65, 0
	v_lshlrev_b64 v[64:65], 3, v[64:65]
	v_add_co_u32_e32 v64, vcc, v23, v64
	v_addc_co_u32_e32 v65, vcc, v25, v65, vcc
	global_store_dwordx2 v[64:65], v[8:9], off
.LBB315_102:
	s_or_b64 exec, exec, s[24:25]
	s_mov_b64 s[24:25], 0
.LBB315_103:
	s_and_b64 vcc, exec, s[24:25]
	s_cbranch_vccz .LBB315_113
; %bb.104:
	v_cmp_gt_i16_e32 vcc, 2, v27
	s_and_saveexec_b64 s[22:23], vcc
	s_cbranch_execz .LBB315_109
; %bb.105:
	v_cmp_ne_u16_e32 vcc, 1, v27
	s_mov_b64 s[26:27], 0
	s_and_saveexec_b64 s[24:25], vcc
	s_xor_b64 s[24:25], exec, s[24:25]
	s_cbranch_execnz .LBB315_147
; %bb.106:
	s_andn2_saveexec_b64 s[2:3], s[24:25]
	s_cbranch_execnz .LBB315_158
.LBB315_107:
	s_or_b64 exec, exec, s[2:3]
	s_and_b64 exec, exec, s[26:27]
	s_cbranch_execz .LBB315_109
.LBB315_108:
	v_sub_u32_e32 v2, v30, v24
	v_lshlrev_b32_e32 v2, 3, v2
	ds_write_b64 v2, v[8:9]
.LBB315_109:
	s_or_b64 exec, exec, s[22:23]
	v_cmp_lt_u32_e32 vcc, v0, v22
	s_waitcnt lgkmcnt(0)
	s_barrier
	s_and_saveexec_b64 s[2:3], vcc
	s_cbranch_execz .LBB315_112
; %bb.110:
	v_lshlrev_b32_e32 v4, 3, v0
	s_mov_b64 s[4:5], 0
	v_mov_b32_e32 v3, 0
	v_mov_b32_e32 v2, v0
.LBB315_111:                            ; =>This Inner Loop Header: Depth=1
	ds_read_b64 v[6:7], v4
	v_lshlrev_b64 v[8:9], 3, v[2:3]
	v_add_co_u32_e32 v8, vcc, v23, v8
	v_add_u32_e32 v2, 0x100, v2
	v_addc_co_u32_e32 v9, vcc, v25, v9, vcc
	v_cmp_ge_u32_e32 vcc, v2, v22
	v_add_u32_e32 v4, 0x800, v4
	s_or_b64 s[4:5], vcc, s[4:5]
	s_waitcnt lgkmcnt(0)
	global_store_dwordx2 v[8:9], v[6:7], off
	s_andn2_b64 exec, exec, s[4:5]
	s_cbranch_execnz .LBB315_111
.LBB315_112:
	s_or_b64 exec, exec, s[2:3]
.LBB315_113:
	s_cmpk_lg_i32 s33, 0xa00
	s_cselect_b64 s[2:3], -1, 0
	v_cndmask_b32_e64 v2, 0, 1, s[30:31]
	s_and_b64 s[2:3], s[2:3], s[28:29]
	v_sub_u32_e32 v3, v22, v2
	v_cndmask_b32_e64 v4, 0, 1, s[2:3]
	s_and_b64 s[0:1], s[0:1], s[30:31]
	v_add_u32_e32 v4, v3, v4
	v_cndmask_b32_e64 v3, v62, 0, s[0:1]
	s_mul_hi_u32 s0, s33, 0xcccccccd
	s_lshr_b32 s0, s0, 3
	v_mad_i32_i24 v5, v0, -10, s33
	v_cmp_eq_u32_e32 vcc, s0, v0
	v_cmp_ne_u32_e64 s[0:1], 0, v5
	v_cndmask_b32_e64 v6, 1, v3, s[0:1]
	v_cmp_ne_u32_e64 s[0:1], 1, v5
	v_cndmask_b32_e64 v7, 1, v61, s[0:1]
	;; [unrolled: 2-line block ×10, first 2 shown]
	s_and_b64 vcc, vcc, s[28:29]
	v_cndmask_b32_e32 v15, v1, v5, vcc
	v_cndmask_b32_e32 v14, v54, v14, vcc
	;; [unrolled: 1-line block ×10, first 2 shown]
	v_mov_b32_e32 v1, s39
	v_add_co_u32_e32 v5, vcc, s38, v50
	v_addc_co_u32_e32 v6, vcc, v1, v51, vcc
	v_add_co_u32_e32 v1, vcc, v5, v52
	v_addc_co_u32_e32 v5, vcc, v6, v53, vcc
	v_lshlrev_b32_e32 v6, 3, v2
	v_add_co_u32_e32 v6, vcc, v6, v1
	v_addc_co_u32_e32 v7, vcc, 0, v5, vcc
	v_add_co_u32_e32 v6, vcc, -8, v6
	v_addc_co_u32_e32 v7, vcc, -1, v7, vcc
	v_cmp_eq_u32_e32 vcc, 0, v3
	v_cmp_ne_u32_e64 s[18:19], 0, v3
	v_cndmask_b32_e64 v3, 1, 2, vcc
	v_cmp_eq_u32_e32 vcc, 0, v16
	v_cmp_ne_u32_e64 s[16:17], 0, v16
	v_cndmask_b32_e64 v16, 1, 2, vcc
	v_cmp_eq_u32_e32 vcc, 0, v8
	v_and_b32_e32 v3, v16, v3
	v_cmp_ne_u32_e64 s[14:15], 0, v8
	v_cndmask_b32_e64 v8, 1, 2, vcc
	v_cmp_eq_u32_e32 vcc, 0, v9
	v_and_b32_e32 v3, v3, v8
	v_cndmask_b32_e64 v8, 1, 2, vcc
	v_cmp_eq_u32_e32 vcc, 0, v10
	v_and_b32_e32 v3, v3, v8
	;; [unrolled: 3-line block ×7, first 2 shown]
	v_cndmask_b32_e64 v8, 1, 2, vcc
	s_movk_i32 s20, 0x100
	v_and_b32_e32 v3, v3, v8
	v_cmp_gt_u32_e32 vcc, s20, v4
	v_add_u32_e32 v2, v24, v2
	v_cmp_ne_u32_e64 s[12:13], 0, v9
	v_cmp_ne_u32_e64 s[10:11], 0, v10
	;; [unrolled: 1-line block ×7, first 2 shown]
	s_mov_b64 s[22:23], -1
	v_cmp_gt_i16_e64 s[20:21], 2, v3
	s_barrier
	s_cbranch_vccz .LBB315_120
; %bb.114:
	s_and_saveexec_b64 s[22:23], s[20:21]
	s_cbranch_execz .LBB315_119
; %bb.115:
	v_cmp_ne_u16_e32 vcc, 1, v3
	s_mov_b64 s[24:25], 0
	s_and_saveexec_b64 s[20:21], vcc
	s_xor_b64 s[20:21], exec, s[20:21]
	s_cbranch_execnz .LBB315_159
; %bb.116:
	s_andn2_saveexec_b64 s[20:21], s[20:21]
	s_cbranch_execnz .LBB315_170
.LBB315_117:
	s_or_b64 exec, exec, s[20:21]
	s_and_b64 exec, exec, s[24:25]
	s_cbranch_execz .LBB315_119
.LBB315_118:
	v_mov_b32_e32 v9, 0
	v_sub_u32_e32 v10, v30, v2
	v_mov_b32_e32 v11, v9
	v_lshlrev_b64 v[10:11], 3, v[10:11]
	v_add_co_u32_e32 v10, vcc, v6, v10
	v_mov_b32_e32 v8, v31
	v_addc_co_u32_e32 v11, vcc, v7, v11, vcc
	global_store_dwordx2 v[10:11], v[8:9], off
.LBB315_119:
	s_or_b64 exec, exec, s[22:23]
	s_mov_b64 s[22:23], 0
.LBB315_120:
	s_and_b64 vcc, exec, s[22:23]
	s_cbranch_vccz .LBB315_130
; %bb.121:
	v_cmp_gt_i16_e32 vcc, 2, v3
	s_and_saveexec_b64 s[20:21], vcc
	s_cbranch_execz .LBB315_126
; %bb.122:
	v_cmp_ne_u16_e32 vcc, 1, v3
	s_mov_b64 s[24:25], 0
	s_and_saveexec_b64 s[22:23], vcc
	s_xor_b64 s[22:23], exec, s[22:23]
	s_cbranch_execnz .LBB315_171
; %bb.123:
	s_andn2_saveexec_b64 s[0:1], s[22:23]
	s_cbranch_execnz .LBB315_182
.LBB315_124:
	s_or_b64 exec, exec, s[0:1]
	s_and_b64 exec, exec, s[24:25]
	s_cbranch_execz .LBB315_126
.LBB315_125:
	v_sub_u32_e32 v2, v30, v2
	v_lshlrev_b32_e32 v2, 2, v2
	ds_write_b32 v2, v31
.LBB315_126:
	s_or_b64 exec, exec, s[20:21]
	v_cmp_lt_u32_e32 vcc, v0, v4
	s_waitcnt lgkmcnt(0)
	s_barrier
	s_and_saveexec_b64 s[0:1], vcc
	s_cbranch_execz .LBB315_129
; %bb.127:
	v_lshlrev_b32_e32 v8, 2, v0
	s_mov_b64 s[2:3], 0
	v_mov_b32_e32 v3, 0
	v_mov_b32_e32 v2, v0
.LBB315_128:                            ; =>This Inner Loop Header: Depth=1
	ds_read_b32 v10, v8
	v_lshlrev_b64 v[12:13], 3, v[2:3]
	v_add_co_u32_e32 v12, vcc, v6, v12
	v_add_u32_e32 v2, 0x100, v2
	v_addc_co_u32_e32 v13, vcc, v7, v13, vcc
	v_cmp_ge_u32_e32 vcc, v2, v4
	v_mov_b32_e32 v11, v3
	v_add_u32_e32 v8, 0x400, v8
	s_or_b64 s[2:3], vcc, s[2:3]
	s_waitcnt lgkmcnt(0)
	global_store_dwordx2 v[12:13], v[10:11], off
	s_andn2_b64 exec, exec, s[2:3]
	s_cbranch_execnz .LBB315_128
.LBB315_129:
	s_or_b64 exec, exec, s[0:1]
.LBB315_130:
	s_movk_i32 s0, 0xff
	v_cmp_eq_u32_e32 vcc, s0, v0
	s_and_b64 s[0:1], vcc, s[28:29]
	s_and_saveexec_b64 s[2:3], s[0:1]
	s_cbranch_execz .LBB315_133
; %bb.131:
	v_add_co_u32_e32 v0, vcc, v22, v24
	v_addc_co_u32_e64 v3, s[0:1], 0, 0, vcc
	v_add_co_u32_e32 v2, vcc, v0, v48
	v_mov_b32_e32 v23, 0
	v_addc_co_u32_e32 v3, vcc, v3, v49, vcc
	s_cmpk_lg_i32 s33, 0xa00
	global_store_dwordx2 v23, v[2:3], s[34:35]
	s_cbranch_scc1 .LBB315_133
; %bb.132:
	v_lshlrev_b64 v[2:3], 3, v[22:23]
	v_add_co_u32_e32 v0, vcc, v1, v2
	v_mov_b32_e32 v27, v23
	v_addc_co_u32_e32 v1, vcc, v5, v3, vcc
	global_store_dwordx2 v[0:1], v[26:27], off offset:-8
.LBB315_133:
	s_endpgm
.LBB315_134:
	s_or_b64 exec, exec, s[10:11]
	v_mov_b32_e32 v62, s12
	s_and_saveexec_b64 s[2:3], s[6:7]
	s_cbranch_execnz .LBB315_50
	s_branch .LBB315_51
.LBB315_135:
	s_and_saveexec_b64 s[26:27], s[20:21]
	s_cbranch_execnz .LBB315_183
; %bb.136:
	s_or_b64 exec, exec, s[26:27]
	s_and_saveexec_b64 s[26:27], s[18:19]
	s_cbranch_execnz .LBB315_184
.LBB315_137:
	s_or_b64 exec, exec, s[26:27]
	s_and_saveexec_b64 s[26:27], s[16:17]
	s_cbranch_execnz .LBB315_185
.LBB315_138:
	s_or_b64 exec, exec, s[26:27]
	s_and_saveexec_b64 s[26:27], s[14:15]
	s_cbranch_execnz .LBB315_186
.LBB315_139:
	s_or_b64 exec, exec, s[26:27]
	s_and_saveexec_b64 s[26:27], s[12:13]
	s_cbranch_execnz .LBB315_187
.LBB315_140:
	s_or_b64 exec, exec, s[26:27]
	s_and_saveexec_b64 s[26:27], s[10:11]
	s_cbranch_execnz .LBB315_188
.LBB315_141:
	s_or_b64 exec, exec, s[26:27]
	s_and_saveexec_b64 s[26:27], s[8:9]
	s_cbranch_execnz .LBB315_189
.LBB315_142:
	s_or_b64 exec, exec, s[26:27]
	s_and_saveexec_b64 s[26:27], s[6:7]
	s_cbranch_execnz .LBB315_190
.LBB315_143:
	s_or_b64 exec, exec, s[26:27]
	s_and_saveexec_b64 s[26:27], s[4:5]
	s_cbranch_execz .LBB315_145
.LBB315_144:
	v_sub_u32_e32 v64, v28, v24
	v_mov_b32_e32 v65, 0
	v_lshlrev_b64 v[64:65], 3, v[64:65]
	v_add_co_u32_e32 v64, vcc, v23, v64
	v_addc_co_u32_e32 v65, vcc, v25, v65, vcc
	global_store_dwordx2 v[64:65], v[6:7], off
.LBB315_145:
	s_or_b64 exec, exec, s[26:27]
	s_and_b64 s[26:27], s[2:3], exec
	s_andn2_saveexec_b64 s[22:23], s[22:23]
	s_cbranch_execz .LBB315_100
.LBB315_146:
	v_sub_u32_e32 v64, v46, v24
	v_mov_b32_e32 v65, 0
	v_lshlrev_b64 v[66:67], 3, v[64:65]
	v_add_co_u32_e32 v66, vcc, v23, v66
	v_addc_co_u32_e32 v67, vcc, v25, v67, vcc
	v_sub_u32_e32 v64, v44, v24
	global_store_dwordx2 v[66:67], v[18:19], off
	v_lshlrev_b64 v[66:67], 3, v[64:65]
	v_add_co_u32_e32 v66, vcc, v23, v66
	v_addc_co_u32_e32 v67, vcc, v25, v67, vcc
	v_sub_u32_e32 v64, v42, v24
	global_store_dwordx2 v[66:67], v[20:21], off
	;; [unrolled: 5-line block ×7, first 2 shown]
	v_lshlrev_b64 v[66:67], 3, v[64:65]
	v_add_co_u32_e32 v66, vcc, v23, v66
	v_sub_u32_e32 v64, v28, v24
	v_addc_co_u32_e32 v67, vcc, v25, v67, vcc
	v_lshlrev_b64 v[64:65], 3, v[64:65]
	v_add_co_u32_e32 v64, vcc, v23, v64
	v_addc_co_u32_e32 v65, vcc, v25, v65, vcc
	s_or_b64 s[26:27], s[26:27], exec
	global_store_dwordx2 v[66:67], v[4:5], off
	global_store_dwordx2 v[64:65], v[6:7], off
	s_or_b64 exec, exec, s[22:23]
	s_and_b64 exec, exec, s[26:27]
	s_cbranch_execnz .LBB315_101
	s_branch .LBB315_102
.LBB315_147:
	s_and_saveexec_b64 s[26:27], s[20:21]
	s_cbranch_execnz .LBB315_191
; %bb.148:
	s_or_b64 exec, exec, s[26:27]
	s_and_saveexec_b64 s[20:21], s[18:19]
	s_cbranch_execnz .LBB315_192
.LBB315_149:
	s_or_b64 exec, exec, s[20:21]
	s_and_saveexec_b64 s[18:19], s[16:17]
	s_cbranch_execnz .LBB315_193
.LBB315_150:
	s_or_b64 exec, exec, s[18:19]
	s_and_saveexec_b64 s[16:17], s[14:15]
	s_cbranch_execnz .LBB315_194
.LBB315_151:
	s_or_b64 exec, exec, s[16:17]
	s_and_saveexec_b64 s[14:15], s[12:13]
	s_cbranch_execnz .LBB315_195
.LBB315_152:
	s_or_b64 exec, exec, s[14:15]
	s_and_saveexec_b64 s[12:13], s[10:11]
	s_cbranch_execnz .LBB315_196
.LBB315_153:
	s_or_b64 exec, exec, s[12:13]
	s_and_saveexec_b64 s[10:11], s[8:9]
	s_cbranch_execnz .LBB315_197
.LBB315_154:
	s_or_b64 exec, exec, s[10:11]
	s_and_saveexec_b64 s[8:9], s[6:7]
	s_cbranch_execnz .LBB315_198
.LBB315_155:
	s_or_b64 exec, exec, s[8:9]
	s_and_saveexec_b64 s[6:7], s[4:5]
	s_cbranch_execz .LBB315_157
.LBB315_156:
	v_sub_u32_e32 v2, v28, v24
	v_lshlrev_b32_e32 v2, 3, v2
	ds_write_b64 v2, v[6:7]
.LBB315_157:
	s_or_b64 exec, exec, s[6:7]
	s_and_b64 s[26:27], s[2:3], exec
                                        ; implicit-def: $vgpr4_vgpr5
                                        ; implicit-def: $vgpr12_vgpr13
                                        ; implicit-def: $vgpr16_vgpr17
                                        ; implicit-def: $vgpr20_vgpr21
	s_andn2_saveexec_b64 s[2:3], s[24:25]
	s_cbranch_execz .LBB315_107
.LBB315_158:
	v_sub_u32_e32 v27, v46, v24
	v_lshlrev_b32_e32 v27, 3, v27
	ds_write_b64 v27, v[18:19]
	v_sub_u32_e32 v18, v44, v24
	v_lshlrev_b32_e32 v18, 3, v18
	ds_write_b64 v18, v[20:21]
	;; [unrolled: 3-line block ×8, first 2 shown]
	v_sub_u32_e32 v2, v28, v24
	v_lshlrev_b32_e32 v2, 3, v2
	s_or_b64 s[26:27], s[26:27], exec
	ds_write_b64 v2, v[6:7]
	s_or_b64 exec, exec, s[2:3]
	s_and_b64 exec, exec, s[26:27]
	s_cbranch_execnz .LBB315_108
	s_branch .LBB315_109
.LBB315_159:
	s_and_saveexec_b64 s[24:25], s[18:19]
	s_cbranch_execnz .LBB315_199
; %bb.160:
	s_or_b64 exec, exec, s[24:25]
	s_and_saveexec_b64 s[24:25], s[16:17]
	s_cbranch_execnz .LBB315_200
.LBB315_161:
	s_or_b64 exec, exec, s[24:25]
	s_and_saveexec_b64 s[24:25], s[14:15]
	s_cbranch_execnz .LBB315_201
.LBB315_162:
	s_or_b64 exec, exec, s[24:25]
	s_and_saveexec_b64 s[24:25], s[12:13]
	s_cbranch_execnz .LBB315_202
.LBB315_163:
	s_or_b64 exec, exec, s[24:25]
	s_and_saveexec_b64 s[24:25], s[10:11]
	s_cbranch_execnz .LBB315_203
.LBB315_164:
	s_or_b64 exec, exec, s[24:25]
	s_and_saveexec_b64 s[24:25], s[8:9]
	s_cbranch_execnz .LBB315_204
.LBB315_165:
	s_or_b64 exec, exec, s[24:25]
	s_and_saveexec_b64 s[24:25], s[6:7]
	s_cbranch_execnz .LBB315_205
.LBB315_166:
	s_or_b64 exec, exec, s[24:25]
	s_and_saveexec_b64 s[24:25], s[4:5]
	s_cbranch_execnz .LBB315_206
.LBB315_167:
	s_or_b64 exec, exec, s[24:25]
	s_and_saveexec_b64 s[24:25], s[2:3]
	s_cbranch_execz .LBB315_169
.LBB315_168:
	v_sub_u32_e32 v8, v28, v2
	v_mov_b32_e32 v9, 0
	v_lshlrev_b64 v[10:11], 3, v[8:9]
	v_add_co_u32_e32 v10, vcc, v6, v10
	v_addc_co_u32_e32 v11, vcc, v7, v11, vcc
	v_mov_b32_e32 v8, v29
	global_store_dwordx2 v[10:11], v[8:9], off
.LBB315_169:
	s_or_b64 exec, exec, s[24:25]
	s_and_b64 s[24:25], s[0:1], exec
	s_andn2_saveexec_b64 s[20:21], s[20:21]
	s_cbranch_execz .LBB315_117
.LBB315_170:
	v_mov_b32_e32 v9, 0
	v_sub_u32_e32 v10, v46, v2
	v_mov_b32_e32 v11, v9
	v_lshlrev_b64 v[10:11], 3, v[10:11]
	v_add_co_u32_e32 v10, vcc, v6, v10
	v_mov_b32_e32 v8, v47
	v_addc_co_u32_e32 v11, vcc, v7, v11, vcc
	global_store_dwordx2 v[10:11], v[8:9], off
	v_sub_u32_e32 v10, v44, v2
	v_mov_b32_e32 v11, v9
	v_lshlrev_b64 v[10:11], 3, v[10:11]
	v_add_co_u32_e32 v10, vcc, v6, v10
	v_mov_b32_e32 v8, v45
	v_addc_co_u32_e32 v11, vcc, v7, v11, vcc
	global_store_dwordx2 v[10:11], v[8:9], off
	;; [unrolled: 7-line block ×8, first 2 shown]
	v_sub_u32_e32 v10, v28, v2
	v_mov_b32_e32 v11, v9
	v_lshlrev_b64 v[10:11], 3, v[10:11]
	v_add_co_u32_e32 v10, vcc, v6, v10
	v_mov_b32_e32 v8, v29
	v_addc_co_u32_e32 v11, vcc, v7, v11, vcc
	s_or_b64 s[24:25], s[24:25], exec
	global_store_dwordx2 v[10:11], v[8:9], off
	s_or_b64 exec, exec, s[20:21]
	s_and_b64 exec, exec, s[24:25]
	s_cbranch_execnz .LBB315_118
	s_branch .LBB315_119
.LBB315_171:
	s_and_saveexec_b64 s[24:25], s[18:19]
	s_cbranch_execnz .LBB315_207
; %bb.172:
	s_or_b64 exec, exec, s[24:25]
	s_and_saveexec_b64 s[18:19], s[16:17]
	s_cbranch_execnz .LBB315_208
.LBB315_173:
	s_or_b64 exec, exec, s[18:19]
	s_and_saveexec_b64 s[16:17], s[14:15]
	s_cbranch_execnz .LBB315_209
.LBB315_174:
	s_or_b64 exec, exec, s[16:17]
	s_and_saveexec_b64 s[14:15], s[12:13]
	s_cbranch_execnz .LBB315_210
.LBB315_175:
	s_or_b64 exec, exec, s[14:15]
	s_and_saveexec_b64 s[12:13], s[10:11]
	s_cbranch_execnz .LBB315_211
.LBB315_176:
	s_or_b64 exec, exec, s[12:13]
	s_and_saveexec_b64 s[10:11], s[8:9]
	s_cbranch_execnz .LBB315_212
.LBB315_177:
	s_or_b64 exec, exec, s[10:11]
	s_and_saveexec_b64 s[8:9], s[6:7]
	s_cbranch_execnz .LBB315_213
.LBB315_178:
	s_or_b64 exec, exec, s[8:9]
	s_and_saveexec_b64 s[6:7], s[4:5]
	s_cbranch_execnz .LBB315_214
.LBB315_179:
	s_or_b64 exec, exec, s[6:7]
	s_and_saveexec_b64 s[4:5], s[2:3]
	s_cbranch_execz .LBB315_181
.LBB315_180:
	v_sub_u32_e32 v3, v28, v2
	v_lshlrev_b32_e32 v3, 2, v3
	ds_write_b32 v3, v29
.LBB315_181:
	s_or_b64 exec, exec, s[4:5]
	s_and_b64 s[24:25], s[0:1], exec
                                        ; implicit-def: $vgpr28_vgpr29
                                        ; implicit-def: $vgpr32_vgpr33
                                        ; implicit-def: $vgpr34_vgpr35
                                        ; implicit-def: $vgpr46_vgpr47
                                        ; implicit-def: $vgpr44_vgpr45
                                        ; implicit-def: $vgpr42_vgpr43
                                        ; implicit-def: $vgpr40_vgpr41
                                        ; implicit-def: $vgpr38_vgpr39
                                        ; implicit-def: $vgpr36_vgpr37
	s_andn2_saveexec_b64 s[0:1], s[22:23]
	s_cbranch_execz .LBB315_124
.LBB315_182:
	v_sub_u32_e32 v3, v46, v2
	v_lshlrev_b32_e32 v3, 2, v3
	ds_write_b32 v3, v47
	v_sub_u32_e32 v3, v44, v2
	v_lshlrev_b32_e32 v3, 2, v3
	ds_write_b32 v3, v45
	;; [unrolled: 3-line block ×8, first 2 shown]
	v_sub_u32_e32 v3, v28, v2
	v_lshlrev_b32_e32 v3, 2, v3
	s_or_b64 s[24:25], s[24:25], exec
	ds_write_b32 v3, v29
	s_or_b64 exec, exec, s[0:1]
	s_and_b64 exec, exec, s[24:25]
	s_cbranch_execnz .LBB315_125
	s_branch .LBB315_126
.LBB315_183:
	v_sub_u32_e32 v64, v46, v24
	v_mov_b32_e32 v65, 0
	v_lshlrev_b64 v[64:65], 3, v[64:65]
	v_add_co_u32_e32 v64, vcc, v23, v64
	v_addc_co_u32_e32 v65, vcc, v25, v65, vcc
	global_store_dwordx2 v[64:65], v[18:19], off
	s_or_b64 exec, exec, s[26:27]
	s_and_saveexec_b64 s[26:27], s[18:19]
	s_cbranch_execz .LBB315_137
.LBB315_184:
	v_sub_u32_e32 v64, v44, v24
	v_mov_b32_e32 v65, 0
	v_lshlrev_b64 v[64:65], 3, v[64:65]
	v_add_co_u32_e32 v64, vcc, v23, v64
	v_addc_co_u32_e32 v65, vcc, v25, v65, vcc
	global_store_dwordx2 v[64:65], v[20:21], off
	s_or_b64 exec, exec, s[26:27]
	s_and_saveexec_b64 s[26:27], s[16:17]
	s_cbranch_execz .LBB315_138
.LBB315_185:
	v_sub_u32_e32 v64, v42, v24
	v_mov_b32_e32 v65, 0
	v_lshlrev_b64 v[64:65], 3, v[64:65]
	v_add_co_u32_e32 v64, vcc, v23, v64
	v_addc_co_u32_e32 v65, vcc, v25, v65, vcc
	global_store_dwordx2 v[64:65], v[14:15], off
	s_or_b64 exec, exec, s[26:27]
	s_and_saveexec_b64 s[26:27], s[14:15]
	s_cbranch_execz .LBB315_139
.LBB315_186:
	v_sub_u32_e32 v64, v40, v24
	v_mov_b32_e32 v65, 0
	v_lshlrev_b64 v[64:65], 3, v[64:65]
	v_add_co_u32_e32 v64, vcc, v23, v64
	v_addc_co_u32_e32 v65, vcc, v25, v65, vcc
	global_store_dwordx2 v[64:65], v[16:17], off
	s_or_b64 exec, exec, s[26:27]
	s_and_saveexec_b64 s[26:27], s[12:13]
	s_cbranch_execz .LBB315_140
.LBB315_187:
	v_sub_u32_e32 v64, v38, v24
	v_mov_b32_e32 v65, 0
	v_lshlrev_b64 v[64:65], 3, v[64:65]
	v_add_co_u32_e32 v64, vcc, v23, v64
	v_addc_co_u32_e32 v65, vcc, v25, v65, vcc
	global_store_dwordx2 v[64:65], v[10:11], off
	s_or_b64 exec, exec, s[26:27]
	s_and_saveexec_b64 s[26:27], s[10:11]
	s_cbranch_execz .LBB315_141
.LBB315_188:
	v_sub_u32_e32 v64, v36, v24
	v_mov_b32_e32 v65, 0
	v_lshlrev_b64 v[64:65], 3, v[64:65]
	v_add_co_u32_e32 v64, vcc, v23, v64
	v_addc_co_u32_e32 v65, vcc, v25, v65, vcc
	global_store_dwordx2 v[64:65], v[12:13], off
	s_or_b64 exec, exec, s[26:27]
	s_and_saveexec_b64 s[26:27], s[8:9]
	s_cbranch_execz .LBB315_142
.LBB315_189:
	v_sub_u32_e32 v64, v34, v24
	v_mov_b32_e32 v65, 0
	v_lshlrev_b64 v[64:65], 3, v[64:65]
	v_add_co_u32_e32 v64, vcc, v23, v64
	v_addc_co_u32_e32 v65, vcc, v25, v65, vcc
	global_store_dwordx2 v[64:65], v[2:3], off
	s_or_b64 exec, exec, s[26:27]
	s_and_saveexec_b64 s[26:27], s[6:7]
	s_cbranch_execz .LBB315_143
.LBB315_190:
	v_sub_u32_e32 v64, v32, v24
	v_mov_b32_e32 v65, 0
	v_lshlrev_b64 v[64:65], 3, v[64:65]
	v_add_co_u32_e32 v64, vcc, v23, v64
	v_addc_co_u32_e32 v65, vcc, v25, v65, vcc
	global_store_dwordx2 v[64:65], v[4:5], off
	s_or_b64 exec, exec, s[26:27]
	s_and_saveexec_b64 s[26:27], s[4:5]
	s_cbranch_execnz .LBB315_144
	s_branch .LBB315_145
.LBB315_191:
	v_sub_u32_e32 v27, v46, v24
	v_lshlrev_b32_e32 v27, 3, v27
	ds_write_b64 v27, v[18:19]
	s_or_b64 exec, exec, s[26:27]
	s_and_saveexec_b64 s[20:21], s[18:19]
	s_cbranch_execz .LBB315_149
.LBB315_192:
	v_sub_u32_e32 v18, v44, v24
	v_lshlrev_b32_e32 v18, 3, v18
	ds_write_b64 v18, v[20:21]
	s_or_b64 exec, exec, s[20:21]
	s_and_saveexec_b64 s[18:19], s[16:17]
	s_cbranch_execz .LBB315_150
.LBB315_193:
	v_sub_u32_e32 v18, v42, v24
	v_lshlrev_b32_e32 v18, 3, v18
	ds_write_b64 v18, v[14:15]
	s_or_b64 exec, exec, s[18:19]
	s_and_saveexec_b64 s[16:17], s[14:15]
	s_cbranch_execz .LBB315_151
.LBB315_194:
	v_sub_u32_e32 v14, v40, v24
	v_lshlrev_b32_e32 v14, 3, v14
	ds_write_b64 v14, v[16:17]
	s_or_b64 exec, exec, s[16:17]
	s_and_saveexec_b64 s[14:15], s[12:13]
	s_cbranch_execz .LBB315_152
.LBB315_195:
	v_sub_u32_e32 v14, v38, v24
	v_lshlrev_b32_e32 v14, 3, v14
	ds_write_b64 v14, v[10:11]
	s_or_b64 exec, exec, s[14:15]
	s_and_saveexec_b64 s[12:13], s[10:11]
	s_cbranch_execz .LBB315_153
.LBB315_196:
	v_sub_u32_e32 v10, v36, v24
	v_lshlrev_b32_e32 v10, 3, v10
	ds_write_b64 v10, v[12:13]
	s_or_b64 exec, exec, s[12:13]
	s_and_saveexec_b64 s[10:11], s[8:9]
	s_cbranch_execz .LBB315_154
.LBB315_197:
	v_sub_u32_e32 v10, v34, v24
	v_lshlrev_b32_e32 v10, 3, v10
	ds_write_b64 v10, v[2:3]
	s_or_b64 exec, exec, s[10:11]
	s_and_saveexec_b64 s[8:9], s[6:7]
	s_cbranch_execz .LBB315_155
.LBB315_198:
	v_sub_u32_e32 v2, v32, v24
	v_lshlrev_b32_e32 v2, 3, v2
	ds_write_b64 v2, v[4:5]
	s_or_b64 exec, exec, s[8:9]
	s_and_saveexec_b64 s[6:7], s[4:5]
	s_cbranch_execnz .LBB315_156
	s_branch .LBB315_157
.LBB315_199:
	v_sub_u32_e32 v8, v46, v2
	v_mov_b32_e32 v9, 0
	v_lshlrev_b64 v[10:11], 3, v[8:9]
	v_add_co_u32_e32 v10, vcc, v6, v10
	v_addc_co_u32_e32 v11, vcc, v7, v11, vcc
	v_mov_b32_e32 v8, v47
	global_store_dwordx2 v[10:11], v[8:9], off
	s_or_b64 exec, exec, s[24:25]
	s_and_saveexec_b64 s[24:25], s[16:17]
	s_cbranch_execz .LBB315_161
.LBB315_200:
	v_sub_u32_e32 v8, v44, v2
	v_mov_b32_e32 v9, 0
	v_lshlrev_b64 v[10:11], 3, v[8:9]
	v_add_co_u32_e32 v10, vcc, v6, v10
	v_addc_co_u32_e32 v11, vcc, v7, v11, vcc
	v_mov_b32_e32 v8, v45
	global_store_dwordx2 v[10:11], v[8:9], off
	s_or_b64 exec, exec, s[24:25]
	s_and_saveexec_b64 s[24:25], s[14:15]
	s_cbranch_execz .LBB315_162
.LBB315_201:
	v_sub_u32_e32 v8, v42, v2
	v_mov_b32_e32 v9, 0
	v_lshlrev_b64 v[10:11], 3, v[8:9]
	v_add_co_u32_e32 v10, vcc, v6, v10
	v_addc_co_u32_e32 v11, vcc, v7, v11, vcc
	v_mov_b32_e32 v8, v43
	global_store_dwordx2 v[10:11], v[8:9], off
	s_or_b64 exec, exec, s[24:25]
	s_and_saveexec_b64 s[24:25], s[12:13]
	s_cbranch_execz .LBB315_163
.LBB315_202:
	v_sub_u32_e32 v8, v40, v2
	v_mov_b32_e32 v9, 0
	v_lshlrev_b64 v[10:11], 3, v[8:9]
	v_add_co_u32_e32 v10, vcc, v6, v10
	v_addc_co_u32_e32 v11, vcc, v7, v11, vcc
	v_mov_b32_e32 v8, v41
	global_store_dwordx2 v[10:11], v[8:9], off
	s_or_b64 exec, exec, s[24:25]
	s_and_saveexec_b64 s[24:25], s[10:11]
	s_cbranch_execz .LBB315_164
.LBB315_203:
	v_sub_u32_e32 v8, v38, v2
	v_mov_b32_e32 v9, 0
	v_lshlrev_b64 v[10:11], 3, v[8:9]
	v_add_co_u32_e32 v10, vcc, v6, v10
	v_addc_co_u32_e32 v11, vcc, v7, v11, vcc
	v_mov_b32_e32 v8, v39
	global_store_dwordx2 v[10:11], v[8:9], off
	s_or_b64 exec, exec, s[24:25]
	s_and_saveexec_b64 s[24:25], s[8:9]
	s_cbranch_execz .LBB315_165
.LBB315_204:
	v_sub_u32_e32 v8, v36, v2
	v_mov_b32_e32 v9, 0
	v_lshlrev_b64 v[10:11], 3, v[8:9]
	v_add_co_u32_e32 v10, vcc, v6, v10
	v_addc_co_u32_e32 v11, vcc, v7, v11, vcc
	v_mov_b32_e32 v8, v37
	global_store_dwordx2 v[10:11], v[8:9], off
	s_or_b64 exec, exec, s[24:25]
	s_and_saveexec_b64 s[24:25], s[6:7]
	s_cbranch_execz .LBB315_166
.LBB315_205:
	v_sub_u32_e32 v8, v34, v2
	v_mov_b32_e32 v9, 0
	v_lshlrev_b64 v[10:11], 3, v[8:9]
	v_add_co_u32_e32 v10, vcc, v6, v10
	v_addc_co_u32_e32 v11, vcc, v7, v11, vcc
	v_mov_b32_e32 v8, v35
	global_store_dwordx2 v[10:11], v[8:9], off
	s_or_b64 exec, exec, s[24:25]
	s_and_saveexec_b64 s[24:25], s[4:5]
	s_cbranch_execz .LBB315_167
.LBB315_206:
	v_sub_u32_e32 v8, v32, v2
	v_mov_b32_e32 v9, 0
	v_lshlrev_b64 v[10:11], 3, v[8:9]
	v_add_co_u32_e32 v10, vcc, v6, v10
	v_addc_co_u32_e32 v11, vcc, v7, v11, vcc
	v_mov_b32_e32 v8, v33
	global_store_dwordx2 v[10:11], v[8:9], off
	s_or_b64 exec, exec, s[24:25]
	s_and_saveexec_b64 s[24:25], s[2:3]
	s_cbranch_execnz .LBB315_168
	s_branch .LBB315_169
.LBB315_207:
	v_sub_u32_e32 v3, v46, v2
	v_lshlrev_b32_e32 v3, 2, v3
	ds_write_b32 v3, v47
	s_or_b64 exec, exec, s[24:25]
	s_and_saveexec_b64 s[18:19], s[16:17]
	s_cbranch_execz .LBB315_173
.LBB315_208:
	v_sub_u32_e32 v3, v44, v2
	v_lshlrev_b32_e32 v3, 2, v3
	ds_write_b32 v3, v45
	s_or_b64 exec, exec, s[18:19]
	s_and_saveexec_b64 s[16:17], s[14:15]
	s_cbranch_execz .LBB315_174
.LBB315_209:
	v_sub_u32_e32 v3, v42, v2
	v_lshlrev_b32_e32 v3, 2, v3
	ds_write_b32 v3, v43
	s_or_b64 exec, exec, s[16:17]
	s_and_saveexec_b64 s[14:15], s[12:13]
	s_cbranch_execz .LBB315_175
.LBB315_210:
	v_sub_u32_e32 v3, v40, v2
	v_lshlrev_b32_e32 v3, 2, v3
	ds_write_b32 v3, v41
	s_or_b64 exec, exec, s[14:15]
	s_and_saveexec_b64 s[12:13], s[10:11]
	s_cbranch_execz .LBB315_176
.LBB315_211:
	v_sub_u32_e32 v3, v38, v2
	v_lshlrev_b32_e32 v3, 2, v3
	ds_write_b32 v3, v39
	s_or_b64 exec, exec, s[12:13]
	s_and_saveexec_b64 s[10:11], s[8:9]
	s_cbranch_execz .LBB315_177
.LBB315_212:
	v_sub_u32_e32 v3, v36, v2
	v_lshlrev_b32_e32 v3, 2, v3
	ds_write_b32 v3, v37
	s_or_b64 exec, exec, s[10:11]
	s_and_saveexec_b64 s[8:9], s[6:7]
	s_cbranch_execz .LBB315_178
.LBB315_213:
	v_sub_u32_e32 v3, v34, v2
	v_lshlrev_b32_e32 v3, 2, v3
	ds_write_b32 v3, v35
	s_or_b64 exec, exec, s[8:9]
	s_and_saveexec_b64 s[6:7], s[4:5]
	s_cbranch_execz .LBB315_179
.LBB315_214:
	v_sub_u32_e32 v3, v32, v2
	v_lshlrev_b32_e32 v3, 2, v3
	ds_write_b32 v3, v33
	s_or_b64 exec, exec, s[6:7]
	s_and_saveexec_b64 s[4:5], s[2:3]
	s_cbranch_execnz .LBB315_180
	s_branch .LBB315_181
	.section	.rodata,"a",@progbits
	.p2align	6, 0x0
	.amdhsa_kernel _ZN7rocprim17ROCPRIM_400000_NS6detail17trampoline_kernelINS0_14default_configENS1_33run_length_encode_config_selectorIdjNS0_4plusIjEEEEZZNS1_33reduce_by_key_impl_wrapped_configILNS1_25lookback_scan_determinismE0ES3_S7_PKdNS0_17constant_iteratorIjlEEPdPlSF_S6_NS0_8equal_toIdEEEE10hipError_tPvRmT2_T3_mT4_T5_T6_T7_T8_P12ihipStream_tbENKUlT_T0_E_clISt17integral_constantIbLb1EESZ_EEDaSU_SV_EUlSU_E_NS1_11comp_targetILNS1_3genE4ELNS1_11target_archE910ELNS1_3gpuE8ELNS1_3repE0EEENS1_30default_config_static_selectorELNS0_4arch9wavefront6targetE1EEEvT1_
		.amdhsa_group_segment_fixed_size 20480
		.amdhsa_private_segment_fixed_size 0
		.amdhsa_kernarg_size 128
		.amdhsa_user_sgpr_count 6
		.amdhsa_user_sgpr_private_segment_buffer 1
		.amdhsa_user_sgpr_dispatch_ptr 0
		.amdhsa_user_sgpr_queue_ptr 0
		.amdhsa_user_sgpr_kernarg_segment_ptr 1
		.amdhsa_user_sgpr_dispatch_id 0
		.amdhsa_user_sgpr_flat_scratch_init 0
		.amdhsa_user_sgpr_kernarg_preload_length 0
		.amdhsa_user_sgpr_kernarg_preload_offset 0
		.amdhsa_user_sgpr_private_segment_size 0
		.amdhsa_uses_dynamic_stack 0
		.amdhsa_system_sgpr_private_segment_wavefront_offset 0
		.amdhsa_system_sgpr_workgroup_id_x 1
		.amdhsa_system_sgpr_workgroup_id_y 0
		.amdhsa_system_sgpr_workgroup_id_z 0
		.amdhsa_system_sgpr_workgroup_info 0
		.amdhsa_system_vgpr_workitem_id 0
		.amdhsa_next_free_vgpr 68
		.amdhsa_next_free_sgpr 56
		.amdhsa_accum_offset 68
		.amdhsa_reserve_vcc 1
		.amdhsa_reserve_flat_scratch 0
		.amdhsa_float_round_mode_32 0
		.amdhsa_float_round_mode_16_64 0
		.amdhsa_float_denorm_mode_32 3
		.amdhsa_float_denorm_mode_16_64 3
		.amdhsa_dx10_clamp 1
		.amdhsa_ieee_mode 1
		.amdhsa_fp16_overflow 0
		.amdhsa_tg_split 0
		.amdhsa_exception_fp_ieee_invalid_op 0
		.amdhsa_exception_fp_denorm_src 0
		.amdhsa_exception_fp_ieee_div_zero 0
		.amdhsa_exception_fp_ieee_overflow 0
		.amdhsa_exception_fp_ieee_underflow 0
		.amdhsa_exception_fp_ieee_inexact 0
		.amdhsa_exception_int_div_zero 0
	.end_amdhsa_kernel
	.section	.text._ZN7rocprim17ROCPRIM_400000_NS6detail17trampoline_kernelINS0_14default_configENS1_33run_length_encode_config_selectorIdjNS0_4plusIjEEEEZZNS1_33reduce_by_key_impl_wrapped_configILNS1_25lookback_scan_determinismE0ES3_S7_PKdNS0_17constant_iteratorIjlEEPdPlSF_S6_NS0_8equal_toIdEEEE10hipError_tPvRmT2_T3_mT4_T5_T6_T7_T8_P12ihipStream_tbENKUlT_T0_E_clISt17integral_constantIbLb1EESZ_EEDaSU_SV_EUlSU_E_NS1_11comp_targetILNS1_3genE4ELNS1_11target_archE910ELNS1_3gpuE8ELNS1_3repE0EEENS1_30default_config_static_selectorELNS0_4arch9wavefront6targetE1EEEvT1_,"axG",@progbits,_ZN7rocprim17ROCPRIM_400000_NS6detail17trampoline_kernelINS0_14default_configENS1_33run_length_encode_config_selectorIdjNS0_4plusIjEEEEZZNS1_33reduce_by_key_impl_wrapped_configILNS1_25lookback_scan_determinismE0ES3_S7_PKdNS0_17constant_iteratorIjlEEPdPlSF_S6_NS0_8equal_toIdEEEE10hipError_tPvRmT2_T3_mT4_T5_T6_T7_T8_P12ihipStream_tbENKUlT_T0_E_clISt17integral_constantIbLb1EESZ_EEDaSU_SV_EUlSU_E_NS1_11comp_targetILNS1_3genE4ELNS1_11target_archE910ELNS1_3gpuE8ELNS1_3repE0EEENS1_30default_config_static_selectorELNS0_4arch9wavefront6targetE1EEEvT1_,comdat
.Lfunc_end315:
	.size	_ZN7rocprim17ROCPRIM_400000_NS6detail17trampoline_kernelINS0_14default_configENS1_33run_length_encode_config_selectorIdjNS0_4plusIjEEEEZZNS1_33reduce_by_key_impl_wrapped_configILNS1_25lookback_scan_determinismE0ES3_S7_PKdNS0_17constant_iteratorIjlEEPdPlSF_S6_NS0_8equal_toIdEEEE10hipError_tPvRmT2_T3_mT4_T5_T6_T7_T8_P12ihipStream_tbENKUlT_T0_E_clISt17integral_constantIbLb1EESZ_EEDaSU_SV_EUlSU_E_NS1_11comp_targetILNS1_3genE4ELNS1_11target_archE910ELNS1_3gpuE8ELNS1_3repE0EEENS1_30default_config_static_selectorELNS0_4arch9wavefront6targetE1EEEvT1_, .Lfunc_end315-_ZN7rocprim17ROCPRIM_400000_NS6detail17trampoline_kernelINS0_14default_configENS1_33run_length_encode_config_selectorIdjNS0_4plusIjEEEEZZNS1_33reduce_by_key_impl_wrapped_configILNS1_25lookback_scan_determinismE0ES3_S7_PKdNS0_17constant_iteratorIjlEEPdPlSF_S6_NS0_8equal_toIdEEEE10hipError_tPvRmT2_T3_mT4_T5_T6_T7_T8_P12ihipStream_tbENKUlT_T0_E_clISt17integral_constantIbLb1EESZ_EEDaSU_SV_EUlSU_E_NS1_11comp_targetILNS1_3genE4ELNS1_11target_archE910ELNS1_3gpuE8ELNS1_3repE0EEENS1_30default_config_static_selectorELNS0_4arch9wavefront6targetE1EEEvT1_
                                        ; -- End function
	.section	.AMDGPU.csdata,"",@progbits
; Kernel info:
; codeLenInByte = 11188
; NumSgprs: 60
; NumVgprs: 68
; NumAgprs: 0
; TotalNumVgprs: 68
; ScratchSize: 0
; MemoryBound: 0
; FloatMode: 240
; IeeeMode: 1
; LDSByteSize: 20480 bytes/workgroup (compile time only)
; SGPRBlocks: 7
; VGPRBlocks: 8
; NumSGPRsForWavesPerEU: 60
; NumVGPRsForWavesPerEU: 68
; AccumOffset: 68
; Occupancy: 3
; WaveLimiterHint : 1
; COMPUTE_PGM_RSRC2:SCRATCH_EN: 0
; COMPUTE_PGM_RSRC2:USER_SGPR: 6
; COMPUTE_PGM_RSRC2:TRAP_HANDLER: 0
; COMPUTE_PGM_RSRC2:TGID_X_EN: 1
; COMPUTE_PGM_RSRC2:TGID_Y_EN: 0
; COMPUTE_PGM_RSRC2:TGID_Z_EN: 0
; COMPUTE_PGM_RSRC2:TIDIG_COMP_CNT: 0
; COMPUTE_PGM_RSRC3_GFX90A:ACCUM_OFFSET: 16
; COMPUTE_PGM_RSRC3_GFX90A:TG_SPLIT: 0
	.section	.text._ZN7rocprim17ROCPRIM_400000_NS6detail17trampoline_kernelINS0_14default_configENS1_33run_length_encode_config_selectorIdjNS0_4plusIjEEEEZZNS1_33reduce_by_key_impl_wrapped_configILNS1_25lookback_scan_determinismE0ES3_S7_PKdNS0_17constant_iteratorIjlEEPdPlSF_S6_NS0_8equal_toIdEEEE10hipError_tPvRmT2_T3_mT4_T5_T6_T7_T8_P12ihipStream_tbENKUlT_T0_E_clISt17integral_constantIbLb1EESZ_EEDaSU_SV_EUlSU_E_NS1_11comp_targetILNS1_3genE3ELNS1_11target_archE908ELNS1_3gpuE7ELNS1_3repE0EEENS1_30default_config_static_selectorELNS0_4arch9wavefront6targetE1EEEvT1_,"axG",@progbits,_ZN7rocprim17ROCPRIM_400000_NS6detail17trampoline_kernelINS0_14default_configENS1_33run_length_encode_config_selectorIdjNS0_4plusIjEEEEZZNS1_33reduce_by_key_impl_wrapped_configILNS1_25lookback_scan_determinismE0ES3_S7_PKdNS0_17constant_iteratorIjlEEPdPlSF_S6_NS0_8equal_toIdEEEE10hipError_tPvRmT2_T3_mT4_T5_T6_T7_T8_P12ihipStream_tbENKUlT_T0_E_clISt17integral_constantIbLb1EESZ_EEDaSU_SV_EUlSU_E_NS1_11comp_targetILNS1_3genE3ELNS1_11target_archE908ELNS1_3gpuE7ELNS1_3repE0EEENS1_30default_config_static_selectorELNS0_4arch9wavefront6targetE1EEEvT1_,comdat
	.protected	_ZN7rocprim17ROCPRIM_400000_NS6detail17trampoline_kernelINS0_14default_configENS1_33run_length_encode_config_selectorIdjNS0_4plusIjEEEEZZNS1_33reduce_by_key_impl_wrapped_configILNS1_25lookback_scan_determinismE0ES3_S7_PKdNS0_17constant_iteratorIjlEEPdPlSF_S6_NS0_8equal_toIdEEEE10hipError_tPvRmT2_T3_mT4_T5_T6_T7_T8_P12ihipStream_tbENKUlT_T0_E_clISt17integral_constantIbLb1EESZ_EEDaSU_SV_EUlSU_E_NS1_11comp_targetILNS1_3genE3ELNS1_11target_archE908ELNS1_3gpuE7ELNS1_3repE0EEENS1_30default_config_static_selectorELNS0_4arch9wavefront6targetE1EEEvT1_ ; -- Begin function _ZN7rocprim17ROCPRIM_400000_NS6detail17trampoline_kernelINS0_14default_configENS1_33run_length_encode_config_selectorIdjNS0_4plusIjEEEEZZNS1_33reduce_by_key_impl_wrapped_configILNS1_25lookback_scan_determinismE0ES3_S7_PKdNS0_17constant_iteratorIjlEEPdPlSF_S6_NS0_8equal_toIdEEEE10hipError_tPvRmT2_T3_mT4_T5_T6_T7_T8_P12ihipStream_tbENKUlT_T0_E_clISt17integral_constantIbLb1EESZ_EEDaSU_SV_EUlSU_E_NS1_11comp_targetILNS1_3genE3ELNS1_11target_archE908ELNS1_3gpuE7ELNS1_3repE0EEENS1_30default_config_static_selectorELNS0_4arch9wavefront6targetE1EEEvT1_
	.globl	_ZN7rocprim17ROCPRIM_400000_NS6detail17trampoline_kernelINS0_14default_configENS1_33run_length_encode_config_selectorIdjNS0_4plusIjEEEEZZNS1_33reduce_by_key_impl_wrapped_configILNS1_25lookback_scan_determinismE0ES3_S7_PKdNS0_17constant_iteratorIjlEEPdPlSF_S6_NS0_8equal_toIdEEEE10hipError_tPvRmT2_T3_mT4_T5_T6_T7_T8_P12ihipStream_tbENKUlT_T0_E_clISt17integral_constantIbLb1EESZ_EEDaSU_SV_EUlSU_E_NS1_11comp_targetILNS1_3genE3ELNS1_11target_archE908ELNS1_3gpuE7ELNS1_3repE0EEENS1_30default_config_static_selectorELNS0_4arch9wavefront6targetE1EEEvT1_
	.p2align	8
	.type	_ZN7rocprim17ROCPRIM_400000_NS6detail17trampoline_kernelINS0_14default_configENS1_33run_length_encode_config_selectorIdjNS0_4plusIjEEEEZZNS1_33reduce_by_key_impl_wrapped_configILNS1_25lookback_scan_determinismE0ES3_S7_PKdNS0_17constant_iteratorIjlEEPdPlSF_S6_NS0_8equal_toIdEEEE10hipError_tPvRmT2_T3_mT4_T5_T6_T7_T8_P12ihipStream_tbENKUlT_T0_E_clISt17integral_constantIbLb1EESZ_EEDaSU_SV_EUlSU_E_NS1_11comp_targetILNS1_3genE3ELNS1_11target_archE908ELNS1_3gpuE7ELNS1_3repE0EEENS1_30default_config_static_selectorELNS0_4arch9wavefront6targetE1EEEvT1_,@function
_ZN7rocprim17ROCPRIM_400000_NS6detail17trampoline_kernelINS0_14default_configENS1_33run_length_encode_config_selectorIdjNS0_4plusIjEEEEZZNS1_33reduce_by_key_impl_wrapped_configILNS1_25lookback_scan_determinismE0ES3_S7_PKdNS0_17constant_iteratorIjlEEPdPlSF_S6_NS0_8equal_toIdEEEE10hipError_tPvRmT2_T3_mT4_T5_T6_T7_T8_P12ihipStream_tbENKUlT_T0_E_clISt17integral_constantIbLb1EESZ_EEDaSU_SV_EUlSU_E_NS1_11comp_targetILNS1_3genE3ELNS1_11target_archE908ELNS1_3gpuE7ELNS1_3repE0EEENS1_30default_config_static_selectorELNS0_4arch9wavefront6targetE1EEEvT1_: ; @_ZN7rocprim17ROCPRIM_400000_NS6detail17trampoline_kernelINS0_14default_configENS1_33run_length_encode_config_selectorIdjNS0_4plusIjEEEEZZNS1_33reduce_by_key_impl_wrapped_configILNS1_25lookback_scan_determinismE0ES3_S7_PKdNS0_17constant_iteratorIjlEEPdPlSF_S6_NS0_8equal_toIdEEEE10hipError_tPvRmT2_T3_mT4_T5_T6_T7_T8_P12ihipStream_tbENKUlT_T0_E_clISt17integral_constantIbLb1EESZ_EEDaSU_SV_EUlSU_E_NS1_11comp_targetILNS1_3genE3ELNS1_11target_archE908ELNS1_3gpuE7ELNS1_3repE0EEENS1_30default_config_static_selectorELNS0_4arch9wavefront6targetE1EEEvT1_
; %bb.0:
	.section	.rodata,"a",@progbits
	.p2align	6, 0x0
	.amdhsa_kernel _ZN7rocprim17ROCPRIM_400000_NS6detail17trampoline_kernelINS0_14default_configENS1_33run_length_encode_config_selectorIdjNS0_4plusIjEEEEZZNS1_33reduce_by_key_impl_wrapped_configILNS1_25lookback_scan_determinismE0ES3_S7_PKdNS0_17constant_iteratorIjlEEPdPlSF_S6_NS0_8equal_toIdEEEE10hipError_tPvRmT2_T3_mT4_T5_T6_T7_T8_P12ihipStream_tbENKUlT_T0_E_clISt17integral_constantIbLb1EESZ_EEDaSU_SV_EUlSU_E_NS1_11comp_targetILNS1_3genE3ELNS1_11target_archE908ELNS1_3gpuE7ELNS1_3repE0EEENS1_30default_config_static_selectorELNS0_4arch9wavefront6targetE1EEEvT1_
		.amdhsa_group_segment_fixed_size 0
		.amdhsa_private_segment_fixed_size 0
		.amdhsa_kernarg_size 128
		.amdhsa_user_sgpr_count 6
		.amdhsa_user_sgpr_private_segment_buffer 1
		.amdhsa_user_sgpr_dispatch_ptr 0
		.amdhsa_user_sgpr_queue_ptr 0
		.amdhsa_user_sgpr_kernarg_segment_ptr 1
		.amdhsa_user_sgpr_dispatch_id 0
		.amdhsa_user_sgpr_flat_scratch_init 0
		.amdhsa_user_sgpr_kernarg_preload_length 0
		.amdhsa_user_sgpr_kernarg_preload_offset 0
		.amdhsa_user_sgpr_private_segment_size 0
		.amdhsa_uses_dynamic_stack 0
		.amdhsa_system_sgpr_private_segment_wavefront_offset 0
		.amdhsa_system_sgpr_workgroup_id_x 1
		.amdhsa_system_sgpr_workgroup_id_y 0
		.amdhsa_system_sgpr_workgroup_id_z 0
		.amdhsa_system_sgpr_workgroup_info 0
		.amdhsa_system_vgpr_workitem_id 0
		.amdhsa_next_free_vgpr 1
		.amdhsa_next_free_sgpr 0
		.amdhsa_accum_offset 4
		.amdhsa_reserve_vcc 0
		.amdhsa_reserve_flat_scratch 0
		.amdhsa_float_round_mode_32 0
		.amdhsa_float_round_mode_16_64 0
		.amdhsa_float_denorm_mode_32 3
		.amdhsa_float_denorm_mode_16_64 3
		.amdhsa_dx10_clamp 1
		.amdhsa_ieee_mode 1
		.amdhsa_fp16_overflow 0
		.amdhsa_tg_split 0
		.amdhsa_exception_fp_ieee_invalid_op 0
		.amdhsa_exception_fp_denorm_src 0
		.amdhsa_exception_fp_ieee_div_zero 0
		.amdhsa_exception_fp_ieee_overflow 0
		.amdhsa_exception_fp_ieee_underflow 0
		.amdhsa_exception_fp_ieee_inexact 0
		.amdhsa_exception_int_div_zero 0
	.end_amdhsa_kernel
	.section	.text._ZN7rocprim17ROCPRIM_400000_NS6detail17trampoline_kernelINS0_14default_configENS1_33run_length_encode_config_selectorIdjNS0_4plusIjEEEEZZNS1_33reduce_by_key_impl_wrapped_configILNS1_25lookback_scan_determinismE0ES3_S7_PKdNS0_17constant_iteratorIjlEEPdPlSF_S6_NS0_8equal_toIdEEEE10hipError_tPvRmT2_T3_mT4_T5_T6_T7_T8_P12ihipStream_tbENKUlT_T0_E_clISt17integral_constantIbLb1EESZ_EEDaSU_SV_EUlSU_E_NS1_11comp_targetILNS1_3genE3ELNS1_11target_archE908ELNS1_3gpuE7ELNS1_3repE0EEENS1_30default_config_static_selectorELNS0_4arch9wavefront6targetE1EEEvT1_,"axG",@progbits,_ZN7rocprim17ROCPRIM_400000_NS6detail17trampoline_kernelINS0_14default_configENS1_33run_length_encode_config_selectorIdjNS0_4plusIjEEEEZZNS1_33reduce_by_key_impl_wrapped_configILNS1_25lookback_scan_determinismE0ES3_S7_PKdNS0_17constant_iteratorIjlEEPdPlSF_S6_NS0_8equal_toIdEEEE10hipError_tPvRmT2_T3_mT4_T5_T6_T7_T8_P12ihipStream_tbENKUlT_T0_E_clISt17integral_constantIbLb1EESZ_EEDaSU_SV_EUlSU_E_NS1_11comp_targetILNS1_3genE3ELNS1_11target_archE908ELNS1_3gpuE7ELNS1_3repE0EEENS1_30default_config_static_selectorELNS0_4arch9wavefront6targetE1EEEvT1_,comdat
.Lfunc_end316:
	.size	_ZN7rocprim17ROCPRIM_400000_NS6detail17trampoline_kernelINS0_14default_configENS1_33run_length_encode_config_selectorIdjNS0_4plusIjEEEEZZNS1_33reduce_by_key_impl_wrapped_configILNS1_25lookback_scan_determinismE0ES3_S7_PKdNS0_17constant_iteratorIjlEEPdPlSF_S6_NS0_8equal_toIdEEEE10hipError_tPvRmT2_T3_mT4_T5_T6_T7_T8_P12ihipStream_tbENKUlT_T0_E_clISt17integral_constantIbLb1EESZ_EEDaSU_SV_EUlSU_E_NS1_11comp_targetILNS1_3genE3ELNS1_11target_archE908ELNS1_3gpuE7ELNS1_3repE0EEENS1_30default_config_static_selectorELNS0_4arch9wavefront6targetE1EEEvT1_, .Lfunc_end316-_ZN7rocprim17ROCPRIM_400000_NS6detail17trampoline_kernelINS0_14default_configENS1_33run_length_encode_config_selectorIdjNS0_4plusIjEEEEZZNS1_33reduce_by_key_impl_wrapped_configILNS1_25lookback_scan_determinismE0ES3_S7_PKdNS0_17constant_iteratorIjlEEPdPlSF_S6_NS0_8equal_toIdEEEE10hipError_tPvRmT2_T3_mT4_T5_T6_T7_T8_P12ihipStream_tbENKUlT_T0_E_clISt17integral_constantIbLb1EESZ_EEDaSU_SV_EUlSU_E_NS1_11comp_targetILNS1_3genE3ELNS1_11target_archE908ELNS1_3gpuE7ELNS1_3repE0EEENS1_30default_config_static_selectorELNS0_4arch9wavefront6targetE1EEEvT1_
                                        ; -- End function
	.section	.AMDGPU.csdata,"",@progbits
; Kernel info:
; codeLenInByte = 0
; NumSgprs: 4
; NumVgprs: 0
; NumAgprs: 0
; TotalNumVgprs: 0
; ScratchSize: 0
; MemoryBound: 0
; FloatMode: 240
; IeeeMode: 1
; LDSByteSize: 0 bytes/workgroup (compile time only)
; SGPRBlocks: 0
; VGPRBlocks: 0
; NumSGPRsForWavesPerEU: 4
; NumVGPRsForWavesPerEU: 1
; AccumOffset: 4
; Occupancy: 8
; WaveLimiterHint : 0
; COMPUTE_PGM_RSRC2:SCRATCH_EN: 0
; COMPUTE_PGM_RSRC2:USER_SGPR: 6
; COMPUTE_PGM_RSRC2:TRAP_HANDLER: 0
; COMPUTE_PGM_RSRC2:TGID_X_EN: 1
; COMPUTE_PGM_RSRC2:TGID_Y_EN: 0
; COMPUTE_PGM_RSRC2:TGID_Z_EN: 0
; COMPUTE_PGM_RSRC2:TIDIG_COMP_CNT: 0
; COMPUTE_PGM_RSRC3_GFX90A:ACCUM_OFFSET: 0
; COMPUTE_PGM_RSRC3_GFX90A:TG_SPLIT: 0
	.section	.text._ZN7rocprim17ROCPRIM_400000_NS6detail17trampoline_kernelINS0_14default_configENS1_33run_length_encode_config_selectorIdjNS0_4plusIjEEEEZZNS1_33reduce_by_key_impl_wrapped_configILNS1_25lookback_scan_determinismE0ES3_S7_PKdNS0_17constant_iteratorIjlEEPdPlSF_S6_NS0_8equal_toIdEEEE10hipError_tPvRmT2_T3_mT4_T5_T6_T7_T8_P12ihipStream_tbENKUlT_T0_E_clISt17integral_constantIbLb1EESZ_EEDaSU_SV_EUlSU_E_NS1_11comp_targetILNS1_3genE2ELNS1_11target_archE906ELNS1_3gpuE6ELNS1_3repE0EEENS1_30default_config_static_selectorELNS0_4arch9wavefront6targetE1EEEvT1_,"axG",@progbits,_ZN7rocprim17ROCPRIM_400000_NS6detail17trampoline_kernelINS0_14default_configENS1_33run_length_encode_config_selectorIdjNS0_4plusIjEEEEZZNS1_33reduce_by_key_impl_wrapped_configILNS1_25lookback_scan_determinismE0ES3_S7_PKdNS0_17constant_iteratorIjlEEPdPlSF_S6_NS0_8equal_toIdEEEE10hipError_tPvRmT2_T3_mT4_T5_T6_T7_T8_P12ihipStream_tbENKUlT_T0_E_clISt17integral_constantIbLb1EESZ_EEDaSU_SV_EUlSU_E_NS1_11comp_targetILNS1_3genE2ELNS1_11target_archE906ELNS1_3gpuE6ELNS1_3repE0EEENS1_30default_config_static_selectorELNS0_4arch9wavefront6targetE1EEEvT1_,comdat
	.protected	_ZN7rocprim17ROCPRIM_400000_NS6detail17trampoline_kernelINS0_14default_configENS1_33run_length_encode_config_selectorIdjNS0_4plusIjEEEEZZNS1_33reduce_by_key_impl_wrapped_configILNS1_25lookback_scan_determinismE0ES3_S7_PKdNS0_17constant_iteratorIjlEEPdPlSF_S6_NS0_8equal_toIdEEEE10hipError_tPvRmT2_T3_mT4_T5_T6_T7_T8_P12ihipStream_tbENKUlT_T0_E_clISt17integral_constantIbLb1EESZ_EEDaSU_SV_EUlSU_E_NS1_11comp_targetILNS1_3genE2ELNS1_11target_archE906ELNS1_3gpuE6ELNS1_3repE0EEENS1_30default_config_static_selectorELNS0_4arch9wavefront6targetE1EEEvT1_ ; -- Begin function _ZN7rocprim17ROCPRIM_400000_NS6detail17trampoline_kernelINS0_14default_configENS1_33run_length_encode_config_selectorIdjNS0_4plusIjEEEEZZNS1_33reduce_by_key_impl_wrapped_configILNS1_25lookback_scan_determinismE0ES3_S7_PKdNS0_17constant_iteratorIjlEEPdPlSF_S6_NS0_8equal_toIdEEEE10hipError_tPvRmT2_T3_mT4_T5_T6_T7_T8_P12ihipStream_tbENKUlT_T0_E_clISt17integral_constantIbLb1EESZ_EEDaSU_SV_EUlSU_E_NS1_11comp_targetILNS1_3genE2ELNS1_11target_archE906ELNS1_3gpuE6ELNS1_3repE0EEENS1_30default_config_static_selectorELNS0_4arch9wavefront6targetE1EEEvT1_
	.globl	_ZN7rocprim17ROCPRIM_400000_NS6detail17trampoline_kernelINS0_14default_configENS1_33run_length_encode_config_selectorIdjNS0_4plusIjEEEEZZNS1_33reduce_by_key_impl_wrapped_configILNS1_25lookback_scan_determinismE0ES3_S7_PKdNS0_17constant_iteratorIjlEEPdPlSF_S6_NS0_8equal_toIdEEEE10hipError_tPvRmT2_T3_mT4_T5_T6_T7_T8_P12ihipStream_tbENKUlT_T0_E_clISt17integral_constantIbLb1EESZ_EEDaSU_SV_EUlSU_E_NS1_11comp_targetILNS1_3genE2ELNS1_11target_archE906ELNS1_3gpuE6ELNS1_3repE0EEENS1_30default_config_static_selectorELNS0_4arch9wavefront6targetE1EEEvT1_
	.p2align	8
	.type	_ZN7rocprim17ROCPRIM_400000_NS6detail17trampoline_kernelINS0_14default_configENS1_33run_length_encode_config_selectorIdjNS0_4plusIjEEEEZZNS1_33reduce_by_key_impl_wrapped_configILNS1_25lookback_scan_determinismE0ES3_S7_PKdNS0_17constant_iteratorIjlEEPdPlSF_S6_NS0_8equal_toIdEEEE10hipError_tPvRmT2_T3_mT4_T5_T6_T7_T8_P12ihipStream_tbENKUlT_T0_E_clISt17integral_constantIbLb1EESZ_EEDaSU_SV_EUlSU_E_NS1_11comp_targetILNS1_3genE2ELNS1_11target_archE906ELNS1_3gpuE6ELNS1_3repE0EEENS1_30default_config_static_selectorELNS0_4arch9wavefront6targetE1EEEvT1_,@function
_ZN7rocprim17ROCPRIM_400000_NS6detail17trampoline_kernelINS0_14default_configENS1_33run_length_encode_config_selectorIdjNS0_4plusIjEEEEZZNS1_33reduce_by_key_impl_wrapped_configILNS1_25lookback_scan_determinismE0ES3_S7_PKdNS0_17constant_iteratorIjlEEPdPlSF_S6_NS0_8equal_toIdEEEE10hipError_tPvRmT2_T3_mT4_T5_T6_T7_T8_P12ihipStream_tbENKUlT_T0_E_clISt17integral_constantIbLb1EESZ_EEDaSU_SV_EUlSU_E_NS1_11comp_targetILNS1_3genE2ELNS1_11target_archE906ELNS1_3gpuE6ELNS1_3repE0EEENS1_30default_config_static_selectorELNS0_4arch9wavefront6targetE1EEEvT1_: ; @_ZN7rocprim17ROCPRIM_400000_NS6detail17trampoline_kernelINS0_14default_configENS1_33run_length_encode_config_selectorIdjNS0_4plusIjEEEEZZNS1_33reduce_by_key_impl_wrapped_configILNS1_25lookback_scan_determinismE0ES3_S7_PKdNS0_17constant_iteratorIjlEEPdPlSF_S6_NS0_8equal_toIdEEEE10hipError_tPvRmT2_T3_mT4_T5_T6_T7_T8_P12ihipStream_tbENKUlT_T0_E_clISt17integral_constantIbLb1EESZ_EEDaSU_SV_EUlSU_E_NS1_11comp_targetILNS1_3genE2ELNS1_11target_archE906ELNS1_3gpuE6ELNS1_3repE0EEENS1_30default_config_static_selectorELNS0_4arch9wavefront6targetE1EEEvT1_
; %bb.0:
	.section	.rodata,"a",@progbits
	.p2align	6, 0x0
	.amdhsa_kernel _ZN7rocprim17ROCPRIM_400000_NS6detail17trampoline_kernelINS0_14default_configENS1_33run_length_encode_config_selectorIdjNS0_4plusIjEEEEZZNS1_33reduce_by_key_impl_wrapped_configILNS1_25lookback_scan_determinismE0ES3_S7_PKdNS0_17constant_iteratorIjlEEPdPlSF_S6_NS0_8equal_toIdEEEE10hipError_tPvRmT2_T3_mT4_T5_T6_T7_T8_P12ihipStream_tbENKUlT_T0_E_clISt17integral_constantIbLb1EESZ_EEDaSU_SV_EUlSU_E_NS1_11comp_targetILNS1_3genE2ELNS1_11target_archE906ELNS1_3gpuE6ELNS1_3repE0EEENS1_30default_config_static_selectorELNS0_4arch9wavefront6targetE1EEEvT1_
		.amdhsa_group_segment_fixed_size 0
		.amdhsa_private_segment_fixed_size 0
		.amdhsa_kernarg_size 128
		.amdhsa_user_sgpr_count 6
		.amdhsa_user_sgpr_private_segment_buffer 1
		.amdhsa_user_sgpr_dispatch_ptr 0
		.amdhsa_user_sgpr_queue_ptr 0
		.amdhsa_user_sgpr_kernarg_segment_ptr 1
		.amdhsa_user_sgpr_dispatch_id 0
		.amdhsa_user_sgpr_flat_scratch_init 0
		.amdhsa_user_sgpr_kernarg_preload_length 0
		.amdhsa_user_sgpr_kernarg_preload_offset 0
		.amdhsa_user_sgpr_private_segment_size 0
		.amdhsa_uses_dynamic_stack 0
		.amdhsa_system_sgpr_private_segment_wavefront_offset 0
		.amdhsa_system_sgpr_workgroup_id_x 1
		.amdhsa_system_sgpr_workgroup_id_y 0
		.amdhsa_system_sgpr_workgroup_id_z 0
		.amdhsa_system_sgpr_workgroup_info 0
		.amdhsa_system_vgpr_workitem_id 0
		.amdhsa_next_free_vgpr 1
		.amdhsa_next_free_sgpr 0
		.amdhsa_accum_offset 4
		.amdhsa_reserve_vcc 0
		.amdhsa_reserve_flat_scratch 0
		.amdhsa_float_round_mode_32 0
		.amdhsa_float_round_mode_16_64 0
		.amdhsa_float_denorm_mode_32 3
		.amdhsa_float_denorm_mode_16_64 3
		.amdhsa_dx10_clamp 1
		.amdhsa_ieee_mode 1
		.amdhsa_fp16_overflow 0
		.amdhsa_tg_split 0
		.amdhsa_exception_fp_ieee_invalid_op 0
		.amdhsa_exception_fp_denorm_src 0
		.amdhsa_exception_fp_ieee_div_zero 0
		.amdhsa_exception_fp_ieee_overflow 0
		.amdhsa_exception_fp_ieee_underflow 0
		.amdhsa_exception_fp_ieee_inexact 0
		.amdhsa_exception_int_div_zero 0
	.end_amdhsa_kernel
	.section	.text._ZN7rocprim17ROCPRIM_400000_NS6detail17trampoline_kernelINS0_14default_configENS1_33run_length_encode_config_selectorIdjNS0_4plusIjEEEEZZNS1_33reduce_by_key_impl_wrapped_configILNS1_25lookback_scan_determinismE0ES3_S7_PKdNS0_17constant_iteratorIjlEEPdPlSF_S6_NS0_8equal_toIdEEEE10hipError_tPvRmT2_T3_mT4_T5_T6_T7_T8_P12ihipStream_tbENKUlT_T0_E_clISt17integral_constantIbLb1EESZ_EEDaSU_SV_EUlSU_E_NS1_11comp_targetILNS1_3genE2ELNS1_11target_archE906ELNS1_3gpuE6ELNS1_3repE0EEENS1_30default_config_static_selectorELNS0_4arch9wavefront6targetE1EEEvT1_,"axG",@progbits,_ZN7rocprim17ROCPRIM_400000_NS6detail17trampoline_kernelINS0_14default_configENS1_33run_length_encode_config_selectorIdjNS0_4plusIjEEEEZZNS1_33reduce_by_key_impl_wrapped_configILNS1_25lookback_scan_determinismE0ES3_S7_PKdNS0_17constant_iteratorIjlEEPdPlSF_S6_NS0_8equal_toIdEEEE10hipError_tPvRmT2_T3_mT4_T5_T6_T7_T8_P12ihipStream_tbENKUlT_T0_E_clISt17integral_constantIbLb1EESZ_EEDaSU_SV_EUlSU_E_NS1_11comp_targetILNS1_3genE2ELNS1_11target_archE906ELNS1_3gpuE6ELNS1_3repE0EEENS1_30default_config_static_selectorELNS0_4arch9wavefront6targetE1EEEvT1_,comdat
.Lfunc_end317:
	.size	_ZN7rocprim17ROCPRIM_400000_NS6detail17trampoline_kernelINS0_14default_configENS1_33run_length_encode_config_selectorIdjNS0_4plusIjEEEEZZNS1_33reduce_by_key_impl_wrapped_configILNS1_25lookback_scan_determinismE0ES3_S7_PKdNS0_17constant_iteratorIjlEEPdPlSF_S6_NS0_8equal_toIdEEEE10hipError_tPvRmT2_T3_mT4_T5_T6_T7_T8_P12ihipStream_tbENKUlT_T0_E_clISt17integral_constantIbLb1EESZ_EEDaSU_SV_EUlSU_E_NS1_11comp_targetILNS1_3genE2ELNS1_11target_archE906ELNS1_3gpuE6ELNS1_3repE0EEENS1_30default_config_static_selectorELNS0_4arch9wavefront6targetE1EEEvT1_, .Lfunc_end317-_ZN7rocprim17ROCPRIM_400000_NS6detail17trampoline_kernelINS0_14default_configENS1_33run_length_encode_config_selectorIdjNS0_4plusIjEEEEZZNS1_33reduce_by_key_impl_wrapped_configILNS1_25lookback_scan_determinismE0ES3_S7_PKdNS0_17constant_iteratorIjlEEPdPlSF_S6_NS0_8equal_toIdEEEE10hipError_tPvRmT2_T3_mT4_T5_T6_T7_T8_P12ihipStream_tbENKUlT_T0_E_clISt17integral_constantIbLb1EESZ_EEDaSU_SV_EUlSU_E_NS1_11comp_targetILNS1_3genE2ELNS1_11target_archE906ELNS1_3gpuE6ELNS1_3repE0EEENS1_30default_config_static_selectorELNS0_4arch9wavefront6targetE1EEEvT1_
                                        ; -- End function
	.section	.AMDGPU.csdata,"",@progbits
; Kernel info:
; codeLenInByte = 0
; NumSgprs: 4
; NumVgprs: 0
; NumAgprs: 0
; TotalNumVgprs: 0
; ScratchSize: 0
; MemoryBound: 0
; FloatMode: 240
; IeeeMode: 1
; LDSByteSize: 0 bytes/workgroup (compile time only)
; SGPRBlocks: 0
; VGPRBlocks: 0
; NumSGPRsForWavesPerEU: 4
; NumVGPRsForWavesPerEU: 1
; AccumOffset: 4
; Occupancy: 8
; WaveLimiterHint : 0
; COMPUTE_PGM_RSRC2:SCRATCH_EN: 0
; COMPUTE_PGM_RSRC2:USER_SGPR: 6
; COMPUTE_PGM_RSRC2:TRAP_HANDLER: 0
; COMPUTE_PGM_RSRC2:TGID_X_EN: 1
; COMPUTE_PGM_RSRC2:TGID_Y_EN: 0
; COMPUTE_PGM_RSRC2:TGID_Z_EN: 0
; COMPUTE_PGM_RSRC2:TIDIG_COMP_CNT: 0
; COMPUTE_PGM_RSRC3_GFX90A:ACCUM_OFFSET: 0
; COMPUTE_PGM_RSRC3_GFX90A:TG_SPLIT: 0
	.section	.text._ZN7rocprim17ROCPRIM_400000_NS6detail17trampoline_kernelINS0_14default_configENS1_33run_length_encode_config_selectorIdjNS0_4plusIjEEEEZZNS1_33reduce_by_key_impl_wrapped_configILNS1_25lookback_scan_determinismE0ES3_S7_PKdNS0_17constant_iteratorIjlEEPdPlSF_S6_NS0_8equal_toIdEEEE10hipError_tPvRmT2_T3_mT4_T5_T6_T7_T8_P12ihipStream_tbENKUlT_T0_E_clISt17integral_constantIbLb1EESZ_EEDaSU_SV_EUlSU_E_NS1_11comp_targetILNS1_3genE10ELNS1_11target_archE1201ELNS1_3gpuE5ELNS1_3repE0EEENS1_30default_config_static_selectorELNS0_4arch9wavefront6targetE1EEEvT1_,"axG",@progbits,_ZN7rocprim17ROCPRIM_400000_NS6detail17trampoline_kernelINS0_14default_configENS1_33run_length_encode_config_selectorIdjNS0_4plusIjEEEEZZNS1_33reduce_by_key_impl_wrapped_configILNS1_25lookback_scan_determinismE0ES3_S7_PKdNS0_17constant_iteratorIjlEEPdPlSF_S6_NS0_8equal_toIdEEEE10hipError_tPvRmT2_T3_mT4_T5_T6_T7_T8_P12ihipStream_tbENKUlT_T0_E_clISt17integral_constantIbLb1EESZ_EEDaSU_SV_EUlSU_E_NS1_11comp_targetILNS1_3genE10ELNS1_11target_archE1201ELNS1_3gpuE5ELNS1_3repE0EEENS1_30default_config_static_selectorELNS0_4arch9wavefront6targetE1EEEvT1_,comdat
	.protected	_ZN7rocprim17ROCPRIM_400000_NS6detail17trampoline_kernelINS0_14default_configENS1_33run_length_encode_config_selectorIdjNS0_4plusIjEEEEZZNS1_33reduce_by_key_impl_wrapped_configILNS1_25lookback_scan_determinismE0ES3_S7_PKdNS0_17constant_iteratorIjlEEPdPlSF_S6_NS0_8equal_toIdEEEE10hipError_tPvRmT2_T3_mT4_T5_T6_T7_T8_P12ihipStream_tbENKUlT_T0_E_clISt17integral_constantIbLb1EESZ_EEDaSU_SV_EUlSU_E_NS1_11comp_targetILNS1_3genE10ELNS1_11target_archE1201ELNS1_3gpuE5ELNS1_3repE0EEENS1_30default_config_static_selectorELNS0_4arch9wavefront6targetE1EEEvT1_ ; -- Begin function _ZN7rocprim17ROCPRIM_400000_NS6detail17trampoline_kernelINS0_14default_configENS1_33run_length_encode_config_selectorIdjNS0_4plusIjEEEEZZNS1_33reduce_by_key_impl_wrapped_configILNS1_25lookback_scan_determinismE0ES3_S7_PKdNS0_17constant_iteratorIjlEEPdPlSF_S6_NS0_8equal_toIdEEEE10hipError_tPvRmT2_T3_mT4_T5_T6_T7_T8_P12ihipStream_tbENKUlT_T0_E_clISt17integral_constantIbLb1EESZ_EEDaSU_SV_EUlSU_E_NS1_11comp_targetILNS1_3genE10ELNS1_11target_archE1201ELNS1_3gpuE5ELNS1_3repE0EEENS1_30default_config_static_selectorELNS0_4arch9wavefront6targetE1EEEvT1_
	.globl	_ZN7rocprim17ROCPRIM_400000_NS6detail17trampoline_kernelINS0_14default_configENS1_33run_length_encode_config_selectorIdjNS0_4plusIjEEEEZZNS1_33reduce_by_key_impl_wrapped_configILNS1_25lookback_scan_determinismE0ES3_S7_PKdNS0_17constant_iteratorIjlEEPdPlSF_S6_NS0_8equal_toIdEEEE10hipError_tPvRmT2_T3_mT4_T5_T6_T7_T8_P12ihipStream_tbENKUlT_T0_E_clISt17integral_constantIbLb1EESZ_EEDaSU_SV_EUlSU_E_NS1_11comp_targetILNS1_3genE10ELNS1_11target_archE1201ELNS1_3gpuE5ELNS1_3repE0EEENS1_30default_config_static_selectorELNS0_4arch9wavefront6targetE1EEEvT1_
	.p2align	8
	.type	_ZN7rocprim17ROCPRIM_400000_NS6detail17trampoline_kernelINS0_14default_configENS1_33run_length_encode_config_selectorIdjNS0_4plusIjEEEEZZNS1_33reduce_by_key_impl_wrapped_configILNS1_25lookback_scan_determinismE0ES3_S7_PKdNS0_17constant_iteratorIjlEEPdPlSF_S6_NS0_8equal_toIdEEEE10hipError_tPvRmT2_T3_mT4_T5_T6_T7_T8_P12ihipStream_tbENKUlT_T0_E_clISt17integral_constantIbLb1EESZ_EEDaSU_SV_EUlSU_E_NS1_11comp_targetILNS1_3genE10ELNS1_11target_archE1201ELNS1_3gpuE5ELNS1_3repE0EEENS1_30default_config_static_selectorELNS0_4arch9wavefront6targetE1EEEvT1_,@function
_ZN7rocprim17ROCPRIM_400000_NS6detail17trampoline_kernelINS0_14default_configENS1_33run_length_encode_config_selectorIdjNS0_4plusIjEEEEZZNS1_33reduce_by_key_impl_wrapped_configILNS1_25lookback_scan_determinismE0ES3_S7_PKdNS0_17constant_iteratorIjlEEPdPlSF_S6_NS0_8equal_toIdEEEE10hipError_tPvRmT2_T3_mT4_T5_T6_T7_T8_P12ihipStream_tbENKUlT_T0_E_clISt17integral_constantIbLb1EESZ_EEDaSU_SV_EUlSU_E_NS1_11comp_targetILNS1_3genE10ELNS1_11target_archE1201ELNS1_3gpuE5ELNS1_3repE0EEENS1_30default_config_static_selectorELNS0_4arch9wavefront6targetE1EEEvT1_: ; @_ZN7rocprim17ROCPRIM_400000_NS6detail17trampoline_kernelINS0_14default_configENS1_33run_length_encode_config_selectorIdjNS0_4plusIjEEEEZZNS1_33reduce_by_key_impl_wrapped_configILNS1_25lookback_scan_determinismE0ES3_S7_PKdNS0_17constant_iteratorIjlEEPdPlSF_S6_NS0_8equal_toIdEEEE10hipError_tPvRmT2_T3_mT4_T5_T6_T7_T8_P12ihipStream_tbENKUlT_T0_E_clISt17integral_constantIbLb1EESZ_EEDaSU_SV_EUlSU_E_NS1_11comp_targetILNS1_3genE10ELNS1_11target_archE1201ELNS1_3gpuE5ELNS1_3repE0EEENS1_30default_config_static_selectorELNS0_4arch9wavefront6targetE1EEEvT1_
; %bb.0:
	.section	.rodata,"a",@progbits
	.p2align	6, 0x0
	.amdhsa_kernel _ZN7rocprim17ROCPRIM_400000_NS6detail17trampoline_kernelINS0_14default_configENS1_33run_length_encode_config_selectorIdjNS0_4plusIjEEEEZZNS1_33reduce_by_key_impl_wrapped_configILNS1_25lookback_scan_determinismE0ES3_S7_PKdNS0_17constant_iteratorIjlEEPdPlSF_S6_NS0_8equal_toIdEEEE10hipError_tPvRmT2_T3_mT4_T5_T6_T7_T8_P12ihipStream_tbENKUlT_T0_E_clISt17integral_constantIbLb1EESZ_EEDaSU_SV_EUlSU_E_NS1_11comp_targetILNS1_3genE10ELNS1_11target_archE1201ELNS1_3gpuE5ELNS1_3repE0EEENS1_30default_config_static_selectorELNS0_4arch9wavefront6targetE1EEEvT1_
		.amdhsa_group_segment_fixed_size 0
		.amdhsa_private_segment_fixed_size 0
		.amdhsa_kernarg_size 128
		.amdhsa_user_sgpr_count 6
		.amdhsa_user_sgpr_private_segment_buffer 1
		.amdhsa_user_sgpr_dispatch_ptr 0
		.amdhsa_user_sgpr_queue_ptr 0
		.amdhsa_user_sgpr_kernarg_segment_ptr 1
		.amdhsa_user_sgpr_dispatch_id 0
		.amdhsa_user_sgpr_flat_scratch_init 0
		.amdhsa_user_sgpr_kernarg_preload_length 0
		.amdhsa_user_sgpr_kernarg_preload_offset 0
		.amdhsa_user_sgpr_private_segment_size 0
		.amdhsa_uses_dynamic_stack 0
		.amdhsa_system_sgpr_private_segment_wavefront_offset 0
		.amdhsa_system_sgpr_workgroup_id_x 1
		.amdhsa_system_sgpr_workgroup_id_y 0
		.amdhsa_system_sgpr_workgroup_id_z 0
		.amdhsa_system_sgpr_workgroup_info 0
		.amdhsa_system_vgpr_workitem_id 0
		.amdhsa_next_free_vgpr 1
		.amdhsa_next_free_sgpr 0
		.amdhsa_accum_offset 4
		.amdhsa_reserve_vcc 0
		.amdhsa_reserve_flat_scratch 0
		.amdhsa_float_round_mode_32 0
		.amdhsa_float_round_mode_16_64 0
		.amdhsa_float_denorm_mode_32 3
		.amdhsa_float_denorm_mode_16_64 3
		.amdhsa_dx10_clamp 1
		.amdhsa_ieee_mode 1
		.amdhsa_fp16_overflow 0
		.amdhsa_tg_split 0
		.amdhsa_exception_fp_ieee_invalid_op 0
		.amdhsa_exception_fp_denorm_src 0
		.amdhsa_exception_fp_ieee_div_zero 0
		.amdhsa_exception_fp_ieee_overflow 0
		.amdhsa_exception_fp_ieee_underflow 0
		.amdhsa_exception_fp_ieee_inexact 0
		.amdhsa_exception_int_div_zero 0
	.end_amdhsa_kernel
	.section	.text._ZN7rocprim17ROCPRIM_400000_NS6detail17trampoline_kernelINS0_14default_configENS1_33run_length_encode_config_selectorIdjNS0_4plusIjEEEEZZNS1_33reduce_by_key_impl_wrapped_configILNS1_25lookback_scan_determinismE0ES3_S7_PKdNS0_17constant_iteratorIjlEEPdPlSF_S6_NS0_8equal_toIdEEEE10hipError_tPvRmT2_T3_mT4_T5_T6_T7_T8_P12ihipStream_tbENKUlT_T0_E_clISt17integral_constantIbLb1EESZ_EEDaSU_SV_EUlSU_E_NS1_11comp_targetILNS1_3genE10ELNS1_11target_archE1201ELNS1_3gpuE5ELNS1_3repE0EEENS1_30default_config_static_selectorELNS0_4arch9wavefront6targetE1EEEvT1_,"axG",@progbits,_ZN7rocprim17ROCPRIM_400000_NS6detail17trampoline_kernelINS0_14default_configENS1_33run_length_encode_config_selectorIdjNS0_4plusIjEEEEZZNS1_33reduce_by_key_impl_wrapped_configILNS1_25lookback_scan_determinismE0ES3_S7_PKdNS0_17constant_iteratorIjlEEPdPlSF_S6_NS0_8equal_toIdEEEE10hipError_tPvRmT2_T3_mT4_T5_T6_T7_T8_P12ihipStream_tbENKUlT_T0_E_clISt17integral_constantIbLb1EESZ_EEDaSU_SV_EUlSU_E_NS1_11comp_targetILNS1_3genE10ELNS1_11target_archE1201ELNS1_3gpuE5ELNS1_3repE0EEENS1_30default_config_static_selectorELNS0_4arch9wavefront6targetE1EEEvT1_,comdat
.Lfunc_end318:
	.size	_ZN7rocprim17ROCPRIM_400000_NS6detail17trampoline_kernelINS0_14default_configENS1_33run_length_encode_config_selectorIdjNS0_4plusIjEEEEZZNS1_33reduce_by_key_impl_wrapped_configILNS1_25lookback_scan_determinismE0ES3_S7_PKdNS0_17constant_iteratorIjlEEPdPlSF_S6_NS0_8equal_toIdEEEE10hipError_tPvRmT2_T3_mT4_T5_T6_T7_T8_P12ihipStream_tbENKUlT_T0_E_clISt17integral_constantIbLb1EESZ_EEDaSU_SV_EUlSU_E_NS1_11comp_targetILNS1_3genE10ELNS1_11target_archE1201ELNS1_3gpuE5ELNS1_3repE0EEENS1_30default_config_static_selectorELNS0_4arch9wavefront6targetE1EEEvT1_, .Lfunc_end318-_ZN7rocprim17ROCPRIM_400000_NS6detail17trampoline_kernelINS0_14default_configENS1_33run_length_encode_config_selectorIdjNS0_4plusIjEEEEZZNS1_33reduce_by_key_impl_wrapped_configILNS1_25lookback_scan_determinismE0ES3_S7_PKdNS0_17constant_iteratorIjlEEPdPlSF_S6_NS0_8equal_toIdEEEE10hipError_tPvRmT2_T3_mT4_T5_T6_T7_T8_P12ihipStream_tbENKUlT_T0_E_clISt17integral_constantIbLb1EESZ_EEDaSU_SV_EUlSU_E_NS1_11comp_targetILNS1_3genE10ELNS1_11target_archE1201ELNS1_3gpuE5ELNS1_3repE0EEENS1_30default_config_static_selectorELNS0_4arch9wavefront6targetE1EEEvT1_
                                        ; -- End function
	.section	.AMDGPU.csdata,"",@progbits
; Kernel info:
; codeLenInByte = 0
; NumSgprs: 4
; NumVgprs: 0
; NumAgprs: 0
; TotalNumVgprs: 0
; ScratchSize: 0
; MemoryBound: 0
; FloatMode: 240
; IeeeMode: 1
; LDSByteSize: 0 bytes/workgroup (compile time only)
; SGPRBlocks: 0
; VGPRBlocks: 0
; NumSGPRsForWavesPerEU: 4
; NumVGPRsForWavesPerEU: 1
; AccumOffset: 4
; Occupancy: 8
; WaveLimiterHint : 0
; COMPUTE_PGM_RSRC2:SCRATCH_EN: 0
; COMPUTE_PGM_RSRC2:USER_SGPR: 6
; COMPUTE_PGM_RSRC2:TRAP_HANDLER: 0
; COMPUTE_PGM_RSRC2:TGID_X_EN: 1
; COMPUTE_PGM_RSRC2:TGID_Y_EN: 0
; COMPUTE_PGM_RSRC2:TGID_Z_EN: 0
; COMPUTE_PGM_RSRC2:TIDIG_COMP_CNT: 0
; COMPUTE_PGM_RSRC3_GFX90A:ACCUM_OFFSET: 0
; COMPUTE_PGM_RSRC3_GFX90A:TG_SPLIT: 0
	.section	.text._ZN7rocprim17ROCPRIM_400000_NS6detail17trampoline_kernelINS0_14default_configENS1_33run_length_encode_config_selectorIdjNS0_4plusIjEEEEZZNS1_33reduce_by_key_impl_wrapped_configILNS1_25lookback_scan_determinismE0ES3_S7_PKdNS0_17constant_iteratorIjlEEPdPlSF_S6_NS0_8equal_toIdEEEE10hipError_tPvRmT2_T3_mT4_T5_T6_T7_T8_P12ihipStream_tbENKUlT_T0_E_clISt17integral_constantIbLb1EESZ_EEDaSU_SV_EUlSU_E_NS1_11comp_targetILNS1_3genE10ELNS1_11target_archE1200ELNS1_3gpuE4ELNS1_3repE0EEENS1_30default_config_static_selectorELNS0_4arch9wavefront6targetE1EEEvT1_,"axG",@progbits,_ZN7rocprim17ROCPRIM_400000_NS6detail17trampoline_kernelINS0_14default_configENS1_33run_length_encode_config_selectorIdjNS0_4plusIjEEEEZZNS1_33reduce_by_key_impl_wrapped_configILNS1_25lookback_scan_determinismE0ES3_S7_PKdNS0_17constant_iteratorIjlEEPdPlSF_S6_NS0_8equal_toIdEEEE10hipError_tPvRmT2_T3_mT4_T5_T6_T7_T8_P12ihipStream_tbENKUlT_T0_E_clISt17integral_constantIbLb1EESZ_EEDaSU_SV_EUlSU_E_NS1_11comp_targetILNS1_3genE10ELNS1_11target_archE1200ELNS1_3gpuE4ELNS1_3repE0EEENS1_30default_config_static_selectorELNS0_4arch9wavefront6targetE1EEEvT1_,comdat
	.protected	_ZN7rocprim17ROCPRIM_400000_NS6detail17trampoline_kernelINS0_14default_configENS1_33run_length_encode_config_selectorIdjNS0_4plusIjEEEEZZNS1_33reduce_by_key_impl_wrapped_configILNS1_25lookback_scan_determinismE0ES3_S7_PKdNS0_17constant_iteratorIjlEEPdPlSF_S6_NS0_8equal_toIdEEEE10hipError_tPvRmT2_T3_mT4_T5_T6_T7_T8_P12ihipStream_tbENKUlT_T0_E_clISt17integral_constantIbLb1EESZ_EEDaSU_SV_EUlSU_E_NS1_11comp_targetILNS1_3genE10ELNS1_11target_archE1200ELNS1_3gpuE4ELNS1_3repE0EEENS1_30default_config_static_selectorELNS0_4arch9wavefront6targetE1EEEvT1_ ; -- Begin function _ZN7rocprim17ROCPRIM_400000_NS6detail17trampoline_kernelINS0_14default_configENS1_33run_length_encode_config_selectorIdjNS0_4plusIjEEEEZZNS1_33reduce_by_key_impl_wrapped_configILNS1_25lookback_scan_determinismE0ES3_S7_PKdNS0_17constant_iteratorIjlEEPdPlSF_S6_NS0_8equal_toIdEEEE10hipError_tPvRmT2_T3_mT4_T5_T6_T7_T8_P12ihipStream_tbENKUlT_T0_E_clISt17integral_constantIbLb1EESZ_EEDaSU_SV_EUlSU_E_NS1_11comp_targetILNS1_3genE10ELNS1_11target_archE1200ELNS1_3gpuE4ELNS1_3repE0EEENS1_30default_config_static_selectorELNS0_4arch9wavefront6targetE1EEEvT1_
	.globl	_ZN7rocprim17ROCPRIM_400000_NS6detail17trampoline_kernelINS0_14default_configENS1_33run_length_encode_config_selectorIdjNS0_4plusIjEEEEZZNS1_33reduce_by_key_impl_wrapped_configILNS1_25lookback_scan_determinismE0ES3_S7_PKdNS0_17constant_iteratorIjlEEPdPlSF_S6_NS0_8equal_toIdEEEE10hipError_tPvRmT2_T3_mT4_T5_T6_T7_T8_P12ihipStream_tbENKUlT_T0_E_clISt17integral_constantIbLb1EESZ_EEDaSU_SV_EUlSU_E_NS1_11comp_targetILNS1_3genE10ELNS1_11target_archE1200ELNS1_3gpuE4ELNS1_3repE0EEENS1_30default_config_static_selectorELNS0_4arch9wavefront6targetE1EEEvT1_
	.p2align	8
	.type	_ZN7rocprim17ROCPRIM_400000_NS6detail17trampoline_kernelINS0_14default_configENS1_33run_length_encode_config_selectorIdjNS0_4plusIjEEEEZZNS1_33reduce_by_key_impl_wrapped_configILNS1_25lookback_scan_determinismE0ES3_S7_PKdNS0_17constant_iteratorIjlEEPdPlSF_S6_NS0_8equal_toIdEEEE10hipError_tPvRmT2_T3_mT4_T5_T6_T7_T8_P12ihipStream_tbENKUlT_T0_E_clISt17integral_constantIbLb1EESZ_EEDaSU_SV_EUlSU_E_NS1_11comp_targetILNS1_3genE10ELNS1_11target_archE1200ELNS1_3gpuE4ELNS1_3repE0EEENS1_30default_config_static_selectorELNS0_4arch9wavefront6targetE1EEEvT1_,@function
_ZN7rocprim17ROCPRIM_400000_NS6detail17trampoline_kernelINS0_14default_configENS1_33run_length_encode_config_selectorIdjNS0_4plusIjEEEEZZNS1_33reduce_by_key_impl_wrapped_configILNS1_25lookback_scan_determinismE0ES3_S7_PKdNS0_17constant_iteratorIjlEEPdPlSF_S6_NS0_8equal_toIdEEEE10hipError_tPvRmT2_T3_mT4_T5_T6_T7_T8_P12ihipStream_tbENKUlT_T0_E_clISt17integral_constantIbLb1EESZ_EEDaSU_SV_EUlSU_E_NS1_11comp_targetILNS1_3genE10ELNS1_11target_archE1200ELNS1_3gpuE4ELNS1_3repE0EEENS1_30default_config_static_selectorELNS0_4arch9wavefront6targetE1EEEvT1_: ; @_ZN7rocprim17ROCPRIM_400000_NS6detail17trampoline_kernelINS0_14default_configENS1_33run_length_encode_config_selectorIdjNS0_4plusIjEEEEZZNS1_33reduce_by_key_impl_wrapped_configILNS1_25lookback_scan_determinismE0ES3_S7_PKdNS0_17constant_iteratorIjlEEPdPlSF_S6_NS0_8equal_toIdEEEE10hipError_tPvRmT2_T3_mT4_T5_T6_T7_T8_P12ihipStream_tbENKUlT_T0_E_clISt17integral_constantIbLb1EESZ_EEDaSU_SV_EUlSU_E_NS1_11comp_targetILNS1_3genE10ELNS1_11target_archE1200ELNS1_3gpuE4ELNS1_3repE0EEENS1_30default_config_static_selectorELNS0_4arch9wavefront6targetE1EEEvT1_
; %bb.0:
	.section	.rodata,"a",@progbits
	.p2align	6, 0x0
	.amdhsa_kernel _ZN7rocprim17ROCPRIM_400000_NS6detail17trampoline_kernelINS0_14default_configENS1_33run_length_encode_config_selectorIdjNS0_4plusIjEEEEZZNS1_33reduce_by_key_impl_wrapped_configILNS1_25lookback_scan_determinismE0ES3_S7_PKdNS0_17constant_iteratorIjlEEPdPlSF_S6_NS0_8equal_toIdEEEE10hipError_tPvRmT2_T3_mT4_T5_T6_T7_T8_P12ihipStream_tbENKUlT_T0_E_clISt17integral_constantIbLb1EESZ_EEDaSU_SV_EUlSU_E_NS1_11comp_targetILNS1_3genE10ELNS1_11target_archE1200ELNS1_3gpuE4ELNS1_3repE0EEENS1_30default_config_static_selectorELNS0_4arch9wavefront6targetE1EEEvT1_
		.amdhsa_group_segment_fixed_size 0
		.amdhsa_private_segment_fixed_size 0
		.amdhsa_kernarg_size 128
		.amdhsa_user_sgpr_count 6
		.amdhsa_user_sgpr_private_segment_buffer 1
		.amdhsa_user_sgpr_dispatch_ptr 0
		.amdhsa_user_sgpr_queue_ptr 0
		.amdhsa_user_sgpr_kernarg_segment_ptr 1
		.amdhsa_user_sgpr_dispatch_id 0
		.amdhsa_user_sgpr_flat_scratch_init 0
		.amdhsa_user_sgpr_kernarg_preload_length 0
		.amdhsa_user_sgpr_kernarg_preload_offset 0
		.amdhsa_user_sgpr_private_segment_size 0
		.amdhsa_uses_dynamic_stack 0
		.amdhsa_system_sgpr_private_segment_wavefront_offset 0
		.amdhsa_system_sgpr_workgroup_id_x 1
		.amdhsa_system_sgpr_workgroup_id_y 0
		.amdhsa_system_sgpr_workgroup_id_z 0
		.amdhsa_system_sgpr_workgroup_info 0
		.amdhsa_system_vgpr_workitem_id 0
		.amdhsa_next_free_vgpr 1
		.amdhsa_next_free_sgpr 0
		.amdhsa_accum_offset 4
		.amdhsa_reserve_vcc 0
		.amdhsa_reserve_flat_scratch 0
		.amdhsa_float_round_mode_32 0
		.amdhsa_float_round_mode_16_64 0
		.amdhsa_float_denorm_mode_32 3
		.amdhsa_float_denorm_mode_16_64 3
		.amdhsa_dx10_clamp 1
		.amdhsa_ieee_mode 1
		.amdhsa_fp16_overflow 0
		.amdhsa_tg_split 0
		.amdhsa_exception_fp_ieee_invalid_op 0
		.amdhsa_exception_fp_denorm_src 0
		.amdhsa_exception_fp_ieee_div_zero 0
		.amdhsa_exception_fp_ieee_overflow 0
		.amdhsa_exception_fp_ieee_underflow 0
		.amdhsa_exception_fp_ieee_inexact 0
		.amdhsa_exception_int_div_zero 0
	.end_amdhsa_kernel
	.section	.text._ZN7rocprim17ROCPRIM_400000_NS6detail17trampoline_kernelINS0_14default_configENS1_33run_length_encode_config_selectorIdjNS0_4plusIjEEEEZZNS1_33reduce_by_key_impl_wrapped_configILNS1_25lookback_scan_determinismE0ES3_S7_PKdNS0_17constant_iteratorIjlEEPdPlSF_S6_NS0_8equal_toIdEEEE10hipError_tPvRmT2_T3_mT4_T5_T6_T7_T8_P12ihipStream_tbENKUlT_T0_E_clISt17integral_constantIbLb1EESZ_EEDaSU_SV_EUlSU_E_NS1_11comp_targetILNS1_3genE10ELNS1_11target_archE1200ELNS1_3gpuE4ELNS1_3repE0EEENS1_30default_config_static_selectorELNS0_4arch9wavefront6targetE1EEEvT1_,"axG",@progbits,_ZN7rocprim17ROCPRIM_400000_NS6detail17trampoline_kernelINS0_14default_configENS1_33run_length_encode_config_selectorIdjNS0_4plusIjEEEEZZNS1_33reduce_by_key_impl_wrapped_configILNS1_25lookback_scan_determinismE0ES3_S7_PKdNS0_17constant_iteratorIjlEEPdPlSF_S6_NS0_8equal_toIdEEEE10hipError_tPvRmT2_T3_mT4_T5_T6_T7_T8_P12ihipStream_tbENKUlT_T0_E_clISt17integral_constantIbLb1EESZ_EEDaSU_SV_EUlSU_E_NS1_11comp_targetILNS1_3genE10ELNS1_11target_archE1200ELNS1_3gpuE4ELNS1_3repE0EEENS1_30default_config_static_selectorELNS0_4arch9wavefront6targetE1EEEvT1_,comdat
.Lfunc_end319:
	.size	_ZN7rocprim17ROCPRIM_400000_NS6detail17trampoline_kernelINS0_14default_configENS1_33run_length_encode_config_selectorIdjNS0_4plusIjEEEEZZNS1_33reduce_by_key_impl_wrapped_configILNS1_25lookback_scan_determinismE0ES3_S7_PKdNS0_17constant_iteratorIjlEEPdPlSF_S6_NS0_8equal_toIdEEEE10hipError_tPvRmT2_T3_mT4_T5_T6_T7_T8_P12ihipStream_tbENKUlT_T0_E_clISt17integral_constantIbLb1EESZ_EEDaSU_SV_EUlSU_E_NS1_11comp_targetILNS1_3genE10ELNS1_11target_archE1200ELNS1_3gpuE4ELNS1_3repE0EEENS1_30default_config_static_selectorELNS0_4arch9wavefront6targetE1EEEvT1_, .Lfunc_end319-_ZN7rocprim17ROCPRIM_400000_NS6detail17trampoline_kernelINS0_14default_configENS1_33run_length_encode_config_selectorIdjNS0_4plusIjEEEEZZNS1_33reduce_by_key_impl_wrapped_configILNS1_25lookback_scan_determinismE0ES3_S7_PKdNS0_17constant_iteratorIjlEEPdPlSF_S6_NS0_8equal_toIdEEEE10hipError_tPvRmT2_T3_mT4_T5_T6_T7_T8_P12ihipStream_tbENKUlT_T0_E_clISt17integral_constantIbLb1EESZ_EEDaSU_SV_EUlSU_E_NS1_11comp_targetILNS1_3genE10ELNS1_11target_archE1200ELNS1_3gpuE4ELNS1_3repE0EEENS1_30default_config_static_selectorELNS0_4arch9wavefront6targetE1EEEvT1_
                                        ; -- End function
	.section	.AMDGPU.csdata,"",@progbits
; Kernel info:
; codeLenInByte = 0
; NumSgprs: 4
; NumVgprs: 0
; NumAgprs: 0
; TotalNumVgprs: 0
; ScratchSize: 0
; MemoryBound: 0
; FloatMode: 240
; IeeeMode: 1
; LDSByteSize: 0 bytes/workgroup (compile time only)
; SGPRBlocks: 0
; VGPRBlocks: 0
; NumSGPRsForWavesPerEU: 4
; NumVGPRsForWavesPerEU: 1
; AccumOffset: 4
; Occupancy: 8
; WaveLimiterHint : 0
; COMPUTE_PGM_RSRC2:SCRATCH_EN: 0
; COMPUTE_PGM_RSRC2:USER_SGPR: 6
; COMPUTE_PGM_RSRC2:TRAP_HANDLER: 0
; COMPUTE_PGM_RSRC2:TGID_X_EN: 1
; COMPUTE_PGM_RSRC2:TGID_Y_EN: 0
; COMPUTE_PGM_RSRC2:TGID_Z_EN: 0
; COMPUTE_PGM_RSRC2:TIDIG_COMP_CNT: 0
; COMPUTE_PGM_RSRC3_GFX90A:ACCUM_OFFSET: 0
; COMPUTE_PGM_RSRC3_GFX90A:TG_SPLIT: 0
	.section	.text._ZN7rocprim17ROCPRIM_400000_NS6detail17trampoline_kernelINS0_14default_configENS1_33run_length_encode_config_selectorIdjNS0_4plusIjEEEEZZNS1_33reduce_by_key_impl_wrapped_configILNS1_25lookback_scan_determinismE0ES3_S7_PKdNS0_17constant_iteratorIjlEEPdPlSF_S6_NS0_8equal_toIdEEEE10hipError_tPvRmT2_T3_mT4_T5_T6_T7_T8_P12ihipStream_tbENKUlT_T0_E_clISt17integral_constantIbLb1EESZ_EEDaSU_SV_EUlSU_E_NS1_11comp_targetILNS1_3genE9ELNS1_11target_archE1100ELNS1_3gpuE3ELNS1_3repE0EEENS1_30default_config_static_selectorELNS0_4arch9wavefront6targetE1EEEvT1_,"axG",@progbits,_ZN7rocprim17ROCPRIM_400000_NS6detail17trampoline_kernelINS0_14default_configENS1_33run_length_encode_config_selectorIdjNS0_4plusIjEEEEZZNS1_33reduce_by_key_impl_wrapped_configILNS1_25lookback_scan_determinismE0ES3_S7_PKdNS0_17constant_iteratorIjlEEPdPlSF_S6_NS0_8equal_toIdEEEE10hipError_tPvRmT2_T3_mT4_T5_T6_T7_T8_P12ihipStream_tbENKUlT_T0_E_clISt17integral_constantIbLb1EESZ_EEDaSU_SV_EUlSU_E_NS1_11comp_targetILNS1_3genE9ELNS1_11target_archE1100ELNS1_3gpuE3ELNS1_3repE0EEENS1_30default_config_static_selectorELNS0_4arch9wavefront6targetE1EEEvT1_,comdat
	.protected	_ZN7rocprim17ROCPRIM_400000_NS6detail17trampoline_kernelINS0_14default_configENS1_33run_length_encode_config_selectorIdjNS0_4plusIjEEEEZZNS1_33reduce_by_key_impl_wrapped_configILNS1_25lookback_scan_determinismE0ES3_S7_PKdNS0_17constant_iteratorIjlEEPdPlSF_S6_NS0_8equal_toIdEEEE10hipError_tPvRmT2_T3_mT4_T5_T6_T7_T8_P12ihipStream_tbENKUlT_T0_E_clISt17integral_constantIbLb1EESZ_EEDaSU_SV_EUlSU_E_NS1_11comp_targetILNS1_3genE9ELNS1_11target_archE1100ELNS1_3gpuE3ELNS1_3repE0EEENS1_30default_config_static_selectorELNS0_4arch9wavefront6targetE1EEEvT1_ ; -- Begin function _ZN7rocprim17ROCPRIM_400000_NS6detail17trampoline_kernelINS0_14default_configENS1_33run_length_encode_config_selectorIdjNS0_4plusIjEEEEZZNS1_33reduce_by_key_impl_wrapped_configILNS1_25lookback_scan_determinismE0ES3_S7_PKdNS0_17constant_iteratorIjlEEPdPlSF_S6_NS0_8equal_toIdEEEE10hipError_tPvRmT2_T3_mT4_T5_T6_T7_T8_P12ihipStream_tbENKUlT_T0_E_clISt17integral_constantIbLb1EESZ_EEDaSU_SV_EUlSU_E_NS1_11comp_targetILNS1_3genE9ELNS1_11target_archE1100ELNS1_3gpuE3ELNS1_3repE0EEENS1_30default_config_static_selectorELNS0_4arch9wavefront6targetE1EEEvT1_
	.globl	_ZN7rocprim17ROCPRIM_400000_NS6detail17trampoline_kernelINS0_14default_configENS1_33run_length_encode_config_selectorIdjNS0_4plusIjEEEEZZNS1_33reduce_by_key_impl_wrapped_configILNS1_25lookback_scan_determinismE0ES3_S7_PKdNS0_17constant_iteratorIjlEEPdPlSF_S6_NS0_8equal_toIdEEEE10hipError_tPvRmT2_T3_mT4_T5_T6_T7_T8_P12ihipStream_tbENKUlT_T0_E_clISt17integral_constantIbLb1EESZ_EEDaSU_SV_EUlSU_E_NS1_11comp_targetILNS1_3genE9ELNS1_11target_archE1100ELNS1_3gpuE3ELNS1_3repE0EEENS1_30default_config_static_selectorELNS0_4arch9wavefront6targetE1EEEvT1_
	.p2align	8
	.type	_ZN7rocprim17ROCPRIM_400000_NS6detail17trampoline_kernelINS0_14default_configENS1_33run_length_encode_config_selectorIdjNS0_4plusIjEEEEZZNS1_33reduce_by_key_impl_wrapped_configILNS1_25lookback_scan_determinismE0ES3_S7_PKdNS0_17constant_iteratorIjlEEPdPlSF_S6_NS0_8equal_toIdEEEE10hipError_tPvRmT2_T3_mT4_T5_T6_T7_T8_P12ihipStream_tbENKUlT_T0_E_clISt17integral_constantIbLb1EESZ_EEDaSU_SV_EUlSU_E_NS1_11comp_targetILNS1_3genE9ELNS1_11target_archE1100ELNS1_3gpuE3ELNS1_3repE0EEENS1_30default_config_static_selectorELNS0_4arch9wavefront6targetE1EEEvT1_,@function
_ZN7rocprim17ROCPRIM_400000_NS6detail17trampoline_kernelINS0_14default_configENS1_33run_length_encode_config_selectorIdjNS0_4plusIjEEEEZZNS1_33reduce_by_key_impl_wrapped_configILNS1_25lookback_scan_determinismE0ES3_S7_PKdNS0_17constant_iteratorIjlEEPdPlSF_S6_NS0_8equal_toIdEEEE10hipError_tPvRmT2_T3_mT4_T5_T6_T7_T8_P12ihipStream_tbENKUlT_T0_E_clISt17integral_constantIbLb1EESZ_EEDaSU_SV_EUlSU_E_NS1_11comp_targetILNS1_3genE9ELNS1_11target_archE1100ELNS1_3gpuE3ELNS1_3repE0EEENS1_30default_config_static_selectorELNS0_4arch9wavefront6targetE1EEEvT1_: ; @_ZN7rocprim17ROCPRIM_400000_NS6detail17trampoline_kernelINS0_14default_configENS1_33run_length_encode_config_selectorIdjNS0_4plusIjEEEEZZNS1_33reduce_by_key_impl_wrapped_configILNS1_25lookback_scan_determinismE0ES3_S7_PKdNS0_17constant_iteratorIjlEEPdPlSF_S6_NS0_8equal_toIdEEEE10hipError_tPvRmT2_T3_mT4_T5_T6_T7_T8_P12ihipStream_tbENKUlT_T0_E_clISt17integral_constantIbLb1EESZ_EEDaSU_SV_EUlSU_E_NS1_11comp_targetILNS1_3genE9ELNS1_11target_archE1100ELNS1_3gpuE3ELNS1_3repE0EEENS1_30default_config_static_selectorELNS0_4arch9wavefront6targetE1EEEvT1_
; %bb.0:
	.section	.rodata,"a",@progbits
	.p2align	6, 0x0
	.amdhsa_kernel _ZN7rocprim17ROCPRIM_400000_NS6detail17trampoline_kernelINS0_14default_configENS1_33run_length_encode_config_selectorIdjNS0_4plusIjEEEEZZNS1_33reduce_by_key_impl_wrapped_configILNS1_25lookback_scan_determinismE0ES3_S7_PKdNS0_17constant_iteratorIjlEEPdPlSF_S6_NS0_8equal_toIdEEEE10hipError_tPvRmT2_T3_mT4_T5_T6_T7_T8_P12ihipStream_tbENKUlT_T0_E_clISt17integral_constantIbLb1EESZ_EEDaSU_SV_EUlSU_E_NS1_11comp_targetILNS1_3genE9ELNS1_11target_archE1100ELNS1_3gpuE3ELNS1_3repE0EEENS1_30default_config_static_selectorELNS0_4arch9wavefront6targetE1EEEvT1_
		.amdhsa_group_segment_fixed_size 0
		.amdhsa_private_segment_fixed_size 0
		.amdhsa_kernarg_size 128
		.amdhsa_user_sgpr_count 6
		.amdhsa_user_sgpr_private_segment_buffer 1
		.amdhsa_user_sgpr_dispatch_ptr 0
		.amdhsa_user_sgpr_queue_ptr 0
		.amdhsa_user_sgpr_kernarg_segment_ptr 1
		.amdhsa_user_sgpr_dispatch_id 0
		.amdhsa_user_sgpr_flat_scratch_init 0
		.amdhsa_user_sgpr_kernarg_preload_length 0
		.amdhsa_user_sgpr_kernarg_preload_offset 0
		.amdhsa_user_sgpr_private_segment_size 0
		.amdhsa_uses_dynamic_stack 0
		.amdhsa_system_sgpr_private_segment_wavefront_offset 0
		.amdhsa_system_sgpr_workgroup_id_x 1
		.amdhsa_system_sgpr_workgroup_id_y 0
		.amdhsa_system_sgpr_workgroup_id_z 0
		.amdhsa_system_sgpr_workgroup_info 0
		.amdhsa_system_vgpr_workitem_id 0
		.amdhsa_next_free_vgpr 1
		.amdhsa_next_free_sgpr 0
		.amdhsa_accum_offset 4
		.amdhsa_reserve_vcc 0
		.amdhsa_reserve_flat_scratch 0
		.amdhsa_float_round_mode_32 0
		.amdhsa_float_round_mode_16_64 0
		.amdhsa_float_denorm_mode_32 3
		.amdhsa_float_denorm_mode_16_64 3
		.amdhsa_dx10_clamp 1
		.amdhsa_ieee_mode 1
		.amdhsa_fp16_overflow 0
		.amdhsa_tg_split 0
		.amdhsa_exception_fp_ieee_invalid_op 0
		.amdhsa_exception_fp_denorm_src 0
		.amdhsa_exception_fp_ieee_div_zero 0
		.amdhsa_exception_fp_ieee_overflow 0
		.amdhsa_exception_fp_ieee_underflow 0
		.amdhsa_exception_fp_ieee_inexact 0
		.amdhsa_exception_int_div_zero 0
	.end_amdhsa_kernel
	.section	.text._ZN7rocprim17ROCPRIM_400000_NS6detail17trampoline_kernelINS0_14default_configENS1_33run_length_encode_config_selectorIdjNS0_4plusIjEEEEZZNS1_33reduce_by_key_impl_wrapped_configILNS1_25lookback_scan_determinismE0ES3_S7_PKdNS0_17constant_iteratorIjlEEPdPlSF_S6_NS0_8equal_toIdEEEE10hipError_tPvRmT2_T3_mT4_T5_T6_T7_T8_P12ihipStream_tbENKUlT_T0_E_clISt17integral_constantIbLb1EESZ_EEDaSU_SV_EUlSU_E_NS1_11comp_targetILNS1_3genE9ELNS1_11target_archE1100ELNS1_3gpuE3ELNS1_3repE0EEENS1_30default_config_static_selectorELNS0_4arch9wavefront6targetE1EEEvT1_,"axG",@progbits,_ZN7rocprim17ROCPRIM_400000_NS6detail17trampoline_kernelINS0_14default_configENS1_33run_length_encode_config_selectorIdjNS0_4plusIjEEEEZZNS1_33reduce_by_key_impl_wrapped_configILNS1_25lookback_scan_determinismE0ES3_S7_PKdNS0_17constant_iteratorIjlEEPdPlSF_S6_NS0_8equal_toIdEEEE10hipError_tPvRmT2_T3_mT4_T5_T6_T7_T8_P12ihipStream_tbENKUlT_T0_E_clISt17integral_constantIbLb1EESZ_EEDaSU_SV_EUlSU_E_NS1_11comp_targetILNS1_3genE9ELNS1_11target_archE1100ELNS1_3gpuE3ELNS1_3repE0EEENS1_30default_config_static_selectorELNS0_4arch9wavefront6targetE1EEEvT1_,comdat
.Lfunc_end320:
	.size	_ZN7rocprim17ROCPRIM_400000_NS6detail17trampoline_kernelINS0_14default_configENS1_33run_length_encode_config_selectorIdjNS0_4plusIjEEEEZZNS1_33reduce_by_key_impl_wrapped_configILNS1_25lookback_scan_determinismE0ES3_S7_PKdNS0_17constant_iteratorIjlEEPdPlSF_S6_NS0_8equal_toIdEEEE10hipError_tPvRmT2_T3_mT4_T5_T6_T7_T8_P12ihipStream_tbENKUlT_T0_E_clISt17integral_constantIbLb1EESZ_EEDaSU_SV_EUlSU_E_NS1_11comp_targetILNS1_3genE9ELNS1_11target_archE1100ELNS1_3gpuE3ELNS1_3repE0EEENS1_30default_config_static_selectorELNS0_4arch9wavefront6targetE1EEEvT1_, .Lfunc_end320-_ZN7rocprim17ROCPRIM_400000_NS6detail17trampoline_kernelINS0_14default_configENS1_33run_length_encode_config_selectorIdjNS0_4plusIjEEEEZZNS1_33reduce_by_key_impl_wrapped_configILNS1_25lookback_scan_determinismE0ES3_S7_PKdNS0_17constant_iteratorIjlEEPdPlSF_S6_NS0_8equal_toIdEEEE10hipError_tPvRmT2_T3_mT4_T5_T6_T7_T8_P12ihipStream_tbENKUlT_T0_E_clISt17integral_constantIbLb1EESZ_EEDaSU_SV_EUlSU_E_NS1_11comp_targetILNS1_3genE9ELNS1_11target_archE1100ELNS1_3gpuE3ELNS1_3repE0EEENS1_30default_config_static_selectorELNS0_4arch9wavefront6targetE1EEEvT1_
                                        ; -- End function
	.section	.AMDGPU.csdata,"",@progbits
; Kernel info:
; codeLenInByte = 0
; NumSgprs: 4
; NumVgprs: 0
; NumAgprs: 0
; TotalNumVgprs: 0
; ScratchSize: 0
; MemoryBound: 0
; FloatMode: 240
; IeeeMode: 1
; LDSByteSize: 0 bytes/workgroup (compile time only)
; SGPRBlocks: 0
; VGPRBlocks: 0
; NumSGPRsForWavesPerEU: 4
; NumVGPRsForWavesPerEU: 1
; AccumOffset: 4
; Occupancy: 8
; WaveLimiterHint : 0
; COMPUTE_PGM_RSRC2:SCRATCH_EN: 0
; COMPUTE_PGM_RSRC2:USER_SGPR: 6
; COMPUTE_PGM_RSRC2:TRAP_HANDLER: 0
; COMPUTE_PGM_RSRC2:TGID_X_EN: 1
; COMPUTE_PGM_RSRC2:TGID_Y_EN: 0
; COMPUTE_PGM_RSRC2:TGID_Z_EN: 0
; COMPUTE_PGM_RSRC2:TIDIG_COMP_CNT: 0
; COMPUTE_PGM_RSRC3_GFX90A:ACCUM_OFFSET: 0
; COMPUTE_PGM_RSRC3_GFX90A:TG_SPLIT: 0
	.section	.text._ZN7rocprim17ROCPRIM_400000_NS6detail17trampoline_kernelINS0_14default_configENS1_33run_length_encode_config_selectorIdjNS0_4plusIjEEEEZZNS1_33reduce_by_key_impl_wrapped_configILNS1_25lookback_scan_determinismE0ES3_S7_PKdNS0_17constant_iteratorIjlEEPdPlSF_S6_NS0_8equal_toIdEEEE10hipError_tPvRmT2_T3_mT4_T5_T6_T7_T8_P12ihipStream_tbENKUlT_T0_E_clISt17integral_constantIbLb1EESZ_EEDaSU_SV_EUlSU_E_NS1_11comp_targetILNS1_3genE8ELNS1_11target_archE1030ELNS1_3gpuE2ELNS1_3repE0EEENS1_30default_config_static_selectorELNS0_4arch9wavefront6targetE1EEEvT1_,"axG",@progbits,_ZN7rocprim17ROCPRIM_400000_NS6detail17trampoline_kernelINS0_14default_configENS1_33run_length_encode_config_selectorIdjNS0_4plusIjEEEEZZNS1_33reduce_by_key_impl_wrapped_configILNS1_25lookback_scan_determinismE0ES3_S7_PKdNS0_17constant_iteratorIjlEEPdPlSF_S6_NS0_8equal_toIdEEEE10hipError_tPvRmT2_T3_mT4_T5_T6_T7_T8_P12ihipStream_tbENKUlT_T0_E_clISt17integral_constantIbLb1EESZ_EEDaSU_SV_EUlSU_E_NS1_11comp_targetILNS1_3genE8ELNS1_11target_archE1030ELNS1_3gpuE2ELNS1_3repE0EEENS1_30default_config_static_selectorELNS0_4arch9wavefront6targetE1EEEvT1_,comdat
	.protected	_ZN7rocprim17ROCPRIM_400000_NS6detail17trampoline_kernelINS0_14default_configENS1_33run_length_encode_config_selectorIdjNS0_4plusIjEEEEZZNS1_33reduce_by_key_impl_wrapped_configILNS1_25lookback_scan_determinismE0ES3_S7_PKdNS0_17constant_iteratorIjlEEPdPlSF_S6_NS0_8equal_toIdEEEE10hipError_tPvRmT2_T3_mT4_T5_T6_T7_T8_P12ihipStream_tbENKUlT_T0_E_clISt17integral_constantIbLb1EESZ_EEDaSU_SV_EUlSU_E_NS1_11comp_targetILNS1_3genE8ELNS1_11target_archE1030ELNS1_3gpuE2ELNS1_3repE0EEENS1_30default_config_static_selectorELNS0_4arch9wavefront6targetE1EEEvT1_ ; -- Begin function _ZN7rocprim17ROCPRIM_400000_NS6detail17trampoline_kernelINS0_14default_configENS1_33run_length_encode_config_selectorIdjNS0_4plusIjEEEEZZNS1_33reduce_by_key_impl_wrapped_configILNS1_25lookback_scan_determinismE0ES3_S7_PKdNS0_17constant_iteratorIjlEEPdPlSF_S6_NS0_8equal_toIdEEEE10hipError_tPvRmT2_T3_mT4_T5_T6_T7_T8_P12ihipStream_tbENKUlT_T0_E_clISt17integral_constantIbLb1EESZ_EEDaSU_SV_EUlSU_E_NS1_11comp_targetILNS1_3genE8ELNS1_11target_archE1030ELNS1_3gpuE2ELNS1_3repE0EEENS1_30default_config_static_selectorELNS0_4arch9wavefront6targetE1EEEvT1_
	.globl	_ZN7rocprim17ROCPRIM_400000_NS6detail17trampoline_kernelINS0_14default_configENS1_33run_length_encode_config_selectorIdjNS0_4plusIjEEEEZZNS1_33reduce_by_key_impl_wrapped_configILNS1_25lookback_scan_determinismE0ES3_S7_PKdNS0_17constant_iteratorIjlEEPdPlSF_S6_NS0_8equal_toIdEEEE10hipError_tPvRmT2_T3_mT4_T5_T6_T7_T8_P12ihipStream_tbENKUlT_T0_E_clISt17integral_constantIbLb1EESZ_EEDaSU_SV_EUlSU_E_NS1_11comp_targetILNS1_3genE8ELNS1_11target_archE1030ELNS1_3gpuE2ELNS1_3repE0EEENS1_30default_config_static_selectorELNS0_4arch9wavefront6targetE1EEEvT1_
	.p2align	8
	.type	_ZN7rocprim17ROCPRIM_400000_NS6detail17trampoline_kernelINS0_14default_configENS1_33run_length_encode_config_selectorIdjNS0_4plusIjEEEEZZNS1_33reduce_by_key_impl_wrapped_configILNS1_25lookback_scan_determinismE0ES3_S7_PKdNS0_17constant_iteratorIjlEEPdPlSF_S6_NS0_8equal_toIdEEEE10hipError_tPvRmT2_T3_mT4_T5_T6_T7_T8_P12ihipStream_tbENKUlT_T0_E_clISt17integral_constantIbLb1EESZ_EEDaSU_SV_EUlSU_E_NS1_11comp_targetILNS1_3genE8ELNS1_11target_archE1030ELNS1_3gpuE2ELNS1_3repE0EEENS1_30default_config_static_selectorELNS0_4arch9wavefront6targetE1EEEvT1_,@function
_ZN7rocprim17ROCPRIM_400000_NS6detail17trampoline_kernelINS0_14default_configENS1_33run_length_encode_config_selectorIdjNS0_4plusIjEEEEZZNS1_33reduce_by_key_impl_wrapped_configILNS1_25lookback_scan_determinismE0ES3_S7_PKdNS0_17constant_iteratorIjlEEPdPlSF_S6_NS0_8equal_toIdEEEE10hipError_tPvRmT2_T3_mT4_T5_T6_T7_T8_P12ihipStream_tbENKUlT_T0_E_clISt17integral_constantIbLb1EESZ_EEDaSU_SV_EUlSU_E_NS1_11comp_targetILNS1_3genE8ELNS1_11target_archE1030ELNS1_3gpuE2ELNS1_3repE0EEENS1_30default_config_static_selectorELNS0_4arch9wavefront6targetE1EEEvT1_: ; @_ZN7rocprim17ROCPRIM_400000_NS6detail17trampoline_kernelINS0_14default_configENS1_33run_length_encode_config_selectorIdjNS0_4plusIjEEEEZZNS1_33reduce_by_key_impl_wrapped_configILNS1_25lookback_scan_determinismE0ES3_S7_PKdNS0_17constant_iteratorIjlEEPdPlSF_S6_NS0_8equal_toIdEEEE10hipError_tPvRmT2_T3_mT4_T5_T6_T7_T8_P12ihipStream_tbENKUlT_T0_E_clISt17integral_constantIbLb1EESZ_EEDaSU_SV_EUlSU_E_NS1_11comp_targetILNS1_3genE8ELNS1_11target_archE1030ELNS1_3gpuE2ELNS1_3repE0EEENS1_30default_config_static_selectorELNS0_4arch9wavefront6targetE1EEEvT1_
; %bb.0:
	.section	.rodata,"a",@progbits
	.p2align	6, 0x0
	.amdhsa_kernel _ZN7rocprim17ROCPRIM_400000_NS6detail17trampoline_kernelINS0_14default_configENS1_33run_length_encode_config_selectorIdjNS0_4plusIjEEEEZZNS1_33reduce_by_key_impl_wrapped_configILNS1_25lookback_scan_determinismE0ES3_S7_PKdNS0_17constant_iteratorIjlEEPdPlSF_S6_NS0_8equal_toIdEEEE10hipError_tPvRmT2_T3_mT4_T5_T6_T7_T8_P12ihipStream_tbENKUlT_T0_E_clISt17integral_constantIbLb1EESZ_EEDaSU_SV_EUlSU_E_NS1_11comp_targetILNS1_3genE8ELNS1_11target_archE1030ELNS1_3gpuE2ELNS1_3repE0EEENS1_30default_config_static_selectorELNS0_4arch9wavefront6targetE1EEEvT1_
		.amdhsa_group_segment_fixed_size 0
		.amdhsa_private_segment_fixed_size 0
		.amdhsa_kernarg_size 128
		.amdhsa_user_sgpr_count 6
		.amdhsa_user_sgpr_private_segment_buffer 1
		.amdhsa_user_sgpr_dispatch_ptr 0
		.amdhsa_user_sgpr_queue_ptr 0
		.amdhsa_user_sgpr_kernarg_segment_ptr 1
		.amdhsa_user_sgpr_dispatch_id 0
		.amdhsa_user_sgpr_flat_scratch_init 0
		.amdhsa_user_sgpr_kernarg_preload_length 0
		.amdhsa_user_sgpr_kernarg_preload_offset 0
		.amdhsa_user_sgpr_private_segment_size 0
		.amdhsa_uses_dynamic_stack 0
		.amdhsa_system_sgpr_private_segment_wavefront_offset 0
		.amdhsa_system_sgpr_workgroup_id_x 1
		.amdhsa_system_sgpr_workgroup_id_y 0
		.amdhsa_system_sgpr_workgroup_id_z 0
		.amdhsa_system_sgpr_workgroup_info 0
		.amdhsa_system_vgpr_workitem_id 0
		.amdhsa_next_free_vgpr 1
		.amdhsa_next_free_sgpr 0
		.amdhsa_accum_offset 4
		.amdhsa_reserve_vcc 0
		.amdhsa_reserve_flat_scratch 0
		.amdhsa_float_round_mode_32 0
		.amdhsa_float_round_mode_16_64 0
		.amdhsa_float_denorm_mode_32 3
		.amdhsa_float_denorm_mode_16_64 3
		.amdhsa_dx10_clamp 1
		.amdhsa_ieee_mode 1
		.amdhsa_fp16_overflow 0
		.amdhsa_tg_split 0
		.amdhsa_exception_fp_ieee_invalid_op 0
		.amdhsa_exception_fp_denorm_src 0
		.amdhsa_exception_fp_ieee_div_zero 0
		.amdhsa_exception_fp_ieee_overflow 0
		.amdhsa_exception_fp_ieee_underflow 0
		.amdhsa_exception_fp_ieee_inexact 0
		.amdhsa_exception_int_div_zero 0
	.end_amdhsa_kernel
	.section	.text._ZN7rocprim17ROCPRIM_400000_NS6detail17trampoline_kernelINS0_14default_configENS1_33run_length_encode_config_selectorIdjNS0_4plusIjEEEEZZNS1_33reduce_by_key_impl_wrapped_configILNS1_25lookback_scan_determinismE0ES3_S7_PKdNS0_17constant_iteratorIjlEEPdPlSF_S6_NS0_8equal_toIdEEEE10hipError_tPvRmT2_T3_mT4_T5_T6_T7_T8_P12ihipStream_tbENKUlT_T0_E_clISt17integral_constantIbLb1EESZ_EEDaSU_SV_EUlSU_E_NS1_11comp_targetILNS1_3genE8ELNS1_11target_archE1030ELNS1_3gpuE2ELNS1_3repE0EEENS1_30default_config_static_selectorELNS0_4arch9wavefront6targetE1EEEvT1_,"axG",@progbits,_ZN7rocprim17ROCPRIM_400000_NS6detail17trampoline_kernelINS0_14default_configENS1_33run_length_encode_config_selectorIdjNS0_4plusIjEEEEZZNS1_33reduce_by_key_impl_wrapped_configILNS1_25lookback_scan_determinismE0ES3_S7_PKdNS0_17constant_iteratorIjlEEPdPlSF_S6_NS0_8equal_toIdEEEE10hipError_tPvRmT2_T3_mT4_T5_T6_T7_T8_P12ihipStream_tbENKUlT_T0_E_clISt17integral_constantIbLb1EESZ_EEDaSU_SV_EUlSU_E_NS1_11comp_targetILNS1_3genE8ELNS1_11target_archE1030ELNS1_3gpuE2ELNS1_3repE0EEENS1_30default_config_static_selectorELNS0_4arch9wavefront6targetE1EEEvT1_,comdat
.Lfunc_end321:
	.size	_ZN7rocprim17ROCPRIM_400000_NS6detail17trampoline_kernelINS0_14default_configENS1_33run_length_encode_config_selectorIdjNS0_4plusIjEEEEZZNS1_33reduce_by_key_impl_wrapped_configILNS1_25lookback_scan_determinismE0ES3_S7_PKdNS0_17constant_iteratorIjlEEPdPlSF_S6_NS0_8equal_toIdEEEE10hipError_tPvRmT2_T3_mT4_T5_T6_T7_T8_P12ihipStream_tbENKUlT_T0_E_clISt17integral_constantIbLb1EESZ_EEDaSU_SV_EUlSU_E_NS1_11comp_targetILNS1_3genE8ELNS1_11target_archE1030ELNS1_3gpuE2ELNS1_3repE0EEENS1_30default_config_static_selectorELNS0_4arch9wavefront6targetE1EEEvT1_, .Lfunc_end321-_ZN7rocprim17ROCPRIM_400000_NS6detail17trampoline_kernelINS0_14default_configENS1_33run_length_encode_config_selectorIdjNS0_4plusIjEEEEZZNS1_33reduce_by_key_impl_wrapped_configILNS1_25lookback_scan_determinismE0ES3_S7_PKdNS0_17constant_iteratorIjlEEPdPlSF_S6_NS0_8equal_toIdEEEE10hipError_tPvRmT2_T3_mT4_T5_T6_T7_T8_P12ihipStream_tbENKUlT_T0_E_clISt17integral_constantIbLb1EESZ_EEDaSU_SV_EUlSU_E_NS1_11comp_targetILNS1_3genE8ELNS1_11target_archE1030ELNS1_3gpuE2ELNS1_3repE0EEENS1_30default_config_static_selectorELNS0_4arch9wavefront6targetE1EEEvT1_
                                        ; -- End function
	.section	.AMDGPU.csdata,"",@progbits
; Kernel info:
; codeLenInByte = 0
; NumSgprs: 4
; NumVgprs: 0
; NumAgprs: 0
; TotalNumVgprs: 0
; ScratchSize: 0
; MemoryBound: 0
; FloatMode: 240
; IeeeMode: 1
; LDSByteSize: 0 bytes/workgroup (compile time only)
; SGPRBlocks: 0
; VGPRBlocks: 0
; NumSGPRsForWavesPerEU: 4
; NumVGPRsForWavesPerEU: 1
; AccumOffset: 4
; Occupancy: 8
; WaveLimiterHint : 0
; COMPUTE_PGM_RSRC2:SCRATCH_EN: 0
; COMPUTE_PGM_RSRC2:USER_SGPR: 6
; COMPUTE_PGM_RSRC2:TRAP_HANDLER: 0
; COMPUTE_PGM_RSRC2:TGID_X_EN: 1
; COMPUTE_PGM_RSRC2:TGID_Y_EN: 0
; COMPUTE_PGM_RSRC2:TGID_Z_EN: 0
; COMPUTE_PGM_RSRC2:TIDIG_COMP_CNT: 0
; COMPUTE_PGM_RSRC3_GFX90A:ACCUM_OFFSET: 0
; COMPUTE_PGM_RSRC3_GFX90A:TG_SPLIT: 0
	.section	.text._ZN7rocprim17ROCPRIM_400000_NS6detail17trampoline_kernelINS0_14default_configENS1_33run_length_encode_config_selectorIdjNS0_4plusIjEEEEZZNS1_33reduce_by_key_impl_wrapped_configILNS1_25lookback_scan_determinismE0ES3_S7_PKdNS0_17constant_iteratorIjlEEPdPlSF_S6_NS0_8equal_toIdEEEE10hipError_tPvRmT2_T3_mT4_T5_T6_T7_T8_P12ihipStream_tbENKUlT_T0_E_clISt17integral_constantIbLb1EESY_IbLb0EEEEDaSU_SV_EUlSU_E_NS1_11comp_targetILNS1_3genE0ELNS1_11target_archE4294967295ELNS1_3gpuE0ELNS1_3repE0EEENS1_30default_config_static_selectorELNS0_4arch9wavefront6targetE1EEEvT1_,"axG",@progbits,_ZN7rocprim17ROCPRIM_400000_NS6detail17trampoline_kernelINS0_14default_configENS1_33run_length_encode_config_selectorIdjNS0_4plusIjEEEEZZNS1_33reduce_by_key_impl_wrapped_configILNS1_25lookback_scan_determinismE0ES3_S7_PKdNS0_17constant_iteratorIjlEEPdPlSF_S6_NS0_8equal_toIdEEEE10hipError_tPvRmT2_T3_mT4_T5_T6_T7_T8_P12ihipStream_tbENKUlT_T0_E_clISt17integral_constantIbLb1EESY_IbLb0EEEEDaSU_SV_EUlSU_E_NS1_11comp_targetILNS1_3genE0ELNS1_11target_archE4294967295ELNS1_3gpuE0ELNS1_3repE0EEENS1_30default_config_static_selectorELNS0_4arch9wavefront6targetE1EEEvT1_,comdat
	.protected	_ZN7rocprim17ROCPRIM_400000_NS6detail17trampoline_kernelINS0_14default_configENS1_33run_length_encode_config_selectorIdjNS0_4plusIjEEEEZZNS1_33reduce_by_key_impl_wrapped_configILNS1_25lookback_scan_determinismE0ES3_S7_PKdNS0_17constant_iteratorIjlEEPdPlSF_S6_NS0_8equal_toIdEEEE10hipError_tPvRmT2_T3_mT4_T5_T6_T7_T8_P12ihipStream_tbENKUlT_T0_E_clISt17integral_constantIbLb1EESY_IbLb0EEEEDaSU_SV_EUlSU_E_NS1_11comp_targetILNS1_3genE0ELNS1_11target_archE4294967295ELNS1_3gpuE0ELNS1_3repE0EEENS1_30default_config_static_selectorELNS0_4arch9wavefront6targetE1EEEvT1_ ; -- Begin function _ZN7rocprim17ROCPRIM_400000_NS6detail17trampoline_kernelINS0_14default_configENS1_33run_length_encode_config_selectorIdjNS0_4plusIjEEEEZZNS1_33reduce_by_key_impl_wrapped_configILNS1_25lookback_scan_determinismE0ES3_S7_PKdNS0_17constant_iteratorIjlEEPdPlSF_S6_NS0_8equal_toIdEEEE10hipError_tPvRmT2_T3_mT4_T5_T6_T7_T8_P12ihipStream_tbENKUlT_T0_E_clISt17integral_constantIbLb1EESY_IbLb0EEEEDaSU_SV_EUlSU_E_NS1_11comp_targetILNS1_3genE0ELNS1_11target_archE4294967295ELNS1_3gpuE0ELNS1_3repE0EEENS1_30default_config_static_selectorELNS0_4arch9wavefront6targetE1EEEvT1_
	.globl	_ZN7rocprim17ROCPRIM_400000_NS6detail17trampoline_kernelINS0_14default_configENS1_33run_length_encode_config_selectorIdjNS0_4plusIjEEEEZZNS1_33reduce_by_key_impl_wrapped_configILNS1_25lookback_scan_determinismE0ES3_S7_PKdNS0_17constant_iteratorIjlEEPdPlSF_S6_NS0_8equal_toIdEEEE10hipError_tPvRmT2_T3_mT4_T5_T6_T7_T8_P12ihipStream_tbENKUlT_T0_E_clISt17integral_constantIbLb1EESY_IbLb0EEEEDaSU_SV_EUlSU_E_NS1_11comp_targetILNS1_3genE0ELNS1_11target_archE4294967295ELNS1_3gpuE0ELNS1_3repE0EEENS1_30default_config_static_selectorELNS0_4arch9wavefront6targetE1EEEvT1_
	.p2align	8
	.type	_ZN7rocprim17ROCPRIM_400000_NS6detail17trampoline_kernelINS0_14default_configENS1_33run_length_encode_config_selectorIdjNS0_4plusIjEEEEZZNS1_33reduce_by_key_impl_wrapped_configILNS1_25lookback_scan_determinismE0ES3_S7_PKdNS0_17constant_iteratorIjlEEPdPlSF_S6_NS0_8equal_toIdEEEE10hipError_tPvRmT2_T3_mT4_T5_T6_T7_T8_P12ihipStream_tbENKUlT_T0_E_clISt17integral_constantIbLb1EESY_IbLb0EEEEDaSU_SV_EUlSU_E_NS1_11comp_targetILNS1_3genE0ELNS1_11target_archE4294967295ELNS1_3gpuE0ELNS1_3repE0EEENS1_30default_config_static_selectorELNS0_4arch9wavefront6targetE1EEEvT1_,@function
_ZN7rocprim17ROCPRIM_400000_NS6detail17trampoline_kernelINS0_14default_configENS1_33run_length_encode_config_selectorIdjNS0_4plusIjEEEEZZNS1_33reduce_by_key_impl_wrapped_configILNS1_25lookback_scan_determinismE0ES3_S7_PKdNS0_17constant_iteratorIjlEEPdPlSF_S6_NS0_8equal_toIdEEEE10hipError_tPvRmT2_T3_mT4_T5_T6_T7_T8_P12ihipStream_tbENKUlT_T0_E_clISt17integral_constantIbLb1EESY_IbLb0EEEEDaSU_SV_EUlSU_E_NS1_11comp_targetILNS1_3genE0ELNS1_11target_archE4294967295ELNS1_3gpuE0ELNS1_3repE0EEENS1_30default_config_static_selectorELNS0_4arch9wavefront6targetE1EEEvT1_: ; @_ZN7rocprim17ROCPRIM_400000_NS6detail17trampoline_kernelINS0_14default_configENS1_33run_length_encode_config_selectorIdjNS0_4plusIjEEEEZZNS1_33reduce_by_key_impl_wrapped_configILNS1_25lookback_scan_determinismE0ES3_S7_PKdNS0_17constant_iteratorIjlEEPdPlSF_S6_NS0_8equal_toIdEEEE10hipError_tPvRmT2_T3_mT4_T5_T6_T7_T8_P12ihipStream_tbENKUlT_T0_E_clISt17integral_constantIbLb1EESY_IbLb0EEEEDaSU_SV_EUlSU_E_NS1_11comp_targetILNS1_3genE0ELNS1_11target_archE4294967295ELNS1_3gpuE0ELNS1_3repE0EEENS1_30default_config_static_selectorELNS0_4arch9wavefront6targetE1EEEvT1_
; %bb.0:
	.section	.rodata,"a",@progbits
	.p2align	6, 0x0
	.amdhsa_kernel _ZN7rocprim17ROCPRIM_400000_NS6detail17trampoline_kernelINS0_14default_configENS1_33run_length_encode_config_selectorIdjNS0_4plusIjEEEEZZNS1_33reduce_by_key_impl_wrapped_configILNS1_25lookback_scan_determinismE0ES3_S7_PKdNS0_17constant_iteratorIjlEEPdPlSF_S6_NS0_8equal_toIdEEEE10hipError_tPvRmT2_T3_mT4_T5_T6_T7_T8_P12ihipStream_tbENKUlT_T0_E_clISt17integral_constantIbLb1EESY_IbLb0EEEEDaSU_SV_EUlSU_E_NS1_11comp_targetILNS1_3genE0ELNS1_11target_archE4294967295ELNS1_3gpuE0ELNS1_3repE0EEENS1_30default_config_static_selectorELNS0_4arch9wavefront6targetE1EEEvT1_
		.amdhsa_group_segment_fixed_size 0
		.amdhsa_private_segment_fixed_size 0
		.amdhsa_kernarg_size 128
		.amdhsa_user_sgpr_count 6
		.amdhsa_user_sgpr_private_segment_buffer 1
		.amdhsa_user_sgpr_dispatch_ptr 0
		.amdhsa_user_sgpr_queue_ptr 0
		.amdhsa_user_sgpr_kernarg_segment_ptr 1
		.amdhsa_user_sgpr_dispatch_id 0
		.amdhsa_user_sgpr_flat_scratch_init 0
		.amdhsa_user_sgpr_kernarg_preload_length 0
		.amdhsa_user_sgpr_kernarg_preload_offset 0
		.amdhsa_user_sgpr_private_segment_size 0
		.amdhsa_uses_dynamic_stack 0
		.amdhsa_system_sgpr_private_segment_wavefront_offset 0
		.amdhsa_system_sgpr_workgroup_id_x 1
		.amdhsa_system_sgpr_workgroup_id_y 0
		.amdhsa_system_sgpr_workgroup_id_z 0
		.amdhsa_system_sgpr_workgroup_info 0
		.amdhsa_system_vgpr_workitem_id 0
		.amdhsa_next_free_vgpr 1
		.amdhsa_next_free_sgpr 0
		.amdhsa_accum_offset 4
		.amdhsa_reserve_vcc 0
		.amdhsa_reserve_flat_scratch 0
		.amdhsa_float_round_mode_32 0
		.amdhsa_float_round_mode_16_64 0
		.amdhsa_float_denorm_mode_32 3
		.amdhsa_float_denorm_mode_16_64 3
		.amdhsa_dx10_clamp 1
		.amdhsa_ieee_mode 1
		.amdhsa_fp16_overflow 0
		.amdhsa_tg_split 0
		.amdhsa_exception_fp_ieee_invalid_op 0
		.amdhsa_exception_fp_denorm_src 0
		.amdhsa_exception_fp_ieee_div_zero 0
		.amdhsa_exception_fp_ieee_overflow 0
		.amdhsa_exception_fp_ieee_underflow 0
		.amdhsa_exception_fp_ieee_inexact 0
		.amdhsa_exception_int_div_zero 0
	.end_amdhsa_kernel
	.section	.text._ZN7rocprim17ROCPRIM_400000_NS6detail17trampoline_kernelINS0_14default_configENS1_33run_length_encode_config_selectorIdjNS0_4plusIjEEEEZZNS1_33reduce_by_key_impl_wrapped_configILNS1_25lookback_scan_determinismE0ES3_S7_PKdNS0_17constant_iteratorIjlEEPdPlSF_S6_NS0_8equal_toIdEEEE10hipError_tPvRmT2_T3_mT4_T5_T6_T7_T8_P12ihipStream_tbENKUlT_T0_E_clISt17integral_constantIbLb1EESY_IbLb0EEEEDaSU_SV_EUlSU_E_NS1_11comp_targetILNS1_3genE0ELNS1_11target_archE4294967295ELNS1_3gpuE0ELNS1_3repE0EEENS1_30default_config_static_selectorELNS0_4arch9wavefront6targetE1EEEvT1_,"axG",@progbits,_ZN7rocprim17ROCPRIM_400000_NS6detail17trampoline_kernelINS0_14default_configENS1_33run_length_encode_config_selectorIdjNS0_4plusIjEEEEZZNS1_33reduce_by_key_impl_wrapped_configILNS1_25lookback_scan_determinismE0ES3_S7_PKdNS0_17constant_iteratorIjlEEPdPlSF_S6_NS0_8equal_toIdEEEE10hipError_tPvRmT2_T3_mT4_T5_T6_T7_T8_P12ihipStream_tbENKUlT_T0_E_clISt17integral_constantIbLb1EESY_IbLb0EEEEDaSU_SV_EUlSU_E_NS1_11comp_targetILNS1_3genE0ELNS1_11target_archE4294967295ELNS1_3gpuE0ELNS1_3repE0EEENS1_30default_config_static_selectorELNS0_4arch9wavefront6targetE1EEEvT1_,comdat
.Lfunc_end322:
	.size	_ZN7rocprim17ROCPRIM_400000_NS6detail17trampoline_kernelINS0_14default_configENS1_33run_length_encode_config_selectorIdjNS0_4plusIjEEEEZZNS1_33reduce_by_key_impl_wrapped_configILNS1_25lookback_scan_determinismE0ES3_S7_PKdNS0_17constant_iteratorIjlEEPdPlSF_S6_NS0_8equal_toIdEEEE10hipError_tPvRmT2_T3_mT4_T5_T6_T7_T8_P12ihipStream_tbENKUlT_T0_E_clISt17integral_constantIbLb1EESY_IbLb0EEEEDaSU_SV_EUlSU_E_NS1_11comp_targetILNS1_3genE0ELNS1_11target_archE4294967295ELNS1_3gpuE0ELNS1_3repE0EEENS1_30default_config_static_selectorELNS0_4arch9wavefront6targetE1EEEvT1_, .Lfunc_end322-_ZN7rocprim17ROCPRIM_400000_NS6detail17trampoline_kernelINS0_14default_configENS1_33run_length_encode_config_selectorIdjNS0_4plusIjEEEEZZNS1_33reduce_by_key_impl_wrapped_configILNS1_25lookback_scan_determinismE0ES3_S7_PKdNS0_17constant_iteratorIjlEEPdPlSF_S6_NS0_8equal_toIdEEEE10hipError_tPvRmT2_T3_mT4_T5_T6_T7_T8_P12ihipStream_tbENKUlT_T0_E_clISt17integral_constantIbLb1EESY_IbLb0EEEEDaSU_SV_EUlSU_E_NS1_11comp_targetILNS1_3genE0ELNS1_11target_archE4294967295ELNS1_3gpuE0ELNS1_3repE0EEENS1_30default_config_static_selectorELNS0_4arch9wavefront6targetE1EEEvT1_
                                        ; -- End function
	.section	.AMDGPU.csdata,"",@progbits
; Kernel info:
; codeLenInByte = 0
; NumSgprs: 4
; NumVgprs: 0
; NumAgprs: 0
; TotalNumVgprs: 0
; ScratchSize: 0
; MemoryBound: 0
; FloatMode: 240
; IeeeMode: 1
; LDSByteSize: 0 bytes/workgroup (compile time only)
; SGPRBlocks: 0
; VGPRBlocks: 0
; NumSGPRsForWavesPerEU: 4
; NumVGPRsForWavesPerEU: 1
; AccumOffset: 4
; Occupancy: 8
; WaveLimiterHint : 0
; COMPUTE_PGM_RSRC2:SCRATCH_EN: 0
; COMPUTE_PGM_RSRC2:USER_SGPR: 6
; COMPUTE_PGM_RSRC2:TRAP_HANDLER: 0
; COMPUTE_PGM_RSRC2:TGID_X_EN: 1
; COMPUTE_PGM_RSRC2:TGID_Y_EN: 0
; COMPUTE_PGM_RSRC2:TGID_Z_EN: 0
; COMPUTE_PGM_RSRC2:TIDIG_COMP_CNT: 0
; COMPUTE_PGM_RSRC3_GFX90A:ACCUM_OFFSET: 0
; COMPUTE_PGM_RSRC3_GFX90A:TG_SPLIT: 0
	.section	.text._ZN7rocprim17ROCPRIM_400000_NS6detail17trampoline_kernelINS0_14default_configENS1_33run_length_encode_config_selectorIdjNS0_4plusIjEEEEZZNS1_33reduce_by_key_impl_wrapped_configILNS1_25lookback_scan_determinismE0ES3_S7_PKdNS0_17constant_iteratorIjlEEPdPlSF_S6_NS0_8equal_toIdEEEE10hipError_tPvRmT2_T3_mT4_T5_T6_T7_T8_P12ihipStream_tbENKUlT_T0_E_clISt17integral_constantIbLb1EESY_IbLb0EEEEDaSU_SV_EUlSU_E_NS1_11comp_targetILNS1_3genE5ELNS1_11target_archE942ELNS1_3gpuE9ELNS1_3repE0EEENS1_30default_config_static_selectorELNS0_4arch9wavefront6targetE1EEEvT1_,"axG",@progbits,_ZN7rocprim17ROCPRIM_400000_NS6detail17trampoline_kernelINS0_14default_configENS1_33run_length_encode_config_selectorIdjNS0_4plusIjEEEEZZNS1_33reduce_by_key_impl_wrapped_configILNS1_25lookback_scan_determinismE0ES3_S7_PKdNS0_17constant_iteratorIjlEEPdPlSF_S6_NS0_8equal_toIdEEEE10hipError_tPvRmT2_T3_mT4_T5_T6_T7_T8_P12ihipStream_tbENKUlT_T0_E_clISt17integral_constantIbLb1EESY_IbLb0EEEEDaSU_SV_EUlSU_E_NS1_11comp_targetILNS1_3genE5ELNS1_11target_archE942ELNS1_3gpuE9ELNS1_3repE0EEENS1_30default_config_static_selectorELNS0_4arch9wavefront6targetE1EEEvT1_,comdat
	.protected	_ZN7rocprim17ROCPRIM_400000_NS6detail17trampoline_kernelINS0_14default_configENS1_33run_length_encode_config_selectorIdjNS0_4plusIjEEEEZZNS1_33reduce_by_key_impl_wrapped_configILNS1_25lookback_scan_determinismE0ES3_S7_PKdNS0_17constant_iteratorIjlEEPdPlSF_S6_NS0_8equal_toIdEEEE10hipError_tPvRmT2_T3_mT4_T5_T6_T7_T8_P12ihipStream_tbENKUlT_T0_E_clISt17integral_constantIbLb1EESY_IbLb0EEEEDaSU_SV_EUlSU_E_NS1_11comp_targetILNS1_3genE5ELNS1_11target_archE942ELNS1_3gpuE9ELNS1_3repE0EEENS1_30default_config_static_selectorELNS0_4arch9wavefront6targetE1EEEvT1_ ; -- Begin function _ZN7rocprim17ROCPRIM_400000_NS6detail17trampoline_kernelINS0_14default_configENS1_33run_length_encode_config_selectorIdjNS0_4plusIjEEEEZZNS1_33reduce_by_key_impl_wrapped_configILNS1_25lookback_scan_determinismE0ES3_S7_PKdNS0_17constant_iteratorIjlEEPdPlSF_S6_NS0_8equal_toIdEEEE10hipError_tPvRmT2_T3_mT4_T5_T6_T7_T8_P12ihipStream_tbENKUlT_T0_E_clISt17integral_constantIbLb1EESY_IbLb0EEEEDaSU_SV_EUlSU_E_NS1_11comp_targetILNS1_3genE5ELNS1_11target_archE942ELNS1_3gpuE9ELNS1_3repE0EEENS1_30default_config_static_selectorELNS0_4arch9wavefront6targetE1EEEvT1_
	.globl	_ZN7rocprim17ROCPRIM_400000_NS6detail17trampoline_kernelINS0_14default_configENS1_33run_length_encode_config_selectorIdjNS0_4plusIjEEEEZZNS1_33reduce_by_key_impl_wrapped_configILNS1_25lookback_scan_determinismE0ES3_S7_PKdNS0_17constant_iteratorIjlEEPdPlSF_S6_NS0_8equal_toIdEEEE10hipError_tPvRmT2_T3_mT4_T5_T6_T7_T8_P12ihipStream_tbENKUlT_T0_E_clISt17integral_constantIbLb1EESY_IbLb0EEEEDaSU_SV_EUlSU_E_NS1_11comp_targetILNS1_3genE5ELNS1_11target_archE942ELNS1_3gpuE9ELNS1_3repE0EEENS1_30default_config_static_selectorELNS0_4arch9wavefront6targetE1EEEvT1_
	.p2align	8
	.type	_ZN7rocprim17ROCPRIM_400000_NS6detail17trampoline_kernelINS0_14default_configENS1_33run_length_encode_config_selectorIdjNS0_4plusIjEEEEZZNS1_33reduce_by_key_impl_wrapped_configILNS1_25lookback_scan_determinismE0ES3_S7_PKdNS0_17constant_iteratorIjlEEPdPlSF_S6_NS0_8equal_toIdEEEE10hipError_tPvRmT2_T3_mT4_T5_T6_T7_T8_P12ihipStream_tbENKUlT_T0_E_clISt17integral_constantIbLb1EESY_IbLb0EEEEDaSU_SV_EUlSU_E_NS1_11comp_targetILNS1_3genE5ELNS1_11target_archE942ELNS1_3gpuE9ELNS1_3repE0EEENS1_30default_config_static_selectorELNS0_4arch9wavefront6targetE1EEEvT1_,@function
_ZN7rocprim17ROCPRIM_400000_NS6detail17trampoline_kernelINS0_14default_configENS1_33run_length_encode_config_selectorIdjNS0_4plusIjEEEEZZNS1_33reduce_by_key_impl_wrapped_configILNS1_25lookback_scan_determinismE0ES3_S7_PKdNS0_17constant_iteratorIjlEEPdPlSF_S6_NS0_8equal_toIdEEEE10hipError_tPvRmT2_T3_mT4_T5_T6_T7_T8_P12ihipStream_tbENKUlT_T0_E_clISt17integral_constantIbLb1EESY_IbLb0EEEEDaSU_SV_EUlSU_E_NS1_11comp_targetILNS1_3genE5ELNS1_11target_archE942ELNS1_3gpuE9ELNS1_3repE0EEENS1_30default_config_static_selectorELNS0_4arch9wavefront6targetE1EEEvT1_: ; @_ZN7rocprim17ROCPRIM_400000_NS6detail17trampoline_kernelINS0_14default_configENS1_33run_length_encode_config_selectorIdjNS0_4plusIjEEEEZZNS1_33reduce_by_key_impl_wrapped_configILNS1_25lookback_scan_determinismE0ES3_S7_PKdNS0_17constant_iteratorIjlEEPdPlSF_S6_NS0_8equal_toIdEEEE10hipError_tPvRmT2_T3_mT4_T5_T6_T7_T8_P12ihipStream_tbENKUlT_T0_E_clISt17integral_constantIbLb1EESY_IbLb0EEEEDaSU_SV_EUlSU_E_NS1_11comp_targetILNS1_3genE5ELNS1_11target_archE942ELNS1_3gpuE9ELNS1_3repE0EEENS1_30default_config_static_selectorELNS0_4arch9wavefront6targetE1EEEvT1_
; %bb.0:
	.section	.rodata,"a",@progbits
	.p2align	6, 0x0
	.amdhsa_kernel _ZN7rocprim17ROCPRIM_400000_NS6detail17trampoline_kernelINS0_14default_configENS1_33run_length_encode_config_selectorIdjNS0_4plusIjEEEEZZNS1_33reduce_by_key_impl_wrapped_configILNS1_25lookback_scan_determinismE0ES3_S7_PKdNS0_17constant_iteratorIjlEEPdPlSF_S6_NS0_8equal_toIdEEEE10hipError_tPvRmT2_T3_mT4_T5_T6_T7_T8_P12ihipStream_tbENKUlT_T0_E_clISt17integral_constantIbLb1EESY_IbLb0EEEEDaSU_SV_EUlSU_E_NS1_11comp_targetILNS1_3genE5ELNS1_11target_archE942ELNS1_3gpuE9ELNS1_3repE0EEENS1_30default_config_static_selectorELNS0_4arch9wavefront6targetE1EEEvT1_
		.amdhsa_group_segment_fixed_size 0
		.amdhsa_private_segment_fixed_size 0
		.amdhsa_kernarg_size 128
		.amdhsa_user_sgpr_count 6
		.amdhsa_user_sgpr_private_segment_buffer 1
		.amdhsa_user_sgpr_dispatch_ptr 0
		.amdhsa_user_sgpr_queue_ptr 0
		.amdhsa_user_sgpr_kernarg_segment_ptr 1
		.amdhsa_user_sgpr_dispatch_id 0
		.amdhsa_user_sgpr_flat_scratch_init 0
		.amdhsa_user_sgpr_kernarg_preload_length 0
		.amdhsa_user_sgpr_kernarg_preload_offset 0
		.amdhsa_user_sgpr_private_segment_size 0
		.amdhsa_uses_dynamic_stack 0
		.amdhsa_system_sgpr_private_segment_wavefront_offset 0
		.amdhsa_system_sgpr_workgroup_id_x 1
		.amdhsa_system_sgpr_workgroup_id_y 0
		.amdhsa_system_sgpr_workgroup_id_z 0
		.amdhsa_system_sgpr_workgroup_info 0
		.amdhsa_system_vgpr_workitem_id 0
		.amdhsa_next_free_vgpr 1
		.amdhsa_next_free_sgpr 0
		.amdhsa_accum_offset 4
		.amdhsa_reserve_vcc 0
		.amdhsa_reserve_flat_scratch 0
		.amdhsa_float_round_mode_32 0
		.amdhsa_float_round_mode_16_64 0
		.amdhsa_float_denorm_mode_32 3
		.amdhsa_float_denorm_mode_16_64 3
		.amdhsa_dx10_clamp 1
		.amdhsa_ieee_mode 1
		.amdhsa_fp16_overflow 0
		.amdhsa_tg_split 0
		.amdhsa_exception_fp_ieee_invalid_op 0
		.amdhsa_exception_fp_denorm_src 0
		.amdhsa_exception_fp_ieee_div_zero 0
		.amdhsa_exception_fp_ieee_overflow 0
		.amdhsa_exception_fp_ieee_underflow 0
		.amdhsa_exception_fp_ieee_inexact 0
		.amdhsa_exception_int_div_zero 0
	.end_amdhsa_kernel
	.section	.text._ZN7rocprim17ROCPRIM_400000_NS6detail17trampoline_kernelINS0_14default_configENS1_33run_length_encode_config_selectorIdjNS0_4plusIjEEEEZZNS1_33reduce_by_key_impl_wrapped_configILNS1_25lookback_scan_determinismE0ES3_S7_PKdNS0_17constant_iteratorIjlEEPdPlSF_S6_NS0_8equal_toIdEEEE10hipError_tPvRmT2_T3_mT4_T5_T6_T7_T8_P12ihipStream_tbENKUlT_T0_E_clISt17integral_constantIbLb1EESY_IbLb0EEEEDaSU_SV_EUlSU_E_NS1_11comp_targetILNS1_3genE5ELNS1_11target_archE942ELNS1_3gpuE9ELNS1_3repE0EEENS1_30default_config_static_selectorELNS0_4arch9wavefront6targetE1EEEvT1_,"axG",@progbits,_ZN7rocprim17ROCPRIM_400000_NS6detail17trampoline_kernelINS0_14default_configENS1_33run_length_encode_config_selectorIdjNS0_4plusIjEEEEZZNS1_33reduce_by_key_impl_wrapped_configILNS1_25lookback_scan_determinismE0ES3_S7_PKdNS0_17constant_iteratorIjlEEPdPlSF_S6_NS0_8equal_toIdEEEE10hipError_tPvRmT2_T3_mT4_T5_T6_T7_T8_P12ihipStream_tbENKUlT_T0_E_clISt17integral_constantIbLb1EESY_IbLb0EEEEDaSU_SV_EUlSU_E_NS1_11comp_targetILNS1_3genE5ELNS1_11target_archE942ELNS1_3gpuE9ELNS1_3repE0EEENS1_30default_config_static_selectorELNS0_4arch9wavefront6targetE1EEEvT1_,comdat
.Lfunc_end323:
	.size	_ZN7rocprim17ROCPRIM_400000_NS6detail17trampoline_kernelINS0_14default_configENS1_33run_length_encode_config_selectorIdjNS0_4plusIjEEEEZZNS1_33reduce_by_key_impl_wrapped_configILNS1_25lookback_scan_determinismE0ES3_S7_PKdNS0_17constant_iteratorIjlEEPdPlSF_S6_NS0_8equal_toIdEEEE10hipError_tPvRmT2_T3_mT4_T5_T6_T7_T8_P12ihipStream_tbENKUlT_T0_E_clISt17integral_constantIbLb1EESY_IbLb0EEEEDaSU_SV_EUlSU_E_NS1_11comp_targetILNS1_3genE5ELNS1_11target_archE942ELNS1_3gpuE9ELNS1_3repE0EEENS1_30default_config_static_selectorELNS0_4arch9wavefront6targetE1EEEvT1_, .Lfunc_end323-_ZN7rocprim17ROCPRIM_400000_NS6detail17trampoline_kernelINS0_14default_configENS1_33run_length_encode_config_selectorIdjNS0_4plusIjEEEEZZNS1_33reduce_by_key_impl_wrapped_configILNS1_25lookback_scan_determinismE0ES3_S7_PKdNS0_17constant_iteratorIjlEEPdPlSF_S6_NS0_8equal_toIdEEEE10hipError_tPvRmT2_T3_mT4_T5_T6_T7_T8_P12ihipStream_tbENKUlT_T0_E_clISt17integral_constantIbLb1EESY_IbLb0EEEEDaSU_SV_EUlSU_E_NS1_11comp_targetILNS1_3genE5ELNS1_11target_archE942ELNS1_3gpuE9ELNS1_3repE0EEENS1_30default_config_static_selectorELNS0_4arch9wavefront6targetE1EEEvT1_
                                        ; -- End function
	.section	.AMDGPU.csdata,"",@progbits
; Kernel info:
; codeLenInByte = 0
; NumSgprs: 4
; NumVgprs: 0
; NumAgprs: 0
; TotalNumVgprs: 0
; ScratchSize: 0
; MemoryBound: 0
; FloatMode: 240
; IeeeMode: 1
; LDSByteSize: 0 bytes/workgroup (compile time only)
; SGPRBlocks: 0
; VGPRBlocks: 0
; NumSGPRsForWavesPerEU: 4
; NumVGPRsForWavesPerEU: 1
; AccumOffset: 4
; Occupancy: 8
; WaveLimiterHint : 0
; COMPUTE_PGM_RSRC2:SCRATCH_EN: 0
; COMPUTE_PGM_RSRC2:USER_SGPR: 6
; COMPUTE_PGM_RSRC2:TRAP_HANDLER: 0
; COMPUTE_PGM_RSRC2:TGID_X_EN: 1
; COMPUTE_PGM_RSRC2:TGID_Y_EN: 0
; COMPUTE_PGM_RSRC2:TGID_Z_EN: 0
; COMPUTE_PGM_RSRC2:TIDIG_COMP_CNT: 0
; COMPUTE_PGM_RSRC3_GFX90A:ACCUM_OFFSET: 0
; COMPUTE_PGM_RSRC3_GFX90A:TG_SPLIT: 0
	.section	.text._ZN7rocprim17ROCPRIM_400000_NS6detail17trampoline_kernelINS0_14default_configENS1_33run_length_encode_config_selectorIdjNS0_4plusIjEEEEZZNS1_33reduce_by_key_impl_wrapped_configILNS1_25lookback_scan_determinismE0ES3_S7_PKdNS0_17constant_iteratorIjlEEPdPlSF_S6_NS0_8equal_toIdEEEE10hipError_tPvRmT2_T3_mT4_T5_T6_T7_T8_P12ihipStream_tbENKUlT_T0_E_clISt17integral_constantIbLb1EESY_IbLb0EEEEDaSU_SV_EUlSU_E_NS1_11comp_targetILNS1_3genE4ELNS1_11target_archE910ELNS1_3gpuE8ELNS1_3repE0EEENS1_30default_config_static_selectorELNS0_4arch9wavefront6targetE1EEEvT1_,"axG",@progbits,_ZN7rocprim17ROCPRIM_400000_NS6detail17trampoline_kernelINS0_14default_configENS1_33run_length_encode_config_selectorIdjNS0_4plusIjEEEEZZNS1_33reduce_by_key_impl_wrapped_configILNS1_25lookback_scan_determinismE0ES3_S7_PKdNS0_17constant_iteratorIjlEEPdPlSF_S6_NS0_8equal_toIdEEEE10hipError_tPvRmT2_T3_mT4_T5_T6_T7_T8_P12ihipStream_tbENKUlT_T0_E_clISt17integral_constantIbLb1EESY_IbLb0EEEEDaSU_SV_EUlSU_E_NS1_11comp_targetILNS1_3genE4ELNS1_11target_archE910ELNS1_3gpuE8ELNS1_3repE0EEENS1_30default_config_static_selectorELNS0_4arch9wavefront6targetE1EEEvT1_,comdat
	.protected	_ZN7rocprim17ROCPRIM_400000_NS6detail17trampoline_kernelINS0_14default_configENS1_33run_length_encode_config_selectorIdjNS0_4plusIjEEEEZZNS1_33reduce_by_key_impl_wrapped_configILNS1_25lookback_scan_determinismE0ES3_S7_PKdNS0_17constant_iteratorIjlEEPdPlSF_S6_NS0_8equal_toIdEEEE10hipError_tPvRmT2_T3_mT4_T5_T6_T7_T8_P12ihipStream_tbENKUlT_T0_E_clISt17integral_constantIbLb1EESY_IbLb0EEEEDaSU_SV_EUlSU_E_NS1_11comp_targetILNS1_3genE4ELNS1_11target_archE910ELNS1_3gpuE8ELNS1_3repE0EEENS1_30default_config_static_selectorELNS0_4arch9wavefront6targetE1EEEvT1_ ; -- Begin function _ZN7rocprim17ROCPRIM_400000_NS6detail17trampoline_kernelINS0_14default_configENS1_33run_length_encode_config_selectorIdjNS0_4plusIjEEEEZZNS1_33reduce_by_key_impl_wrapped_configILNS1_25lookback_scan_determinismE0ES3_S7_PKdNS0_17constant_iteratorIjlEEPdPlSF_S6_NS0_8equal_toIdEEEE10hipError_tPvRmT2_T3_mT4_T5_T6_T7_T8_P12ihipStream_tbENKUlT_T0_E_clISt17integral_constantIbLb1EESY_IbLb0EEEEDaSU_SV_EUlSU_E_NS1_11comp_targetILNS1_3genE4ELNS1_11target_archE910ELNS1_3gpuE8ELNS1_3repE0EEENS1_30default_config_static_selectorELNS0_4arch9wavefront6targetE1EEEvT1_
	.globl	_ZN7rocprim17ROCPRIM_400000_NS6detail17trampoline_kernelINS0_14default_configENS1_33run_length_encode_config_selectorIdjNS0_4plusIjEEEEZZNS1_33reduce_by_key_impl_wrapped_configILNS1_25lookback_scan_determinismE0ES3_S7_PKdNS0_17constant_iteratorIjlEEPdPlSF_S6_NS0_8equal_toIdEEEE10hipError_tPvRmT2_T3_mT4_T5_T6_T7_T8_P12ihipStream_tbENKUlT_T0_E_clISt17integral_constantIbLb1EESY_IbLb0EEEEDaSU_SV_EUlSU_E_NS1_11comp_targetILNS1_3genE4ELNS1_11target_archE910ELNS1_3gpuE8ELNS1_3repE0EEENS1_30default_config_static_selectorELNS0_4arch9wavefront6targetE1EEEvT1_
	.p2align	8
	.type	_ZN7rocprim17ROCPRIM_400000_NS6detail17trampoline_kernelINS0_14default_configENS1_33run_length_encode_config_selectorIdjNS0_4plusIjEEEEZZNS1_33reduce_by_key_impl_wrapped_configILNS1_25lookback_scan_determinismE0ES3_S7_PKdNS0_17constant_iteratorIjlEEPdPlSF_S6_NS0_8equal_toIdEEEE10hipError_tPvRmT2_T3_mT4_T5_T6_T7_T8_P12ihipStream_tbENKUlT_T0_E_clISt17integral_constantIbLb1EESY_IbLb0EEEEDaSU_SV_EUlSU_E_NS1_11comp_targetILNS1_3genE4ELNS1_11target_archE910ELNS1_3gpuE8ELNS1_3repE0EEENS1_30default_config_static_selectorELNS0_4arch9wavefront6targetE1EEEvT1_,@function
_ZN7rocprim17ROCPRIM_400000_NS6detail17trampoline_kernelINS0_14default_configENS1_33run_length_encode_config_selectorIdjNS0_4plusIjEEEEZZNS1_33reduce_by_key_impl_wrapped_configILNS1_25lookback_scan_determinismE0ES3_S7_PKdNS0_17constant_iteratorIjlEEPdPlSF_S6_NS0_8equal_toIdEEEE10hipError_tPvRmT2_T3_mT4_T5_T6_T7_T8_P12ihipStream_tbENKUlT_T0_E_clISt17integral_constantIbLb1EESY_IbLb0EEEEDaSU_SV_EUlSU_E_NS1_11comp_targetILNS1_3genE4ELNS1_11target_archE910ELNS1_3gpuE8ELNS1_3repE0EEENS1_30default_config_static_selectorELNS0_4arch9wavefront6targetE1EEEvT1_: ; @_ZN7rocprim17ROCPRIM_400000_NS6detail17trampoline_kernelINS0_14default_configENS1_33run_length_encode_config_selectorIdjNS0_4plusIjEEEEZZNS1_33reduce_by_key_impl_wrapped_configILNS1_25lookback_scan_determinismE0ES3_S7_PKdNS0_17constant_iteratorIjlEEPdPlSF_S6_NS0_8equal_toIdEEEE10hipError_tPvRmT2_T3_mT4_T5_T6_T7_T8_P12ihipStream_tbENKUlT_T0_E_clISt17integral_constantIbLb1EESY_IbLb0EEEEDaSU_SV_EUlSU_E_NS1_11comp_targetILNS1_3genE4ELNS1_11target_archE910ELNS1_3gpuE8ELNS1_3repE0EEENS1_30default_config_static_selectorELNS0_4arch9wavefront6targetE1EEEvT1_
; %bb.0:
	s_load_dwordx8 s[24:31], s[4:5], 0x40
	s_load_dwordx4 s[0:3], s[4:5], 0x0
	s_load_dword s7, s[4:5], 0x10
	s_load_dwordx4 s[36:39], s[4:5], 0x60
	s_waitcnt lgkmcnt(0)
	s_mul_i32 s8, s28, s27
	s_mul_hi_u32 s9, s28, s26
	s_add_i32 s8, s9, s8
	s_mul_i32 s9, s29, s26
	s_add_i32 s8, s8, s9
	s_lshl_b64 s[2:3], s[2:3], 3
	s_add_u32 s2, s0, s2
	s_addc_u32 s3, s1, s3
	s_mul_i32 s0, s6, 0xa00
	s_mov_b32 s1, 0
	s_lshl_b64 s[0:1], s[0:1], 3
	s_mul_i32 s9, s28, s26
	s_add_u32 s28, s2, s0
	s_addc_u32 s29, s3, s1
	s_add_u32 s42, s9, s6
	s_addc_u32 s43, s8, 0
	s_add_u32 s2, s30, -1
	s_addc_u32 s3, s31, -1
	s_cmp_eq_u64 s[42:43], s[2:3]
	s_cselect_b64 s[22:23], -1, 0
	s_cmp_lg_u64 s[42:43], s[2:3]
	s_mov_b64 s[8:9], -1
	s_cselect_b64 s[0:1], -1, 0
	s_mul_i32 s33, s2, 0xfffff600
	s_and_b64 vcc, exec, s[22:23]
	s_cbranch_vccnz .LBB324_2
; %bb.1:
	v_lshlrev_b32_e32 v1, 3, v0
	v_mov_b32_e32 v2, s29
	v_add_co_u32_e32 v22, vcc, s28, v1
	v_addc_co_u32_e32 v23, vcc, 0, v2, vcc
	v_add_co_u32_e32 v2, vcc, 0x1000, v22
	v_addc_co_u32_e32 v3, vcc, 0, v23, vcc
	global_load_dwordx2 v[4:5], v1, s[28:29]
	global_load_dwordx2 v[6:7], v1, s[28:29] offset:2048
	global_load_dwordx2 v[8:9], v[2:3], off
	global_load_dwordx2 v[10:11], v[2:3], off offset:2048
	v_add_co_u32_e32 v2, vcc, 0x2000, v22
	v_addc_co_u32_e32 v3, vcc, 0, v23, vcc
	v_add_co_u32_e32 v12, vcc, 0x3000, v22
	v_addc_co_u32_e32 v13, vcc, 0, v23, vcc
	global_load_dwordx2 v[14:15], v[2:3], off
	global_load_dwordx2 v[16:17], v[2:3], off offset:2048
	global_load_dwordx2 v[18:19], v[12:13], off
	global_load_dwordx2 v[20:21], v[12:13], off offset:2048
	v_add_co_u32_e32 v2, vcc, 0x4000, v22
	v_addc_co_u32_e32 v3, vcc, 0, v23, vcc
	global_load_dwordx2 v[12:13], v[2:3], off
	global_load_dwordx2 v[22:23], v[2:3], off offset:2048
	s_movk_i32 s2, 0x48
	v_mad_u32_u24 v24, v0, s2, v1
	s_mov_b64 s[2:3], -1
	s_waitcnt vmcnt(8)
	ds_write2st64_b64 v1, v[4:5], v[6:7] offset1:4
	s_waitcnt vmcnt(6)
	ds_write2st64_b64 v1, v[8:9], v[10:11] offset0:8 offset1:12
	s_waitcnt vmcnt(4)
	ds_write2st64_b64 v1, v[14:15], v[16:17] offset0:16 offset1:20
	;; [unrolled: 2-line block ×4, first 2 shown]
	s_waitcnt lgkmcnt(0)
	s_barrier
	ds_read_b128 v[18:21], v24
	ds_read_b128 v[14:17], v24 offset:16
	ds_read_b128 v[10:13], v24 offset:32
	;; [unrolled: 1-line block ×4, first 2 shown]
	s_waitcnt lgkmcnt(4)
	v_mov_b32_e32 v26, v18
	v_mov_b32_e32 v27, v19
	s_waitcnt lgkmcnt(3)
	v_mov_b32_e32 v28, v14
	v_mov_b32_e32 v29, v15
	;; [unrolled: 3-line block ×4, first 2 shown]
	s_add_i32 s33, s33, s36
	s_cbranch_execz .LBB324_3
	s_branch .LBB324_24
.LBB324_2:
	s_mov_b64 s[2:3], 0
                                        ; implicit-def: $vgpr2_vgpr3
                                        ; implicit-def: $vgpr10_vgpr11
                                        ; implicit-def: $vgpr14_vgpr15
                                        ; implicit-def: $vgpr18_vgpr19
                                        ; implicit-def: $vgpr6_vgpr7
                                        ; implicit-def: $vgpr22_vgpr23_vgpr24_vgpr25
                                        ; implicit-def: $vgpr26_vgpr27_vgpr28_vgpr29
	s_add_i32 s33, s33, s36
	s_andn2_b64 vcc, exec, s[8:9]
	s_cbranch_vccnz .LBB324_24
.LBB324_3:
	v_cmp_gt_u32_e32 vcc, s33, v0
                                        ; implicit-def: $vgpr2_vgpr3
	s_and_saveexec_b64 s[2:3], vcc
	s_cbranch_execz .LBB324_5
; %bb.4:
	v_lshlrev_b32_e32 v1, 3, v0
	global_load_dwordx2 v[2:3], v1, s[28:29]
.LBB324_5:
	s_or_b64 exec, exec, s[2:3]
	v_or_b32_e32 v1, 0x100, v0
	v_cmp_gt_u32_e32 vcc, s33, v1
                                        ; implicit-def: $vgpr4_vgpr5
	s_and_saveexec_b64 s[2:3], vcc
	s_cbranch_execz .LBB324_7
; %bb.6:
	v_lshlrev_b32_e32 v1, 3, v0
	global_load_dwordx2 v[4:5], v1, s[28:29] offset:2048
.LBB324_7:
	s_or_b64 exec, exec, s[2:3]
	v_or_b32_e32 v1, 0x200, v0
	v_cmp_gt_u32_e32 vcc, s33, v1
                                        ; implicit-def: $vgpr6_vgpr7
	s_and_saveexec_b64 s[2:3], vcc
	s_cbranch_execz .LBB324_9
; %bb.8:
	v_lshlrev_b32_e32 v1, 3, v1
	s_waitcnt lgkmcnt(0)
	global_load_dwordx2 v[6:7], v1, s[28:29]
.LBB324_9:
	s_or_b64 exec, exec, s[2:3]
	v_or_b32_e32 v1, 0x300, v0
	v_cmp_gt_u32_e32 vcc, s33, v1
                                        ; implicit-def: $vgpr8_vgpr9
	s_and_saveexec_b64 s[2:3], vcc
	s_cbranch_execz .LBB324_11
; %bb.10:
	v_lshlrev_b32_e32 v1, 3, v1
	s_waitcnt lgkmcnt(0)
	global_load_dwordx2 v[8:9], v1, s[28:29]
.LBB324_11:
	s_or_b64 exec, exec, s[2:3]
	v_or_b32_e32 v1, 0x400, v0
	v_cmp_gt_u32_e32 vcc, s33, v1
                                        ; implicit-def: $vgpr10_vgpr11
	s_and_saveexec_b64 s[2:3], vcc
	s_cbranch_execz .LBB324_13
; %bb.12:
	v_lshlrev_b32_e32 v1, 3, v1
	global_load_dwordx2 v[10:11], v1, s[28:29]
.LBB324_13:
	s_or_b64 exec, exec, s[2:3]
	v_or_b32_e32 v1, 0x500, v0
	v_cmp_gt_u32_e32 vcc, s33, v1
                                        ; implicit-def: $vgpr12_vgpr13
	s_and_saveexec_b64 s[2:3], vcc
	s_cbranch_execz .LBB324_15
; %bb.14:
	v_lshlrev_b32_e32 v1, 3, v1
	global_load_dwordx2 v[12:13], v1, s[28:29]
.LBB324_15:
	s_or_b64 exec, exec, s[2:3]
	v_or_b32_e32 v1, 0x600, v0
	v_cmp_gt_u32_e32 vcc, s33, v1
                                        ; implicit-def: $vgpr14_vgpr15
	s_and_saveexec_b64 s[2:3], vcc
	s_cbranch_execz .LBB324_17
; %bb.16:
	v_lshlrev_b32_e32 v1, 3, v1
	global_load_dwordx2 v[14:15], v1, s[28:29]
.LBB324_17:
	s_or_b64 exec, exec, s[2:3]
	v_or_b32_e32 v1, 0x700, v0
	v_cmp_gt_u32_e32 vcc, s33, v1
                                        ; implicit-def: $vgpr16_vgpr17
	s_and_saveexec_b64 s[2:3], vcc
	s_cbranch_execz .LBB324_19
; %bb.18:
	v_lshlrev_b32_e32 v1, 3, v1
	global_load_dwordx2 v[16:17], v1, s[28:29]
.LBB324_19:
	s_or_b64 exec, exec, s[2:3]
	v_or_b32_e32 v1, 0x800, v0
	v_cmp_gt_u32_e32 vcc, s33, v1
                                        ; implicit-def: $vgpr18_vgpr19
	s_and_saveexec_b64 s[2:3], vcc
	s_cbranch_execz .LBB324_21
; %bb.20:
	v_lshlrev_b32_e32 v1, 3, v1
	global_load_dwordx2 v[18:19], v1, s[28:29]
.LBB324_21:
	s_or_b64 exec, exec, s[2:3]
	v_or_b32_e32 v1, 0x900, v0
	v_cmp_gt_u32_e32 vcc, s33, v1
                                        ; implicit-def: $vgpr20_vgpr21
	s_and_saveexec_b64 s[2:3], vcc
	s_cbranch_execz .LBB324_23
; %bb.22:
	v_lshlrev_b32_e32 v1, 3, v1
	global_load_dwordx2 v[20:21], v1, s[28:29]
.LBB324_23:
	s_or_b64 exec, exec, s[2:3]
	v_lshlrev_b32_e32 v1, 3, v0
	s_movk_i32 s2, 0x48
	s_waitcnt vmcnt(0)
	ds_write2st64_b64 v1, v[2:3], v[4:5] offset1:4
	s_waitcnt lgkmcnt(1)
	ds_write2st64_b64 v1, v[6:7], v[8:9] offset0:8 offset1:12
	ds_write2st64_b64 v1, v[10:11], v[12:13] offset0:16 offset1:20
	;; [unrolled: 1-line block ×4, first 2 shown]
	v_mad_u32_u24 v1, v0, s2, v1
	s_waitcnt lgkmcnt(0)
	s_barrier
	ds_read_b128 v[18:21], v1
	ds_read_b128 v[14:17], v1 offset:16
	ds_read_b128 v[10:13], v1 offset:32
	ds_read_b128 v[2:5], v1 offset:48
	ds_read_b128 v[6:9], v1 offset:64
	v_mad_u32_u24 v1, v0, 10, 9
	v_cmp_gt_u32_e64 s[2:3], s33, v1
	s_waitcnt lgkmcnt(4)
	v_mov_b32_e32 v26, v18
	v_mov_b32_e32 v27, v19
	s_waitcnt lgkmcnt(3)
	v_mov_b32_e32 v28, v14
	v_mov_b32_e32 v29, v15
	;; [unrolled: 3-line block ×4, first 2 shown]
.LBB324_24:
	v_mov_b32_e32 v48, s7
                                        ; implicit-def: $vgpr49
	s_and_saveexec_b64 s[8:9], s[2:3]
; %bb.25:
	v_mov_b32_e32 v49, s7
; %bb.26:
	s_or_b64 exec, exec, s[8:9]
	s_load_dwordx2 s[40:41], s[4:5], 0x70
	s_cmp_eq_u64 s[42:43], 0
	s_cselect_b64 s[34:35], -1, 0
	s_cmp_lg_u64 s[42:43], 0
	s_mov_b64 s[2:3], 0
	s_cselect_b64 s[30:31], -1, 0
	s_and_b64 vcc, exec, s[0:1]
	s_waitcnt lgkmcnt(0)
	s_barrier
	s_cbranch_vccz .LBB324_32
; %bb.27:
	s_and_b64 vcc, exec, s[30:31]
	s_cbranch_vccz .LBB324_33
; %bb.28:
	s_add_u32 s0, s28, -8
	s_addc_u32 s1, s29, -1
	s_load_dwordx2 s[44:45], s[0:1], 0x0
	v_lshlrev_b32_e32 v1, 3, v0
	v_cmp_neq_f64_e32 vcc, v[6:7], v[8:9]
	v_cmp_neq_f64_e64 s[0:1], v[4:5], v[6:7]
	v_cmp_neq_f64_e64 s[2:3], v[2:3], v[4:5]
	v_cmp_neq_f64_e64 s[18:19], v[12:13], v[2:3]
	v_cmp_neq_f64_e64 s[8:9], v[10:11], v[12:13]
	v_cmp_neq_f64_e64 s[10:11], v[16:17], v[10:11]
	v_cmp_neq_f64_e64 s[12:13], v[14:15], v[16:17]
	v_cmp_neq_f64_e64 s[14:15], v[20:21], v[14:15]
	v_cmp_neq_f64_e64 s[16:17], v[18:19], v[20:21]
	v_cmp_ne_u32_e64 s[20:21], 0, v0
	s_waitcnt lgkmcnt(0)
	v_pk_mov_b32 v[30:31], s[44:45], s[44:45] op_sel:[0,1]
	ds_write_b64 v1, v[8:9]
	s_waitcnt lgkmcnt(0)
	s_barrier
	s_and_saveexec_b64 s[44:45], s[20:21]
	s_cbranch_execz .LBB324_30
; %bb.29:
	v_add_u32_e32 v1, -8, v1
	ds_read_b64 v[30:31], v1
.LBB324_30:
	s_or_b64 exec, exec, s[44:45]
	v_cndmask_b32_e64 v1, 0, 1, vcc
	v_cndmask_b32_e64 v54, 0, 1, s[0:1]
	v_cndmask_b32_e64 v55, 0, 1, s[2:3]
	;; [unrolled: 1-line block ×8, first 2 shown]
	s_waitcnt lgkmcnt(0)
	v_cmp_neq_f64_e64 s[0:1], v[30:31], v[18:19]
	s_mov_b64 s[2:3], -1
.LBB324_31:
                                        ; implicit-def: $sgpr7
	s_branch .LBB324_45
.LBB324_32:
                                        ; implicit-def: $sgpr0_sgpr1
                                        ; implicit-def: $vgpr1
                                        ; implicit-def: $vgpr54
                                        ; implicit-def: $vgpr55
                                        ; implicit-def: $vgpr56
                                        ; implicit-def: $vgpr57
                                        ; implicit-def: $vgpr58
                                        ; implicit-def: $vgpr59
                                        ; implicit-def: $vgpr60
                                        ; implicit-def: $vgpr61
                                        ; implicit-def: $sgpr7
	s_cbranch_execnz .LBB324_37
	s_branch .LBB324_45
.LBB324_33:
                                        ; implicit-def: $sgpr0_sgpr1
                                        ; implicit-def: $vgpr1
                                        ; implicit-def: $vgpr54
                                        ; implicit-def: $vgpr55
                                        ; implicit-def: $vgpr56
                                        ; implicit-def: $vgpr57
                                        ; implicit-def: $vgpr58
                                        ; implicit-def: $vgpr59
                                        ; implicit-def: $vgpr60
                                        ; implicit-def: $vgpr61
	s_cbranch_execz .LBB324_31
; %bb.34:
	v_cmp_neq_f64_e32 vcc, v[6:7], v[8:9]
	v_cndmask_b32_e64 v1, 0, 1, vcc
	v_cmp_neq_f64_e32 vcc, v[20:21], v[26:27]
	v_cndmask_b32_e64 v61, 0, 1, vcc
	;; [unrolled: 2-line block ×8, first 2 shown]
	v_cmp_neq_f64_e32 vcc, v[6:7], v[4:5]
	v_lshlrev_b32_e32 v30, 3, v0
	v_cndmask_b32_e64 v54, 0, 1, vcc
	v_cmp_ne_u32_e32 vcc, 0, v0
	ds_write_b64 v30, v[8:9]
	s_waitcnt lgkmcnt(0)
	s_barrier
	s_waitcnt lgkmcnt(0)
                                        ; implicit-def: $sgpr0_sgpr1
	s_and_saveexec_b64 s[8:9], vcc
	s_xor_b64 s[8:9], exec, s[8:9]
	s_cbranch_execz .LBB324_36
; %bb.35:
	v_add_u32_e32 v22, -8, v30
	ds_read_b64 v[22:23], v22
	s_or_b64 s[2:3], s[2:3], exec
	s_waitcnt lgkmcnt(0)
	v_cmp_neq_f64_e32 vcc, v[22:23], v[18:19]
	s_and_b64 s[0:1], vcc, exec
.LBB324_36:
	s_or_b64 exec, exec, s[8:9]
	s_mov_b32 s7, 1
	s_branch .LBB324_45
.LBB324_37:
	s_mul_hi_u32 s1, s42, 0xfffff600
	s_mul_i32 s0, s43, 0xfffff600
	s_sub_i32 s1, s1, s42
	s_add_i32 s1, s1, s0
	s_mul_i32 s0, s42, 0xfffff600
	s_add_u32 s8, s0, s36
	s_addc_u32 s9, s1, s37
	s_and_b64 vcc, exec, s[30:31]
	s_cbranch_vccz .LBB324_42
; %bb.38:
	s_add_u32 s0, s28, -8
	s_addc_u32 s1, s29, -1
	v_mad_u32_u24 v24, v0, 10, 9
	v_mov_b32_e32 v25, 0
	s_load_dwordx2 s[30:31], s[0:1], 0x0
	v_cmp_gt_u64_e32 vcc, s[8:9], v[24:25]
	v_cmp_neq_f64_e64 s[0:1], v[6:7], v[8:9]
	v_mad_u32_u24 v24, v0, 10, 8
	s_and_b64 s[2:3], vcc, s[0:1]
	v_cmp_gt_u64_e32 vcc, s[8:9], v[24:25]
	v_cmp_neq_f64_e64 s[0:1], v[4:5], v[6:7]
	v_mad_u32_u24 v24, v0, 10, 7
	s_and_b64 s[10:11], vcc, s[0:1]
	;; [unrolled: 4-line block ×5, first 2 shown]
	v_cmp_gt_u64_e32 vcc, s[8:9], v[24:25]
	v_cmp_neq_f64_e64 s[0:1], v[16:17], v[10:11]
	v_mad_u32_u24 v24, v0, 10, 3
	v_mul_u32_u24_e32 v22, 10, v0
	s_and_b64 s[18:19], vcc, s[0:1]
	v_cmp_gt_u64_e32 vcc, s[8:9], v[24:25]
	v_cmp_neq_f64_e64 s[0:1], v[14:15], v[16:17]
	v_mad_u32_u24 v24, v0, 10, 2
	s_and_b64 s[20:21], vcc, s[0:1]
	v_cmp_gt_u64_e32 vcc, s[8:9], v[24:25]
	v_cmp_neq_f64_e64 s[0:1], v[20:21], v[14:15]
	v_or_b32_e32 v24, 1, v22
	s_and_b64 s[28:29], vcc, s[0:1]
	v_cmp_gt_u64_e32 vcc, s[8:9], v[24:25]
	v_cmp_neq_f64_e64 s[0:1], v[18:19], v[20:21]
	v_lshlrev_b32_e32 v1, 3, v0
	s_and_b64 s[0:1], vcc, s[0:1]
	v_cmp_ne_u32_e32 vcc, 0, v0
	s_waitcnt lgkmcnt(0)
	v_pk_mov_b32 v[26:27], s[30:31], s[30:31] op_sel:[0,1]
	ds_write_b64 v1, v[8:9]
	s_waitcnt lgkmcnt(0)
	s_barrier
	s_and_saveexec_b64 s[30:31], vcc
	s_cbranch_execz .LBB324_40
; %bb.39:
	v_add_u32_e32 v1, -8, v1
	ds_read_b64 v[26:27], v1
.LBB324_40:
	s_or_b64 exec, exec, s[30:31]
	v_mov_b32_e32 v23, v25
	v_cndmask_b32_e64 v61, 0, 1, s[0:1]
	v_cmp_gt_u64_e32 vcc, s[8:9], v[22:23]
	s_waitcnt lgkmcnt(0)
	v_cmp_neq_f64_e64 s[0:1], v[26:27], v[18:19]
	v_cndmask_b32_e64 v1, 0, 1, s[2:3]
	v_cndmask_b32_e64 v54, 0, 1, s[10:11]
	;; [unrolled: 1-line block ×8, first 2 shown]
	s_and_b64 s[0:1], vcc, s[0:1]
	s_mov_b64 s[2:3], -1
.LBB324_41:
                                        ; implicit-def: $sgpr7
	v_mov_b32_e32 v62, s7
	s_and_saveexec_b64 s[8:9], s[2:3]
	s_cbranch_execnz .LBB324_46
	s_branch .LBB324_47
.LBB324_42:
                                        ; implicit-def: $sgpr0_sgpr1
                                        ; implicit-def: $vgpr1
                                        ; implicit-def: $vgpr54
                                        ; implicit-def: $vgpr55
                                        ; implicit-def: $vgpr56
                                        ; implicit-def: $vgpr57
                                        ; implicit-def: $vgpr58
                                        ; implicit-def: $vgpr59
                                        ; implicit-def: $vgpr60
                                        ; implicit-def: $vgpr61
	s_cbranch_execz .LBB324_41
; %bb.43:
	v_mad_u32_u24 v24, v0, 10, 9
	v_mov_b32_e32 v25, 0
	v_cmp_gt_u64_e32 vcc, s[8:9], v[24:25]
	v_cmp_neq_f64_e64 s[0:1], v[6:7], v[8:9]
	s_and_b64 s[0:1], vcc, s[0:1]
	v_mad_u32_u24 v24, v0, 10, 8
	v_cndmask_b32_e64 v1, 0, 1, s[0:1]
	v_cmp_gt_u64_e32 vcc, s[8:9], v[24:25]
	v_cmp_neq_f64_e64 s[0:1], v[4:5], v[6:7]
	s_and_b64 s[0:1], vcc, s[0:1]
	v_mad_u32_u24 v24, v0, 10, 7
	v_cndmask_b32_e64 v54, 0, 1, s[0:1]
	;; [unrolled: 5-line block ×6, first 2 shown]
	v_cmp_gt_u64_e32 vcc, s[8:9], v[24:25]
	v_cmp_neq_f64_e64 s[0:1], v[14:15], v[16:17]
	s_and_b64 s[0:1], vcc, s[0:1]
	v_mad_u32_u24 v24, v0, 10, 2
	v_mul_u32_u24_e32 v22, 10, v0
	v_cndmask_b32_e64 v59, 0, 1, s[0:1]
	v_cmp_gt_u64_e32 vcc, s[8:9], v[24:25]
	v_cmp_neq_f64_e64 s[0:1], v[20:21], v[14:15]
	s_and_b64 s[0:1], vcc, s[0:1]
	v_or_b32_e32 v24, 1, v22
	v_cndmask_b32_e64 v60, 0, 1, s[0:1]
	v_cmp_gt_u64_e32 vcc, s[8:9], v[24:25]
	v_cmp_neq_f64_e64 s[0:1], v[18:19], v[20:21]
	s_and_b64 s[0:1], vcc, s[0:1]
	v_lshlrev_b32_e32 v23, 3, v0
	s_mov_b32 s7, 1
	v_cndmask_b32_e64 v61, 0, 1, s[0:1]
	v_cmp_ne_u32_e32 vcc, 0, v0
	ds_write_b64 v23, v[8:9]
	s_waitcnt lgkmcnt(0)
	s_barrier
	s_waitcnt lgkmcnt(0)
                                        ; implicit-def: $sgpr0_sgpr1
	s_and_saveexec_b64 s[10:11], vcc
	s_cbranch_execz .LBB324_130
; %bb.44:
	v_add_u32_e32 v23, -8, v23
	ds_read_b64 v[26:27], v23
	v_mov_b32_e32 v23, v25
	v_cmp_gt_u64_e32 vcc, s[8:9], v[22:23]
	s_or_b64 s[2:3], s[2:3], exec
	s_waitcnt lgkmcnt(0)
	v_cmp_neq_f64_e64 s[0:1], v[26:27], v[18:19]
	s_and_b64 s[0:1], vcc, s[0:1]
	s_and_b64 s[0:1], s[0:1], exec
	s_or_b64 exec, exec, s[10:11]
.LBB324_45:
	v_mov_b32_e32 v62, s7
	s_and_saveexec_b64 s[8:9], s[2:3]
.LBB324_46:
	v_cndmask_b32_e64 v62, 0, 1, s[0:1]
.LBB324_47:
	s_or_b64 exec, exec, s[8:9]
	s_load_dwordx4 s[28:31], s[4:5], 0x20
	s_load_dwordx2 s[36:37], s[4:5], 0x30
	s_cmp_eq_u64 s[26:27], 0
	v_add_u32_e32 v22, v61, v62
	s_cselect_b64 s[26:27], -1, 0
	s_cmp_lg_u32 s6, 0
	v_cmp_eq_u32_e64 s[14:15], 0, v61
	v_cmp_eq_u32_e64 s[12:13], 0, v60
	v_add3_u32 v53, v22, v60, v59
	v_cmp_eq_u32_e64 s[10:11], 0, v59
	v_cmp_eq_u32_e64 s[8:9], 0, v58
	;; [unrolled: 1-line block ×6, first 2 shown]
	v_cmp_eq_u32_e32 vcc, 0, v1
	v_mbcnt_lo_u32_b32 v52, -1, 0
	v_lshrrev_b32_e32 v50, 6, v0
	v_or_b32_e32 v51, 63, v0
	s_cbranch_scc0 .LBB324_78
; %bb.48:
	v_cndmask_b32_e64 v22, 0, v48, s[14:15]
	v_add_u32_e32 v22, v22, v48
	v_cndmask_b32_e64 v22, 0, v22, s[12:13]
	v_add_u32_e32 v22, v22, v48
	;; [unrolled: 2-line block ×7, first 2 shown]
	v_cndmask_b32_e64 v22, 0, v22, s[0:1]
	v_add3_u32 v23, v53, v58, v57
	v_add_u32_e32 v22, v22, v48
	v_add3_u32 v23, v23, v56, v55
	v_cndmask_b32_e32 v22, 0, v22, vcc
	v_add3_u32 v23, v23, v54, v1
	v_add_u32_e32 v22, v22, v49
	v_mbcnt_hi_u32_b32 v31, -1, v52
	v_and_b32_e32 v24, 15, v31
	v_mov_b32_dpp v26, v22 row_shr:1 row_mask:0xf bank_mask:0xf
	v_cmp_eq_u32_e32 vcc, 0, v23
	v_mov_b32_dpp v25, v23 row_shr:1 row_mask:0xf bank_mask:0xf
	v_cndmask_b32_e32 v26, 0, v26, vcc
	v_cmp_eq_u32_e32 vcc, 0, v24
	v_cndmask_b32_e64 v25, v25, 0, vcc
	v_add_u32_e32 v23, v25, v23
	v_cndmask_b32_e64 v25, v26, 0, vcc
	v_add_u32_e32 v22, v25, v22
	v_cmp_eq_u32_e32 vcc, 0, v23
	v_mov_b32_dpp v25, v23 row_shr:2 row_mask:0xf bank_mask:0xf
	v_cmp_lt_u32_e64 s[16:17], 1, v24
	v_mov_b32_dpp v26, v22 row_shr:2 row_mask:0xf bank_mask:0xf
	v_cndmask_b32_e64 v25, 0, v25, s[16:17]
	s_and_b64 vcc, s[16:17], vcc
	v_cndmask_b32_e32 v26, 0, v26, vcc
	v_add_u32_e32 v23, v23, v25
	v_add_u32_e32 v22, v26, v22
	v_cmp_eq_u32_e32 vcc, 0, v23
	v_mov_b32_dpp v25, v23 row_shr:4 row_mask:0xf bank_mask:0xf
	v_cmp_lt_u32_e64 s[16:17], 3, v24
	v_mov_b32_dpp v26, v22 row_shr:4 row_mask:0xf bank_mask:0xf
	v_cndmask_b32_e64 v25, 0, v25, s[16:17]
	s_and_b64 vcc, s[16:17], vcc
	v_cndmask_b32_e32 v26, 0, v26, vcc
	v_add_u32_e32 v23, v25, v23
	v_add_u32_e32 v22, v22, v26
	v_cmp_eq_u32_e32 vcc, 0, v23
	v_cmp_lt_u32_e64 s[16:17], 7, v24
	v_mov_b32_dpp v25, v23 row_shr:8 row_mask:0xf bank_mask:0xf
	v_mov_b32_dpp v26, v22 row_shr:8 row_mask:0xf bank_mask:0xf
	s_and_b64 vcc, s[16:17], vcc
	v_cndmask_b32_e64 v24, 0, v25, s[16:17]
	v_cndmask_b32_e32 v25, 0, v26, vcc
	v_add_u32_e32 v22, v25, v22
	v_add_u32_e32 v23, v24, v23
	v_bfe_i32 v26, v31, 4, 1
	v_mov_b32_dpp v25, v22 row_bcast:15 row_mask:0xf bank_mask:0xf
	v_mov_b32_dpp v24, v23 row_bcast:15 row_mask:0xf bank_mask:0xf
	v_cmp_eq_u32_e32 vcc, 0, v23
	v_cndmask_b32_e32 v25, 0, v25, vcc
	v_and_b32_e32 v24, v26, v24
	v_add_u32_e32 v23, v24, v23
	v_and_b32_e32 v24, v26, v25
	v_add_u32_e32 v24, v24, v22
	v_mov_b32_dpp v22, v23 row_bcast:31 row_mask:0xf bank_mask:0xf
	v_cmp_eq_u32_e32 vcc, 0, v23
	v_cmp_lt_u32_e64 s[16:17], 31, v31
	v_mov_b32_dpp v25, v24 row_bcast:31 row_mask:0xf bank_mask:0xf
	v_cndmask_b32_e64 v22, 0, v22, s[16:17]
	s_and_b64 vcc, s[16:17], vcc
	v_add_u32_e32 v22, v22, v23
	v_cndmask_b32_e32 v23, 0, v25, vcc
	v_add_u32_e32 v23, v23, v24
	v_cmp_eq_u32_e32 vcc, v51, v0
	v_lshlrev_b32_e32 v24, 3, v50
	s_and_saveexec_b64 s[16:17], vcc
	s_cbranch_execz .LBB324_50
; %bb.49:
	ds_write_b64 v24, v[22:23] offset:4112
.LBB324_50:
	s_or_b64 exec, exec, s[16:17]
	v_cmp_gt_u32_e32 vcc, 4, v0
	s_waitcnt lgkmcnt(0)
	s_barrier
	s_and_saveexec_b64 s[20:21], vcc
	s_cbranch_execz .LBB324_52
; %bb.51:
	v_lshlrev_b32_e32 v25, 3, v0
	ds_read_b64 v[26:27], v25 offset:4112
	v_and_b32_e32 v28, 3, v31
	v_cmp_lt_u32_e64 s[16:17], 1, v28
	s_waitcnt lgkmcnt(0)
	v_mov_b32_dpp v30, v27 row_shr:1 row_mask:0xf bank_mask:0xf
	v_cmp_eq_u32_e32 vcc, 0, v26
	v_mov_b32_dpp v29, v26 row_shr:1 row_mask:0xf bank_mask:0xf
	v_cndmask_b32_e32 v30, 0, v30, vcc
	v_cmp_eq_u32_e32 vcc, 0, v28
	v_cndmask_b32_e64 v29, v29, 0, vcc
	v_add_u32_e32 v26, v29, v26
	v_cndmask_b32_e64 v29, v30, 0, vcc
	v_add_u32_e32 v27, v29, v27
	v_cmp_eq_u32_e32 vcc, 0, v26
	v_mov_b32_dpp v29, v26 row_shr:2 row_mask:0xf bank_mask:0xf
	v_mov_b32_dpp v30, v27 row_shr:2 row_mask:0xf bank_mask:0xf
	v_cndmask_b32_e64 v28, 0, v29, s[16:17]
	s_and_b64 vcc, s[16:17], vcc
	v_add_u32_e32 v26, v28, v26
	v_cndmask_b32_e32 v28, 0, v30, vcc
	v_add_u32_e32 v27, v28, v27
	ds_write_b64 v25, v[26:27] offset:4112
.LBB324_52:
	s_or_b64 exec, exec, s[20:21]
	v_cmp_gt_u32_e32 vcc, 64, v0
	v_cmp_lt_u32_e64 s[16:17], 63, v0
	v_mov_b32_e32 v28, 0
	v_mov_b32_e32 v29, 0
	s_waitcnt lgkmcnt(0)
	s_barrier
	s_and_saveexec_b64 s[20:21], s[16:17]
	s_cbranch_execz .LBB324_54
; %bb.53:
	ds_read_b64 v[28:29], v24 offset:4104
	v_cmp_eq_u32_e64 s[16:17], 0, v22
	s_waitcnt lgkmcnt(0)
	v_add_u32_e32 v24, v28, v22
	v_cndmask_b32_e64 v22, 0, v29, s[16:17]
	v_add_u32_e32 v23, v22, v23
	v_mov_b32_e32 v22, v24
.LBB324_54:
	s_or_b64 exec, exec, s[20:21]
	v_add_u32_e32 v24, -1, v31
	v_and_b32_e32 v25, 64, v31
	v_cmp_lt_i32_e64 s[16:17], v24, v25
	v_cndmask_b32_e64 v24, v24, v31, s[16:17]
	v_lshlrev_b32_e32 v24, 2, v24
	ds_bpermute_b32 v36, v24, v22
	ds_bpermute_b32 v37, v24, v23
	v_cmp_eq_u32_e64 s[16:17], 0, v31
	s_and_saveexec_b64 s[42:43], vcc
	s_cbranch_execz .LBB324_77
; %bb.55:
	v_mov_b32_e32 v27, 0
	ds_read_b64 v[22:23], v27 offset:4136
	s_waitcnt lgkmcnt(0)
	v_readfirstlane_b32 s7, v22
	v_readfirstlane_b32 s46, v23
	s_and_saveexec_b64 s[20:21], s[16:17]
	s_cbranch_execz .LBB324_57
; %bb.56:
	s_add_i32 s44, s6, 64
	s_mov_b32 s45, 0
	s_lshl_b64 s[48:49], s[44:45], 4
	s_add_u32 s48, s24, s48
	s_addc_u32 s49, s25, s49
	s_and_b32 s51, s46, 0xff000000
	s_mov_b32 s50, s45
	s_and_b32 s53, s46, 0xff0000
	s_mov_b32 s52, s45
	s_or_b64 s[50:51], s[52:53], s[50:51]
	s_and_b32 s53, s46, 0xff00
	s_or_b64 s[50:51], s[50:51], s[52:53]
	s_and_b32 s53, s46, 0xff
	s_or_b64 s[44:45], s[50:51], s[52:53]
	v_mov_b32_e32 v24, s7
	v_mov_b32_e32 v25, s45
	v_mov_b32_e32 v26, 1
	v_pk_mov_b32 v[22:23], s[48:49], s[48:49] op_sel:[0,1]
	;;#ASMSTART
	global_store_dwordx4 v[22:23], v[24:27] off	
s_waitcnt vmcnt(0)
	;;#ASMEND
.LBB324_57:
	s_or_b64 exec, exec, s[20:21]
	v_xad_u32 v30, v31, -1, s6
	v_add_u32_e32 v26, 64, v30
	v_lshlrev_b64 v[22:23], 4, v[26:27]
	v_mov_b32_e32 v24, s25
	v_add_co_u32_e32 v32, vcc, s24, v22
	v_addc_co_u32_e32 v33, vcc, v24, v23, vcc
	;;#ASMSTART
	global_load_dwordx4 v[22:25], v[32:33] off glc	
s_waitcnt vmcnt(0)
	;;#ASMEND
	v_and_b32_e32 v25, 0xff, v23
	v_and_b32_e32 v26, 0xff00, v23
	v_or3_b32 v25, 0, v25, v26
	v_or3_b32 v22, v22, 0, 0
	v_and_b32_e32 v26, 0xff000000, v23
	v_and_b32_e32 v23, 0xff0000, v23
	v_or3_b32 v23, v25, v23, v26
	v_or3_b32 v22, v22, 0, 0
	v_cmp_eq_u16_sdwa s[44:45], v24, v27 src0_sel:BYTE_0 src1_sel:DWORD
	s_and_saveexec_b64 s[20:21], s[44:45]
	s_cbranch_execz .LBB324_63
; %bb.58:
	s_mov_b32 s47, 1
	s_mov_b64 s[44:45], 0
	v_mov_b32_e32 v26, 0
.LBB324_59:                             ; =>This Loop Header: Depth=1
                                        ;     Child Loop BB324_60 Depth 2
	s_max_u32 s48, s47, 1
.LBB324_60:                             ;   Parent Loop BB324_59 Depth=1
                                        ; =>  This Inner Loop Header: Depth=2
	s_add_i32 s48, s48, -1
	s_cmp_eq_u32 s48, 0
	s_sleep 1
	s_cbranch_scc0 .LBB324_60
; %bb.61:                               ;   in Loop: Header=BB324_59 Depth=1
	s_cmp_lt_u32 s47, 32
	s_cselect_b64 s[48:49], -1, 0
	s_cmp_lg_u64 s[48:49], 0
	s_addc_u32 s47, s47, 0
	;;#ASMSTART
	global_load_dwordx4 v[22:25], v[32:33] off glc	
s_waitcnt vmcnt(0)
	;;#ASMEND
	v_cmp_ne_u16_sdwa s[48:49], v24, v26 src0_sel:BYTE_0 src1_sel:DWORD
	s_or_b64 s[44:45], s[48:49], s[44:45]
	s_andn2_b64 exec, exec, s[44:45]
	s_cbranch_execnz .LBB324_59
; %bb.62:
	s_or_b64 exec, exec, s[44:45]
.LBB324_63:
	s_or_b64 exec, exec, s[20:21]
	v_mov_b32_e32 v38, 2
	v_cmp_eq_u16_sdwa s[20:21], v24, v38 src0_sel:BYTE_0 src1_sel:DWORD
	v_lshlrev_b64 v[32:33], v31, -1
	v_and_b32_e32 v25, s21, v33
	v_and_b32_e32 v39, 63, v31
	v_or_b32_e32 v25, 0x80000000, v25
	v_cmp_ne_u32_e32 vcc, 63, v39
	v_and_b32_e32 v26, s20, v32
	v_ffbl_b32_e32 v25, v25
	v_addc_co_u32_e32 v27, vcc, 0, v31, vcc
	v_add_u32_e32 v25, 32, v25
	v_ffbl_b32_e32 v26, v26
	v_lshlrev_b32_e32 v40, 2, v27
	v_min_u32_e32 v25, v26, v25
	ds_bpermute_b32 v26, v40, v23
	v_cmp_eq_u32_e32 vcc, 0, v22
	v_cmp_lt_u32_e64 s[20:21], v39, v25
	ds_bpermute_b32 v27, v40, v22
	s_and_b64 vcc, s[20:21], vcc
	s_waitcnt lgkmcnt(1)
	v_cndmask_b32_e32 v26, 0, v26, vcc
	v_cmp_gt_u32_e32 vcc, 62, v39
	v_add_u32_e32 v23, v26, v23
	v_cndmask_b32_e64 v26, 0, 1, vcc
	v_lshlrev_b32_e32 v26, 1, v26
	v_add_lshl_u32 v41, v26, v31, 2
	s_waitcnt lgkmcnt(0)
	v_cndmask_b32_e64 v27, 0, v27, s[20:21]
	ds_bpermute_b32 v26, v41, v23
	v_add_u32_e32 v22, v27, v22
	ds_bpermute_b32 v27, v41, v22
	v_add_u32_e32 v42, 2, v39
	v_cmp_eq_u32_e32 vcc, 0, v22
	s_waitcnt lgkmcnt(1)
	v_cndmask_b32_e32 v26, 0, v26, vcc
	v_cmp_gt_u32_e32 vcc, v42, v25
	v_cndmask_b32_e64 v26, v26, 0, vcc
	v_add_u32_e32 v23, v26, v23
	s_waitcnt lgkmcnt(0)
	v_cndmask_b32_e64 v26, v27, 0, vcc
	v_cmp_gt_u32_e32 vcc, 60, v39
	v_cndmask_b32_e64 v27, 0, 1, vcc
	v_lshlrev_b32_e32 v27, 2, v27
	v_add_lshl_u32 v43, v27, v31, 2
	ds_bpermute_b32 v27, v43, v23
	v_add_u32_e32 v22, v22, v26
	ds_bpermute_b32 v26, v43, v22
	v_add_u32_e32 v44, 4, v39
	v_cmp_eq_u32_e32 vcc, 0, v22
	s_waitcnt lgkmcnt(1)
	v_cndmask_b32_e32 v27, 0, v27, vcc
	v_cmp_gt_u32_e32 vcc, v44, v25
	v_cndmask_b32_e64 v27, v27, 0, vcc
	s_waitcnt lgkmcnt(0)
	v_cndmask_b32_e64 v26, v26, 0, vcc
	v_cmp_gt_u32_e32 vcc, 56, v39
	v_add_u32_e32 v23, v23, v27
	v_cndmask_b32_e64 v27, 0, 1, vcc
	v_lshlrev_b32_e32 v27, 3, v27
	v_add_lshl_u32 v45, v27, v31, 2
	ds_bpermute_b32 v27, v45, v23
	v_add_u32_e32 v22, v22, v26
	ds_bpermute_b32 v26, v45, v22
	v_add_u32_e32 v46, 8, v39
	v_cmp_eq_u32_e32 vcc, 0, v22
	s_waitcnt lgkmcnt(1)
	v_cndmask_b32_e32 v27, 0, v27, vcc
	v_cmp_gt_u32_e32 vcc, v46, v25
	v_cndmask_b32_e64 v27, v27, 0, vcc
	s_waitcnt lgkmcnt(0)
	v_cndmask_b32_e64 v26, v26, 0, vcc
	v_cmp_gt_u32_e32 vcc, 48, v39
	v_add_u32_e32 v23, v23, v27
	;; [unrolled: 16-line block ×3, first 2 shown]
	v_cndmask_b32_e64 v27, 0, 1, vcc
	v_lshlrev_b32_e32 v27, 5, v27
	v_add_lshl_u32 v64, v27, v31, 2
	ds_bpermute_b32 v27, v64, v23
	v_add_u32_e32 v22, v22, v26
	ds_bpermute_b32 v26, v64, v22
	v_add_u32_e32 v65, 32, v39
	v_cmp_eq_u32_e32 vcc, 0, v22
	s_waitcnt lgkmcnt(1)
	v_cndmask_b32_e32 v27, 0, v27, vcc
	v_cmp_gt_u32_e32 vcc, v65, v25
	v_cndmask_b32_e64 v25, v27, 0, vcc
	v_add_u32_e32 v23, v25, v23
	s_waitcnt lgkmcnt(0)
	v_cndmask_b32_e64 v25, v26, 0, vcc
	v_add_u32_e32 v22, v25, v22
	v_mov_b32_e32 v31, 0
	s_branch .LBB324_65
.LBB324_64:                             ;   in Loop: Header=BB324_65 Depth=1
	s_or_b64 exec, exec, s[20:21]
	v_cmp_eq_u16_sdwa s[20:21], v24, v38 src0_sel:BYTE_0 src1_sel:DWORD
	v_and_b32_e32 v25, s21, v33
	v_or_b32_e32 v25, 0x80000000, v25
	v_and_b32_e32 v34, s20, v32
	v_ffbl_b32_e32 v25, v25
	v_add_u32_e32 v25, 32, v25
	v_ffbl_b32_e32 v34, v34
	v_min_u32_e32 v25, v34, v25
	ds_bpermute_b32 v34, v40, v23
	v_cmp_eq_u32_e32 vcc, 0, v22
	v_cmp_lt_u32_e64 s[20:21], v39, v25
	ds_bpermute_b32 v35, v40, v22
	s_and_b64 vcc, s[20:21], vcc
	s_waitcnt lgkmcnt(1)
	v_cndmask_b32_e32 v34, 0, v34, vcc
	v_add_u32_e32 v23, v34, v23
	ds_bpermute_b32 v34, v41, v23
	s_waitcnt lgkmcnt(1)
	v_cndmask_b32_e64 v35, 0, v35, s[20:21]
	v_add_u32_e32 v22, v35, v22
	v_cmp_eq_u32_e32 vcc, 0, v22
	ds_bpermute_b32 v35, v41, v22
	s_waitcnt lgkmcnt(1)
	v_cndmask_b32_e32 v34, 0, v34, vcc
	v_cmp_gt_u32_e32 vcc, v42, v25
	v_cndmask_b32_e64 v34, v34, 0, vcc
	v_add_u32_e32 v23, v34, v23
	ds_bpermute_b32 v34, v43, v23
	s_waitcnt lgkmcnt(1)
	v_cndmask_b32_e64 v35, v35, 0, vcc
	v_add_u32_e32 v22, v22, v35
	v_cmp_eq_u32_e32 vcc, 0, v22
	ds_bpermute_b32 v35, v43, v22
	s_waitcnt lgkmcnt(1)
	v_cndmask_b32_e32 v34, 0, v34, vcc
	v_cmp_gt_u32_e32 vcc, v44, v25
	v_cndmask_b32_e64 v34, v34, 0, vcc
	v_add_u32_e32 v23, v23, v34
	ds_bpermute_b32 v34, v45, v23
	s_waitcnt lgkmcnt(1)
	v_cndmask_b32_e64 v35, v35, 0, vcc
	v_add_u32_e32 v22, v22, v35
	ds_bpermute_b32 v35, v45, v22
	v_cmp_eq_u32_e32 vcc, 0, v22
	s_waitcnt lgkmcnt(1)
	v_cndmask_b32_e32 v34, 0, v34, vcc
	v_cmp_gt_u32_e32 vcc, v46, v25
	v_cndmask_b32_e64 v34, v34, 0, vcc
	v_add_u32_e32 v23, v23, v34
	ds_bpermute_b32 v34, v47, v23
	s_waitcnt lgkmcnt(1)
	v_cndmask_b32_e64 v35, v35, 0, vcc
	v_add_u32_e32 v22, v22, v35
	ds_bpermute_b32 v35, v47, v22
	v_cmp_eq_u32_e32 vcc, 0, v22
	;; [unrolled: 11-line block ×3, first 2 shown]
	s_waitcnt lgkmcnt(1)
	v_cndmask_b32_e32 v34, 0, v34, vcc
	v_cmp_gt_u32_e32 vcc, v65, v25
	v_cndmask_b32_e64 v25, v34, 0, vcc
	v_add_u32_e32 v23, v25, v23
	s_waitcnt lgkmcnt(0)
	v_cndmask_b32_e64 v25, v35, 0, vcc
	v_cmp_eq_u32_e32 vcc, 0, v26
	v_cndmask_b32_e32 v23, 0, v23, vcc
	v_subrev_u32_e32 v30, 64, v30
	v_add3_u32 v22, v22, v26, v25
	v_add_u32_e32 v23, v23, v27
.LBB324_65:                             ; =>This Loop Header: Depth=1
                                        ;     Child Loop BB324_68 Depth 2
                                        ;       Child Loop BB324_69 Depth 3
	v_cmp_ne_u16_sdwa s[20:21], v24, v38 src0_sel:BYTE_0 src1_sel:DWORD
	v_mov_b32_e32 v27, v23
	v_cndmask_b32_e64 v23, 0, 1, s[20:21]
	;;#ASMSTART
	;;#ASMEND
	v_cmp_ne_u32_e32 vcc, 0, v23
	s_cmp_lg_u64 vcc, exec
	v_mov_b32_e32 v26, v22
	s_cbranch_scc1 .LBB324_72
; %bb.66:                               ;   in Loop: Header=BB324_65 Depth=1
	v_lshlrev_b64 v[22:23], 4, v[30:31]
	v_mov_b32_e32 v24, s25
	v_add_co_u32_e32 v34, vcc, s24, v22
	v_addc_co_u32_e32 v35, vcc, v24, v23, vcc
	;;#ASMSTART
	global_load_dwordx4 v[22:25], v[34:35] off glc	
s_waitcnt vmcnt(0)
	;;#ASMEND
	v_and_b32_e32 v25, 0xff, v23
	v_and_b32_e32 v66, 0xff00, v23
	v_or3_b32 v25, 0, v25, v66
	v_or3_b32 v22, v22, 0, 0
	v_and_b32_e32 v66, 0xff000000, v23
	v_and_b32_e32 v23, 0xff0000, v23
	v_or3_b32 v23, v25, v23, v66
	v_or3_b32 v22, v22, 0, 0
	v_cmp_eq_u16_sdwa s[44:45], v24, v31 src0_sel:BYTE_0 src1_sel:DWORD
	s_and_saveexec_b64 s[20:21], s[44:45]
	s_cbranch_execz .LBB324_64
; %bb.67:                               ;   in Loop: Header=BB324_65 Depth=1
	s_mov_b32 s47, 1
	s_mov_b64 s[44:45], 0
.LBB324_68:                             ;   Parent Loop BB324_65 Depth=1
                                        ; =>  This Loop Header: Depth=2
                                        ;       Child Loop BB324_69 Depth 3
	s_max_u32 s48, s47, 1
.LBB324_69:                             ;   Parent Loop BB324_65 Depth=1
                                        ;     Parent Loop BB324_68 Depth=2
                                        ; =>    This Inner Loop Header: Depth=3
	s_add_i32 s48, s48, -1
	s_cmp_eq_u32 s48, 0
	s_sleep 1
	s_cbranch_scc0 .LBB324_69
; %bb.70:                               ;   in Loop: Header=BB324_68 Depth=2
	s_cmp_lt_u32 s47, 32
	s_cselect_b64 s[48:49], -1, 0
	s_cmp_lg_u64 s[48:49], 0
	s_addc_u32 s47, s47, 0
	;;#ASMSTART
	global_load_dwordx4 v[22:25], v[34:35] off glc	
s_waitcnt vmcnt(0)
	;;#ASMEND
	v_cmp_ne_u16_sdwa s[48:49], v24, v31 src0_sel:BYTE_0 src1_sel:DWORD
	s_or_b64 s[44:45], s[48:49], s[44:45]
	s_andn2_b64 exec, exec, s[44:45]
	s_cbranch_execnz .LBB324_68
; %bb.71:                               ;   in Loop: Header=BB324_65 Depth=1
	s_or_b64 exec, exec, s[44:45]
	s_branch .LBB324_64
.LBB324_72:                             ;   in Loop: Header=BB324_65 Depth=1
                                        ; implicit-def: $vgpr23
                                        ; implicit-def: $vgpr22
                                        ; implicit-def: $vgpr24
	s_cbranch_execz .LBB324_65
; %bb.73:
	s_and_saveexec_b64 s[20:21], s[16:17]
	s_cbranch_execz .LBB324_75
; %bb.74:
	s_cmp_eq_u32 s7, 0
	s_cselect_b64 vcc, -1, 0
	s_mov_b32 s45, 0
	v_cndmask_b32_e32 v22, 0, v27, vcc
	s_add_i32 s44, s6, 64
	v_add_u32_e32 v22, s46, v22
	s_lshl_b64 s[44:45], s[44:45], 4
	s_add_u32 s44, s24, s44
	v_and_b32_e32 v23, 0xff000000, v22
	v_and_b32_e32 v24, 0xff0000, v22
	s_addc_u32 s45, s25, s45
	v_or_b32_e32 v23, v24, v23
	v_and_b32_e32 v24, 0xff00, v22
	v_and_b32_e32 v22, 0xff, v22
	v_add_u32_e32 v30, s7, v26
	v_mov_b32_e32 v33, 0
	v_or3_b32 v31, v23, v24, v22
	v_mov_b32_e32 v32, 2
	v_pk_mov_b32 v[22:23], s[44:45], s[44:45] op_sel:[0,1]
	;;#ASMSTART
	global_store_dwordx4 v[22:23], v[30:33] off	
s_waitcnt vmcnt(0)
	;;#ASMEND
	v_mov_b32_e32 v24, s7
	v_mov_b32_e32 v25, s46
	ds_write_b128 v33, v[24:27] offset:4096
.LBB324_75:
	s_or_b64 exec, exec, s[20:21]
	v_cmp_eq_u32_e32 vcc, 0, v0
	s_and_b64 exec, exec, vcc
	s_cbranch_execz .LBB324_77
; %bb.76:
	v_mov_b32_e32 v22, 0
	ds_write_b64 v22, v[26:27] offset:4136
.LBB324_77:
	s_or_b64 exec, exec, s[42:43]
	v_mov_b32_e32 v24, 0
	s_waitcnt lgkmcnt(0)
	s_barrier
	ds_read_b64 v[22:23], v24 offset:4136
	v_cndmask_b32_e64 v26, v36, v28, s[16:17]
	v_cmp_eq_u32_e32 vcc, 0, v26
	v_cndmask_b32_e64 v25, v37, v29, s[16:17]
	s_waitcnt lgkmcnt(0)
	v_cndmask_b32_e32 v27, 0, v23, vcc
	v_add_u32_e32 v25, v27, v25
	v_cmp_eq_u32_e32 vcc, 0, v0
	v_cndmask_b32_e32 v47, v25, v23, vcc
	v_cndmask_b32_e64 v23, v26, 0, vcc
	v_cmp_eq_u32_e32 vcc, 0, v62
	v_add_u32_e32 v46, v22, v23
	v_cndmask_b32_e32 v22, 0, v47, vcc
	v_add_u32_e32 v45, v22, v48
	v_cndmask_b32_e64 v22, 0, v45, s[14:15]
	v_add_u32_e32 v43, v22, v48
	v_cndmask_b32_e64 v22, 0, v43, s[12:13]
	;; [unrolled: 2-line block ×5, first 2 shown]
	v_add_u32_e32 v35, v22, v48
	v_add_u32_e32 v44, v46, v62
	v_cndmask_b32_e64 v22, 0, v35, s[4:5]
	v_add_u32_e32 v42, v44, v61
	v_add_u32_e32 v33, v22, v48
	s_barrier
	ds_read_b128 v[22:25], v24 offset:4096
	v_add_u32_e32 v40, v42, v60
	v_add_u32_e32 v38, v40, v59
	;; [unrolled: 1-line block ×4, first 2 shown]
	v_cndmask_b32_e64 v26, 0, v33, s[2:3]
	v_add_u32_e32 v32, v34, v56
	v_add_u32_e32 v29, v26, v48
	s_waitcnt lgkmcnt(0)
	v_cmp_eq_u32_e32 vcc, 0, v22
	v_add_u32_e32 v28, v32, v55
	v_cndmask_b32_e64 v26, 0, v29, s[0:1]
	v_cndmask_b32_e32 v25, 0, v25, vcc
	v_add_u32_e32 v30, v28, v54
	v_add_u32_e32 v31, v26, v48
	;; [unrolled: 1-line block ×3, first 2 shown]
	s_branch .LBB324_90
.LBB324_78:
                                        ; implicit-def: $vgpr22
                                        ; implicit-def: $vgpr26
                                        ; implicit-def: $vgpr30_vgpr31
                                        ; implicit-def: $vgpr28_vgpr29
                                        ; implicit-def: $vgpr32_vgpr33
                                        ; implicit-def: $vgpr34_vgpr35
                                        ; implicit-def: $vgpr46_vgpr47
                                        ; implicit-def: $vgpr44_vgpr45
                                        ; implicit-def: $vgpr42_vgpr43
                                        ; implicit-def: $vgpr40_vgpr41
                                        ; implicit-def: $vgpr38_vgpr39
                                        ; implicit-def: $vgpr36_vgpr37
	s_cbranch_execz .LBB324_90
; %bb.79:
	s_and_b64 s[0:1], s[26:27], exec
	s_cselect_b32 s1, 0, s41
	s_cselect_b32 s0, 0, s40
	s_cmp_eq_u64 s[0:1], 0
	v_mov_b32_e32 v26, v48
	s_cbranch_scc1 .LBB324_81
; %bb.80:
	v_mov_b32_e32 v22, 0
	global_load_dword v26, v22, s[0:1]
.LBB324_81:
	v_cmp_eq_u32_e64 s[0:1], 0, v61
	v_cndmask_b32_e64 v22, 0, v48, s[0:1]
	v_add_u32_e32 v22, v22, v48
	v_cmp_eq_u32_e64 s[2:3], 0, v60
	v_cndmask_b32_e64 v22, 0, v22, s[2:3]
	v_add_u32_e32 v22, v22, v48
	;; [unrolled: 3-line block ×7, first 2 shown]
	v_cmp_eq_u32_e32 vcc, 0, v54
	v_cndmask_b32_e32 v22, 0, v22, vcc
	v_add3_u32 v23, v53, v58, v57
	v_add_u32_e32 v22, v22, v48
	v_cmp_eq_u32_e64 s[14:15], 0, v1
	v_add3_u32 v23, v23, v56, v55
	v_cndmask_b32_e64 v22, 0, v22, s[14:15]
	v_add3_u32 v23, v23, v54, v1
	v_add_u32_e32 v22, v22, v49
	v_mbcnt_hi_u32_b32 v27, -1, v52
	v_and_b32_e32 v24, 15, v27
	v_mov_b32_dpp v28, v22 row_shr:1 row_mask:0xf bank_mask:0xf
	v_cmp_eq_u32_e64 s[14:15], 0, v23
	v_mov_b32_dpp v25, v23 row_shr:1 row_mask:0xf bank_mask:0xf
	v_cndmask_b32_e64 v28, 0, v28, s[14:15]
	v_cmp_eq_u32_e64 s[14:15], 0, v24
	v_cndmask_b32_e64 v25, v25, 0, s[14:15]
	v_add_u32_e32 v23, v25, v23
	v_cndmask_b32_e64 v25, v28, 0, s[14:15]
	v_add_u32_e32 v22, v25, v22
	v_cmp_eq_u32_e64 s[14:15], 0, v23
	v_mov_b32_dpp v25, v23 row_shr:2 row_mask:0xf bank_mask:0xf
	v_cmp_lt_u32_e64 s[16:17], 1, v24
	v_mov_b32_dpp v28, v22 row_shr:2 row_mask:0xf bank_mask:0xf
	v_cndmask_b32_e64 v25, 0, v25, s[16:17]
	s_and_b64 s[14:15], s[16:17], s[14:15]
	v_cndmask_b32_e64 v28, 0, v28, s[14:15]
	v_add_u32_e32 v23, v23, v25
	v_add_u32_e32 v22, v28, v22
	v_cmp_eq_u32_e64 s[14:15], 0, v23
	v_mov_b32_dpp v25, v23 row_shr:4 row_mask:0xf bank_mask:0xf
	v_cmp_lt_u32_e64 s[16:17], 3, v24
	v_mov_b32_dpp v28, v22 row_shr:4 row_mask:0xf bank_mask:0xf
	v_cndmask_b32_e64 v25, 0, v25, s[16:17]
	s_and_b64 s[14:15], s[16:17], s[14:15]
	v_cndmask_b32_e64 v28, 0, v28, s[14:15]
	v_add_u32_e32 v23, v25, v23
	v_add_u32_e32 v22, v22, v28
	v_cmp_eq_u32_e64 s[14:15], 0, v23
	v_cmp_lt_u32_e64 s[16:17], 7, v24
	v_mov_b32_dpp v25, v23 row_shr:8 row_mask:0xf bank_mask:0xf
	v_mov_b32_dpp v28, v22 row_shr:8 row_mask:0xf bank_mask:0xf
	s_and_b64 s[14:15], s[16:17], s[14:15]
	v_cndmask_b32_e64 v24, 0, v25, s[16:17]
	v_cndmask_b32_e64 v25, 0, v28, s[14:15]
	v_add_u32_e32 v22, v25, v22
	v_add_u32_e32 v23, v24, v23
	v_bfe_i32 v28, v27, 4, 1
	v_mov_b32_dpp v25, v22 row_bcast:15 row_mask:0xf bank_mask:0xf
	v_mov_b32_dpp v24, v23 row_bcast:15 row_mask:0xf bank_mask:0xf
	v_cmp_eq_u32_e64 s[14:15], 0, v23
	v_cndmask_b32_e64 v25, 0, v25, s[14:15]
	v_and_b32_e32 v24, v28, v24
	v_add_u32_e32 v23, v24, v23
	v_and_b32_e32 v24, v28, v25
	v_add_u32_e32 v24, v24, v22
	v_mov_b32_dpp v22, v23 row_bcast:31 row_mask:0xf bank_mask:0xf
	v_cmp_eq_u32_e64 s[14:15], 0, v23
	v_cmp_lt_u32_e64 s[16:17], 31, v27
	v_mov_b32_dpp v25, v24 row_bcast:31 row_mask:0xf bank_mask:0xf
	v_cndmask_b32_e64 v22, 0, v22, s[16:17]
	s_and_b64 s[14:15], s[16:17], s[14:15]
	v_add_u32_e32 v22, v22, v23
	v_cndmask_b32_e64 v23, 0, v25, s[14:15]
	v_add_u32_e32 v23, v23, v24
	v_cmp_eq_u32_e64 s[14:15], v51, v0
	s_and_saveexec_b64 s[16:17], s[14:15]
	s_cbranch_execz .LBB324_83
; %bb.82:
	v_lshlrev_b32_e32 v24, 3, v50
	ds_write_b64 v24, v[22:23] offset:4112
.LBB324_83:
	s_or_b64 exec, exec, s[16:17]
	v_cmp_gt_u32_e64 s[14:15], 4, v0
	s_waitcnt lgkmcnt(0)
	s_barrier
	s_and_saveexec_b64 s[18:19], s[14:15]
	s_cbranch_execz .LBB324_85
; %bb.84:
	v_lshlrev_b32_e32 v28, 3, v0
	ds_read_b64 v[24:25], v28 offset:4112
	v_and_b32_e32 v29, 3, v27
	v_cmp_lt_u32_e64 s[16:17], 1, v29
	s_waitcnt lgkmcnt(0)
	v_mov_b32_dpp v31, v25 row_shr:1 row_mask:0xf bank_mask:0xf
	v_cmp_eq_u32_e64 s[14:15], 0, v24
	v_mov_b32_dpp v30, v24 row_shr:1 row_mask:0xf bank_mask:0xf
	v_cndmask_b32_e64 v31, 0, v31, s[14:15]
	v_cmp_eq_u32_e64 s[14:15], 0, v29
	v_cndmask_b32_e64 v30, v30, 0, s[14:15]
	v_add_u32_e32 v24, v30, v24
	v_cndmask_b32_e64 v30, v31, 0, s[14:15]
	v_add_u32_e32 v25, v30, v25
	v_cmp_eq_u32_e64 s[14:15], 0, v24
	v_mov_b32_dpp v30, v24 row_shr:2 row_mask:0xf bank_mask:0xf
	v_mov_b32_dpp v31, v25 row_shr:2 row_mask:0xf bank_mask:0xf
	v_cndmask_b32_e64 v29, 0, v30, s[16:17]
	s_and_b64 s[14:15], s[16:17], s[14:15]
	v_add_u32_e32 v24, v29, v24
	v_cndmask_b32_e64 v29, 0, v31, s[14:15]
	v_add_u32_e32 v25, v29, v25
	ds_write_b64 v28, v[24:25] offset:4112
.LBB324_85:
	s_or_b64 exec, exec, s[18:19]
	v_cmp_lt_u32_e64 s[14:15], 63, v0
	v_mov_b32_e32 v29, 0
	v_mov_b32_e32 v24, 0
	s_waitcnt vmcnt(0)
	v_mov_b32_e32 v25, v26
	s_waitcnt lgkmcnt(0)
	s_barrier
	s_and_saveexec_b64 s[16:17], s[14:15]
	s_cbranch_execz .LBB324_87
; %bb.86:
	v_lshlrev_b32_e32 v24, 3, v50
	ds_read_b64 v[24:25], v24 offset:4104
	s_waitcnt lgkmcnt(0)
	v_cmp_eq_u32_e64 s[14:15], 0, v24
	v_cndmask_b32_e64 v28, 0, v26, s[14:15]
	v_add_u32_e32 v25, v28, v25
.LBB324_87:
	s_or_b64 exec, exec, s[16:17]
	v_cmp_eq_u32_e64 s[14:15], 0, v22
	v_add_u32_e32 v28, v24, v22
	v_cndmask_b32_e64 v22, 0, v25, s[14:15]
	v_add_u32_e32 v22, v22, v23
	v_add_u32_e32 v23, -1, v27
	v_and_b32_e32 v30, 64, v27
	v_cmp_lt_i32_e64 s[14:15], v23, v30
	v_cndmask_b32_e64 v23, v23, v27, s[14:15]
	v_lshlrev_b32_e32 v23, 2, v23
	ds_bpermute_b32 v28, v23, v28
	ds_bpermute_b32 v22, v23, v22
	v_cmp_eq_u32_e64 s[14:15], 0, v27
	v_cmp_eq_u32_e64 s[16:17], 0, v62
	s_waitcnt lgkmcnt(1)
	v_cndmask_b32_e64 v23, v28, v24, s[14:15]
	s_waitcnt lgkmcnt(0)
	v_cndmask_b32_e64 v22, v22, v25, s[14:15]
	v_cmp_eq_u32_e64 s[14:15], 0, v0
	v_cndmask_b32_e64 v47, v22, v26, s[14:15]
	v_cndmask_b32_e64 v22, 0, v47, s[16:17]
	v_add_u32_e32 v45, v22, v48
	v_cndmask_b32_e64 v22, 0, v45, s[0:1]
	v_add_u32_e32 v43, v22, v48
	;; [unrolled: 2-line block ×5, first 2 shown]
	v_cndmask_b32_e64 v22, 0, v37, s[8:9]
	v_cndmask_b32_e64 v46, v23, 0, s[14:15]
	v_add_u32_e32 v35, v22, v48
	v_add_u32_e32 v44, v46, v62
	v_cndmask_b32_e64 v22, 0, v35, s[10:11]
	v_add_u32_e32 v42, v44, v61
	v_add_u32_e32 v33, v22, v48
	ds_read_b64 v[22:23], v29 offset:4136
	v_add_u32_e32 v40, v42, v60
	v_add_u32_e32 v38, v40, v59
	;; [unrolled: 1-line block ×3, first 2 shown]
	v_cndmask_b32_e64 v24, 0, v33, s[12:13]
	v_add_u32_e32 v34, v36, v57
	v_add_u32_e32 v29, v24, v48
	;; [unrolled: 1-line block ×3, first 2 shown]
	v_cndmask_b32_e32 v24, 0, v29, vcc
	s_waitcnt lgkmcnt(0)
	v_cmp_eq_u32_e32 vcc, 0, v22
	v_add_u32_e32 v28, v32, v55
	v_add_u32_e32 v31, v24, v48
	v_cndmask_b32_e32 v24, 0, v26, vcc
	v_add_u32_e32 v30, v28, v54
	v_add_u32_e32 v26, v24, v23
	s_and_saveexec_b64 s[0:1], s[14:15]
	s_cbranch_execz .LBB324_89
; %bb.88:
	s_add_u32 s2, s24, 0x400
	v_and_b32_e32 v23, 0xff000000, v26
	v_and_b32_e32 v24, 0xff0000, v26
	s_addc_u32 s3, s25, 0
	v_or_b32_e32 v23, v24, v23
	v_and_b32_e32 v24, 0xff00, v26
	v_and_b32_e32 v27, 0xff, v26
	v_mov_b32_e32 v25, 0
	v_or3_b32 v23, v23, v24, v27
	v_mov_b32_e32 v24, 2
	v_pk_mov_b32 v[48:49], s[2:3], s[2:3] op_sel:[0,1]
	;;#ASMSTART
	global_store_dwordx4 v[48:49], v[22:25] off	
s_waitcnt vmcnt(0)
	;;#ASMEND
.LBB324_89:
	s_or_b64 exec, exec, s[0:1]
	v_mov_b32_e32 v24, 0
.LBB324_90:
	s_and_b64 s[0:1], s[26:27], exec
	s_cselect_b32 s1, 0, s39
	s_cselect_b32 s0, 0, s38
	s_cmp_eq_u64 s[0:1], 0
	v_pk_mov_b32 v[48:49], 0, 0
	s_waitcnt lgkmcnt(0)
	s_barrier
	s_cbranch_scc1 .LBB324_92
; %bb.91:
	v_mov_b32_e32 v23, 0
	global_load_dwordx2 v[48:49], v23, s[0:1]
.LBB324_92:
	s_waitcnt vmcnt(0)
	v_lshlrev_b64 v[50:51], 3, v[48:49]
	v_mov_b32_e32 v23, s29
	v_add_co_u32_e32 v27, vcc, s28, v50
	v_mov_b32_e32 v25, 0
	v_addc_co_u32_e32 v63, vcc, v23, v51, vcc
	v_lshlrev_b64 v[52:53], 3, v[24:25]
	v_add_co_u32_e32 v23, vcc, v27, v52
	v_addc_co_u32_e32 v25, vcc, v63, v53, vcc
	v_cmp_eq_u32_e32 vcc, 0, v62
	v_cndmask_b32_e64 v27, 1, 2, vcc
	v_cmp_eq_u32_e32 vcc, 0, v61
	v_cndmask_b32_e64 v63, 1, 2, vcc
	v_cmp_eq_u32_e32 vcc, 0, v60
	v_and_b32_e32 v27, v63, v27
	v_cndmask_b32_e64 v63, 1, 2, vcc
	v_cmp_eq_u32_e32 vcc, 0, v59
	v_and_b32_e32 v27, v27, v63
	;; [unrolled: 3-line block ×8, first 2 shown]
	v_cndmask_b32_e64 v63, 1, 2, vcc
	s_movk_i32 s20, 0x100
	v_and_b32_e32 v27, v27, v63
	v_cmp_gt_u32_e32 vcc, s20, v22
	v_cmp_ne_u32_e64 s[18:19], 0, v62
	v_cmp_ne_u32_e64 s[16:17], 0, v61
	;; [unrolled: 1-line block ×10, first 2 shown]
	s_mov_b64 s[24:25], -1
	v_cmp_gt_i16_e64 s[20:21], 2, v27
	s_cbranch_vccz .LBB324_99
; %bb.93:
	s_and_saveexec_b64 s[24:25], s[20:21]
	s_cbranch_execz .LBB324_98
; %bb.94:
	v_cmp_ne_u16_e32 vcc, 1, v27
	s_mov_b64 s[26:27], 0
	s_and_saveexec_b64 s[20:21], vcc
	s_xor_b64 s[20:21], exec, s[20:21]
	s_cbranch_execnz .LBB324_131
; %bb.95:
	s_andn2_saveexec_b64 s[20:21], s[20:21]
	s_cbranch_execnz .LBB324_142
.LBB324_96:
	s_or_b64 exec, exec, s[20:21]
	s_and_b64 exec, exec, s[26:27]
	s_cbranch_execz .LBB324_98
.LBB324_97:
	v_sub_u32_e32 v64, v30, v24
	v_mov_b32_e32 v65, 0
	v_lshlrev_b64 v[64:65], 3, v[64:65]
	v_add_co_u32_e32 v64, vcc, v23, v64
	v_addc_co_u32_e32 v65, vcc, v25, v65, vcc
	global_store_dwordx2 v[64:65], v[8:9], off
.LBB324_98:
	s_or_b64 exec, exec, s[24:25]
	s_mov_b64 s[24:25], 0
.LBB324_99:
	s_and_b64 vcc, exec, s[24:25]
	s_cbranch_vccz .LBB324_109
; %bb.100:
	v_cmp_gt_i16_e32 vcc, 2, v27
	s_and_saveexec_b64 s[20:21], vcc
	s_cbranch_execz .LBB324_105
; %bb.101:
	v_cmp_ne_u16_e32 vcc, 1, v27
	s_mov_b64 s[26:27], 0
	s_and_saveexec_b64 s[24:25], vcc
	s_xor_b64 s[24:25], exec, s[24:25]
	s_cbranch_execnz .LBB324_143
; %bb.102:
	s_andn2_saveexec_b64 s[0:1], s[24:25]
	s_cbranch_execnz .LBB324_154
.LBB324_103:
	s_or_b64 exec, exec, s[0:1]
	s_and_b64 exec, exec, s[26:27]
	s_cbranch_execz .LBB324_105
.LBB324_104:
	v_sub_u32_e32 v2, v30, v24
	v_lshlrev_b32_e32 v2, 3, v2
	ds_write_b64 v2, v[8:9]
.LBB324_105:
	s_or_b64 exec, exec, s[20:21]
	v_cmp_lt_u32_e32 vcc, v0, v22
	s_waitcnt lgkmcnt(0)
	s_barrier
	s_and_saveexec_b64 s[0:1], vcc
	s_cbranch_execz .LBB324_108
; %bb.106:
	v_lshlrev_b32_e32 v4, 3, v0
	s_mov_b64 s[2:3], 0
	v_mov_b32_e32 v3, 0
	v_mov_b32_e32 v2, v0
.LBB324_107:                            ; =>This Inner Loop Header: Depth=1
	ds_read_b64 v[6:7], v4
	v_lshlrev_b64 v[8:9], 3, v[2:3]
	v_add_co_u32_e32 v8, vcc, v23, v8
	v_add_u32_e32 v2, 0x100, v2
	v_addc_co_u32_e32 v9, vcc, v25, v9, vcc
	v_cmp_ge_u32_e32 vcc, v2, v22
	v_add_u32_e32 v4, 0x800, v4
	s_or_b64 s[2:3], vcc, s[2:3]
	s_waitcnt lgkmcnt(0)
	global_store_dwordx2 v[8:9], v[6:7], off
	s_andn2_b64 exec, exec, s[2:3]
	s_cbranch_execnz .LBB324_107
.LBB324_108:
	s_or_b64 exec, exec, s[0:1]
.LBB324_109:
	s_cmpk_lg_i32 s33, 0xa00
	s_cselect_b64 s[0:1], -1, 0
	v_cndmask_b32_e64 v2, 0, 1, s[34:35]
	s_and_b64 s[0:1], s[22:23], s[0:1]
	v_cmp_eq_u32_e32 vcc, 0, v0
	v_sub_u32_e32 v3, v22, v2
	v_cndmask_b32_e64 v4, 0, 1, s[0:1]
	s_and_b64 s[0:1], vcc, s[34:35]
	v_add_u32_e32 v4, v3, v4
	v_cndmask_b32_e64 v3, v62, 0, s[0:1]
	s_mul_hi_u32 s0, s33, 0xcccccccd
	s_lshr_b32 s0, s0, 3
	v_mad_i32_i24 v5, v0, -10, s33
	v_cmp_eq_u32_e32 vcc, s0, v0
	v_cmp_ne_u32_e64 s[0:1], 0, v5
	v_cndmask_b32_e64 v6, 1, v3, s[0:1]
	v_cmp_ne_u32_e64 s[0:1], 1, v5
	v_cndmask_b32_e64 v7, 1, v61, s[0:1]
	;; [unrolled: 2-line block ×10, first 2 shown]
	s_and_b64 vcc, s[22:23], vcc
	v_cndmask_b32_e32 v15, v1, v5, vcc
	v_cndmask_b32_e32 v14, v54, v14, vcc
	;; [unrolled: 1-line block ×10, first 2 shown]
	v_mov_b32_e32 v1, s31
	v_add_co_u32_e32 v5, vcc, s30, v50
	v_addc_co_u32_e32 v6, vcc, v1, v51, vcc
	v_add_co_u32_e32 v1, vcc, v5, v52
	v_addc_co_u32_e32 v5, vcc, v6, v53, vcc
	v_lshlrev_b32_e32 v6, 3, v2
	v_add_co_u32_e32 v6, vcc, v6, v1
	v_addc_co_u32_e32 v7, vcc, 0, v5, vcc
	v_add_co_u32_e32 v6, vcc, -8, v6
	v_addc_co_u32_e32 v7, vcc, -1, v7, vcc
	v_cmp_eq_u32_e32 vcc, 0, v3
	v_cmp_ne_u32_e64 s[18:19], 0, v3
	v_cndmask_b32_e64 v3, 1, 2, vcc
	v_cmp_eq_u32_e32 vcc, 0, v16
	v_cmp_ne_u32_e64 s[16:17], 0, v16
	v_cndmask_b32_e64 v16, 1, 2, vcc
	v_cmp_eq_u32_e32 vcc, 0, v8
	v_and_b32_e32 v3, v16, v3
	v_cmp_ne_u32_e64 s[14:15], 0, v8
	v_cndmask_b32_e64 v8, 1, 2, vcc
	v_cmp_eq_u32_e32 vcc, 0, v9
	v_and_b32_e32 v3, v3, v8
	v_cndmask_b32_e64 v8, 1, 2, vcc
	v_cmp_eq_u32_e32 vcc, 0, v10
	v_and_b32_e32 v3, v3, v8
	;; [unrolled: 3-line block ×7, first 2 shown]
	v_cndmask_b32_e64 v8, 1, 2, vcc
	s_movk_i32 s20, 0x100
	v_and_b32_e32 v3, v3, v8
	v_cmp_gt_u32_e32 vcc, s20, v4
	v_add_u32_e32 v2, v24, v2
	v_cmp_ne_u32_e64 s[12:13], 0, v9
	v_cmp_ne_u32_e64 s[10:11], 0, v10
	;; [unrolled: 1-line block ×7, first 2 shown]
	s_mov_b64 s[24:25], -1
	v_cmp_gt_i16_e64 s[20:21], 2, v3
	s_barrier
	s_cbranch_vccz .LBB324_116
; %bb.110:
	s_and_saveexec_b64 s[24:25], s[20:21]
	s_cbranch_execz .LBB324_115
; %bb.111:
	v_cmp_ne_u16_e32 vcc, 1, v3
	s_mov_b64 s[26:27], 0
	s_and_saveexec_b64 s[20:21], vcc
	s_xor_b64 s[20:21], exec, s[20:21]
	s_cbranch_execnz .LBB324_155
; %bb.112:
	s_andn2_saveexec_b64 s[20:21], s[20:21]
	s_cbranch_execnz .LBB324_166
.LBB324_113:
	s_or_b64 exec, exec, s[20:21]
	s_and_b64 exec, exec, s[26:27]
	s_cbranch_execz .LBB324_115
.LBB324_114:
	v_mov_b32_e32 v9, 0
	v_sub_u32_e32 v10, v30, v2
	v_mov_b32_e32 v11, v9
	v_lshlrev_b64 v[10:11], 3, v[10:11]
	v_add_co_u32_e32 v10, vcc, v6, v10
	v_mov_b32_e32 v8, v31
	v_addc_co_u32_e32 v11, vcc, v7, v11, vcc
	global_store_dwordx2 v[10:11], v[8:9], off
.LBB324_115:
	s_or_b64 exec, exec, s[24:25]
	s_mov_b64 s[24:25], 0
.LBB324_116:
	s_and_b64 vcc, exec, s[24:25]
	s_cbranch_vccz .LBB324_126
; %bb.117:
	v_cmp_gt_i16_e32 vcc, 2, v3
	s_and_saveexec_b64 s[20:21], vcc
	s_cbranch_execz .LBB324_122
; %bb.118:
	v_cmp_ne_u16_e32 vcc, 1, v3
	s_mov_b64 s[26:27], 0
	s_and_saveexec_b64 s[24:25], vcc
	s_xor_b64 s[24:25], exec, s[24:25]
	s_cbranch_execnz .LBB324_167
; %bb.119:
	s_andn2_saveexec_b64 s[0:1], s[24:25]
	s_cbranch_execnz .LBB324_178
.LBB324_120:
	s_or_b64 exec, exec, s[0:1]
	s_and_b64 exec, exec, s[26:27]
	s_cbranch_execz .LBB324_122
.LBB324_121:
	v_sub_u32_e32 v2, v30, v2
	v_lshlrev_b32_e32 v2, 2, v2
	ds_write_b32 v2, v31
.LBB324_122:
	s_or_b64 exec, exec, s[20:21]
	v_cmp_lt_u32_e32 vcc, v0, v4
	s_waitcnt lgkmcnt(0)
	s_barrier
	s_and_saveexec_b64 s[0:1], vcc
	s_cbranch_execz .LBB324_125
; %bb.123:
	v_lshlrev_b32_e32 v8, 2, v0
	s_mov_b64 s[2:3], 0
	v_mov_b32_e32 v3, 0
	v_mov_b32_e32 v2, v0
.LBB324_124:                            ; =>This Inner Loop Header: Depth=1
	ds_read_b32 v10, v8
	v_lshlrev_b64 v[12:13], 3, v[2:3]
	v_add_co_u32_e32 v12, vcc, v6, v12
	v_add_u32_e32 v2, 0x100, v2
	v_addc_co_u32_e32 v13, vcc, v7, v13, vcc
	v_cmp_ge_u32_e32 vcc, v2, v4
	v_mov_b32_e32 v11, v3
	v_add_u32_e32 v8, 0x400, v8
	s_or_b64 s[2:3], vcc, s[2:3]
	s_waitcnt lgkmcnt(0)
	global_store_dwordx2 v[12:13], v[10:11], off
	s_andn2_b64 exec, exec, s[2:3]
	s_cbranch_execnz .LBB324_124
.LBB324_125:
	s_or_b64 exec, exec, s[0:1]
.LBB324_126:
	s_movk_i32 s0, 0xff
	v_cmp_eq_u32_e32 vcc, s0, v0
	s_and_b64 s[0:1], vcc, s[22:23]
	s_and_saveexec_b64 s[2:3], s[0:1]
	s_cbranch_execz .LBB324_129
; %bb.127:
	v_add_co_u32_e32 v0, vcc, v22, v24
	v_addc_co_u32_e64 v3, s[0:1], 0, 0, vcc
	v_add_co_u32_e32 v2, vcc, v0, v48
	v_mov_b32_e32 v23, 0
	v_addc_co_u32_e32 v3, vcc, v3, v49, vcc
	s_cmpk_lg_i32 s33, 0xa00
	global_store_dwordx2 v23, v[2:3], s[36:37]
	s_cbranch_scc1 .LBB324_129
; %bb.128:
	v_lshlrev_b64 v[2:3], 3, v[22:23]
	v_add_co_u32_e32 v0, vcc, v1, v2
	v_mov_b32_e32 v27, v23
	v_addc_co_u32_e32 v1, vcc, v5, v3, vcc
	global_store_dwordx2 v[0:1], v[26:27], off offset:-8
.LBB324_129:
	s_endpgm
.LBB324_130:
	s_or_b64 exec, exec, s[10:11]
	v_mov_b32_e32 v62, s7
	s_and_saveexec_b64 s[8:9], s[2:3]
	s_cbranch_execnz .LBB324_46
	s_branch .LBB324_47
.LBB324_131:
	s_and_saveexec_b64 s[26:27], s[18:19]
	s_cbranch_execnz .LBB324_179
; %bb.132:
	s_or_b64 exec, exec, s[26:27]
	s_and_saveexec_b64 s[26:27], s[16:17]
	s_cbranch_execnz .LBB324_180
.LBB324_133:
	s_or_b64 exec, exec, s[26:27]
	s_and_saveexec_b64 s[26:27], s[14:15]
	s_cbranch_execnz .LBB324_181
.LBB324_134:
	s_or_b64 exec, exec, s[26:27]
	s_and_saveexec_b64 s[26:27], s[12:13]
	s_cbranch_execnz .LBB324_182
.LBB324_135:
	s_or_b64 exec, exec, s[26:27]
	s_and_saveexec_b64 s[26:27], s[10:11]
	s_cbranch_execnz .LBB324_183
.LBB324_136:
	s_or_b64 exec, exec, s[26:27]
	s_and_saveexec_b64 s[26:27], s[8:9]
	s_cbranch_execnz .LBB324_184
.LBB324_137:
	s_or_b64 exec, exec, s[26:27]
	s_and_saveexec_b64 s[26:27], s[6:7]
	s_cbranch_execnz .LBB324_185
.LBB324_138:
	s_or_b64 exec, exec, s[26:27]
	s_and_saveexec_b64 s[26:27], s[4:5]
	s_cbranch_execnz .LBB324_186
.LBB324_139:
	s_or_b64 exec, exec, s[26:27]
	s_and_saveexec_b64 s[26:27], s[2:3]
	s_cbranch_execz .LBB324_141
.LBB324_140:
	v_sub_u32_e32 v64, v28, v24
	v_mov_b32_e32 v65, 0
	v_lshlrev_b64 v[64:65], 3, v[64:65]
	v_add_co_u32_e32 v64, vcc, v23, v64
	v_addc_co_u32_e32 v65, vcc, v25, v65, vcc
	global_store_dwordx2 v[64:65], v[6:7], off
.LBB324_141:
	s_or_b64 exec, exec, s[26:27]
	s_and_b64 s[26:27], s[0:1], exec
	s_andn2_saveexec_b64 s[20:21], s[20:21]
	s_cbranch_execz .LBB324_96
.LBB324_142:
	v_sub_u32_e32 v64, v46, v24
	v_mov_b32_e32 v65, 0
	v_lshlrev_b64 v[66:67], 3, v[64:65]
	v_add_co_u32_e32 v66, vcc, v23, v66
	v_addc_co_u32_e32 v67, vcc, v25, v67, vcc
	v_sub_u32_e32 v64, v44, v24
	global_store_dwordx2 v[66:67], v[18:19], off
	v_lshlrev_b64 v[66:67], 3, v[64:65]
	v_add_co_u32_e32 v66, vcc, v23, v66
	v_addc_co_u32_e32 v67, vcc, v25, v67, vcc
	v_sub_u32_e32 v64, v42, v24
	global_store_dwordx2 v[66:67], v[20:21], off
	;; [unrolled: 5-line block ×7, first 2 shown]
	v_lshlrev_b64 v[66:67], 3, v[64:65]
	v_add_co_u32_e32 v66, vcc, v23, v66
	v_sub_u32_e32 v64, v28, v24
	v_addc_co_u32_e32 v67, vcc, v25, v67, vcc
	v_lshlrev_b64 v[64:65], 3, v[64:65]
	v_add_co_u32_e32 v64, vcc, v23, v64
	v_addc_co_u32_e32 v65, vcc, v25, v65, vcc
	s_or_b64 s[26:27], s[26:27], exec
	global_store_dwordx2 v[66:67], v[4:5], off
	global_store_dwordx2 v[64:65], v[6:7], off
	s_or_b64 exec, exec, s[20:21]
	s_and_b64 exec, exec, s[26:27]
	s_cbranch_execnz .LBB324_97
	s_branch .LBB324_98
.LBB324_143:
	s_and_saveexec_b64 s[26:27], s[18:19]
	s_cbranch_execnz .LBB324_187
; %bb.144:
	s_or_b64 exec, exec, s[26:27]
	s_and_saveexec_b64 s[18:19], s[16:17]
	s_cbranch_execnz .LBB324_188
.LBB324_145:
	s_or_b64 exec, exec, s[18:19]
	s_and_saveexec_b64 s[16:17], s[14:15]
	s_cbranch_execnz .LBB324_189
.LBB324_146:
	s_or_b64 exec, exec, s[16:17]
	s_and_saveexec_b64 s[14:15], s[12:13]
	s_cbranch_execnz .LBB324_190
.LBB324_147:
	s_or_b64 exec, exec, s[14:15]
	s_and_saveexec_b64 s[12:13], s[10:11]
	s_cbranch_execnz .LBB324_191
.LBB324_148:
	s_or_b64 exec, exec, s[12:13]
	s_and_saveexec_b64 s[10:11], s[8:9]
	s_cbranch_execnz .LBB324_192
.LBB324_149:
	s_or_b64 exec, exec, s[10:11]
	s_and_saveexec_b64 s[8:9], s[6:7]
	s_cbranch_execnz .LBB324_193
.LBB324_150:
	s_or_b64 exec, exec, s[8:9]
	s_and_saveexec_b64 s[6:7], s[4:5]
	s_cbranch_execnz .LBB324_194
.LBB324_151:
	s_or_b64 exec, exec, s[6:7]
	s_and_saveexec_b64 s[4:5], s[2:3]
	s_cbranch_execz .LBB324_153
.LBB324_152:
	v_sub_u32_e32 v2, v28, v24
	v_lshlrev_b32_e32 v2, 3, v2
	ds_write_b64 v2, v[6:7]
.LBB324_153:
	s_or_b64 exec, exec, s[4:5]
	s_and_b64 s[26:27], s[0:1], exec
                                        ; implicit-def: $vgpr4_vgpr5
                                        ; implicit-def: $vgpr12_vgpr13
                                        ; implicit-def: $vgpr16_vgpr17
                                        ; implicit-def: $vgpr20_vgpr21
	s_andn2_saveexec_b64 s[0:1], s[24:25]
	s_cbranch_execz .LBB324_103
.LBB324_154:
	v_sub_u32_e32 v27, v46, v24
	v_lshlrev_b32_e32 v27, 3, v27
	ds_write_b64 v27, v[18:19]
	v_sub_u32_e32 v18, v44, v24
	v_lshlrev_b32_e32 v18, 3, v18
	ds_write_b64 v18, v[20:21]
	;; [unrolled: 3-line block ×8, first 2 shown]
	v_sub_u32_e32 v2, v28, v24
	v_lshlrev_b32_e32 v2, 3, v2
	s_or_b64 s[26:27], s[26:27], exec
	ds_write_b64 v2, v[6:7]
	s_or_b64 exec, exec, s[0:1]
	s_and_b64 exec, exec, s[26:27]
	s_cbranch_execnz .LBB324_104
	s_branch .LBB324_105
.LBB324_155:
	s_and_saveexec_b64 s[26:27], s[18:19]
	s_cbranch_execnz .LBB324_195
; %bb.156:
	s_or_b64 exec, exec, s[26:27]
	s_and_saveexec_b64 s[26:27], s[16:17]
	s_cbranch_execnz .LBB324_196
.LBB324_157:
	s_or_b64 exec, exec, s[26:27]
	s_and_saveexec_b64 s[26:27], s[14:15]
	s_cbranch_execnz .LBB324_197
.LBB324_158:
	s_or_b64 exec, exec, s[26:27]
	s_and_saveexec_b64 s[26:27], s[12:13]
	s_cbranch_execnz .LBB324_198
.LBB324_159:
	s_or_b64 exec, exec, s[26:27]
	s_and_saveexec_b64 s[26:27], s[10:11]
	s_cbranch_execnz .LBB324_199
.LBB324_160:
	s_or_b64 exec, exec, s[26:27]
	s_and_saveexec_b64 s[26:27], s[8:9]
	s_cbranch_execnz .LBB324_200
.LBB324_161:
	s_or_b64 exec, exec, s[26:27]
	s_and_saveexec_b64 s[26:27], s[6:7]
	s_cbranch_execnz .LBB324_201
.LBB324_162:
	s_or_b64 exec, exec, s[26:27]
	s_and_saveexec_b64 s[26:27], s[4:5]
	s_cbranch_execnz .LBB324_202
.LBB324_163:
	s_or_b64 exec, exec, s[26:27]
	s_and_saveexec_b64 s[26:27], s[2:3]
	s_cbranch_execz .LBB324_165
.LBB324_164:
	v_sub_u32_e32 v8, v28, v2
	v_mov_b32_e32 v9, 0
	v_lshlrev_b64 v[10:11], 3, v[8:9]
	v_add_co_u32_e32 v10, vcc, v6, v10
	v_addc_co_u32_e32 v11, vcc, v7, v11, vcc
	v_mov_b32_e32 v8, v29
	global_store_dwordx2 v[10:11], v[8:9], off
.LBB324_165:
	s_or_b64 exec, exec, s[26:27]
	s_and_b64 s[26:27], s[0:1], exec
	s_andn2_saveexec_b64 s[20:21], s[20:21]
	s_cbranch_execz .LBB324_113
.LBB324_166:
	v_mov_b32_e32 v9, 0
	v_sub_u32_e32 v10, v46, v2
	v_mov_b32_e32 v11, v9
	v_lshlrev_b64 v[10:11], 3, v[10:11]
	v_add_co_u32_e32 v10, vcc, v6, v10
	v_mov_b32_e32 v8, v47
	v_addc_co_u32_e32 v11, vcc, v7, v11, vcc
	global_store_dwordx2 v[10:11], v[8:9], off
	v_sub_u32_e32 v10, v44, v2
	v_mov_b32_e32 v11, v9
	v_lshlrev_b64 v[10:11], 3, v[10:11]
	v_add_co_u32_e32 v10, vcc, v6, v10
	v_mov_b32_e32 v8, v45
	v_addc_co_u32_e32 v11, vcc, v7, v11, vcc
	global_store_dwordx2 v[10:11], v[8:9], off
	;; [unrolled: 7-line block ×8, first 2 shown]
	v_sub_u32_e32 v10, v28, v2
	v_mov_b32_e32 v11, v9
	v_lshlrev_b64 v[10:11], 3, v[10:11]
	v_add_co_u32_e32 v10, vcc, v6, v10
	v_mov_b32_e32 v8, v29
	v_addc_co_u32_e32 v11, vcc, v7, v11, vcc
	s_or_b64 s[26:27], s[26:27], exec
	global_store_dwordx2 v[10:11], v[8:9], off
	s_or_b64 exec, exec, s[20:21]
	s_and_b64 exec, exec, s[26:27]
	s_cbranch_execnz .LBB324_114
	s_branch .LBB324_115
.LBB324_167:
	s_and_saveexec_b64 s[26:27], s[18:19]
	s_cbranch_execnz .LBB324_203
; %bb.168:
	s_or_b64 exec, exec, s[26:27]
	s_and_saveexec_b64 s[18:19], s[16:17]
	s_cbranch_execnz .LBB324_204
.LBB324_169:
	s_or_b64 exec, exec, s[18:19]
	s_and_saveexec_b64 s[16:17], s[14:15]
	s_cbranch_execnz .LBB324_205
.LBB324_170:
	s_or_b64 exec, exec, s[16:17]
	s_and_saveexec_b64 s[14:15], s[12:13]
	s_cbranch_execnz .LBB324_206
.LBB324_171:
	s_or_b64 exec, exec, s[14:15]
	s_and_saveexec_b64 s[12:13], s[10:11]
	s_cbranch_execnz .LBB324_207
.LBB324_172:
	s_or_b64 exec, exec, s[12:13]
	s_and_saveexec_b64 s[10:11], s[8:9]
	s_cbranch_execnz .LBB324_208
.LBB324_173:
	s_or_b64 exec, exec, s[10:11]
	s_and_saveexec_b64 s[8:9], s[6:7]
	s_cbranch_execnz .LBB324_209
.LBB324_174:
	s_or_b64 exec, exec, s[8:9]
	s_and_saveexec_b64 s[6:7], s[4:5]
	s_cbranch_execnz .LBB324_210
.LBB324_175:
	s_or_b64 exec, exec, s[6:7]
	s_and_saveexec_b64 s[4:5], s[2:3]
	s_cbranch_execz .LBB324_177
.LBB324_176:
	v_sub_u32_e32 v3, v28, v2
	v_lshlrev_b32_e32 v3, 2, v3
	ds_write_b32 v3, v29
.LBB324_177:
	s_or_b64 exec, exec, s[4:5]
	s_and_b64 s[26:27], s[0:1], exec
                                        ; implicit-def: $vgpr28_vgpr29
                                        ; implicit-def: $vgpr32_vgpr33
                                        ; implicit-def: $vgpr34_vgpr35
                                        ; implicit-def: $vgpr46_vgpr47
                                        ; implicit-def: $vgpr44_vgpr45
                                        ; implicit-def: $vgpr42_vgpr43
                                        ; implicit-def: $vgpr40_vgpr41
                                        ; implicit-def: $vgpr38_vgpr39
                                        ; implicit-def: $vgpr36_vgpr37
	s_andn2_saveexec_b64 s[0:1], s[24:25]
	s_cbranch_execz .LBB324_120
.LBB324_178:
	v_sub_u32_e32 v3, v46, v2
	v_lshlrev_b32_e32 v3, 2, v3
	ds_write_b32 v3, v47
	v_sub_u32_e32 v3, v44, v2
	v_lshlrev_b32_e32 v3, 2, v3
	ds_write_b32 v3, v45
	v_sub_u32_e32 v3, v42, v2
	v_lshlrev_b32_e32 v3, 2, v3
	ds_write_b32 v3, v43
	v_sub_u32_e32 v3, v40, v2
	v_lshlrev_b32_e32 v3, 2, v3
	ds_write_b32 v3, v41
	v_sub_u32_e32 v3, v38, v2
	v_lshlrev_b32_e32 v3, 2, v3
	ds_write_b32 v3, v39
	v_sub_u32_e32 v3, v36, v2
	v_lshlrev_b32_e32 v3, 2, v3
	ds_write_b32 v3, v37
	v_sub_u32_e32 v3, v34, v2
	v_lshlrev_b32_e32 v3, 2, v3
	ds_write_b32 v3, v35
	v_sub_u32_e32 v3, v32, v2
	v_lshlrev_b32_e32 v3, 2, v3
	ds_write_b32 v3, v33
	v_sub_u32_e32 v3, v28, v2
	v_lshlrev_b32_e32 v3, 2, v3
	s_or_b64 s[26:27], s[26:27], exec
	ds_write_b32 v3, v29
	s_or_b64 exec, exec, s[0:1]
	s_and_b64 exec, exec, s[26:27]
	s_cbranch_execnz .LBB324_121
	s_branch .LBB324_122
.LBB324_179:
	v_sub_u32_e32 v64, v46, v24
	v_mov_b32_e32 v65, 0
	v_lshlrev_b64 v[64:65], 3, v[64:65]
	v_add_co_u32_e32 v64, vcc, v23, v64
	v_addc_co_u32_e32 v65, vcc, v25, v65, vcc
	global_store_dwordx2 v[64:65], v[18:19], off
	s_or_b64 exec, exec, s[26:27]
	s_and_saveexec_b64 s[26:27], s[16:17]
	s_cbranch_execz .LBB324_133
.LBB324_180:
	v_sub_u32_e32 v64, v44, v24
	v_mov_b32_e32 v65, 0
	v_lshlrev_b64 v[64:65], 3, v[64:65]
	v_add_co_u32_e32 v64, vcc, v23, v64
	v_addc_co_u32_e32 v65, vcc, v25, v65, vcc
	global_store_dwordx2 v[64:65], v[20:21], off
	s_or_b64 exec, exec, s[26:27]
	s_and_saveexec_b64 s[26:27], s[14:15]
	s_cbranch_execz .LBB324_134
.LBB324_181:
	v_sub_u32_e32 v64, v42, v24
	v_mov_b32_e32 v65, 0
	v_lshlrev_b64 v[64:65], 3, v[64:65]
	v_add_co_u32_e32 v64, vcc, v23, v64
	v_addc_co_u32_e32 v65, vcc, v25, v65, vcc
	global_store_dwordx2 v[64:65], v[14:15], off
	s_or_b64 exec, exec, s[26:27]
	s_and_saveexec_b64 s[26:27], s[12:13]
	s_cbranch_execz .LBB324_135
.LBB324_182:
	v_sub_u32_e32 v64, v40, v24
	v_mov_b32_e32 v65, 0
	v_lshlrev_b64 v[64:65], 3, v[64:65]
	v_add_co_u32_e32 v64, vcc, v23, v64
	v_addc_co_u32_e32 v65, vcc, v25, v65, vcc
	global_store_dwordx2 v[64:65], v[16:17], off
	s_or_b64 exec, exec, s[26:27]
	s_and_saveexec_b64 s[26:27], s[10:11]
	s_cbranch_execz .LBB324_136
.LBB324_183:
	v_sub_u32_e32 v64, v38, v24
	v_mov_b32_e32 v65, 0
	v_lshlrev_b64 v[64:65], 3, v[64:65]
	v_add_co_u32_e32 v64, vcc, v23, v64
	v_addc_co_u32_e32 v65, vcc, v25, v65, vcc
	global_store_dwordx2 v[64:65], v[10:11], off
	s_or_b64 exec, exec, s[26:27]
	s_and_saveexec_b64 s[26:27], s[8:9]
	s_cbranch_execz .LBB324_137
.LBB324_184:
	v_sub_u32_e32 v64, v36, v24
	v_mov_b32_e32 v65, 0
	v_lshlrev_b64 v[64:65], 3, v[64:65]
	v_add_co_u32_e32 v64, vcc, v23, v64
	v_addc_co_u32_e32 v65, vcc, v25, v65, vcc
	global_store_dwordx2 v[64:65], v[12:13], off
	s_or_b64 exec, exec, s[26:27]
	s_and_saveexec_b64 s[26:27], s[6:7]
	s_cbranch_execz .LBB324_138
.LBB324_185:
	v_sub_u32_e32 v64, v34, v24
	v_mov_b32_e32 v65, 0
	v_lshlrev_b64 v[64:65], 3, v[64:65]
	v_add_co_u32_e32 v64, vcc, v23, v64
	v_addc_co_u32_e32 v65, vcc, v25, v65, vcc
	global_store_dwordx2 v[64:65], v[2:3], off
	s_or_b64 exec, exec, s[26:27]
	s_and_saveexec_b64 s[26:27], s[4:5]
	s_cbranch_execz .LBB324_139
.LBB324_186:
	v_sub_u32_e32 v64, v32, v24
	v_mov_b32_e32 v65, 0
	v_lshlrev_b64 v[64:65], 3, v[64:65]
	v_add_co_u32_e32 v64, vcc, v23, v64
	v_addc_co_u32_e32 v65, vcc, v25, v65, vcc
	global_store_dwordx2 v[64:65], v[4:5], off
	s_or_b64 exec, exec, s[26:27]
	s_and_saveexec_b64 s[26:27], s[2:3]
	s_cbranch_execnz .LBB324_140
	s_branch .LBB324_141
.LBB324_187:
	v_sub_u32_e32 v27, v46, v24
	v_lshlrev_b32_e32 v27, 3, v27
	ds_write_b64 v27, v[18:19]
	s_or_b64 exec, exec, s[26:27]
	s_and_saveexec_b64 s[18:19], s[16:17]
	s_cbranch_execz .LBB324_145
.LBB324_188:
	v_sub_u32_e32 v18, v44, v24
	v_lshlrev_b32_e32 v18, 3, v18
	ds_write_b64 v18, v[20:21]
	s_or_b64 exec, exec, s[18:19]
	s_and_saveexec_b64 s[16:17], s[14:15]
	s_cbranch_execz .LBB324_146
.LBB324_189:
	v_sub_u32_e32 v18, v42, v24
	v_lshlrev_b32_e32 v18, 3, v18
	ds_write_b64 v18, v[14:15]
	s_or_b64 exec, exec, s[16:17]
	s_and_saveexec_b64 s[14:15], s[12:13]
	s_cbranch_execz .LBB324_147
.LBB324_190:
	v_sub_u32_e32 v14, v40, v24
	v_lshlrev_b32_e32 v14, 3, v14
	ds_write_b64 v14, v[16:17]
	s_or_b64 exec, exec, s[14:15]
	s_and_saveexec_b64 s[12:13], s[10:11]
	s_cbranch_execz .LBB324_148
.LBB324_191:
	v_sub_u32_e32 v14, v38, v24
	v_lshlrev_b32_e32 v14, 3, v14
	ds_write_b64 v14, v[10:11]
	s_or_b64 exec, exec, s[12:13]
	s_and_saveexec_b64 s[10:11], s[8:9]
	s_cbranch_execz .LBB324_149
.LBB324_192:
	v_sub_u32_e32 v10, v36, v24
	v_lshlrev_b32_e32 v10, 3, v10
	ds_write_b64 v10, v[12:13]
	s_or_b64 exec, exec, s[10:11]
	s_and_saveexec_b64 s[8:9], s[6:7]
	s_cbranch_execz .LBB324_150
.LBB324_193:
	v_sub_u32_e32 v10, v34, v24
	v_lshlrev_b32_e32 v10, 3, v10
	ds_write_b64 v10, v[2:3]
	s_or_b64 exec, exec, s[8:9]
	s_and_saveexec_b64 s[6:7], s[4:5]
	s_cbranch_execz .LBB324_151
.LBB324_194:
	v_sub_u32_e32 v2, v32, v24
	v_lshlrev_b32_e32 v2, 3, v2
	ds_write_b64 v2, v[4:5]
	s_or_b64 exec, exec, s[6:7]
	s_and_saveexec_b64 s[4:5], s[2:3]
	s_cbranch_execnz .LBB324_152
	s_branch .LBB324_153
.LBB324_195:
	v_sub_u32_e32 v8, v46, v2
	v_mov_b32_e32 v9, 0
	v_lshlrev_b64 v[10:11], 3, v[8:9]
	v_add_co_u32_e32 v10, vcc, v6, v10
	v_addc_co_u32_e32 v11, vcc, v7, v11, vcc
	v_mov_b32_e32 v8, v47
	global_store_dwordx2 v[10:11], v[8:9], off
	s_or_b64 exec, exec, s[26:27]
	s_and_saveexec_b64 s[26:27], s[16:17]
	s_cbranch_execz .LBB324_157
.LBB324_196:
	v_sub_u32_e32 v8, v44, v2
	v_mov_b32_e32 v9, 0
	v_lshlrev_b64 v[10:11], 3, v[8:9]
	v_add_co_u32_e32 v10, vcc, v6, v10
	v_addc_co_u32_e32 v11, vcc, v7, v11, vcc
	v_mov_b32_e32 v8, v45
	global_store_dwordx2 v[10:11], v[8:9], off
	s_or_b64 exec, exec, s[26:27]
	s_and_saveexec_b64 s[26:27], s[14:15]
	s_cbranch_execz .LBB324_158
.LBB324_197:
	v_sub_u32_e32 v8, v42, v2
	v_mov_b32_e32 v9, 0
	v_lshlrev_b64 v[10:11], 3, v[8:9]
	v_add_co_u32_e32 v10, vcc, v6, v10
	v_addc_co_u32_e32 v11, vcc, v7, v11, vcc
	v_mov_b32_e32 v8, v43
	global_store_dwordx2 v[10:11], v[8:9], off
	s_or_b64 exec, exec, s[26:27]
	s_and_saveexec_b64 s[26:27], s[12:13]
	s_cbranch_execz .LBB324_159
.LBB324_198:
	v_sub_u32_e32 v8, v40, v2
	v_mov_b32_e32 v9, 0
	v_lshlrev_b64 v[10:11], 3, v[8:9]
	v_add_co_u32_e32 v10, vcc, v6, v10
	v_addc_co_u32_e32 v11, vcc, v7, v11, vcc
	v_mov_b32_e32 v8, v41
	global_store_dwordx2 v[10:11], v[8:9], off
	s_or_b64 exec, exec, s[26:27]
	s_and_saveexec_b64 s[26:27], s[10:11]
	s_cbranch_execz .LBB324_160
.LBB324_199:
	v_sub_u32_e32 v8, v38, v2
	v_mov_b32_e32 v9, 0
	v_lshlrev_b64 v[10:11], 3, v[8:9]
	v_add_co_u32_e32 v10, vcc, v6, v10
	v_addc_co_u32_e32 v11, vcc, v7, v11, vcc
	v_mov_b32_e32 v8, v39
	global_store_dwordx2 v[10:11], v[8:9], off
	s_or_b64 exec, exec, s[26:27]
	s_and_saveexec_b64 s[26:27], s[8:9]
	s_cbranch_execz .LBB324_161
.LBB324_200:
	v_sub_u32_e32 v8, v36, v2
	v_mov_b32_e32 v9, 0
	v_lshlrev_b64 v[10:11], 3, v[8:9]
	v_add_co_u32_e32 v10, vcc, v6, v10
	v_addc_co_u32_e32 v11, vcc, v7, v11, vcc
	v_mov_b32_e32 v8, v37
	global_store_dwordx2 v[10:11], v[8:9], off
	s_or_b64 exec, exec, s[26:27]
	s_and_saveexec_b64 s[26:27], s[6:7]
	s_cbranch_execz .LBB324_162
.LBB324_201:
	v_sub_u32_e32 v8, v34, v2
	v_mov_b32_e32 v9, 0
	v_lshlrev_b64 v[10:11], 3, v[8:9]
	v_add_co_u32_e32 v10, vcc, v6, v10
	v_addc_co_u32_e32 v11, vcc, v7, v11, vcc
	v_mov_b32_e32 v8, v35
	global_store_dwordx2 v[10:11], v[8:9], off
	s_or_b64 exec, exec, s[26:27]
	s_and_saveexec_b64 s[26:27], s[4:5]
	s_cbranch_execz .LBB324_163
.LBB324_202:
	v_sub_u32_e32 v8, v32, v2
	v_mov_b32_e32 v9, 0
	v_lshlrev_b64 v[10:11], 3, v[8:9]
	v_add_co_u32_e32 v10, vcc, v6, v10
	v_addc_co_u32_e32 v11, vcc, v7, v11, vcc
	v_mov_b32_e32 v8, v33
	global_store_dwordx2 v[10:11], v[8:9], off
	s_or_b64 exec, exec, s[26:27]
	s_and_saveexec_b64 s[26:27], s[2:3]
	s_cbranch_execnz .LBB324_164
	s_branch .LBB324_165
.LBB324_203:
	v_sub_u32_e32 v3, v46, v2
	v_lshlrev_b32_e32 v3, 2, v3
	ds_write_b32 v3, v47
	s_or_b64 exec, exec, s[26:27]
	s_and_saveexec_b64 s[18:19], s[16:17]
	s_cbranch_execz .LBB324_169
.LBB324_204:
	v_sub_u32_e32 v3, v44, v2
	v_lshlrev_b32_e32 v3, 2, v3
	ds_write_b32 v3, v45
	s_or_b64 exec, exec, s[18:19]
	s_and_saveexec_b64 s[16:17], s[14:15]
	s_cbranch_execz .LBB324_170
.LBB324_205:
	v_sub_u32_e32 v3, v42, v2
	v_lshlrev_b32_e32 v3, 2, v3
	ds_write_b32 v3, v43
	s_or_b64 exec, exec, s[16:17]
	s_and_saveexec_b64 s[14:15], s[12:13]
	s_cbranch_execz .LBB324_171
.LBB324_206:
	v_sub_u32_e32 v3, v40, v2
	v_lshlrev_b32_e32 v3, 2, v3
	ds_write_b32 v3, v41
	s_or_b64 exec, exec, s[14:15]
	s_and_saveexec_b64 s[12:13], s[10:11]
	s_cbranch_execz .LBB324_172
.LBB324_207:
	v_sub_u32_e32 v3, v38, v2
	v_lshlrev_b32_e32 v3, 2, v3
	ds_write_b32 v3, v39
	s_or_b64 exec, exec, s[12:13]
	s_and_saveexec_b64 s[10:11], s[8:9]
	s_cbranch_execz .LBB324_173
.LBB324_208:
	v_sub_u32_e32 v3, v36, v2
	v_lshlrev_b32_e32 v3, 2, v3
	ds_write_b32 v3, v37
	s_or_b64 exec, exec, s[10:11]
	s_and_saveexec_b64 s[8:9], s[6:7]
	s_cbranch_execz .LBB324_174
.LBB324_209:
	v_sub_u32_e32 v3, v34, v2
	v_lshlrev_b32_e32 v3, 2, v3
	ds_write_b32 v3, v35
	s_or_b64 exec, exec, s[8:9]
	s_and_saveexec_b64 s[6:7], s[4:5]
	s_cbranch_execz .LBB324_175
.LBB324_210:
	v_sub_u32_e32 v3, v32, v2
	v_lshlrev_b32_e32 v3, 2, v3
	ds_write_b32 v3, v33
	s_or_b64 exec, exec, s[6:7]
	s_and_saveexec_b64 s[4:5], s[2:3]
	s_cbranch_execnz .LBB324_176
	s_branch .LBB324_177
	.section	.rodata,"a",@progbits
	.p2align	6, 0x0
	.amdhsa_kernel _ZN7rocprim17ROCPRIM_400000_NS6detail17trampoline_kernelINS0_14default_configENS1_33run_length_encode_config_selectorIdjNS0_4plusIjEEEEZZNS1_33reduce_by_key_impl_wrapped_configILNS1_25lookback_scan_determinismE0ES3_S7_PKdNS0_17constant_iteratorIjlEEPdPlSF_S6_NS0_8equal_toIdEEEE10hipError_tPvRmT2_T3_mT4_T5_T6_T7_T8_P12ihipStream_tbENKUlT_T0_E_clISt17integral_constantIbLb1EESY_IbLb0EEEEDaSU_SV_EUlSU_E_NS1_11comp_targetILNS1_3genE4ELNS1_11target_archE910ELNS1_3gpuE8ELNS1_3repE0EEENS1_30default_config_static_selectorELNS0_4arch9wavefront6targetE1EEEvT1_
		.amdhsa_group_segment_fixed_size 20480
		.amdhsa_private_segment_fixed_size 0
		.amdhsa_kernarg_size 128
		.amdhsa_user_sgpr_count 6
		.amdhsa_user_sgpr_private_segment_buffer 1
		.amdhsa_user_sgpr_dispatch_ptr 0
		.amdhsa_user_sgpr_queue_ptr 0
		.amdhsa_user_sgpr_kernarg_segment_ptr 1
		.amdhsa_user_sgpr_dispatch_id 0
		.amdhsa_user_sgpr_flat_scratch_init 0
		.amdhsa_user_sgpr_kernarg_preload_length 0
		.amdhsa_user_sgpr_kernarg_preload_offset 0
		.amdhsa_user_sgpr_private_segment_size 0
		.amdhsa_uses_dynamic_stack 0
		.amdhsa_system_sgpr_private_segment_wavefront_offset 0
		.amdhsa_system_sgpr_workgroup_id_x 1
		.amdhsa_system_sgpr_workgroup_id_y 0
		.amdhsa_system_sgpr_workgroup_id_z 0
		.amdhsa_system_sgpr_workgroup_info 0
		.amdhsa_system_vgpr_workitem_id 0
		.amdhsa_next_free_vgpr 68
		.amdhsa_next_free_sgpr 54
		.amdhsa_accum_offset 68
		.amdhsa_reserve_vcc 1
		.amdhsa_reserve_flat_scratch 0
		.amdhsa_float_round_mode_32 0
		.amdhsa_float_round_mode_16_64 0
		.amdhsa_float_denorm_mode_32 3
		.amdhsa_float_denorm_mode_16_64 3
		.amdhsa_dx10_clamp 1
		.amdhsa_ieee_mode 1
		.amdhsa_fp16_overflow 0
		.amdhsa_tg_split 0
		.amdhsa_exception_fp_ieee_invalid_op 0
		.amdhsa_exception_fp_denorm_src 0
		.amdhsa_exception_fp_ieee_div_zero 0
		.amdhsa_exception_fp_ieee_overflow 0
		.amdhsa_exception_fp_ieee_underflow 0
		.amdhsa_exception_fp_ieee_inexact 0
		.amdhsa_exception_int_div_zero 0
	.end_amdhsa_kernel
	.section	.text._ZN7rocprim17ROCPRIM_400000_NS6detail17trampoline_kernelINS0_14default_configENS1_33run_length_encode_config_selectorIdjNS0_4plusIjEEEEZZNS1_33reduce_by_key_impl_wrapped_configILNS1_25lookback_scan_determinismE0ES3_S7_PKdNS0_17constant_iteratorIjlEEPdPlSF_S6_NS0_8equal_toIdEEEE10hipError_tPvRmT2_T3_mT4_T5_T6_T7_T8_P12ihipStream_tbENKUlT_T0_E_clISt17integral_constantIbLb1EESY_IbLb0EEEEDaSU_SV_EUlSU_E_NS1_11comp_targetILNS1_3genE4ELNS1_11target_archE910ELNS1_3gpuE8ELNS1_3repE0EEENS1_30default_config_static_selectorELNS0_4arch9wavefront6targetE1EEEvT1_,"axG",@progbits,_ZN7rocprim17ROCPRIM_400000_NS6detail17trampoline_kernelINS0_14default_configENS1_33run_length_encode_config_selectorIdjNS0_4plusIjEEEEZZNS1_33reduce_by_key_impl_wrapped_configILNS1_25lookback_scan_determinismE0ES3_S7_PKdNS0_17constant_iteratorIjlEEPdPlSF_S6_NS0_8equal_toIdEEEE10hipError_tPvRmT2_T3_mT4_T5_T6_T7_T8_P12ihipStream_tbENKUlT_T0_E_clISt17integral_constantIbLb1EESY_IbLb0EEEEDaSU_SV_EUlSU_E_NS1_11comp_targetILNS1_3genE4ELNS1_11target_archE910ELNS1_3gpuE8ELNS1_3repE0EEENS1_30default_config_static_selectorELNS0_4arch9wavefront6targetE1EEEvT1_,comdat
.Lfunc_end324:
	.size	_ZN7rocprim17ROCPRIM_400000_NS6detail17trampoline_kernelINS0_14default_configENS1_33run_length_encode_config_selectorIdjNS0_4plusIjEEEEZZNS1_33reduce_by_key_impl_wrapped_configILNS1_25lookback_scan_determinismE0ES3_S7_PKdNS0_17constant_iteratorIjlEEPdPlSF_S6_NS0_8equal_toIdEEEE10hipError_tPvRmT2_T3_mT4_T5_T6_T7_T8_P12ihipStream_tbENKUlT_T0_E_clISt17integral_constantIbLb1EESY_IbLb0EEEEDaSU_SV_EUlSU_E_NS1_11comp_targetILNS1_3genE4ELNS1_11target_archE910ELNS1_3gpuE8ELNS1_3repE0EEENS1_30default_config_static_selectorELNS0_4arch9wavefront6targetE1EEEvT1_, .Lfunc_end324-_ZN7rocprim17ROCPRIM_400000_NS6detail17trampoline_kernelINS0_14default_configENS1_33run_length_encode_config_selectorIdjNS0_4plusIjEEEEZZNS1_33reduce_by_key_impl_wrapped_configILNS1_25lookback_scan_determinismE0ES3_S7_PKdNS0_17constant_iteratorIjlEEPdPlSF_S6_NS0_8equal_toIdEEEE10hipError_tPvRmT2_T3_mT4_T5_T6_T7_T8_P12ihipStream_tbENKUlT_T0_E_clISt17integral_constantIbLb1EESY_IbLb0EEEEDaSU_SV_EUlSU_E_NS1_11comp_targetILNS1_3genE4ELNS1_11target_archE910ELNS1_3gpuE8ELNS1_3repE0EEENS1_30default_config_static_selectorELNS0_4arch9wavefront6targetE1EEEvT1_
                                        ; -- End function
	.section	.AMDGPU.csdata,"",@progbits
; Kernel info:
; codeLenInByte = 10976
; NumSgprs: 58
; NumVgprs: 68
; NumAgprs: 0
; TotalNumVgprs: 68
; ScratchSize: 0
; MemoryBound: 0
; FloatMode: 240
; IeeeMode: 1
; LDSByteSize: 20480 bytes/workgroup (compile time only)
; SGPRBlocks: 7
; VGPRBlocks: 8
; NumSGPRsForWavesPerEU: 58
; NumVGPRsForWavesPerEU: 68
; AccumOffset: 68
; Occupancy: 3
; WaveLimiterHint : 1
; COMPUTE_PGM_RSRC2:SCRATCH_EN: 0
; COMPUTE_PGM_RSRC2:USER_SGPR: 6
; COMPUTE_PGM_RSRC2:TRAP_HANDLER: 0
; COMPUTE_PGM_RSRC2:TGID_X_EN: 1
; COMPUTE_PGM_RSRC2:TGID_Y_EN: 0
; COMPUTE_PGM_RSRC2:TGID_Z_EN: 0
; COMPUTE_PGM_RSRC2:TIDIG_COMP_CNT: 0
; COMPUTE_PGM_RSRC3_GFX90A:ACCUM_OFFSET: 16
; COMPUTE_PGM_RSRC3_GFX90A:TG_SPLIT: 0
	.section	.text._ZN7rocprim17ROCPRIM_400000_NS6detail17trampoline_kernelINS0_14default_configENS1_33run_length_encode_config_selectorIdjNS0_4plusIjEEEEZZNS1_33reduce_by_key_impl_wrapped_configILNS1_25lookback_scan_determinismE0ES3_S7_PKdNS0_17constant_iteratorIjlEEPdPlSF_S6_NS0_8equal_toIdEEEE10hipError_tPvRmT2_T3_mT4_T5_T6_T7_T8_P12ihipStream_tbENKUlT_T0_E_clISt17integral_constantIbLb1EESY_IbLb0EEEEDaSU_SV_EUlSU_E_NS1_11comp_targetILNS1_3genE3ELNS1_11target_archE908ELNS1_3gpuE7ELNS1_3repE0EEENS1_30default_config_static_selectorELNS0_4arch9wavefront6targetE1EEEvT1_,"axG",@progbits,_ZN7rocprim17ROCPRIM_400000_NS6detail17trampoline_kernelINS0_14default_configENS1_33run_length_encode_config_selectorIdjNS0_4plusIjEEEEZZNS1_33reduce_by_key_impl_wrapped_configILNS1_25lookback_scan_determinismE0ES3_S7_PKdNS0_17constant_iteratorIjlEEPdPlSF_S6_NS0_8equal_toIdEEEE10hipError_tPvRmT2_T3_mT4_T5_T6_T7_T8_P12ihipStream_tbENKUlT_T0_E_clISt17integral_constantIbLb1EESY_IbLb0EEEEDaSU_SV_EUlSU_E_NS1_11comp_targetILNS1_3genE3ELNS1_11target_archE908ELNS1_3gpuE7ELNS1_3repE0EEENS1_30default_config_static_selectorELNS0_4arch9wavefront6targetE1EEEvT1_,comdat
	.protected	_ZN7rocprim17ROCPRIM_400000_NS6detail17trampoline_kernelINS0_14default_configENS1_33run_length_encode_config_selectorIdjNS0_4plusIjEEEEZZNS1_33reduce_by_key_impl_wrapped_configILNS1_25lookback_scan_determinismE0ES3_S7_PKdNS0_17constant_iteratorIjlEEPdPlSF_S6_NS0_8equal_toIdEEEE10hipError_tPvRmT2_T3_mT4_T5_T6_T7_T8_P12ihipStream_tbENKUlT_T0_E_clISt17integral_constantIbLb1EESY_IbLb0EEEEDaSU_SV_EUlSU_E_NS1_11comp_targetILNS1_3genE3ELNS1_11target_archE908ELNS1_3gpuE7ELNS1_3repE0EEENS1_30default_config_static_selectorELNS0_4arch9wavefront6targetE1EEEvT1_ ; -- Begin function _ZN7rocprim17ROCPRIM_400000_NS6detail17trampoline_kernelINS0_14default_configENS1_33run_length_encode_config_selectorIdjNS0_4plusIjEEEEZZNS1_33reduce_by_key_impl_wrapped_configILNS1_25lookback_scan_determinismE0ES3_S7_PKdNS0_17constant_iteratorIjlEEPdPlSF_S6_NS0_8equal_toIdEEEE10hipError_tPvRmT2_T3_mT4_T5_T6_T7_T8_P12ihipStream_tbENKUlT_T0_E_clISt17integral_constantIbLb1EESY_IbLb0EEEEDaSU_SV_EUlSU_E_NS1_11comp_targetILNS1_3genE3ELNS1_11target_archE908ELNS1_3gpuE7ELNS1_3repE0EEENS1_30default_config_static_selectorELNS0_4arch9wavefront6targetE1EEEvT1_
	.globl	_ZN7rocprim17ROCPRIM_400000_NS6detail17trampoline_kernelINS0_14default_configENS1_33run_length_encode_config_selectorIdjNS0_4plusIjEEEEZZNS1_33reduce_by_key_impl_wrapped_configILNS1_25lookback_scan_determinismE0ES3_S7_PKdNS0_17constant_iteratorIjlEEPdPlSF_S6_NS0_8equal_toIdEEEE10hipError_tPvRmT2_T3_mT4_T5_T6_T7_T8_P12ihipStream_tbENKUlT_T0_E_clISt17integral_constantIbLb1EESY_IbLb0EEEEDaSU_SV_EUlSU_E_NS1_11comp_targetILNS1_3genE3ELNS1_11target_archE908ELNS1_3gpuE7ELNS1_3repE0EEENS1_30default_config_static_selectorELNS0_4arch9wavefront6targetE1EEEvT1_
	.p2align	8
	.type	_ZN7rocprim17ROCPRIM_400000_NS6detail17trampoline_kernelINS0_14default_configENS1_33run_length_encode_config_selectorIdjNS0_4plusIjEEEEZZNS1_33reduce_by_key_impl_wrapped_configILNS1_25lookback_scan_determinismE0ES3_S7_PKdNS0_17constant_iteratorIjlEEPdPlSF_S6_NS0_8equal_toIdEEEE10hipError_tPvRmT2_T3_mT4_T5_T6_T7_T8_P12ihipStream_tbENKUlT_T0_E_clISt17integral_constantIbLb1EESY_IbLb0EEEEDaSU_SV_EUlSU_E_NS1_11comp_targetILNS1_3genE3ELNS1_11target_archE908ELNS1_3gpuE7ELNS1_3repE0EEENS1_30default_config_static_selectorELNS0_4arch9wavefront6targetE1EEEvT1_,@function
_ZN7rocprim17ROCPRIM_400000_NS6detail17trampoline_kernelINS0_14default_configENS1_33run_length_encode_config_selectorIdjNS0_4plusIjEEEEZZNS1_33reduce_by_key_impl_wrapped_configILNS1_25lookback_scan_determinismE0ES3_S7_PKdNS0_17constant_iteratorIjlEEPdPlSF_S6_NS0_8equal_toIdEEEE10hipError_tPvRmT2_T3_mT4_T5_T6_T7_T8_P12ihipStream_tbENKUlT_T0_E_clISt17integral_constantIbLb1EESY_IbLb0EEEEDaSU_SV_EUlSU_E_NS1_11comp_targetILNS1_3genE3ELNS1_11target_archE908ELNS1_3gpuE7ELNS1_3repE0EEENS1_30default_config_static_selectorELNS0_4arch9wavefront6targetE1EEEvT1_: ; @_ZN7rocprim17ROCPRIM_400000_NS6detail17trampoline_kernelINS0_14default_configENS1_33run_length_encode_config_selectorIdjNS0_4plusIjEEEEZZNS1_33reduce_by_key_impl_wrapped_configILNS1_25lookback_scan_determinismE0ES3_S7_PKdNS0_17constant_iteratorIjlEEPdPlSF_S6_NS0_8equal_toIdEEEE10hipError_tPvRmT2_T3_mT4_T5_T6_T7_T8_P12ihipStream_tbENKUlT_T0_E_clISt17integral_constantIbLb1EESY_IbLb0EEEEDaSU_SV_EUlSU_E_NS1_11comp_targetILNS1_3genE3ELNS1_11target_archE908ELNS1_3gpuE7ELNS1_3repE0EEENS1_30default_config_static_selectorELNS0_4arch9wavefront6targetE1EEEvT1_
; %bb.0:
	.section	.rodata,"a",@progbits
	.p2align	6, 0x0
	.amdhsa_kernel _ZN7rocprim17ROCPRIM_400000_NS6detail17trampoline_kernelINS0_14default_configENS1_33run_length_encode_config_selectorIdjNS0_4plusIjEEEEZZNS1_33reduce_by_key_impl_wrapped_configILNS1_25lookback_scan_determinismE0ES3_S7_PKdNS0_17constant_iteratorIjlEEPdPlSF_S6_NS0_8equal_toIdEEEE10hipError_tPvRmT2_T3_mT4_T5_T6_T7_T8_P12ihipStream_tbENKUlT_T0_E_clISt17integral_constantIbLb1EESY_IbLb0EEEEDaSU_SV_EUlSU_E_NS1_11comp_targetILNS1_3genE3ELNS1_11target_archE908ELNS1_3gpuE7ELNS1_3repE0EEENS1_30default_config_static_selectorELNS0_4arch9wavefront6targetE1EEEvT1_
		.amdhsa_group_segment_fixed_size 0
		.amdhsa_private_segment_fixed_size 0
		.amdhsa_kernarg_size 128
		.amdhsa_user_sgpr_count 6
		.amdhsa_user_sgpr_private_segment_buffer 1
		.amdhsa_user_sgpr_dispatch_ptr 0
		.amdhsa_user_sgpr_queue_ptr 0
		.amdhsa_user_sgpr_kernarg_segment_ptr 1
		.amdhsa_user_sgpr_dispatch_id 0
		.amdhsa_user_sgpr_flat_scratch_init 0
		.amdhsa_user_sgpr_kernarg_preload_length 0
		.amdhsa_user_sgpr_kernarg_preload_offset 0
		.amdhsa_user_sgpr_private_segment_size 0
		.amdhsa_uses_dynamic_stack 0
		.amdhsa_system_sgpr_private_segment_wavefront_offset 0
		.amdhsa_system_sgpr_workgroup_id_x 1
		.amdhsa_system_sgpr_workgroup_id_y 0
		.amdhsa_system_sgpr_workgroup_id_z 0
		.amdhsa_system_sgpr_workgroup_info 0
		.amdhsa_system_vgpr_workitem_id 0
		.amdhsa_next_free_vgpr 1
		.amdhsa_next_free_sgpr 0
		.amdhsa_accum_offset 4
		.amdhsa_reserve_vcc 0
		.amdhsa_reserve_flat_scratch 0
		.amdhsa_float_round_mode_32 0
		.amdhsa_float_round_mode_16_64 0
		.amdhsa_float_denorm_mode_32 3
		.amdhsa_float_denorm_mode_16_64 3
		.amdhsa_dx10_clamp 1
		.amdhsa_ieee_mode 1
		.amdhsa_fp16_overflow 0
		.amdhsa_tg_split 0
		.amdhsa_exception_fp_ieee_invalid_op 0
		.amdhsa_exception_fp_denorm_src 0
		.amdhsa_exception_fp_ieee_div_zero 0
		.amdhsa_exception_fp_ieee_overflow 0
		.amdhsa_exception_fp_ieee_underflow 0
		.amdhsa_exception_fp_ieee_inexact 0
		.amdhsa_exception_int_div_zero 0
	.end_amdhsa_kernel
	.section	.text._ZN7rocprim17ROCPRIM_400000_NS6detail17trampoline_kernelINS0_14default_configENS1_33run_length_encode_config_selectorIdjNS0_4plusIjEEEEZZNS1_33reduce_by_key_impl_wrapped_configILNS1_25lookback_scan_determinismE0ES3_S7_PKdNS0_17constant_iteratorIjlEEPdPlSF_S6_NS0_8equal_toIdEEEE10hipError_tPvRmT2_T3_mT4_T5_T6_T7_T8_P12ihipStream_tbENKUlT_T0_E_clISt17integral_constantIbLb1EESY_IbLb0EEEEDaSU_SV_EUlSU_E_NS1_11comp_targetILNS1_3genE3ELNS1_11target_archE908ELNS1_3gpuE7ELNS1_3repE0EEENS1_30default_config_static_selectorELNS0_4arch9wavefront6targetE1EEEvT1_,"axG",@progbits,_ZN7rocprim17ROCPRIM_400000_NS6detail17trampoline_kernelINS0_14default_configENS1_33run_length_encode_config_selectorIdjNS0_4plusIjEEEEZZNS1_33reduce_by_key_impl_wrapped_configILNS1_25lookback_scan_determinismE0ES3_S7_PKdNS0_17constant_iteratorIjlEEPdPlSF_S6_NS0_8equal_toIdEEEE10hipError_tPvRmT2_T3_mT4_T5_T6_T7_T8_P12ihipStream_tbENKUlT_T0_E_clISt17integral_constantIbLb1EESY_IbLb0EEEEDaSU_SV_EUlSU_E_NS1_11comp_targetILNS1_3genE3ELNS1_11target_archE908ELNS1_3gpuE7ELNS1_3repE0EEENS1_30default_config_static_selectorELNS0_4arch9wavefront6targetE1EEEvT1_,comdat
.Lfunc_end325:
	.size	_ZN7rocprim17ROCPRIM_400000_NS6detail17trampoline_kernelINS0_14default_configENS1_33run_length_encode_config_selectorIdjNS0_4plusIjEEEEZZNS1_33reduce_by_key_impl_wrapped_configILNS1_25lookback_scan_determinismE0ES3_S7_PKdNS0_17constant_iteratorIjlEEPdPlSF_S6_NS0_8equal_toIdEEEE10hipError_tPvRmT2_T3_mT4_T5_T6_T7_T8_P12ihipStream_tbENKUlT_T0_E_clISt17integral_constantIbLb1EESY_IbLb0EEEEDaSU_SV_EUlSU_E_NS1_11comp_targetILNS1_3genE3ELNS1_11target_archE908ELNS1_3gpuE7ELNS1_3repE0EEENS1_30default_config_static_selectorELNS0_4arch9wavefront6targetE1EEEvT1_, .Lfunc_end325-_ZN7rocprim17ROCPRIM_400000_NS6detail17trampoline_kernelINS0_14default_configENS1_33run_length_encode_config_selectorIdjNS0_4plusIjEEEEZZNS1_33reduce_by_key_impl_wrapped_configILNS1_25lookback_scan_determinismE0ES3_S7_PKdNS0_17constant_iteratorIjlEEPdPlSF_S6_NS0_8equal_toIdEEEE10hipError_tPvRmT2_T3_mT4_T5_T6_T7_T8_P12ihipStream_tbENKUlT_T0_E_clISt17integral_constantIbLb1EESY_IbLb0EEEEDaSU_SV_EUlSU_E_NS1_11comp_targetILNS1_3genE3ELNS1_11target_archE908ELNS1_3gpuE7ELNS1_3repE0EEENS1_30default_config_static_selectorELNS0_4arch9wavefront6targetE1EEEvT1_
                                        ; -- End function
	.section	.AMDGPU.csdata,"",@progbits
; Kernel info:
; codeLenInByte = 0
; NumSgprs: 4
; NumVgprs: 0
; NumAgprs: 0
; TotalNumVgprs: 0
; ScratchSize: 0
; MemoryBound: 0
; FloatMode: 240
; IeeeMode: 1
; LDSByteSize: 0 bytes/workgroup (compile time only)
; SGPRBlocks: 0
; VGPRBlocks: 0
; NumSGPRsForWavesPerEU: 4
; NumVGPRsForWavesPerEU: 1
; AccumOffset: 4
; Occupancy: 8
; WaveLimiterHint : 0
; COMPUTE_PGM_RSRC2:SCRATCH_EN: 0
; COMPUTE_PGM_RSRC2:USER_SGPR: 6
; COMPUTE_PGM_RSRC2:TRAP_HANDLER: 0
; COMPUTE_PGM_RSRC2:TGID_X_EN: 1
; COMPUTE_PGM_RSRC2:TGID_Y_EN: 0
; COMPUTE_PGM_RSRC2:TGID_Z_EN: 0
; COMPUTE_PGM_RSRC2:TIDIG_COMP_CNT: 0
; COMPUTE_PGM_RSRC3_GFX90A:ACCUM_OFFSET: 0
; COMPUTE_PGM_RSRC3_GFX90A:TG_SPLIT: 0
	.section	.text._ZN7rocprim17ROCPRIM_400000_NS6detail17trampoline_kernelINS0_14default_configENS1_33run_length_encode_config_selectorIdjNS0_4plusIjEEEEZZNS1_33reduce_by_key_impl_wrapped_configILNS1_25lookback_scan_determinismE0ES3_S7_PKdNS0_17constant_iteratorIjlEEPdPlSF_S6_NS0_8equal_toIdEEEE10hipError_tPvRmT2_T3_mT4_T5_T6_T7_T8_P12ihipStream_tbENKUlT_T0_E_clISt17integral_constantIbLb1EESY_IbLb0EEEEDaSU_SV_EUlSU_E_NS1_11comp_targetILNS1_3genE2ELNS1_11target_archE906ELNS1_3gpuE6ELNS1_3repE0EEENS1_30default_config_static_selectorELNS0_4arch9wavefront6targetE1EEEvT1_,"axG",@progbits,_ZN7rocprim17ROCPRIM_400000_NS6detail17trampoline_kernelINS0_14default_configENS1_33run_length_encode_config_selectorIdjNS0_4plusIjEEEEZZNS1_33reduce_by_key_impl_wrapped_configILNS1_25lookback_scan_determinismE0ES3_S7_PKdNS0_17constant_iteratorIjlEEPdPlSF_S6_NS0_8equal_toIdEEEE10hipError_tPvRmT2_T3_mT4_T5_T6_T7_T8_P12ihipStream_tbENKUlT_T0_E_clISt17integral_constantIbLb1EESY_IbLb0EEEEDaSU_SV_EUlSU_E_NS1_11comp_targetILNS1_3genE2ELNS1_11target_archE906ELNS1_3gpuE6ELNS1_3repE0EEENS1_30default_config_static_selectorELNS0_4arch9wavefront6targetE1EEEvT1_,comdat
	.protected	_ZN7rocprim17ROCPRIM_400000_NS6detail17trampoline_kernelINS0_14default_configENS1_33run_length_encode_config_selectorIdjNS0_4plusIjEEEEZZNS1_33reduce_by_key_impl_wrapped_configILNS1_25lookback_scan_determinismE0ES3_S7_PKdNS0_17constant_iteratorIjlEEPdPlSF_S6_NS0_8equal_toIdEEEE10hipError_tPvRmT2_T3_mT4_T5_T6_T7_T8_P12ihipStream_tbENKUlT_T0_E_clISt17integral_constantIbLb1EESY_IbLb0EEEEDaSU_SV_EUlSU_E_NS1_11comp_targetILNS1_3genE2ELNS1_11target_archE906ELNS1_3gpuE6ELNS1_3repE0EEENS1_30default_config_static_selectorELNS0_4arch9wavefront6targetE1EEEvT1_ ; -- Begin function _ZN7rocprim17ROCPRIM_400000_NS6detail17trampoline_kernelINS0_14default_configENS1_33run_length_encode_config_selectorIdjNS0_4plusIjEEEEZZNS1_33reduce_by_key_impl_wrapped_configILNS1_25lookback_scan_determinismE0ES3_S7_PKdNS0_17constant_iteratorIjlEEPdPlSF_S6_NS0_8equal_toIdEEEE10hipError_tPvRmT2_T3_mT4_T5_T6_T7_T8_P12ihipStream_tbENKUlT_T0_E_clISt17integral_constantIbLb1EESY_IbLb0EEEEDaSU_SV_EUlSU_E_NS1_11comp_targetILNS1_3genE2ELNS1_11target_archE906ELNS1_3gpuE6ELNS1_3repE0EEENS1_30default_config_static_selectorELNS0_4arch9wavefront6targetE1EEEvT1_
	.globl	_ZN7rocprim17ROCPRIM_400000_NS6detail17trampoline_kernelINS0_14default_configENS1_33run_length_encode_config_selectorIdjNS0_4plusIjEEEEZZNS1_33reduce_by_key_impl_wrapped_configILNS1_25lookback_scan_determinismE0ES3_S7_PKdNS0_17constant_iteratorIjlEEPdPlSF_S6_NS0_8equal_toIdEEEE10hipError_tPvRmT2_T3_mT4_T5_T6_T7_T8_P12ihipStream_tbENKUlT_T0_E_clISt17integral_constantIbLb1EESY_IbLb0EEEEDaSU_SV_EUlSU_E_NS1_11comp_targetILNS1_3genE2ELNS1_11target_archE906ELNS1_3gpuE6ELNS1_3repE0EEENS1_30default_config_static_selectorELNS0_4arch9wavefront6targetE1EEEvT1_
	.p2align	8
	.type	_ZN7rocprim17ROCPRIM_400000_NS6detail17trampoline_kernelINS0_14default_configENS1_33run_length_encode_config_selectorIdjNS0_4plusIjEEEEZZNS1_33reduce_by_key_impl_wrapped_configILNS1_25lookback_scan_determinismE0ES3_S7_PKdNS0_17constant_iteratorIjlEEPdPlSF_S6_NS0_8equal_toIdEEEE10hipError_tPvRmT2_T3_mT4_T5_T6_T7_T8_P12ihipStream_tbENKUlT_T0_E_clISt17integral_constantIbLb1EESY_IbLb0EEEEDaSU_SV_EUlSU_E_NS1_11comp_targetILNS1_3genE2ELNS1_11target_archE906ELNS1_3gpuE6ELNS1_3repE0EEENS1_30default_config_static_selectorELNS0_4arch9wavefront6targetE1EEEvT1_,@function
_ZN7rocprim17ROCPRIM_400000_NS6detail17trampoline_kernelINS0_14default_configENS1_33run_length_encode_config_selectorIdjNS0_4plusIjEEEEZZNS1_33reduce_by_key_impl_wrapped_configILNS1_25lookback_scan_determinismE0ES3_S7_PKdNS0_17constant_iteratorIjlEEPdPlSF_S6_NS0_8equal_toIdEEEE10hipError_tPvRmT2_T3_mT4_T5_T6_T7_T8_P12ihipStream_tbENKUlT_T0_E_clISt17integral_constantIbLb1EESY_IbLb0EEEEDaSU_SV_EUlSU_E_NS1_11comp_targetILNS1_3genE2ELNS1_11target_archE906ELNS1_3gpuE6ELNS1_3repE0EEENS1_30default_config_static_selectorELNS0_4arch9wavefront6targetE1EEEvT1_: ; @_ZN7rocprim17ROCPRIM_400000_NS6detail17trampoline_kernelINS0_14default_configENS1_33run_length_encode_config_selectorIdjNS0_4plusIjEEEEZZNS1_33reduce_by_key_impl_wrapped_configILNS1_25lookback_scan_determinismE0ES3_S7_PKdNS0_17constant_iteratorIjlEEPdPlSF_S6_NS0_8equal_toIdEEEE10hipError_tPvRmT2_T3_mT4_T5_T6_T7_T8_P12ihipStream_tbENKUlT_T0_E_clISt17integral_constantIbLb1EESY_IbLb0EEEEDaSU_SV_EUlSU_E_NS1_11comp_targetILNS1_3genE2ELNS1_11target_archE906ELNS1_3gpuE6ELNS1_3repE0EEENS1_30default_config_static_selectorELNS0_4arch9wavefront6targetE1EEEvT1_
; %bb.0:
	.section	.rodata,"a",@progbits
	.p2align	6, 0x0
	.amdhsa_kernel _ZN7rocprim17ROCPRIM_400000_NS6detail17trampoline_kernelINS0_14default_configENS1_33run_length_encode_config_selectorIdjNS0_4plusIjEEEEZZNS1_33reduce_by_key_impl_wrapped_configILNS1_25lookback_scan_determinismE0ES3_S7_PKdNS0_17constant_iteratorIjlEEPdPlSF_S6_NS0_8equal_toIdEEEE10hipError_tPvRmT2_T3_mT4_T5_T6_T7_T8_P12ihipStream_tbENKUlT_T0_E_clISt17integral_constantIbLb1EESY_IbLb0EEEEDaSU_SV_EUlSU_E_NS1_11comp_targetILNS1_3genE2ELNS1_11target_archE906ELNS1_3gpuE6ELNS1_3repE0EEENS1_30default_config_static_selectorELNS0_4arch9wavefront6targetE1EEEvT1_
		.amdhsa_group_segment_fixed_size 0
		.amdhsa_private_segment_fixed_size 0
		.amdhsa_kernarg_size 128
		.amdhsa_user_sgpr_count 6
		.amdhsa_user_sgpr_private_segment_buffer 1
		.amdhsa_user_sgpr_dispatch_ptr 0
		.amdhsa_user_sgpr_queue_ptr 0
		.amdhsa_user_sgpr_kernarg_segment_ptr 1
		.amdhsa_user_sgpr_dispatch_id 0
		.amdhsa_user_sgpr_flat_scratch_init 0
		.amdhsa_user_sgpr_kernarg_preload_length 0
		.amdhsa_user_sgpr_kernarg_preload_offset 0
		.amdhsa_user_sgpr_private_segment_size 0
		.amdhsa_uses_dynamic_stack 0
		.amdhsa_system_sgpr_private_segment_wavefront_offset 0
		.amdhsa_system_sgpr_workgroup_id_x 1
		.amdhsa_system_sgpr_workgroup_id_y 0
		.amdhsa_system_sgpr_workgroup_id_z 0
		.amdhsa_system_sgpr_workgroup_info 0
		.amdhsa_system_vgpr_workitem_id 0
		.amdhsa_next_free_vgpr 1
		.amdhsa_next_free_sgpr 0
		.amdhsa_accum_offset 4
		.amdhsa_reserve_vcc 0
		.amdhsa_reserve_flat_scratch 0
		.amdhsa_float_round_mode_32 0
		.amdhsa_float_round_mode_16_64 0
		.amdhsa_float_denorm_mode_32 3
		.amdhsa_float_denorm_mode_16_64 3
		.amdhsa_dx10_clamp 1
		.amdhsa_ieee_mode 1
		.amdhsa_fp16_overflow 0
		.amdhsa_tg_split 0
		.amdhsa_exception_fp_ieee_invalid_op 0
		.amdhsa_exception_fp_denorm_src 0
		.amdhsa_exception_fp_ieee_div_zero 0
		.amdhsa_exception_fp_ieee_overflow 0
		.amdhsa_exception_fp_ieee_underflow 0
		.amdhsa_exception_fp_ieee_inexact 0
		.amdhsa_exception_int_div_zero 0
	.end_amdhsa_kernel
	.section	.text._ZN7rocprim17ROCPRIM_400000_NS6detail17trampoline_kernelINS0_14default_configENS1_33run_length_encode_config_selectorIdjNS0_4plusIjEEEEZZNS1_33reduce_by_key_impl_wrapped_configILNS1_25lookback_scan_determinismE0ES3_S7_PKdNS0_17constant_iteratorIjlEEPdPlSF_S6_NS0_8equal_toIdEEEE10hipError_tPvRmT2_T3_mT4_T5_T6_T7_T8_P12ihipStream_tbENKUlT_T0_E_clISt17integral_constantIbLb1EESY_IbLb0EEEEDaSU_SV_EUlSU_E_NS1_11comp_targetILNS1_3genE2ELNS1_11target_archE906ELNS1_3gpuE6ELNS1_3repE0EEENS1_30default_config_static_selectorELNS0_4arch9wavefront6targetE1EEEvT1_,"axG",@progbits,_ZN7rocprim17ROCPRIM_400000_NS6detail17trampoline_kernelINS0_14default_configENS1_33run_length_encode_config_selectorIdjNS0_4plusIjEEEEZZNS1_33reduce_by_key_impl_wrapped_configILNS1_25lookback_scan_determinismE0ES3_S7_PKdNS0_17constant_iteratorIjlEEPdPlSF_S6_NS0_8equal_toIdEEEE10hipError_tPvRmT2_T3_mT4_T5_T6_T7_T8_P12ihipStream_tbENKUlT_T0_E_clISt17integral_constantIbLb1EESY_IbLb0EEEEDaSU_SV_EUlSU_E_NS1_11comp_targetILNS1_3genE2ELNS1_11target_archE906ELNS1_3gpuE6ELNS1_3repE0EEENS1_30default_config_static_selectorELNS0_4arch9wavefront6targetE1EEEvT1_,comdat
.Lfunc_end326:
	.size	_ZN7rocprim17ROCPRIM_400000_NS6detail17trampoline_kernelINS0_14default_configENS1_33run_length_encode_config_selectorIdjNS0_4plusIjEEEEZZNS1_33reduce_by_key_impl_wrapped_configILNS1_25lookback_scan_determinismE0ES3_S7_PKdNS0_17constant_iteratorIjlEEPdPlSF_S6_NS0_8equal_toIdEEEE10hipError_tPvRmT2_T3_mT4_T5_T6_T7_T8_P12ihipStream_tbENKUlT_T0_E_clISt17integral_constantIbLb1EESY_IbLb0EEEEDaSU_SV_EUlSU_E_NS1_11comp_targetILNS1_3genE2ELNS1_11target_archE906ELNS1_3gpuE6ELNS1_3repE0EEENS1_30default_config_static_selectorELNS0_4arch9wavefront6targetE1EEEvT1_, .Lfunc_end326-_ZN7rocprim17ROCPRIM_400000_NS6detail17trampoline_kernelINS0_14default_configENS1_33run_length_encode_config_selectorIdjNS0_4plusIjEEEEZZNS1_33reduce_by_key_impl_wrapped_configILNS1_25lookback_scan_determinismE0ES3_S7_PKdNS0_17constant_iteratorIjlEEPdPlSF_S6_NS0_8equal_toIdEEEE10hipError_tPvRmT2_T3_mT4_T5_T6_T7_T8_P12ihipStream_tbENKUlT_T0_E_clISt17integral_constantIbLb1EESY_IbLb0EEEEDaSU_SV_EUlSU_E_NS1_11comp_targetILNS1_3genE2ELNS1_11target_archE906ELNS1_3gpuE6ELNS1_3repE0EEENS1_30default_config_static_selectorELNS0_4arch9wavefront6targetE1EEEvT1_
                                        ; -- End function
	.section	.AMDGPU.csdata,"",@progbits
; Kernel info:
; codeLenInByte = 0
; NumSgprs: 4
; NumVgprs: 0
; NumAgprs: 0
; TotalNumVgprs: 0
; ScratchSize: 0
; MemoryBound: 0
; FloatMode: 240
; IeeeMode: 1
; LDSByteSize: 0 bytes/workgroup (compile time only)
; SGPRBlocks: 0
; VGPRBlocks: 0
; NumSGPRsForWavesPerEU: 4
; NumVGPRsForWavesPerEU: 1
; AccumOffset: 4
; Occupancy: 8
; WaveLimiterHint : 0
; COMPUTE_PGM_RSRC2:SCRATCH_EN: 0
; COMPUTE_PGM_RSRC2:USER_SGPR: 6
; COMPUTE_PGM_RSRC2:TRAP_HANDLER: 0
; COMPUTE_PGM_RSRC2:TGID_X_EN: 1
; COMPUTE_PGM_RSRC2:TGID_Y_EN: 0
; COMPUTE_PGM_RSRC2:TGID_Z_EN: 0
; COMPUTE_PGM_RSRC2:TIDIG_COMP_CNT: 0
; COMPUTE_PGM_RSRC3_GFX90A:ACCUM_OFFSET: 0
; COMPUTE_PGM_RSRC3_GFX90A:TG_SPLIT: 0
	.section	.text._ZN7rocprim17ROCPRIM_400000_NS6detail17trampoline_kernelINS0_14default_configENS1_33run_length_encode_config_selectorIdjNS0_4plusIjEEEEZZNS1_33reduce_by_key_impl_wrapped_configILNS1_25lookback_scan_determinismE0ES3_S7_PKdNS0_17constant_iteratorIjlEEPdPlSF_S6_NS0_8equal_toIdEEEE10hipError_tPvRmT2_T3_mT4_T5_T6_T7_T8_P12ihipStream_tbENKUlT_T0_E_clISt17integral_constantIbLb1EESY_IbLb0EEEEDaSU_SV_EUlSU_E_NS1_11comp_targetILNS1_3genE10ELNS1_11target_archE1201ELNS1_3gpuE5ELNS1_3repE0EEENS1_30default_config_static_selectorELNS0_4arch9wavefront6targetE1EEEvT1_,"axG",@progbits,_ZN7rocprim17ROCPRIM_400000_NS6detail17trampoline_kernelINS0_14default_configENS1_33run_length_encode_config_selectorIdjNS0_4plusIjEEEEZZNS1_33reduce_by_key_impl_wrapped_configILNS1_25lookback_scan_determinismE0ES3_S7_PKdNS0_17constant_iteratorIjlEEPdPlSF_S6_NS0_8equal_toIdEEEE10hipError_tPvRmT2_T3_mT4_T5_T6_T7_T8_P12ihipStream_tbENKUlT_T0_E_clISt17integral_constantIbLb1EESY_IbLb0EEEEDaSU_SV_EUlSU_E_NS1_11comp_targetILNS1_3genE10ELNS1_11target_archE1201ELNS1_3gpuE5ELNS1_3repE0EEENS1_30default_config_static_selectorELNS0_4arch9wavefront6targetE1EEEvT1_,comdat
	.protected	_ZN7rocprim17ROCPRIM_400000_NS6detail17trampoline_kernelINS0_14default_configENS1_33run_length_encode_config_selectorIdjNS0_4plusIjEEEEZZNS1_33reduce_by_key_impl_wrapped_configILNS1_25lookback_scan_determinismE0ES3_S7_PKdNS0_17constant_iteratorIjlEEPdPlSF_S6_NS0_8equal_toIdEEEE10hipError_tPvRmT2_T3_mT4_T5_T6_T7_T8_P12ihipStream_tbENKUlT_T0_E_clISt17integral_constantIbLb1EESY_IbLb0EEEEDaSU_SV_EUlSU_E_NS1_11comp_targetILNS1_3genE10ELNS1_11target_archE1201ELNS1_3gpuE5ELNS1_3repE0EEENS1_30default_config_static_selectorELNS0_4arch9wavefront6targetE1EEEvT1_ ; -- Begin function _ZN7rocprim17ROCPRIM_400000_NS6detail17trampoline_kernelINS0_14default_configENS1_33run_length_encode_config_selectorIdjNS0_4plusIjEEEEZZNS1_33reduce_by_key_impl_wrapped_configILNS1_25lookback_scan_determinismE0ES3_S7_PKdNS0_17constant_iteratorIjlEEPdPlSF_S6_NS0_8equal_toIdEEEE10hipError_tPvRmT2_T3_mT4_T5_T6_T7_T8_P12ihipStream_tbENKUlT_T0_E_clISt17integral_constantIbLb1EESY_IbLb0EEEEDaSU_SV_EUlSU_E_NS1_11comp_targetILNS1_3genE10ELNS1_11target_archE1201ELNS1_3gpuE5ELNS1_3repE0EEENS1_30default_config_static_selectorELNS0_4arch9wavefront6targetE1EEEvT1_
	.globl	_ZN7rocprim17ROCPRIM_400000_NS6detail17trampoline_kernelINS0_14default_configENS1_33run_length_encode_config_selectorIdjNS0_4plusIjEEEEZZNS1_33reduce_by_key_impl_wrapped_configILNS1_25lookback_scan_determinismE0ES3_S7_PKdNS0_17constant_iteratorIjlEEPdPlSF_S6_NS0_8equal_toIdEEEE10hipError_tPvRmT2_T3_mT4_T5_T6_T7_T8_P12ihipStream_tbENKUlT_T0_E_clISt17integral_constantIbLb1EESY_IbLb0EEEEDaSU_SV_EUlSU_E_NS1_11comp_targetILNS1_3genE10ELNS1_11target_archE1201ELNS1_3gpuE5ELNS1_3repE0EEENS1_30default_config_static_selectorELNS0_4arch9wavefront6targetE1EEEvT1_
	.p2align	8
	.type	_ZN7rocprim17ROCPRIM_400000_NS6detail17trampoline_kernelINS0_14default_configENS1_33run_length_encode_config_selectorIdjNS0_4plusIjEEEEZZNS1_33reduce_by_key_impl_wrapped_configILNS1_25lookback_scan_determinismE0ES3_S7_PKdNS0_17constant_iteratorIjlEEPdPlSF_S6_NS0_8equal_toIdEEEE10hipError_tPvRmT2_T3_mT4_T5_T6_T7_T8_P12ihipStream_tbENKUlT_T0_E_clISt17integral_constantIbLb1EESY_IbLb0EEEEDaSU_SV_EUlSU_E_NS1_11comp_targetILNS1_3genE10ELNS1_11target_archE1201ELNS1_3gpuE5ELNS1_3repE0EEENS1_30default_config_static_selectorELNS0_4arch9wavefront6targetE1EEEvT1_,@function
_ZN7rocprim17ROCPRIM_400000_NS6detail17trampoline_kernelINS0_14default_configENS1_33run_length_encode_config_selectorIdjNS0_4plusIjEEEEZZNS1_33reduce_by_key_impl_wrapped_configILNS1_25lookback_scan_determinismE0ES3_S7_PKdNS0_17constant_iteratorIjlEEPdPlSF_S6_NS0_8equal_toIdEEEE10hipError_tPvRmT2_T3_mT4_T5_T6_T7_T8_P12ihipStream_tbENKUlT_T0_E_clISt17integral_constantIbLb1EESY_IbLb0EEEEDaSU_SV_EUlSU_E_NS1_11comp_targetILNS1_3genE10ELNS1_11target_archE1201ELNS1_3gpuE5ELNS1_3repE0EEENS1_30default_config_static_selectorELNS0_4arch9wavefront6targetE1EEEvT1_: ; @_ZN7rocprim17ROCPRIM_400000_NS6detail17trampoline_kernelINS0_14default_configENS1_33run_length_encode_config_selectorIdjNS0_4plusIjEEEEZZNS1_33reduce_by_key_impl_wrapped_configILNS1_25lookback_scan_determinismE0ES3_S7_PKdNS0_17constant_iteratorIjlEEPdPlSF_S6_NS0_8equal_toIdEEEE10hipError_tPvRmT2_T3_mT4_T5_T6_T7_T8_P12ihipStream_tbENKUlT_T0_E_clISt17integral_constantIbLb1EESY_IbLb0EEEEDaSU_SV_EUlSU_E_NS1_11comp_targetILNS1_3genE10ELNS1_11target_archE1201ELNS1_3gpuE5ELNS1_3repE0EEENS1_30default_config_static_selectorELNS0_4arch9wavefront6targetE1EEEvT1_
; %bb.0:
	.section	.rodata,"a",@progbits
	.p2align	6, 0x0
	.amdhsa_kernel _ZN7rocprim17ROCPRIM_400000_NS6detail17trampoline_kernelINS0_14default_configENS1_33run_length_encode_config_selectorIdjNS0_4plusIjEEEEZZNS1_33reduce_by_key_impl_wrapped_configILNS1_25lookback_scan_determinismE0ES3_S7_PKdNS0_17constant_iteratorIjlEEPdPlSF_S6_NS0_8equal_toIdEEEE10hipError_tPvRmT2_T3_mT4_T5_T6_T7_T8_P12ihipStream_tbENKUlT_T0_E_clISt17integral_constantIbLb1EESY_IbLb0EEEEDaSU_SV_EUlSU_E_NS1_11comp_targetILNS1_3genE10ELNS1_11target_archE1201ELNS1_3gpuE5ELNS1_3repE0EEENS1_30default_config_static_selectorELNS0_4arch9wavefront6targetE1EEEvT1_
		.amdhsa_group_segment_fixed_size 0
		.amdhsa_private_segment_fixed_size 0
		.amdhsa_kernarg_size 128
		.amdhsa_user_sgpr_count 6
		.amdhsa_user_sgpr_private_segment_buffer 1
		.amdhsa_user_sgpr_dispatch_ptr 0
		.amdhsa_user_sgpr_queue_ptr 0
		.amdhsa_user_sgpr_kernarg_segment_ptr 1
		.amdhsa_user_sgpr_dispatch_id 0
		.amdhsa_user_sgpr_flat_scratch_init 0
		.amdhsa_user_sgpr_kernarg_preload_length 0
		.amdhsa_user_sgpr_kernarg_preload_offset 0
		.amdhsa_user_sgpr_private_segment_size 0
		.amdhsa_uses_dynamic_stack 0
		.amdhsa_system_sgpr_private_segment_wavefront_offset 0
		.amdhsa_system_sgpr_workgroup_id_x 1
		.amdhsa_system_sgpr_workgroup_id_y 0
		.amdhsa_system_sgpr_workgroup_id_z 0
		.amdhsa_system_sgpr_workgroup_info 0
		.amdhsa_system_vgpr_workitem_id 0
		.amdhsa_next_free_vgpr 1
		.amdhsa_next_free_sgpr 0
		.amdhsa_accum_offset 4
		.amdhsa_reserve_vcc 0
		.amdhsa_reserve_flat_scratch 0
		.amdhsa_float_round_mode_32 0
		.amdhsa_float_round_mode_16_64 0
		.amdhsa_float_denorm_mode_32 3
		.amdhsa_float_denorm_mode_16_64 3
		.amdhsa_dx10_clamp 1
		.amdhsa_ieee_mode 1
		.amdhsa_fp16_overflow 0
		.amdhsa_tg_split 0
		.amdhsa_exception_fp_ieee_invalid_op 0
		.amdhsa_exception_fp_denorm_src 0
		.amdhsa_exception_fp_ieee_div_zero 0
		.amdhsa_exception_fp_ieee_overflow 0
		.amdhsa_exception_fp_ieee_underflow 0
		.amdhsa_exception_fp_ieee_inexact 0
		.amdhsa_exception_int_div_zero 0
	.end_amdhsa_kernel
	.section	.text._ZN7rocprim17ROCPRIM_400000_NS6detail17trampoline_kernelINS0_14default_configENS1_33run_length_encode_config_selectorIdjNS0_4plusIjEEEEZZNS1_33reduce_by_key_impl_wrapped_configILNS1_25lookback_scan_determinismE0ES3_S7_PKdNS0_17constant_iteratorIjlEEPdPlSF_S6_NS0_8equal_toIdEEEE10hipError_tPvRmT2_T3_mT4_T5_T6_T7_T8_P12ihipStream_tbENKUlT_T0_E_clISt17integral_constantIbLb1EESY_IbLb0EEEEDaSU_SV_EUlSU_E_NS1_11comp_targetILNS1_3genE10ELNS1_11target_archE1201ELNS1_3gpuE5ELNS1_3repE0EEENS1_30default_config_static_selectorELNS0_4arch9wavefront6targetE1EEEvT1_,"axG",@progbits,_ZN7rocprim17ROCPRIM_400000_NS6detail17trampoline_kernelINS0_14default_configENS1_33run_length_encode_config_selectorIdjNS0_4plusIjEEEEZZNS1_33reduce_by_key_impl_wrapped_configILNS1_25lookback_scan_determinismE0ES3_S7_PKdNS0_17constant_iteratorIjlEEPdPlSF_S6_NS0_8equal_toIdEEEE10hipError_tPvRmT2_T3_mT4_T5_T6_T7_T8_P12ihipStream_tbENKUlT_T0_E_clISt17integral_constantIbLb1EESY_IbLb0EEEEDaSU_SV_EUlSU_E_NS1_11comp_targetILNS1_3genE10ELNS1_11target_archE1201ELNS1_3gpuE5ELNS1_3repE0EEENS1_30default_config_static_selectorELNS0_4arch9wavefront6targetE1EEEvT1_,comdat
.Lfunc_end327:
	.size	_ZN7rocprim17ROCPRIM_400000_NS6detail17trampoline_kernelINS0_14default_configENS1_33run_length_encode_config_selectorIdjNS0_4plusIjEEEEZZNS1_33reduce_by_key_impl_wrapped_configILNS1_25lookback_scan_determinismE0ES3_S7_PKdNS0_17constant_iteratorIjlEEPdPlSF_S6_NS0_8equal_toIdEEEE10hipError_tPvRmT2_T3_mT4_T5_T6_T7_T8_P12ihipStream_tbENKUlT_T0_E_clISt17integral_constantIbLb1EESY_IbLb0EEEEDaSU_SV_EUlSU_E_NS1_11comp_targetILNS1_3genE10ELNS1_11target_archE1201ELNS1_3gpuE5ELNS1_3repE0EEENS1_30default_config_static_selectorELNS0_4arch9wavefront6targetE1EEEvT1_, .Lfunc_end327-_ZN7rocprim17ROCPRIM_400000_NS6detail17trampoline_kernelINS0_14default_configENS1_33run_length_encode_config_selectorIdjNS0_4plusIjEEEEZZNS1_33reduce_by_key_impl_wrapped_configILNS1_25lookback_scan_determinismE0ES3_S7_PKdNS0_17constant_iteratorIjlEEPdPlSF_S6_NS0_8equal_toIdEEEE10hipError_tPvRmT2_T3_mT4_T5_T6_T7_T8_P12ihipStream_tbENKUlT_T0_E_clISt17integral_constantIbLb1EESY_IbLb0EEEEDaSU_SV_EUlSU_E_NS1_11comp_targetILNS1_3genE10ELNS1_11target_archE1201ELNS1_3gpuE5ELNS1_3repE0EEENS1_30default_config_static_selectorELNS0_4arch9wavefront6targetE1EEEvT1_
                                        ; -- End function
	.section	.AMDGPU.csdata,"",@progbits
; Kernel info:
; codeLenInByte = 0
; NumSgprs: 4
; NumVgprs: 0
; NumAgprs: 0
; TotalNumVgprs: 0
; ScratchSize: 0
; MemoryBound: 0
; FloatMode: 240
; IeeeMode: 1
; LDSByteSize: 0 bytes/workgroup (compile time only)
; SGPRBlocks: 0
; VGPRBlocks: 0
; NumSGPRsForWavesPerEU: 4
; NumVGPRsForWavesPerEU: 1
; AccumOffset: 4
; Occupancy: 8
; WaveLimiterHint : 0
; COMPUTE_PGM_RSRC2:SCRATCH_EN: 0
; COMPUTE_PGM_RSRC2:USER_SGPR: 6
; COMPUTE_PGM_RSRC2:TRAP_HANDLER: 0
; COMPUTE_PGM_RSRC2:TGID_X_EN: 1
; COMPUTE_PGM_RSRC2:TGID_Y_EN: 0
; COMPUTE_PGM_RSRC2:TGID_Z_EN: 0
; COMPUTE_PGM_RSRC2:TIDIG_COMP_CNT: 0
; COMPUTE_PGM_RSRC3_GFX90A:ACCUM_OFFSET: 0
; COMPUTE_PGM_RSRC3_GFX90A:TG_SPLIT: 0
	.section	.text._ZN7rocprim17ROCPRIM_400000_NS6detail17trampoline_kernelINS0_14default_configENS1_33run_length_encode_config_selectorIdjNS0_4plusIjEEEEZZNS1_33reduce_by_key_impl_wrapped_configILNS1_25lookback_scan_determinismE0ES3_S7_PKdNS0_17constant_iteratorIjlEEPdPlSF_S6_NS0_8equal_toIdEEEE10hipError_tPvRmT2_T3_mT4_T5_T6_T7_T8_P12ihipStream_tbENKUlT_T0_E_clISt17integral_constantIbLb1EESY_IbLb0EEEEDaSU_SV_EUlSU_E_NS1_11comp_targetILNS1_3genE10ELNS1_11target_archE1200ELNS1_3gpuE4ELNS1_3repE0EEENS1_30default_config_static_selectorELNS0_4arch9wavefront6targetE1EEEvT1_,"axG",@progbits,_ZN7rocprim17ROCPRIM_400000_NS6detail17trampoline_kernelINS0_14default_configENS1_33run_length_encode_config_selectorIdjNS0_4plusIjEEEEZZNS1_33reduce_by_key_impl_wrapped_configILNS1_25lookback_scan_determinismE0ES3_S7_PKdNS0_17constant_iteratorIjlEEPdPlSF_S6_NS0_8equal_toIdEEEE10hipError_tPvRmT2_T3_mT4_T5_T6_T7_T8_P12ihipStream_tbENKUlT_T0_E_clISt17integral_constantIbLb1EESY_IbLb0EEEEDaSU_SV_EUlSU_E_NS1_11comp_targetILNS1_3genE10ELNS1_11target_archE1200ELNS1_3gpuE4ELNS1_3repE0EEENS1_30default_config_static_selectorELNS0_4arch9wavefront6targetE1EEEvT1_,comdat
	.protected	_ZN7rocprim17ROCPRIM_400000_NS6detail17trampoline_kernelINS0_14default_configENS1_33run_length_encode_config_selectorIdjNS0_4plusIjEEEEZZNS1_33reduce_by_key_impl_wrapped_configILNS1_25lookback_scan_determinismE0ES3_S7_PKdNS0_17constant_iteratorIjlEEPdPlSF_S6_NS0_8equal_toIdEEEE10hipError_tPvRmT2_T3_mT4_T5_T6_T7_T8_P12ihipStream_tbENKUlT_T0_E_clISt17integral_constantIbLb1EESY_IbLb0EEEEDaSU_SV_EUlSU_E_NS1_11comp_targetILNS1_3genE10ELNS1_11target_archE1200ELNS1_3gpuE4ELNS1_3repE0EEENS1_30default_config_static_selectorELNS0_4arch9wavefront6targetE1EEEvT1_ ; -- Begin function _ZN7rocprim17ROCPRIM_400000_NS6detail17trampoline_kernelINS0_14default_configENS1_33run_length_encode_config_selectorIdjNS0_4plusIjEEEEZZNS1_33reduce_by_key_impl_wrapped_configILNS1_25lookback_scan_determinismE0ES3_S7_PKdNS0_17constant_iteratorIjlEEPdPlSF_S6_NS0_8equal_toIdEEEE10hipError_tPvRmT2_T3_mT4_T5_T6_T7_T8_P12ihipStream_tbENKUlT_T0_E_clISt17integral_constantIbLb1EESY_IbLb0EEEEDaSU_SV_EUlSU_E_NS1_11comp_targetILNS1_3genE10ELNS1_11target_archE1200ELNS1_3gpuE4ELNS1_3repE0EEENS1_30default_config_static_selectorELNS0_4arch9wavefront6targetE1EEEvT1_
	.globl	_ZN7rocprim17ROCPRIM_400000_NS6detail17trampoline_kernelINS0_14default_configENS1_33run_length_encode_config_selectorIdjNS0_4plusIjEEEEZZNS1_33reduce_by_key_impl_wrapped_configILNS1_25lookback_scan_determinismE0ES3_S7_PKdNS0_17constant_iteratorIjlEEPdPlSF_S6_NS0_8equal_toIdEEEE10hipError_tPvRmT2_T3_mT4_T5_T6_T7_T8_P12ihipStream_tbENKUlT_T0_E_clISt17integral_constantIbLb1EESY_IbLb0EEEEDaSU_SV_EUlSU_E_NS1_11comp_targetILNS1_3genE10ELNS1_11target_archE1200ELNS1_3gpuE4ELNS1_3repE0EEENS1_30default_config_static_selectorELNS0_4arch9wavefront6targetE1EEEvT1_
	.p2align	8
	.type	_ZN7rocprim17ROCPRIM_400000_NS6detail17trampoline_kernelINS0_14default_configENS1_33run_length_encode_config_selectorIdjNS0_4plusIjEEEEZZNS1_33reduce_by_key_impl_wrapped_configILNS1_25lookback_scan_determinismE0ES3_S7_PKdNS0_17constant_iteratorIjlEEPdPlSF_S6_NS0_8equal_toIdEEEE10hipError_tPvRmT2_T3_mT4_T5_T6_T7_T8_P12ihipStream_tbENKUlT_T0_E_clISt17integral_constantIbLb1EESY_IbLb0EEEEDaSU_SV_EUlSU_E_NS1_11comp_targetILNS1_3genE10ELNS1_11target_archE1200ELNS1_3gpuE4ELNS1_3repE0EEENS1_30default_config_static_selectorELNS0_4arch9wavefront6targetE1EEEvT1_,@function
_ZN7rocprim17ROCPRIM_400000_NS6detail17trampoline_kernelINS0_14default_configENS1_33run_length_encode_config_selectorIdjNS0_4plusIjEEEEZZNS1_33reduce_by_key_impl_wrapped_configILNS1_25lookback_scan_determinismE0ES3_S7_PKdNS0_17constant_iteratorIjlEEPdPlSF_S6_NS0_8equal_toIdEEEE10hipError_tPvRmT2_T3_mT4_T5_T6_T7_T8_P12ihipStream_tbENKUlT_T0_E_clISt17integral_constantIbLb1EESY_IbLb0EEEEDaSU_SV_EUlSU_E_NS1_11comp_targetILNS1_3genE10ELNS1_11target_archE1200ELNS1_3gpuE4ELNS1_3repE0EEENS1_30default_config_static_selectorELNS0_4arch9wavefront6targetE1EEEvT1_: ; @_ZN7rocprim17ROCPRIM_400000_NS6detail17trampoline_kernelINS0_14default_configENS1_33run_length_encode_config_selectorIdjNS0_4plusIjEEEEZZNS1_33reduce_by_key_impl_wrapped_configILNS1_25lookback_scan_determinismE0ES3_S7_PKdNS0_17constant_iteratorIjlEEPdPlSF_S6_NS0_8equal_toIdEEEE10hipError_tPvRmT2_T3_mT4_T5_T6_T7_T8_P12ihipStream_tbENKUlT_T0_E_clISt17integral_constantIbLb1EESY_IbLb0EEEEDaSU_SV_EUlSU_E_NS1_11comp_targetILNS1_3genE10ELNS1_11target_archE1200ELNS1_3gpuE4ELNS1_3repE0EEENS1_30default_config_static_selectorELNS0_4arch9wavefront6targetE1EEEvT1_
; %bb.0:
	.section	.rodata,"a",@progbits
	.p2align	6, 0x0
	.amdhsa_kernel _ZN7rocprim17ROCPRIM_400000_NS6detail17trampoline_kernelINS0_14default_configENS1_33run_length_encode_config_selectorIdjNS0_4plusIjEEEEZZNS1_33reduce_by_key_impl_wrapped_configILNS1_25lookback_scan_determinismE0ES3_S7_PKdNS0_17constant_iteratorIjlEEPdPlSF_S6_NS0_8equal_toIdEEEE10hipError_tPvRmT2_T3_mT4_T5_T6_T7_T8_P12ihipStream_tbENKUlT_T0_E_clISt17integral_constantIbLb1EESY_IbLb0EEEEDaSU_SV_EUlSU_E_NS1_11comp_targetILNS1_3genE10ELNS1_11target_archE1200ELNS1_3gpuE4ELNS1_3repE0EEENS1_30default_config_static_selectorELNS0_4arch9wavefront6targetE1EEEvT1_
		.amdhsa_group_segment_fixed_size 0
		.amdhsa_private_segment_fixed_size 0
		.amdhsa_kernarg_size 128
		.amdhsa_user_sgpr_count 6
		.amdhsa_user_sgpr_private_segment_buffer 1
		.amdhsa_user_sgpr_dispatch_ptr 0
		.amdhsa_user_sgpr_queue_ptr 0
		.amdhsa_user_sgpr_kernarg_segment_ptr 1
		.amdhsa_user_sgpr_dispatch_id 0
		.amdhsa_user_sgpr_flat_scratch_init 0
		.amdhsa_user_sgpr_kernarg_preload_length 0
		.amdhsa_user_sgpr_kernarg_preload_offset 0
		.amdhsa_user_sgpr_private_segment_size 0
		.amdhsa_uses_dynamic_stack 0
		.amdhsa_system_sgpr_private_segment_wavefront_offset 0
		.amdhsa_system_sgpr_workgroup_id_x 1
		.amdhsa_system_sgpr_workgroup_id_y 0
		.amdhsa_system_sgpr_workgroup_id_z 0
		.amdhsa_system_sgpr_workgroup_info 0
		.amdhsa_system_vgpr_workitem_id 0
		.amdhsa_next_free_vgpr 1
		.amdhsa_next_free_sgpr 0
		.amdhsa_accum_offset 4
		.amdhsa_reserve_vcc 0
		.amdhsa_reserve_flat_scratch 0
		.amdhsa_float_round_mode_32 0
		.amdhsa_float_round_mode_16_64 0
		.amdhsa_float_denorm_mode_32 3
		.amdhsa_float_denorm_mode_16_64 3
		.amdhsa_dx10_clamp 1
		.amdhsa_ieee_mode 1
		.amdhsa_fp16_overflow 0
		.amdhsa_tg_split 0
		.amdhsa_exception_fp_ieee_invalid_op 0
		.amdhsa_exception_fp_denorm_src 0
		.amdhsa_exception_fp_ieee_div_zero 0
		.amdhsa_exception_fp_ieee_overflow 0
		.amdhsa_exception_fp_ieee_underflow 0
		.amdhsa_exception_fp_ieee_inexact 0
		.amdhsa_exception_int_div_zero 0
	.end_amdhsa_kernel
	.section	.text._ZN7rocprim17ROCPRIM_400000_NS6detail17trampoline_kernelINS0_14default_configENS1_33run_length_encode_config_selectorIdjNS0_4plusIjEEEEZZNS1_33reduce_by_key_impl_wrapped_configILNS1_25lookback_scan_determinismE0ES3_S7_PKdNS0_17constant_iteratorIjlEEPdPlSF_S6_NS0_8equal_toIdEEEE10hipError_tPvRmT2_T3_mT4_T5_T6_T7_T8_P12ihipStream_tbENKUlT_T0_E_clISt17integral_constantIbLb1EESY_IbLb0EEEEDaSU_SV_EUlSU_E_NS1_11comp_targetILNS1_3genE10ELNS1_11target_archE1200ELNS1_3gpuE4ELNS1_3repE0EEENS1_30default_config_static_selectorELNS0_4arch9wavefront6targetE1EEEvT1_,"axG",@progbits,_ZN7rocprim17ROCPRIM_400000_NS6detail17trampoline_kernelINS0_14default_configENS1_33run_length_encode_config_selectorIdjNS0_4plusIjEEEEZZNS1_33reduce_by_key_impl_wrapped_configILNS1_25lookback_scan_determinismE0ES3_S7_PKdNS0_17constant_iteratorIjlEEPdPlSF_S6_NS0_8equal_toIdEEEE10hipError_tPvRmT2_T3_mT4_T5_T6_T7_T8_P12ihipStream_tbENKUlT_T0_E_clISt17integral_constantIbLb1EESY_IbLb0EEEEDaSU_SV_EUlSU_E_NS1_11comp_targetILNS1_3genE10ELNS1_11target_archE1200ELNS1_3gpuE4ELNS1_3repE0EEENS1_30default_config_static_selectorELNS0_4arch9wavefront6targetE1EEEvT1_,comdat
.Lfunc_end328:
	.size	_ZN7rocprim17ROCPRIM_400000_NS6detail17trampoline_kernelINS0_14default_configENS1_33run_length_encode_config_selectorIdjNS0_4plusIjEEEEZZNS1_33reduce_by_key_impl_wrapped_configILNS1_25lookback_scan_determinismE0ES3_S7_PKdNS0_17constant_iteratorIjlEEPdPlSF_S6_NS0_8equal_toIdEEEE10hipError_tPvRmT2_T3_mT4_T5_T6_T7_T8_P12ihipStream_tbENKUlT_T0_E_clISt17integral_constantIbLb1EESY_IbLb0EEEEDaSU_SV_EUlSU_E_NS1_11comp_targetILNS1_3genE10ELNS1_11target_archE1200ELNS1_3gpuE4ELNS1_3repE0EEENS1_30default_config_static_selectorELNS0_4arch9wavefront6targetE1EEEvT1_, .Lfunc_end328-_ZN7rocprim17ROCPRIM_400000_NS6detail17trampoline_kernelINS0_14default_configENS1_33run_length_encode_config_selectorIdjNS0_4plusIjEEEEZZNS1_33reduce_by_key_impl_wrapped_configILNS1_25lookback_scan_determinismE0ES3_S7_PKdNS0_17constant_iteratorIjlEEPdPlSF_S6_NS0_8equal_toIdEEEE10hipError_tPvRmT2_T3_mT4_T5_T6_T7_T8_P12ihipStream_tbENKUlT_T0_E_clISt17integral_constantIbLb1EESY_IbLb0EEEEDaSU_SV_EUlSU_E_NS1_11comp_targetILNS1_3genE10ELNS1_11target_archE1200ELNS1_3gpuE4ELNS1_3repE0EEENS1_30default_config_static_selectorELNS0_4arch9wavefront6targetE1EEEvT1_
                                        ; -- End function
	.section	.AMDGPU.csdata,"",@progbits
; Kernel info:
; codeLenInByte = 0
; NumSgprs: 4
; NumVgprs: 0
; NumAgprs: 0
; TotalNumVgprs: 0
; ScratchSize: 0
; MemoryBound: 0
; FloatMode: 240
; IeeeMode: 1
; LDSByteSize: 0 bytes/workgroup (compile time only)
; SGPRBlocks: 0
; VGPRBlocks: 0
; NumSGPRsForWavesPerEU: 4
; NumVGPRsForWavesPerEU: 1
; AccumOffset: 4
; Occupancy: 8
; WaveLimiterHint : 0
; COMPUTE_PGM_RSRC2:SCRATCH_EN: 0
; COMPUTE_PGM_RSRC2:USER_SGPR: 6
; COMPUTE_PGM_RSRC2:TRAP_HANDLER: 0
; COMPUTE_PGM_RSRC2:TGID_X_EN: 1
; COMPUTE_PGM_RSRC2:TGID_Y_EN: 0
; COMPUTE_PGM_RSRC2:TGID_Z_EN: 0
; COMPUTE_PGM_RSRC2:TIDIG_COMP_CNT: 0
; COMPUTE_PGM_RSRC3_GFX90A:ACCUM_OFFSET: 0
; COMPUTE_PGM_RSRC3_GFX90A:TG_SPLIT: 0
	.section	.text._ZN7rocprim17ROCPRIM_400000_NS6detail17trampoline_kernelINS0_14default_configENS1_33run_length_encode_config_selectorIdjNS0_4plusIjEEEEZZNS1_33reduce_by_key_impl_wrapped_configILNS1_25lookback_scan_determinismE0ES3_S7_PKdNS0_17constant_iteratorIjlEEPdPlSF_S6_NS0_8equal_toIdEEEE10hipError_tPvRmT2_T3_mT4_T5_T6_T7_T8_P12ihipStream_tbENKUlT_T0_E_clISt17integral_constantIbLb1EESY_IbLb0EEEEDaSU_SV_EUlSU_E_NS1_11comp_targetILNS1_3genE9ELNS1_11target_archE1100ELNS1_3gpuE3ELNS1_3repE0EEENS1_30default_config_static_selectorELNS0_4arch9wavefront6targetE1EEEvT1_,"axG",@progbits,_ZN7rocprim17ROCPRIM_400000_NS6detail17trampoline_kernelINS0_14default_configENS1_33run_length_encode_config_selectorIdjNS0_4plusIjEEEEZZNS1_33reduce_by_key_impl_wrapped_configILNS1_25lookback_scan_determinismE0ES3_S7_PKdNS0_17constant_iteratorIjlEEPdPlSF_S6_NS0_8equal_toIdEEEE10hipError_tPvRmT2_T3_mT4_T5_T6_T7_T8_P12ihipStream_tbENKUlT_T0_E_clISt17integral_constantIbLb1EESY_IbLb0EEEEDaSU_SV_EUlSU_E_NS1_11comp_targetILNS1_3genE9ELNS1_11target_archE1100ELNS1_3gpuE3ELNS1_3repE0EEENS1_30default_config_static_selectorELNS0_4arch9wavefront6targetE1EEEvT1_,comdat
	.protected	_ZN7rocprim17ROCPRIM_400000_NS6detail17trampoline_kernelINS0_14default_configENS1_33run_length_encode_config_selectorIdjNS0_4plusIjEEEEZZNS1_33reduce_by_key_impl_wrapped_configILNS1_25lookback_scan_determinismE0ES3_S7_PKdNS0_17constant_iteratorIjlEEPdPlSF_S6_NS0_8equal_toIdEEEE10hipError_tPvRmT2_T3_mT4_T5_T6_T7_T8_P12ihipStream_tbENKUlT_T0_E_clISt17integral_constantIbLb1EESY_IbLb0EEEEDaSU_SV_EUlSU_E_NS1_11comp_targetILNS1_3genE9ELNS1_11target_archE1100ELNS1_3gpuE3ELNS1_3repE0EEENS1_30default_config_static_selectorELNS0_4arch9wavefront6targetE1EEEvT1_ ; -- Begin function _ZN7rocprim17ROCPRIM_400000_NS6detail17trampoline_kernelINS0_14default_configENS1_33run_length_encode_config_selectorIdjNS0_4plusIjEEEEZZNS1_33reduce_by_key_impl_wrapped_configILNS1_25lookback_scan_determinismE0ES3_S7_PKdNS0_17constant_iteratorIjlEEPdPlSF_S6_NS0_8equal_toIdEEEE10hipError_tPvRmT2_T3_mT4_T5_T6_T7_T8_P12ihipStream_tbENKUlT_T0_E_clISt17integral_constantIbLb1EESY_IbLb0EEEEDaSU_SV_EUlSU_E_NS1_11comp_targetILNS1_3genE9ELNS1_11target_archE1100ELNS1_3gpuE3ELNS1_3repE0EEENS1_30default_config_static_selectorELNS0_4arch9wavefront6targetE1EEEvT1_
	.globl	_ZN7rocprim17ROCPRIM_400000_NS6detail17trampoline_kernelINS0_14default_configENS1_33run_length_encode_config_selectorIdjNS0_4plusIjEEEEZZNS1_33reduce_by_key_impl_wrapped_configILNS1_25lookback_scan_determinismE0ES3_S7_PKdNS0_17constant_iteratorIjlEEPdPlSF_S6_NS0_8equal_toIdEEEE10hipError_tPvRmT2_T3_mT4_T5_T6_T7_T8_P12ihipStream_tbENKUlT_T0_E_clISt17integral_constantIbLb1EESY_IbLb0EEEEDaSU_SV_EUlSU_E_NS1_11comp_targetILNS1_3genE9ELNS1_11target_archE1100ELNS1_3gpuE3ELNS1_3repE0EEENS1_30default_config_static_selectorELNS0_4arch9wavefront6targetE1EEEvT1_
	.p2align	8
	.type	_ZN7rocprim17ROCPRIM_400000_NS6detail17trampoline_kernelINS0_14default_configENS1_33run_length_encode_config_selectorIdjNS0_4plusIjEEEEZZNS1_33reduce_by_key_impl_wrapped_configILNS1_25lookback_scan_determinismE0ES3_S7_PKdNS0_17constant_iteratorIjlEEPdPlSF_S6_NS0_8equal_toIdEEEE10hipError_tPvRmT2_T3_mT4_T5_T6_T7_T8_P12ihipStream_tbENKUlT_T0_E_clISt17integral_constantIbLb1EESY_IbLb0EEEEDaSU_SV_EUlSU_E_NS1_11comp_targetILNS1_3genE9ELNS1_11target_archE1100ELNS1_3gpuE3ELNS1_3repE0EEENS1_30default_config_static_selectorELNS0_4arch9wavefront6targetE1EEEvT1_,@function
_ZN7rocprim17ROCPRIM_400000_NS6detail17trampoline_kernelINS0_14default_configENS1_33run_length_encode_config_selectorIdjNS0_4plusIjEEEEZZNS1_33reduce_by_key_impl_wrapped_configILNS1_25lookback_scan_determinismE0ES3_S7_PKdNS0_17constant_iteratorIjlEEPdPlSF_S6_NS0_8equal_toIdEEEE10hipError_tPvRmT2_T3_mT4_T5_T6_T7_T8_P12ihipStream_tbENKUlT_T0_E_clISt17integral_constantIbLb1EESY_IbLb0EEEEDaSU_SV_EUlSU_E_NS1_11comp_targetILNS1_3genE9ELNS1_11target_archE1100ELNS1_3gpuE3ELNS1_3repE0EEENS1_30default_config_static_selectorELNS0_4arch9wavefront6targetE1EEEvT1_: ; @_ZN7rocprim17ROCPRIM_400000_NS6detail17trampoline_kernelINS0_14default_configENS1_33run_length_encode_config_selectorIdjNS0_4plusIjEEEEZZNS1_33reduce_by_key_impl_wrapped_configILNS1_25lookback_scan_determinismE0ES3_S7_PKdNS0_17constant_iteratorIjlEEPdPlSF_S6_NS0_8equal_toIdEEEE10hipError_tPvRmT2_T3_mT4_T5_T6_T7_T8_P12ihipStream_tbENKUlT_T0_E_clISt17integral_constantIbLb1EESY_IbLb0EEEEDaSU_SV_EUlSU_E_NS1_11comp_targetILNS1_3genE9ELNS1_11target_archE1100ELNS1_3gpuE3ELNS1_3repE0EEENS1_30default_config_static_selectorELNS0_4arch9wavefront6targetE1EEEvT1_
; %bb.0:
	.section	.rodata,"a",@progbits
	.p2align	6, 0x0
	.amdhsa_kernel _ZN7rocprim17ROCPRIM_400000_NS6detail17trampoline_kernelINS0_14default_configENS1_33run_length_encode_config_selectorIdjNS0_4plusIjEEEEZZNS1_33reduce_by_key_impl_wrapped_configILNS1_25lookback_scan_determinismE0ES3_S7_PKdNS0_17constant_iteratorIjlEEPdPlSF_S6_NS0_8equal_toIdEEEE10hipError_tPvRmT2_T3_mT4_T5_T6_T7_T8_P12ihipStream_tbENKUlT_T0_E_clISt17integral_constantIbLb1EESY_IbLb0EEEEDaSU_SV_EUlSU_E_NS1_11comp_targetILNS1_3genE9ELNS1_11target_archE1100ELNS1_3gpuE3ELNS1_3repE0EEENS1_30default_config_static_selectorELNS0_4arch9wavefront6targetE1EEEvT1_
		.amdhsa_group_segment_fixed_size 0
		.amdhsa_private_segment_fixed_size 0
		.amdhsa_kernarg_size 128
		.amdhsa_user_sgpr_count 6
		.amdhsa_user_sgpr_private_segment_buffer 1
		.amdhsa_user_sgpr_dispatch_ptr 0
		.amdhsa_user_sgpr_queue_ptr 0
		.amdhsa_user_sgpr_kernarg_segment_ptr 1
		.amdhsa_user_sgpr_dispatch_id 0
		.amdhsa_user_sgpr_flat_scratch_init 0
		.amdhsa_user_sgpr_kernarg_preload_length 0
		.amdhsa_user_sgpr_kernarg_preload_offset 0
		.amdhsa_user_sgpr_private_segment_size 0
		.amdhsa_uses_dynamic_stack 0
		.amdhsa_system_sgpr_private_segment_wavefront_offset 0
		.amdhsa_system_sgpr_workgroup_id_x 1
		.amdhsa_system_sgpr_workgroup_id_y 0
		.amdhsa_system_sgpr_workgroup_id_z 0
		.amdhsa_system_sgpr_workgroup_info 0
		.amdhsa_system_vgpr_workitem_id 0
		.amdhsa_next_free_vgpr 1
		.amdhsa_next_free_sgpr 0
		.amdhsa_accum_offset 4
		.amdhsa_reserve_vcc 0
		.amdhsa_reserve_flat_scratch 0
		.amdhsa_float_round_mode_32 0
		.amdhsa_float_round_mode_16_64 0
		.amdhsa_float_denorm_mode_32 3
		.amdhsa_float_denorm_mode_16_64 3
		.amdhsa_dx10_clamp 1
		.amdhsa_ieee_mode 1
		.amdhsa_fp16_overflow 0
		.amdhsa_tg_split 0
		.amdhsa_exception_fp_ieee_invalid_op 0
		.amdhsa_exception_fp_denorm_src 0
		.amdhsa_exception_fp_ieee_div_zero 0
		.amdhsa_exception_fp_ieee_overflow 0
		.amdhsa_exception_fp_ieee_underflow 0
		.amdhsa_exception_fp_ieee_inexact 0
		.amdhsa_exception_int_div_zero 0
	.end_amdhsa_kernel
	.section	.text._ZN7rocprim17ROCPRIM_400000_NS6detail17trampoline_kernelINS0_14default_configENS1_33run_length_encode_config_selectorIdjNS0_4plusIjEEEEZZNS1_33reduce_by_key_impl_wrapped_configILNS1_25lookback_scan_determinismE0ES3_S7_PKdNS0_17constant_iteratorIjlEEPdPlSF_S6_NS0_8equal_toIdEEEE10hipError_tPvRmT2_T3_mT4_T5_T6_T7_T8_P12ihipStream_tbENKUlT_T0_E_clISt17integral_constantIbLb1EESY_IbLb0EEEEDaSU_SV_EUlSU_E_NS1_11comp_targetILNS1_3genE9ELNS1_11target_archE1100ELNS1_3gpuE3ELNS1_3repE0EEENS1_30default_config_static_selectorELNS0_4arch9wavefront6targetE1EEEvT1_,"axG",@progbits,_ZN7rocprim17ROCPRIM_400000_NS6detail17trampoline_kernelINS0_14default_configENS1_33run_length_encode_config_selectorIdjNS0_4plusIjEEEEZZNS1_33reduce_by_key_impl_wrapped_configILNS1_25lookback_scan_determinismE0ES3_S7_PKdNS0_17constant_iteratorIjlEEPdPlSF_S6_NS0_8equal_toIdEEEE10hipError_tPvRmT2_T3_mT4_T5_T6_T7_T8_P12ihipStream_tbENKUlT_T0_E_clISt17integral_constantIbLb1EESY_IbLb0EEEEDaSU_SV_EUlSU_E_NS1_11comp_targetILNS1_3genE9ELNS1_11target_archE1100ELNS1_3gpuE3ELNS1_3repE0EEENS1_30default_config_static_selectorELNS0_4arch9wavefront6targetE1EEEvT1_,comdat
.Lfunc_end329:
	.size	_ZN7rocprim17ROCPRIM_400000_NS6detail17trampoline_kernelINS0_14default_configENS1_33run_length_encode_config_selectorIdjNS0_4plusIjEEEEZZNS1_33reduce_by_key_impl_wrapped_configILNS1_25lookback_scan_determinismE0ES3_S7_PKdNS0_17constant_iteratorIjlEEPdPlSF_S6_NS0_8equal_toIdEEEE10hipError_tPvRmT2_T3_mT4_T5_T6_T7_T8_P12ihipStream_tbENKUlT_T0_E_clISt17integral_constantIbLb1EESY_IbLb0EEEEDaSU_SV_EUlSU_E_NS1_11comp_targetILNS1_3genE9ELNS1_11target_archE1100ELNS1_3gpuE3ELNS1_3repE0EEENS1_30default_config_static_selectorELNS0_4arch9wavefront6targetE1EEEvT1_, .Lfunc_end329-_ZN7rocprim17ROCPRIM_400000_NS6detail17trampoline_kernelINS0_14default_configENS1_33run_length_encode_config_selectorIdjNS0_4plusIjEEEEZZNS1_33reduce_by_key_impl_wrapped_configILNS1_25lookback_scan_determinismE0ES3_S7_PKdNS0_17constant_iteratorIjlEEPdPlSF_S6_NS0_8equal_toIdEEEE10hipError_tPvRmT2_T3_mT4_T5_T6_T7_T8_P12ihipStream_tbENKUlT_T0_E_clISt17integral_constantIbLb1EESY_IbLb0EEEEDaSU_SV_EUlSU_E_NS1_11comp_targetILNS1_3genE9ELNS1_11target_archE1100ELNS1_3gpuE3ELNS1_3repE0EEENS1_30default_config_static_selectorELNS0_4arch9wavefront6targetE1EEEvT1_
                                        ; -- End function
	.section	.AMDGPU.csdata,"",@progbits
; Kernel info:
; codeLenInByte = 0
; NumSgprs: 4
; NumVgprs: 0
; NumAgprs: 0
; TotalNumVgprs: 0
; ScratchSize: 0
; MemoryBound: 0
; FloatMode: 240
; IeeeMode: 1
; LDSByteSize: 0 bytes/workgroup (compile time only)
; SGPRBlocks: 0
; VGPRBlocks: 0
; NumSGPRsForWavesPerEU: 4
; NumVGPRsForWavesPerEU: 1
; AccumOffset: 4
; Occupancy: 8
; WaveLimiterHint : 0
; COMPUTE_PGM_RSRC2:SCRATCH_EN: 0
; COMPUTE_PGM_RSRC2:USER_SGPR: 6
; COMPUTE_PGM_RSRC2:TRAP_HANDLER: 0
; COMPUTE_PGM_RSRC2:TGID_X_EN: 1
; COMPUTE_PGM_RSRC2:TGID_Y_EN: 0
; COMPUTE_PGM_RSRC2:TGID_Z_EN: 0
; COMPUTE_PGM_RSRC2:TIDIG_COMP_CNT: 0
; COMPUTE_PGM_RSRC3_GFX90A:ACCUM_OFFSET: 0
; COMPUTE_PGM_RSRC3_GFX90A:TG_SPLIT: 0
	.section	.text._ZN7rocprim17ROCPRIM_400000_NS6detail17trampoline_kernelINS0_14default_configENS1_33run_length_encode_config_selectorIdjNS0_4plusIjEEEEZZNS1_33reduce_by_key_impl_wrapped_configILNS1_25lookback_scan_determinismE0ES3_S7_PKdNS0_17constant_iteratorIjlEEPdPlSF_S6_NS0_8equal_toIdEEEE10hipError_tPvRmT2_T3_mT4_T5_T6_T7_T8_P12ihipStream_tbENKUlT_T0_E_clISt17integral_constantIbLb1EESY_IbLb0EEEEDaSU_SV_EUlSU_E_NS1_11comp_targetILNS1_3genE8ELNS1_11target_archE1030ELNS1_3gpuE2ELNS1_3repE0EEENS1_30default_config_static_selectorELNS0_4arch9wavefront6targetE1EEEvT1_,"axG",@progbits,_ZN7rocprim17ROCPRIM_400000_NS6detail17trampoline_kernelINS0_14default_configENS1_33run_length_encode_config_selectorIdjNS0_4plusIjEEEEZZNS1_33reduce_by_key_impl_wrapped_configILNS1_25lookback_scan_determinismE0ES3_S7_PKdNS0_17constant_iteratorIjlEEPdPlSF_S6_NS0_8equal_toIdEEEE10hipError_tPvRmT2_T3_mT4_T5_T6_T7_T8_P12ihipStream_tbENKUlT_T0_E_clISt17integral_constantIbLb1EESY_IbLb0EEEEDaSU_SV_EUlSU_E_NS1_11comp_targetILNS1_3genE8ELNS1_11target_archE1030ELNS1_3gpuE2ELNS1_3repE0EEENS1_30default_config_static_selectorELNS0_4arch9wavefront6targetE1EEEvT1_,comdat
	.protected	_ZN7rocprim17ROCPRIM_400000_NS6detail17trampoline_kernelINS0_14default_configENS1_33run_length_encode_config_selectorIdjNS0_4plusIjEEEEZZNS1_33reduce_by_key_impl_wrapped_configILNS1_25lookback_scan_determinismE0ES3_S7_PKdNS0_17constant_iteratorIjlEEPdPlSF_S6_NS0_8equal_toIdEEEE10hipError_tPvRmT2_T3_mT4_T5_T6_T7_T8_P12ihipStream_tbENKUlT_T0_E_clISt17integral_constantIbLb1EESY_IbLb0EEEEDaSU_SV_EUlSU_E_NS1_11comp_targetILNS1_3genE8ELNS1_11target_archE1030ELNS1_3gpuE2ELNS1_3repE0EEENS1_30default_config_static_selectorELNS0_4arch9wavefront6targetE1EEEvT1_ ; -- Begin function _ZN7rocprim17ROCPRIM_400000_NS6detail17trampoline_kernelINS0_14default_configENS1_33run_length_encode_config_selectorIdjNS0_4plusIjEEEEZZNS1_33reduce_by_key_impl_wrapped_configILNS1_25lookback_scan_determinismE0ES3_S7_PKdNS0_17constant_iteratorIjlEEPdPlSF_S6_NS0_8equal_toIdEEEE10hipError_tPvRmT2_T3_mT4_T5_T6_T7_T8_P12ihipStream_tbENKUlT_T0_E_clISt17integral_constantIbLb1EESY_IbLb0EEEEDaSU_SV_EUlSU_E_NS1_11comp_targetILNS1_3genE8ELNS1_11target_archE1030ELNS1_3gpuE2ELNS1_3repE0EEENS1_30default_config_static_selectorELNS0_4arch9wavefront6targetE1EEEvT1_
	.globl	_ZN7rocprim17ROCPRIM_400000_NS6detail17trampoline_kernelINS0_14default_configENS1_33run_length_encode_config_selectorIdjNS0_4plusIjEEEEZZNS1_33reduce_by_key_impl_wrapped_configILNS1_25lookback_scan_determinismE0ES3_S7_PKdNS0_17constant_iteratorIjlEEPdPlSF_S6_NS0_8equal_toIdEEEE10hipError_tPvRmT2_T3_mT4_T5_T6_T7_T8_P12ihipStream_tbENKUlT_T0_E_clISt17integral_constantIbLb1EESY_IbLb0EEEEDaSU_SV_EUlSU_E_NS1_11comp_targetILNS1_3genE8ELNS1_11target_archE1030ELNS1_3gpuE2ELNS1_3repE0EEENS1_30default_config_static_selectorELNS0_4arch9wavefront6targetE1EEEvT1_
	.p2align	8
	.type	_ZN7rocprim17ROCPRIM_400000_NS6detail17trampoline_kernelINS0_14default_configENS1_33run_length_encode_config_selectorIdjNS0_4plusIjEEEEZZNS1_33reduce_by_key_impl_wrapped_configILNS1_25lookback_scan_determinismE0ES3_S7_PKdNS0_17constant_iteratorIjlEEPdPlSF_S6_NS0_8equal_toIdEEEE10hipError_tPvRmT2_T3_mT4_T5_T6_T7_T8_P12ihipStream_tbENKUlT_T0_E_clISt17integral_constantIbLb1EESY_IbLb0EEEEDaSU_SV_EUlSU_E_NS1_11comp_targetILNS1_3genE8ELNS1_11target_archE1030ELNS1_3gpuE2ELNS1_3repE0EEENS1_30default_config_static_selectorELNS0_4arch9wavefront6targetE1EEEvT1_,@function
_ZN7rocprim17ROCPRIM_400000_NS6detail17trampoline_kernelINS0_14default_configENS1_33run_length_encode_config_selectorIdjNS0_4plusIjEEEEZZNS1_33reduce_by_key_impl_wrapped_configILNS1_25lookback_scan_determinismE0ES3_S7_PKdNS0_17constant_iteratorIjlEEPdPlSF_S6_NS0_8equal_toIdEEEE10hipError_tPvRmT2_T3_mT4_T5_T6_T7_T8_P12ihipStream_tbENKUlT_T0_E_clISt17integral_constantIbLb1EESY_IbLb0EEEEDaSU_SV_EUlSU_E_NS1_11comp_targetILNS1_3genE8ELNS1_11target_archE1030ELNS1_3gpuE2ELNS1_3repE0EEENS1_30default_config_static_selectorELNS0_4arch9wavefront6targetE1EEEvT1_: ; @_ZN7rocprim17ROCPRIM_400000_NS6detail17trampoline_kernelINS0_14default_configENS1_33run_length_encode_config_selectorIdjNS0_4plusIjEEEEZZNS1_33reduce_by_key_impl_wrapped_configILNS1_25lookback_scan_determinismE0ES3_S7_PKdNS0_17constant_iteratorIjlEEPdPlSF_S6_NS0_8equal_toIdEEEE10hipError_tPvRmT2_T3_mT4_T5_T6_T7_T8_P12ihipStream_tbENKUlT_T0_E_clISt17integral_constantIbLb1EESY_IbLb0EEEEDaSU_SV_EUlSU_E_NS1_11comp_targetILNS1_3genE8ELNS1_11target_archE1030ELNS1_3gpuE2ELNS1_3repE0EEENS1_30default_config_static_selectorELNS0_4arch9wavefront6targetE1EEEvT1_
; %bb.0:
	.section	.rodata,"a",@progbits
	.p2align	6, 0x0
	.amdhsa_kernel _ZN7rocprim17ROCPRIM_400000_NS6detail17trampoline_kernelINS0_14default_configENS1_33run_length_encode_config_selectorIdjNS0_4plusIjEEEEZZNS1_33reduce_by_key_impl_wrapped_configILNS1_25lookback_scan_determinismE0ES3_S7_PKdNS0_17constant_iteratorIjlEEPdPlSF_S6_NS0_8equal_toIdEEEE10hipError_tPvRmT2_T3_mT4_T5_T6_T7_T8_P12ihipStream_tbENKUlT_T0_E_clISt17integral_constantIbLb1EESY_IbLb0EEEEDaSU_SV_EUlSU_E_NS1_11comp_targetILNS1_3genE8ELNS1_11target_archE1030ELNS1_3gpuE2ELNS1_3repE0EEENS1_30default_config_static_selectorELNS0_4arch9wavefront6targetE1EEEvT1_
		.amdhsa_group_segment_fixed_size 0
		.amdhsa_private_segment_fixed_size 0
		.amdhsa_kernarg_size 128
		.amdhsa_user_sgpr_count 6
		.amdhsa_user_sgpr_private_segment_buffer 1
		.amdhsa_user_sgpr_dispatch_ptr 0
		.amdhsa_user_sgpr_queue_ptr 0
		.amdhsa_user_sgpr_kernarg_segment_ptr 1
		.amdhsa_user_sgpr_dispatch_id 0
		.amdhsa_user_sgpr_flat_scratch_init 0
		.amdhsa_user_sgpr_kernarg_preload_length 0
		.amdhsa_user_sgpr_kernarg_preload_offset 0
		.amdhsa_user_sgpr_private_segment_size 0
		.amdhsa_uses_dynamic_stack 0
		.amdhsa_system_sgpr_private_segment_wavefront_offset 0
		.amdhsa_system_sgpr_workgroup_id_x 1
		.amdhsa_system_sgpr_workgroup_id_y 0
		.amdhsa_system_sgpr_workgroup_id_z 0
		.amdhsa_system_sgpr_workgroup_info 0
		.amdhsa_system_vgpr_workitem_id 0
		.amdhsa_next_free_vgpr 1
		.amdhsa_next_free_sgpr 0
		.amdhsa_accum_offset 4
		.amdhsa_reserve_vcc 0
		.amdhsa_reserve_flat_scratch 0
		.amdhsa_float_round_mode_32 0
		.amdhsa_float_round_mode_16_64 0
		.amdhsa_float_denorm_mode_32 3
		.amdhsa_float_denorm_mode_16_64 3
		.amdhsa_dx10_clamp 1
		.amdhsa_ieee_mode 1
		.amdhsa_fp16_overflow 0
		.amdhsa_tg_split 0
		.amdhsa_exception_fp_ieee_invalid_op 0
		.amdhsa_exception_fp_denorm_src 0
		.amdhsa_exception_fp_ieee_div_zero 0
		.amdhsa_exception_fp_ieee_overflow 0
		.amdhsa_exception_fp_ieee_underflow 0
		.amdhsa_exception_fp_ieee_inexact 0
		.amdhsa_exception_int_div_zero 0
	.end_amdhsa_kernel
	.section	.text._ZN7rocprim17ROCPRIM_400000_NS6detail17trampoline_kernelINS0_14default_configENS1_33run_length_encode_config_selectorIdjNS0_4plusIjEEEEZZNS1_33reduce_by_key_impl_wrapped_configILNS1_25lookback_scan_determinismE0ES3_S7_PKdNS0_17constant_iteratorIjlEEPdPlSF_S6_NS0_8equal_toIdEEEE10hipError_tPvRmT2_T3_mT4_T5_T6_T7_T8_P12ihipStream_tbENKUlT_T0_E_clISt17integral_constantIbLb1EESY_IbLb0EEEEDaSU_SV_EUlSU_E_NS1_11comp_targetILNS1_3genE8ELNS1_11target_archE1030ELNS1_3gpuE2ELNS1_3repE0EEENS1_30default_config_static_selectorELNS0_4arch9wavefront6targetE1EEEvT1_,"axG",@progbits,_ZN7rocprim17ROCPRIM_400000_NS6detail17trampoline_kernelINS0_14default_configENS1_33run_length_encode_config_selectorIdjNS0_4plusIjEEEEZZNS1_33reduce_by_key_impl_wrapped_configILNS1_25lookback_scan_determinismE0ES3_S7_PKdNS0_17constant_iteratorIjlEEPdPlSF_S6_NS0_8equal_toIdEEEE10hipError_tPvRmT2_T3_mT4_T5_T6_T7_T8_P12ihipStream_tbENKUlT_T0_E_clISt17integral_constantIbLb1EESY_IbLb0EEEEDaSU_SV_EUlSU_E_NS1_11comp_targetILNS1_3genE8ELNS1_11target_archE1030ELNS1_3gpuE2ELNS1_3repE0EEENS1_30default_config_static_selectorELNS0_4arch9wavefront6targetE1EEEvT1_,comdat
.Lfunc_end330:
	.size	_ZN7rocprim17ROCPRIM_400000_NS6detail17trampoline_kernelINS0_14default_configENS1_33run_length_encode_config_selectorIdjNS0_4plusIjEEEEZZNS1_33reduce_by_key_impl_wrapped_configILNS1_25lookback_scan_determinismE0ES3_S7_PKdNS0_17constant_iteratorIjlEEPdPlSF_S6_NS0_8equal_toIdEEEE10hipError_tPvRmT2_T3_mT4_T5_T6_T7_T8_P12ihipStream_tbENKUlT_T0_E_clISt17integral_constantIbLb1EESY_IbLb0EEEEDaSU_SV_EUlSU_E_NS1_11comp_targetILNS1_3genE8ELNS1_11target_archE1030ELNS1_3gpuE2ELNS1_3repE0EEENS1_30default_config_static_selectorELNS0_4arch9wavefront6targetE1EEEvT1_, .Lfunc_end330-_ZN7rocprim17ROCPRIM_400000_NS6detail17trampoline_kernelINS0_14default_configENS1_33run_length_encode_config_selectorIdjNS0_4plusIjEEEEZZNS1_33reduce_by_key_impl_wrapped_configILNS1_25lookback_scan_determinismE0ES3_S7_PKdNS0_17constant_iteratorIjlEEPdPlSF_S6_NS0_8equal_toIdEEEE10hipError_tPvRmT2_T3_mT4_T5_T6_T7_T8_P12ihipStream_tbENKUlT_T0_E_clISt17integral_constantIbLb1EESY_IbLb0EEEEDaSU_SV_EUlSU_E_NS1_11comp_targetILNS1_3genE8ELNS1_11target_archE1030ELNS1_3gpuE2ELNS1_3repE0EEENS1_30default_config_static_selectorELNS0_4arch9wavefront6targetE1EEEvT1_
                                        ; -- End function
	.section	.AMDGPU.csdata,"",@progbits
; Kernel info:
; codeLenInByte = 0
; NumSgprs: 4
; NumVgprs: 0
; NumAgprs: 0
; TotalNumVgprs: 0
; ScratchSize: 0
; MemoryBound: 0
; FloatMode: 240
; IeeeMode: 1
; LDSByteSize: 0 bytes/workgroup (compile time only)
; SGPRBlocks: 0
; VGPRBlocks: 0
; NumSGPRsForWavesPerEU: 4
; NumVGPRsForWavesPerEU: 1
; AccumOffset: 4
; Occupancy: 8
; WaveLimiterHint : 0
; COMPUTE_PGM_RSRC2:SCRATCH_EN: 0
; COMPUTE_PGM_RSRC2:USER_SGPR: 6
; COMPUTE_PGM_RSRC2:TRAP_HANDLER: 0
; COMPUTE_PGM_RSRC2:TGID_X_EN: 1
; COMPUTE_PGM_RSRC2:TGID_Y_EN: 0
; COMPUTE_PGM_RSRC2:TGID_Z_EN: 0
; COMPUTE_PGM_RSRC2:TIDIG_COMP_CNT: 0
; COMPUTE_PGM_RSRC3_GFX90A:ACCUM_OFFSET: 0
; COMPUTE_PGM_RSRC3_GFX90A:TG_SPLIT: 0
	.section	.text._ZN7rocprim17ROCPRIM_400000_NS6detail17trampoline_kernelINS0_14default_configENS1_33run_length_encode_config_selectorIdjNS0_4plusIjEEEEZZNS1_33reduce_by_key_impl_wrapped_configILNS1_25lookback_scan_determinismE0ES3_S7_PKdNS0_17constant_iteratorIjlEEPdPlSF_S6_NS0_8equal_toIdEEEE10hipError_tPvRmT2_T3_mT4_T5_T6_T7_T8_P12ihipStream_tbENKUlT_T0_E_clISt17integral_constantIbLb0EESY_IbLb1EEEEDaSU_SV_EUlSU_E_NS1_11comp_targetILNS1_3genE0ELNS1_11target_archE4294967295ELNS1_3gpuE0ELNS1_3repE0EEENS1_30default_config_static_selectorELNS0_4arch9wavefront6targetE1EEEvT1_,"axG",@progbits,_ZN7rocprim17ROCPRIM_400000_NS6detail17trampoline_kernelINS0_14default_configENS1_33run_length_encode_config_selectorIdjNS0_4plusIjEEEEZZNS1_33reduce_by_key_impl_wrapped_configILNS1_25lookback_scan_determinismE0ES3_S7_PKdNS0_17constant_iteratorIjlEEPdPlSF_S6_NS0_8equal_toIdEEEE10hipError_tPvRmT2_T3_mT4_T5_T6_T7_T8_P12ihipStream_tbENKUlT_T0_E_clISt17integral_constantIbLb0EESY_IbLb1EEEEDaSU_SV_EUlSU_E_NS1_11comp_targetILNS1_3genE0ELNS1_11target_archE4294967295ELNS1_3gpuE0ELNS1_3repE0EEENS1_30default_config_static_selectorELNS0_4arch9wavefront6targetE1EEEvT1_,comdat
	.protected	_ZN7rocprim17ROCPRIM_400000_NS6detail17trampoline_kernelINS0_14default_configENS1_33run_length_encode_config_selectorIdjNS0_4plusIjEEEEZZNS1_33reduce_by_key_impl_wrapped_configILNS1_25lookback_scan_determinismE0ES3_S7_PKdNS0_17constant_iteratorIjlEEPdPlSF_S6_NS0_8equal_toIdEEEE10hipError_tPvRmT2_T3_mT4_T5_T6_T7_T8_P12ihipStream_tbENKUlT_T0_E_clISt17integral_constantIbLb0EESY_IbLb1EEEEDaSU_SV_EUlSU_E_NS1_11comp_targetILNS1_3genE0ELNS1_11target_archE4294967295ELNS1_3gpuE0ELNS1_3repE0EEENS1_30default_config_static_selectorELNS0_4arch9wavefront6targetE1EEEvT1_ ; -- Begin function _ZN7rocprim17ROCPRIM_400000_NS6detail17trampoline_kernelINS0_14default_configENS1_33run_length_encode_config_selectorIdjNS0_4plusIjEEEEZZNS1_33reduce_by_key_impl_wrapped_configILNS1_25lookback_scan_determinismE0ES3_S7_PKdNS0_17constant_iteratorIjlEEPdPlSF_S6_NS0_8equal_toIdEEEE10hipError_tPvRmT2_T3_mT4_T5_T6_T7_T8_P12ihipStream_tbENKUlT_T0_E_clISt17integral_constantIbLb0EESY_IbLb1EEEEDaSU_SV_EUlSU_E_NS1_11comp_targetILNS1_3genE0ELNS1_11target_archE4294967295ELNS1_3gpuE0ELNS1_3repE0EEENS1_30default_config_static_selectorELNS0_4arch9wavefront6targetE1EEEvT1_
	.globl	_ZN7rocprim17ROCPRIM_400000_NS6detail17trampoline_kernelINS0_14default_configENS1_33run_length_encode_config_selectorIdjNS0_4plusIjEEEEZZNS1_33reduce_by_key_impl_wrapped_configILNS1_25lookback_scan_determinismE0ES3_S7_PKdNS0_17constant_iteratorIjlEEPdPlSF_S6_NS0_8equal_toIdEEEE10hipError_tPvRmT2_T3_mT4_T5_T6_T7_T8_P12ihipStream_tbENKUlT_T0_E_clISt17integral_constantIbLb0EESY_IbLb1EEEEDaSU_SV_EUlSU_E_NS1_11comp_targetILNS1_3genE0ELNS1_11target_archE4294967295ELNS1_3gpuE0ELNS1_3repE0EEENS1_30default_config_static_selectorELNS0_4arch9wavefront6targetE1EEEvT1_
	.p2align	8
	.type	_ZN7rocprim17ROCPRIM_400000_NS6detail17trampoline_kernelINS0_14default_configENS1_33run_length_encode_config_selectorIdjNS0_4plusIjEEEEZZNS1_33reduce_by_key_impl_wrapped_configILNS1_25lookback_scan_determinismE0ES3_S7_PKdNS0_17constant_iteratorIjlEEPdPlSF_S6_NS0_8equal_toIdEEEE10hipError_tPvRmT2_T3_mT4_T5_T6_T7_T8_P12ihipStream_tbENKUlT_T0_E_clISt17integral_constantIbLb0EESY_IbLb1EEEEDaSU_SV_EUlSU_E_NS1_11comp_targetILNS1_3genE0ELNS1_11target_archE4294967295ELNS1_3gpuE0ELNS1_3repE0EEENS1_30default_config_static_selectorELNS0_4arch9wavefront6targetE1EEEvT1_,@function
_ZN7rocprim17ROCPRIM_400000_NS6detail17trampoline_kernelINS0_14default_configENS1_33run_length_encode_config_selectorIdjNS0_4plusIjEEEEZZNS1_33reduce_by_key_impl_wrapped_configILNS1_25lookback_scan_determinismE0ES3_S7_PKdNS0_17constant_iteratorIjlEEPdPlSF_S6_NS0_8equal_toIdEEEE10hipError_tPvRmT2_T3_mT4_T5_T6_T7_T8_P12ihipStream_tbENKUlT_T0_E_clISt17integral_constantIbLb0EESY_IbLb1EEEEDaSU_SV_EUlSU_E_NS1_11comp_targetILNS1_3genE0ELNS1_11target_archE4294967295ELNS1_3gpuE0ELNS1_3repE0EEENS1_30default_config_static_selectorELNS0_4arch9wavefront6targetE1EEEvT1_: ; @_ZN7rocprim17ROCPRIM_400000_NS6detail17trampoline_kernelINS0_14default_configENS1_33run_length_encode_config_selectorIdjNS0_4plusIjEEEEZZNS1_33reduce_by_key_impl_wrapped_configILNS1_25lookback_scan_determinismE0ES3_S7_PKdNS0_17constant_iteratorIjlEEPdPlSF_S6_NS0_8equal_toIdEEEE10hipError_tPvRmT2_T3_mT4_T5_T6_T7_T8_P12ihipStream_tbENKUlT_T0_E_clISt17integral_constantIbLb0EESY_IbLb1EEEEDaSU_SV_EUlSU_E_NS1_11comp_targetILNS1_3genE0ELNS1_11target_archE4294967295ELNS1_3gpuE0ELNS1_3repE0EEENS1_30default_config_static_selectorELNS0_4arch9wavefront6targetE1EEEvT1_
; %bb.0:
	.section	.rodata,"a",@progbits
	.p2align	6, 0x0
	.amdhsa_kernel _ZN7rocprim17ROCPRIM_400000_NS6detail17trampoline_kernelINS0_14default_configENS1_33run_length_encode_config_selectorIdjNS0_4plusIjEEEEZZNS1_33reduce_by_key_impl_wrapped_configILNS1_25lookback_scan_determinismE0ES3_S7_PKdNS0_17constant_iteratorIjlEEPdPlSF_S6_NS0_8equal_toIdEEEE10hipError_tPvRmT2_T3_mT4_T5_T6_T7_T8_P12ihipStream_tbENKUlT_T0_E_clISt17integral_constantIbLb0EESY_IbLb1EEEEDaSU_SV_EUlSU_E_NS1_11comp_targetILNS1_3genE0ELNS1_11target_archE4294967295ELNS1_3gpuE0ELNS1_3repE0EEENS1_30default_config_static_selectorELNS0_4arch9wavefront6targetE1EEEvT1_
		.amdhsa_group_segment_fixed_size 0
		.amdhsa_private_segment_fixed_size 0
		.amdhsa_kernarg_size 128
		.amdhsa_user_sgpr_count 6
		.amdhsa_user_sgpr_private_segment_buffer 1
		.amdhsa_user_sgpr_dispatch_ptr 0
		.amdhsa_user_sgpr_queue_ptr 0
		.amdhsa_user_sgpr_kernarg_segment_ptr 1
		.amdhsa_user_sgpr_dispatch_id 0
		.amdhsa_user_sgpr_flat_scratch_init 0
		.amdhsa_user_sgpr_kernarg_preload_length 0
		.amdhsa_user_sgpr_kernarg_preload_offset 0
		.amdhsa_user_sgpr_private_segment_size 0
		.amdhsa_uses_dynamic_stack 0
		.amdhsa_system_sgpr_private_segment_wavefront_offset 0
		.amdhsa_system_sgpr_workgroup_id_x 1
		.amdhsa_system_sgpr_workgroup_id_y 0
		.amdhsa_system_sgpr_workgroup_id_z 0
		.amdhsa_system_sgpr_workgroup_info 0
		.amdhsa_system_vgpr_workitem_id 0
		.amdhsa_next_free_vgpr 1
		.amdhsa_next_free_sgpr 0
		.amdhsa_accum_offset 4
		.amdhsa_reserve_vcc 0
		.amdhsa_reserve_flat_scratch 0
		.amdhsa_float_round_mode_32 0
		.amdhsa_float_round_mode_16_64 0
		.amdhsa_float_denorm_mode_32 3
		.amdhsa_float_denorm_mode_16_64 3
		.amdhsa_dx10_clamp 1
		.amdhsa_ieee_mode 1
		.amdhsa_fp16_overflow 0
		.amdhsa_tg_split 0
		.amdhsa_exception_fp_ieee_invalid_op 0
		.amdhsa_exception_fp_denorm_src 0
		.amdhsa_exception_fp_ieee_div_zero 0
		.amdhsa_exception_fp_ieee_overflow 0
		.amdhsa_exception_fp_ieee_underflow 0
		.amdhsa_exception_fp_ieee_inexact 0
		.amdhsa_exception_int_div_zero 0
	.end_amdhsa_kernel
	.section	.text._ZN7rocprim17ROCPRIM_400000_NS6detail17trampoline_kernelINS0_14default_configENS1_33run_length_encode_config_selectorIdjNS0_4plusIjEEEEZZNS1_33reduce_by_key_impl_wrapped_configILNS1_25lookback_scan_determinismE0ES3_S7_PKdNS0_17constant_iteratorIjlEEPdPlSF_S6_NS0_8equal_toIdEEEE10hipError_tPvRmT2_T3_mT4_T5_T6_T7_T8_P12ihipStream_tbENKUlT_T0_E_clISt17integral_constantIbLb0EESY_IbLb1EEEEDaSU_SV_EUlSU_E_NS1_11comp_targetILNS1_3genE0ELNS1_11target_archE4294967295ELNS1_3gpuE0ELNS1_3repE0EEENS1_30default_config_static_selectorELNS0_4arch9wavefront6targetE1EEEvT1_,"axG",@progbits,_ZN7rocprim17ROCPRIM_400000_NS6detail17trampoline_kernelINS0_14default_configENS1_33run_length_encode_config_selectorIdjNS0_4plusIjEEEEZZNS1_33reduce_by_key_impl_wrapped_configILNS1_25lookback_scan_determinismE0ES3_S7_PKdNS0_17constant_iteratorIjlEEPdPlSF_S6_NS0_8equal_toIdEEEE10hipError_tPvRmT2_T3_mT4_T5_T6_T7_T8_P12ihipStream_tbENKUlT_T0_E_clISt17integral_constantIbLb0EESY_IbLb1EEEEDaSU_SV_EUlSU_E_NS1_11comp_targetILNS1_3genE0ELNS1_11target_archE4294967295ELNS1_3gpuE0ELNS1_3repE0EEENS1_30default_config_static_selectorELNS0_4arch9wavefront6targetE1EEEvT1_,comdat
.Lfunc_end331:
	.size	_ZN7rocprim17ROCPRIM_400000_NS6detail17trampoline_kernelINS0_14default_configENS1_33run_length_encode_config_selectorIdjNS0_4plusIjEEEEZZNS1_33reduce_by_key_impl_wrapped_configILNS1_25lookback_scan_determinismE0ES3_S7_PKdNS0_17constant_iteratorIjlEEPdPlSF_S6_NS0_8equal_toIdEEEE10hipError_tPvRmT2_T3_mT4_T5_T6_T7_T8_P12ihipStream_tbENKUlT_T0_E_clISt17integral_constantIbLb0EESY_IbLb1EEEEDaSU_SV_EUlSU_E_NS1_11comp_targetILNS1_3genE0ELNS1_11target_archE4294967295ELNS1_3gpuE0ELNS1_3repE0EEENS1_30default_config_static_selectorELNS0_4arch9wavefront6targetE1EEEvT1_, .Lfunc_end331-_ZN7rocprim17ROCPRIM_400000_NS6detail17trampoline_kernelINS0_14default_configENS1_33run_length_encode_config_selectorIdjNS0_4plusIjEEEEZZNS1_33reduce_by_key_impl_wrapped_configILNS1_25lookback_scan_determinismE0ES3_S7_PKdNS0_17constant_iteratorIjlEEPdPlSF_S6_NS0_8equal_toIdEEEE10hipError_tPvRmT2_T3_mT4_T5_T6_T7_T8_P12ihipStream_tbENKUlT_T0_E_clISt17integral_constantIbLb0EESY_IbLb1EEEEDaSU_SV_EUlSU_E_NS1_11comp_targetILNS1_3genE0ELNS1_11target_archE4294967295ELNS1_3gpuE0ELNS1_3repE0EEENS1_30default_config_static_selectorELNS0_4arch9wavefront6targetE1EEEvT1_
                                        ; -- End function
	.section	.AMDGPU.csdata,"",@progbits
; Kernel info:
; codeLenInByte = 0
; NumSgprs: 4
; NumVgprs: 0
; NumAgprs: 0
; TotalNumVgprs: 0
; ScratchSize: 0
; MemoryBound: 0
; FloatMode: 240
; IeeeMode: 1
; LDSByteSize: 0 bytes/workgroup (compile time only)
; SGPRBlocks: 0
; VGPRBlocks: 0
; NumSGPRsForWavesPerEU: 4
; NumVGPRsForWavesPerEU: 1
; AccumOffset: 4
; Occupancy: 8
; WaveLimiterHint : 0
; COMPUTE_PGM_RSRC2:SCRATCH_EN: 0
; COMPUTE_PGM_RSRC2:USER_SGPR: 6
; COMPUTE_PGM_RSRC2:TRAP_HANDLER: 0
; COMPUTE_PGM_RSRC2:TGID_X_EN: 1
; COMPUTE_PGM_RSRC2:TGID_Y_EN: 0
; COMPUTE_PGM_RSRC2:TGID_Z_EN: 0
; COMPUTE_PGM_RSRC2:TIDIG_COMP_CNT: 0
; COMPUTE_PGM_RSRC3_GFX90A:ACCUM_OFFSET: 0
; COMPUTE_PGM_RSRC3_GFX90A:TG_SPLIT: 0
	.section	.text._ZN7rocprim17ROCPRIM_400000_NS6detail17trampoline_kernelINS0_14default_configENS1_33run_length_encode_config_selectorIdjNS0_4plusIjEEEEZZNS1_33reduce_by_key_impl_wrapped_configILNS1_25lookback_scan_determinismE0ES3_S7_PKdNS0_17constant_iteratorIjlEEPdPlSF_S6_NS0_8equal_toIdEEEE10hipError_tPvRmT2_T3_mT4_T5_T6_T7_T8_P12ihipStream_tbENKUlT_T0_E_clISt17integral_constantIbLb0EESY_IbLb1EEEEDaSU_SV_EUlSU_E_NS1_11comp_targetILNS1_3genE5ELNS1_11target_archE942ELNS1_3gpuE9ELNS1_3repE0EEENS1_30default_config_static_selectorELNS0_4arch9wavefront6targetE1EEEvT1_,"axG",@progbits,_ZN7rocprim17ROCPRIM_400000_NS6detail17trampoline_kernelINS0_14default_configENS1_33run_length_encode_config_selectorIdjNS0_4plusIjEEEEZZNS1_33reduce_by_key_impl_wrapped_configILNS1_25lookback_scan_determinismE0ES3_S7_PKdNS0_17constant_iteratorIjlEEPdPlSF_S6_NS0_8equal_toIdEEEE10hipError_tPvRmT2_T3_mT4_T5_T6_T7_T8_P12ihipStream_tbENKUlT_T0_E_clISt17integral_constantIbLb0EESY_IbLb1EEEEDaSU_SV_EUlSU_E_NS1_11comp_targetILNS1_3genE5ELNS1_11target_archE942ELNS1_3gpuE9ELNS1_3repE0EEENS1_30default_config_static_selectorELNS0_4arch9wavefront6targetE1EEEvT1_,comdat
	.protected	_ZN7rocprim17ROCPRIM_400000_NS6detail17trampoline_kernelINS0_14default_configENS1_33run_length_encode_config_selectorIdjNS0_4plusIjEEEEZZNS1_33reduce_by_key_impl_wrapped_configILNS1_25lookback_scan_determinismE0ES3_S7_PKdNS0_17constant_iteratorIjlEEPdPlSF_S6_NS0_8equal_toIdEEEE10hipError_tPvRmT2_T3_mT4_T5_T6_T7_T8_P12ihipStream_tbENKUlT_T0_E_clISt17integral_constantIbLb0EESY_IbLb1EEEEDaSU_SV_EUlSU_E_NS1_11comp_targetILNS1_3genE5ELNS1_11target_archE942ELNS1_3gpuE9ELNS1_3repE0EEENS1_30default_config_static_selectorELNS0_4arch9wavefront6targetE1EEEvT1_ ; -- Begin function _ZN7rocprim17ROCPRIM_400000_NS6detail17trampoline_kernelINS0_14default_configENS1_33run_length_encode_config_selectorIdjNS0_4plusIjEEEEZZNS1_33reduce_by_key_impl_wrapped_configILNS1_25lookback_scan_determinismE0ES3_S7_PKdNS0_17constant_iteratorIjlEEPdPlSF_S6_NS0_8equal_toIdEEEE10hipError_tPvRmT2_T3_mT4_T5_T6_T7_T8_P12ihipStream_tbENKUlT_T0_E_clISt17integral_constantIbLb0EESY_IbLb1EEEEDaSU_SV_EUlSU_E_NS1_11comp_targetILNS1_3genE5ELNS1_11target_archE942ELNS1_3gpuE9ELNS1_3repE0EEENS1_30default_config_static_selectorELNS0_4arch9wavefront6targetE1EEEvT1_
	.globl	_ZN7rocprim17ROCPRIM_400000_NS6detail17trampoline_kernelINS0_14default_configENS1_33run_length_encode_config_selectorIdjNS0_4plusIjEEEEZZNS1_33reduce_by_key_impl_wrapped_configILNS1_25lookback_scan_determinismE0ES3_S7_PKdNS0_17constant_iteratorIjlEEPdPlSF_S6_NS0_8equal_toIdEEEE10hipError_tPvRmT2_T3_mT4_T5_T6_T7_T8_P12ihipStream_tbENKUlT_T0_E_clISt17integral_constantIbLb0EESY_IbLb1EEEEDaSU_SV_EUlSU_E_NS1_11comp_targetILNS1_3genE5ELNS1_11target_archE942ELNS1_3gpuE9ELNS1_3repE0EEENS1_30default_config_static_selectorELNS0_4arch9wavefront6targetE1EEEvT1_
	.p2align	8
	.type	_ZN7rocprim17ROCPRIM_400000_NS6detail17trampoline_kernelINS0_14default_configENS1_33run_length_encode_config_selectorIdjNS0_4plusIjEEEEZZNS1_33reduce_by_key_impl_wrapped_configILNS1_25lookback_scan_determinismE0ES3_S7_PKdNS0_17constant_iteratorIjlEEPdPlSF_S6_NS0_8equal_toIdEEEE10hipError_tPvRmT2_T3_mT4_T5_T6_T7_T8_P12ihipStream_tbENKUlT_T0_E_clISt17integral_constantIbLb0EESY_IbLb1EEEEDaSU_SV_EUlSU_E_NS1_11comp_targetILNS1_3genE5ELNS1_11target_archE942ELNS1_3gpuE9ELNS1_3repE0EEENS1_30default_config_static_selectorELNS0_4arch9wavefront6targetE1EEEvT1_,@function
_ZN7rocprim17ROCPRIM_400000_NS6detail17trampoline_kernelINS0_14default_configENS1_33run_length_encode_config_selectorIdjNS0_4plusIjEEEEZZNS1_33reduce_by_key_impl_wrapped_configILNS1_25lookback_scan_determinismE0ES3_S7_PKdNS0_17constant_iteratorIjlEEPdPlSF_S6_NS0_8equal_toIdEEEE10hipError_tPvRmT2_T3_mT4_T5_T6_T7_T8_P12ihipStream_tbENKUlT_T0_E_clISt17integral_constantIbLb0EESY_IbLb1EEEEDaSU_SV_EUlSU_E_NS1_11comp_targetILNS1_3genE5ELNS1_11target_archE942ELNS1_3gpuE9ELNS1_3repE0EEENS1_30default_config_static_selectorELNS0_4arch9wavefront6targetE1EEEvT1_: ; @_ZN7rocprim17ROCPRIM_400000_NS6detail17trampoline_kernelINS0_14default_configENS1_33run_length_encode_config_selectorIdjNS0_4plusIjEEEEZZNS1_33reduce_by_key_impl_wrapped_configILNS1_25lookback_scan_determinismE0ES3_S7_PKdNS0_17constant_iteratorIjlEEPdPlSF_S6_NS0_8equal_toIdEEEE10hipError_tPvRmT2_T3_mT4_T5_T6_T7_T8_P12ihipStream_tbENKUlT_T0_E_clISt17integral_constantIbLb0EESY_IbLb1EEEEDaSU_SV_EUlSU_E_NS1_11comp_targetILNS1_3genE5ELNS1_11target_archE942ELNS1_3gpuE9ELNS1_3repE0EEENS1_30default_config_static_selectorELNS0_4arch9wavefront6targetE1EEEvT1_
; %bb.0:
	.section	.rodata,"a",@progbits
	.p2align	6, 0x0
	.amdhsa_kernel _ZN7rocprim17ROCPRIM_400000_NS6detail17trampoline_kernelINS0_14default_configENS1_33run_length_encode_config_selectorIdjNS0_4plusIjEEEEZZNS1_33reduce_by_key_impl_wrapped_configILNS1_25lookback_scan_determinismE0ES3_S7_PKdNS0_17constant_iteratorIjlEEPdPlSF_S6_NS0_8equal_toIdEEEE10hipError_tPvRmT2_T3_mT4_T5_T6_T7_T8_P12ihipStream_tbENKUlT_T0_E_clISt17integral_constantIbLb0EESY_IbLb1EEEEDaSU_SV_EUlSU_E_NS1_11comp_targetILNS1_3genE5ELNS1_11target_archE942ELNS1_3gpuE9ELNS1_3repE0EEENS1_30default_config_static_selectorELNS0_4arch9wavefront6targetE1EEEvT1_
		.amdhsa_group_segment_fixed_size 0
		.amdhsa_private_segment_fixed_size 0
		.amdhsa_kernarg_size 128
		.amdhsa_user_sgpr_count 6
		.amdhsa_user_sgpr_private_segment_buffer 1
		.amdhsa_user_sgpr_dispatch_ptr 0
		.amdhsa_user_sgpr_queue_ptr 0
		.amdhsa_user_sgpr_kernarg_segment_ptr 1
		.amdhsa_user_sgpr_dispatch_id 0
		.amdhsa_user_sgpr_flat_scratch_init 0
		.amdhsa_user_sgpr_kernarg_preload_length 0
		.amdhsa_user_sgpr_kernarg_preload_offset 0
		.amdhsa_user_sgpr_private_segment_size 0
		.amdhsa_uses_dynamic_stack 0
		.amdhsa_system_sgpr_private_segment_wavefront_offset 0
		.amdhsa_system_sgpr_workgroup_id_x 1
		.amdhsa_system_sgpr_workgroup_id_y 0
		.amdhsa_system_sgpr_workgroup_id_z 0
		.amdhsa_system_sgpr_workgroup_info 0
		.amdhsa_system_vgpr_workitem_id 0
		.amdhsa_next_free_vgpr 1
		.amdhsa_next_free_sgpr 0
		.amdhsa_accum_offset 4
		.amdhsa_reserve_vcc 0
		.amdhsa_reserve_flat_scratch 0
		.amdhsa_float_round_mode_32 0
		.amdhsa_float_round_mode_16_64 0
		.amdhsa_float_denorm_mode_32 3
		.amdhsa_float_denorm_mode_16_64 3
		.amdhsa_dx10_clamp 1
		.amdhsa_ieee_mode 1
		.amdhsa_fp16_overflow 0
		.amdhsa_tg_split 0
		.amdhsa_exception_fp_ieee_invalid_op 0
		.amdhsa_exception_fp_denorm_src 0
		.amdhsa_exception_fp_ieee_div_zero 0
		.amdhsa_exception_fp_ieee_overflow 0
		.amdhsa_exception_fp_ieee_underflow 0
		.amdhsa_exception_fp_ieee_inexact 0
		.amdhsa_exception_int_div_zero 0
	.end_amdhsa_kernel
	.section	.text._ZN7rocprim17ROCPRIM_400000_NS6detail17trampoline_kernelINS0_14default_configENS1_33run_length_encode_config_selectorIdjNS0_4plusIjEEEEZZNS1_33reduce_by_key_impl_wrapped_configILNS1_25lookback_scan_determinismE0ES3_S7_PKdNS0_17constant_iteratorIjlEEPdPlSF_S6_NS0_8equal_toIdEEEE10hipError_tPvRmT2_T3_mT4_T5_T6_T7_T8_P12ihipStream_tbENKUlT_T0_E_clISt17integral_constantIbLb0EESY_IbLb1EEEEDaSU_SV_EUlSU_E_NS1_11comp_targetILNS1_3genE5ELNS1_11target_archE942ELNS1_3gpuE9ELNS1_3repE0EEENS1_30default_config_static_selectorELNS0_4arch9wavefront6targetE1EEEvT1_,"axG",@progbits,_ZN7rocprim17ROCPRIM_400000_NS6detail17trampoline_kernelINS0_14default_configENS1_33run_length_encode_config_selectorIdjNS0_4plusIjEEEEZZNS1_33reduce_by_key_impl_wrapped_configILNS1_25lookback_scan_determinismE0ES3_S7_PKdNS0_17constant_iteratorIjlEEPdPlSF_S6_NS0_8equal_toIdEEEE10hipError_tPvRmT2_T3_mT4_T5_T6_T7_T8_P12ihipStream_tbENKUlT_T0_E_clISt17integral_constantIbLb0EESY_IbLb1EEEEDaSU_SV_EUlSU_E_NS1_11comp_targetILNS1_3genE5ELNS1_11target_archE942ELNS1_3gpuE9ELNS1_3repE0EEENS1_30default_config_static_selectorELNS0_4arch9wavefront6targetE1EEEvT1_,comdat
.Lfunc_end332:
	.size	_ZN7rocprim17ROCPRIM_400000_NS6detail17trampoline_kernelINS0_14default_configENS1_33run_length_encode_config_selectorIdjNS0_4plusIjEEEEZZNS1_33reduce_by_key_impl_wrapped_configILNS1_25lookback_scan_determinismE0ES3_S7_PKdNS0_17constant_iteratorIjlEEPdPlSF_S6_NS0_8equal_toIdEEEE10hipError_tPvRmT2_T3_mT4_T5_T6_T7_T8_P12ihipStream_tbENKUlT_T0_E_clISt17integral_constantIbLb0EESY_IbLb1EEEEDaSU_SV_EUlSU_E_NS1_11comp_targetILNS1_3genE5ELNS1_11target_archE942ELNS1_3gpuE9ELNS1_3repE0EEENS1_30default_config_static_selectorELNS0_4arch9wavefront6targetE1EEEvT1_, .Lfunc_end332-_ZN7rocprim17ROCPRIM_400000_NS6detail17trampoline_kernelINS0_14default_configENS1_33run_length_encode_config_selectorIdjNS0_4plusIjEEEEZZNS1_33reduce_by_key_impl_wrapped_configILNS1_25lookback_scan_determinismE0ES3_S7_PKdNS0_17constant_iteratorIjlEEPdPlSF_S6_NS0_8equal_toIdEEEE10hipError_tPvRmT2_T3_mT4_T5_T6_T7_T8_P12ihipStream_tbENKUlT_T0_E_clISt17integral_constantIbLb0EESY_IbLb1EEEEDaSU_SV_EUlSU_E_NS1_11comp_targetILNS1_3genE5ELNS1_11target_archE942ELNS1_3gpuE9ELNS1_3repE0EEENS1_30default_config_static_selectorELNS0_4arch9wavefront6targetE1EEEvT1_
                                        ; -- End function
	.section	.AMDGPU.csdata,"",@progbits
; Kernel info:
; codeLenInByte = 0
; NumSgprs: 4
; NumVgprs: 0
; NumAgprs: 0
; TotalNumVgprs: 0
; ScratchSize: 0
; MemoryBound: 0
; FloatMode: 240
; IeeeMode: 1
; LDSByteSize: 0 bytes/workgroup (compile time only)
; SGPRBlocks: 0
; VGPRBlocks: 0
; NumSGPRsForWavesPerEU: 4
; NumVGPRsForWavesPerEU: 1
; AccumOffset: 4
; Occupancy: 8
; WaveLimiterHint : 0
; COMPUTE_PGM_RSRC2:SCRATCH_EN: 0
; COMPUTE_PGM_RSRC2:USER_SGPR: 6
; COMPUTE_PGM_RSRC2:TRAP_HANDLER: 0
; COMPUTE_PGM_RSRC2:TGID_X_EN: 1
; COMPUTE_PGM_RSRC2:TGID_Y_EN: 0
; COMPUTE_PGM_RSRC2:TGID_Z_EN: 0
; COMPUTE_PGM_RSRC2:TIDIG_COMP_CNT: 0
; COMPUTE_PGM_RSRC3_GFX90A:ACCUM_OFFSET: 0
; COMPUTE_PGM_RSRC3_GFX90A:TG_SPLIT: 0
	.section	.text._ZN7rocprim17ROCPRIM_400000_NS6detail17trampoline_kernelINS0_14default_configENS1_33run_length_encode_config_selectorIdjNS0_4plusIjEEEEZZNS1_33reduce_by_key_impl_wrapped_configILNS1_25lookback_scan_determinismE0ES3_S7_PKdNS0_17constant_iteratorIjlEEPdPlSF_S6_NS0_8equal_toIdEEEE10hipError_tPvRmT2_T3_mT4_T5_T6_T7_T8_P12ihipStream_tbENKUlT_T0_E_clISt17integral_constantIbLb0EESY_IbLb1EEEEDaSU_SV_EUlSU_E_NS1_11comp_targetILNS1_3genE4ELNS1_11target_archE910ELNS1_3gpuE8ELNS1_3repE0EEENS1_30default_config_static_selectorELNS0_4arch9wavefront6targetE1EEEvT1_,"axG",@progbits,_ZN7rocprim17ROCPRIM_400000_NS6detail17trampoline_kernelINS0_14default_configENS1_33run_length_encode_config_selectorIdjNS0_4plusIjEEEEZZNS1_33reduce_by_key_impl_wrapped_configILNS1_25lookback_scan_determinismE0ES3_S7_PKdNS0_17constant_iteratorIjlEEPdPlSF_S6_NS0_8equal_toIdEEEE10hipError_tPvRmT2_T3_mT4_T5_T6_T7_T8_P12ihipStream_tbENKUlT_T0_E_clISt17integral_constantIbLb0EESY_IbLb1EEEEDaSU_SV_EUlSU_E_NS1_11comp_targetILNS1_3genE4ELNS1_11target_archE910ELNS1_3gpuE8ELNS1_3repE0EEENS1_30default_config_static_selectorELNS0_4arch9wavefront6targetE1EEEvT1_,comdat
	.protected	_ZN7rocprim17ROCPRIM_400000_NS6detail17trampoline_kernelINS0_14default_configENS1_33run_length_encode_config_selectorIdjNS0_4plusIjEEEEZZNS1_33reduce_by_key_impl_wrapped_configILNS1_25lookback_scan_determinismE0ES3_S7_PKdNS0_17constant_iteratorIjlEEPdPlSF_S6_NS0_8equal_toIdEEEE10hipError_tPvRmT2_T3_mT4_T5_T6_T7_T8_P12ihipStream_tbENKUlT_T0_E_clISt17integral_constantIbLb0EESY_IbLb1EEEEDaSU_SV_EUlSU_E_NS1_11comp_targetILNS1_3genE4ELNS1_11target_archE910ELNS1_3gpuE8ELNS1_3repE0EEENS1_30default_config_static_selectorELNS0_4arch9wavefront6targetE1EEEvT1_ ; -- Begin function _ZN7rocprim17ROCPRIM_400000_NS6detail17trampoline_kernelINS0_14default_configENS1_33run_length_encode_config_selectorIdjNS0_4plusIjEEEEZZNS1_33reduce_by_key_impl_wrapped_configILNS1_25lookback_scan_determinismE0ES3_S7_PKdNS0_17constant_iteratorIjlEEPdPlSF_S6_NS0_8equal_toIdEEEE10hipError_tPvRmT2_T3_mT4_T5_T6_T7_T8_P12ihipStream_tbENKUlT_T0_E_clISt17integral_constantIbLb0EESY_IbLb1EEEEDaSU_SV_EUlSU_E_NS1_11comp_targetILNS1_3genE4ELNS1_11target_archE910ELNS1_3gpuE8ELNS1_3repE0EEENS1_30default_config_static_selectorELNS0_4arch9wavefront6targetE1EEEvT1_
	.globl	_ZN7rocprim17ROCPRIM_400000_NS6detail17trampoline_kernelINS0_14default_configENS1_33run_length_encode_config_selectorIdjNS0_4plusIjEEEEZZNS1_33reduce_by_key_impl_wrapped_configILNS1_25lookback_scan_determinismE0ES3_S7_PKdNS0_17constant_iteratorIjlEEPdPlSF_S6_NS0_8equal_toIdEEEE10hipError_tPvRmT2_T3_mT4_T5_T6_T7_T8_P12ihipStream_tbENKUlT_T0_E_clISt17integral_constantIbLb0EESY_IbLb1EEEEDaSU_SV_EUlSU_E_NS1_11comp_targetILNS1_3genE4ELNS1_11target_archE910ELNS1_3gpuE8ELNS1_3repE0EEENS1_30default_config_static_selectorELNS0_4arch9wavefront6targetE1EEEvT1_
	.p2align	8
	.type	_ZN7rocprim17ROCPRIM_400000_NS6detail17trampoline_kernelINS0_14default_configENS1_33run_length_encode_config_selectorIdjNS0_4plusIjEEEEZZNS1_33reduce_by_key_impl_wrapped_configILNS1_25lookback_scan_determinismE0ES3_S7_PKdNS0_17constant_iteratorIjlEEPdPlSF_S6_NS0_8equal_toIdEEEE10hipError_tPvRmT2_T3_mT4_T5_T6_T7_T8_P12ihipStream_tbENKUlT_T0_E_clISt17integral_constantIbLb0EESY_IbLb1EEEEDaSU_SV_EUlSU_E_NS1_11comp_targetILNS1_3genE4ELNS1_11target_archE910ELNS1_3gpuE8ELNS1_3repE0EEENS1_30default_config_static_selectorELNS0_4arch9wavefront6targetE1EEEvT1_,@function
_ZN7rocprim17ROCPRIM_400000_NS6detail17trampoline_kernelINS0_14default_configENS1_33run_length_encode_config_selectorIdjNS0_4plusIjEEEEZZNS1_33reduce_by_key_impl_wrapped_configILNS1_25lookback_scan_determinismE0ES3_S7_PKdNS0_17constant_iteratorIjlEEPdPlSF_S6_NS0_8equal_toIdEEEE10hipError_tPvRmT2_T3_mT4_T5_T6_T7_T8_P12ihipStream_tbENKUlT_T0_E_clISt17integral_constantIbLb0EESY_IbLb1EEEEDaSU_SV_EUlSU_E_NS1_11comp_targetILNS1_3genE4ELNS1_11target_archE910ELNS1_3gpuE8ELNS1_3repE0EEENS1_30default_config_static_selectorELNS0_4arch9wavefront6targetE1EEEvT1_: ; @_ZN7rocprim17ROCPRIM_400000_NS6detail17trampoline_kernelINS0_14default_configENS1_33run_length_encode_config_selectorIdjNS0_4plusIjEEEEZZNS1_33reduce_by_key_impl_wrapped_configILNS1_25lookback_scan_determinismE0ES3_S7_PKdNS0_17constant_iteratorIjlEEPdPlSF_S6_NS0_8equal_toIdEEEE10hipError_tPvRmT2_T3_mT4_T5_T6_T7_T8_P12ihipStream_tbENKUlT_T0_E_clISt17integral_constantIbLb0EESY_IbLb1EEEEDaSU_SV_EUlSU_E_NS1_11comp_targetILNS1_3genE4ELNS1_11target_archE910ELNS1_3gpuE8ELNS1_3repE0EEENS1_30default_config_static_selectorELNS0_4arch9wavefront6targetE1EEEvT1_
; %bb.0:
	s_load_dword s12, s[4:5], 0x10
	s_load_dwordx4 s[36:39], s[4:5], 0x20
	s_load_dwordx2 s[34:35], s[4:5], 0x30
	s_load_dwordx2 s[40:41], s[4:5], 0x70
	s_load_dwordx4 s[20:23], s[4:5], 0x60
	s_load_dwordx8 s[24:31], s[4:5], 0x40
	v_cmp_ne_u32_e64 s[2:3], 0, v0
	v_cmp_eq_u32_e64 s[0:1], 0, v0
	s_and_saveexec_b64 s[6:7], s[0:1]
	s_cbranch_execz .LBB333_4
; %bb.1:
	s_mov_b64 s[10:11], exec
	v_mbcnt_lo_u32_b32 v1, s10, 0
	v_mbcnt_hi_u32_b32 v1, s11, v1
	v_cmp_eq_u32_e32 vcc, 0, v1
                                        ; implicit-def: $vgpr2
	s_and_saveexec_b64 s[8:9], vcc
	s_cbranch_execz .LBB333_3
; %bb.2:
	s_load_dwordx2 s[14:15], s[4:5], 0x78
	s_bcnt1_i32_b64 s10, s[10:11]
	v_mov_b32_e32 v2, 0
	v_mov_b32_e32 v3, s10
	s_waitcnt lgkmcnt(0)
	global_atomic_add v2, v2, v3, s[14:15] glc
.LBB333_3:
	s_or_b64 exec, exec, s[8:9]
	s_waitcnt vmcnt(0)
	v_readfirstlane_b32 s8, v2
	v_add_u32_e32 v1, s8, v1
	v_mov_b32_e32 v2, 0
	ds_write_b32 v2, v1
.LBB333_4:
	s_or_b64 exec, exec, s[6:7]
	s_load_dwordx4 s[4:7], s[4:5], 0x0
	v_mov_b32_e32 v3, 0
	s_waitcnt lgkmcnt(0)
	s_barrier
	ds_read_b32 v1, v3
	s_mul_i32 s8, s28, s27
	s_mul_hi_u32 s9, s28, s26
	s_add_i32 s8, s9, s8
	s_mul_i32 s9, s29, s26
	s_add_i32 s8, s8, s9
	s_lshl_b64 s[6:7], s[6:7], 3
	s_add_u32 s4, s4, s6
	s_mul_i32 s9, s28, s26
	s_addc_u32 s5, s5, s7
	s_waitcnt lgkmcnt(0)
	v_readfirstlane_b32 s48, v1
	s_add_u32 s42, s9, s48
	s_movk_i32 s6, 0xa00
	s_addc_u32 s43, s8, 0
	v_mul_lo_u32 v2, v1, s6
	s_add_u32 s6, s30, -1
	v_lshlrev_b64 v[2:3], 3, v[2:3]
	s_addc_u32 s7, s31, -1
	v_mov_b32_e32 v1, s5
	v_add_co_u32_e32 v30, vcc, s4, v2
	s_cmp_eq_u64 s[42:43], s[6:7]
	v_addc_co_u32_e32 v31, vcc, v1, v3, vcc
	s_cselect_b64 s[28:29], -1, 0
	s_cmp_lg_u64 s[42:43], s[6:7]
	s_mov_b64 s[8:9], -1
	s_cselect_b64 s[4:5], -1, 0
	s_mul_i32 s33, s6, 0xfffff600
	s_and_b64 vcc, exec, s[28:29]
	s_barrier
	s_cbranch_vccnz .LBB333_6
; %bb.5:
	v_lshlrev_b32_e32 v1, 3, v0
	v_add_co_u32_e32 v22, vcc, v30, v1
	v_addc_co_u32_e32 v23, vcc, 0, v31, vcc
	v_add_co_u32_e32 v2, vcc, 0x1000, v22
	v_readfirstlane_b32 s6, v30
	v_readfirstlane_b32 s7, v31
	v_addc_co_u32_e32 v3, vcc, 0, v23, vcc
	s_nop 3
	global_load_dwordx2 v[4:5], v1, s[6:7]
	global_load_dwordx2 v[6:7], v1, s[6:7] offset:2048
	global_load_dwordx2 v[8:9], v[2:3], off
	global_load_dwordx2 v[10:11], v[2:3], off offset:2048
	v_add_co_u32_e32 v2, vcc, 0x2000, v22
	v_addc_co_u32_e32 v3, vcc, 0, v23, vcc
	v_add_co_u32_e32 v12, vcc, 0x3000, v22
	v_addc_co_u32_e32 v13, vcc, 0, v23, vcc
	global_load_dwordx2 v[14:15], v[2:3], off
	global_load_dwordx2 v[16:17], v[2:3], off offset:2048
	global_load_dwordx2 v[18:19], v[12:13], off
	global_load_dwordx2 v[20:21], v[12:13], off offset:2048
	v_add_co_u32_e32 v2, vcc, 0x4000, v22
	v_addc_co_u32_e32 v3, vcc, 0, v23, vcc
	global_load_dwordx2 v[12:13], v[2:3], off
	global_load_dwordx2 v[22:23], v[2:3], off offset:2048
	s_movk_i32 s6, 0x48
	v_mad_u32_u24 v24, v0, s6, v1
	s_mov_b64 s[6:7], -1
	s_waitcnt vmcnt(8)
	ds_write2st64_b64 v1, v[4:5], v[6:7] offset1:4
	s_waitcnt vmcnt(6)
	ds_write2st64_b64 v1, v[8:9], v[10:11] offset0:8 offset1:12
	s_waitcnt vmcnt(4)
	ds_write2st64_b64 v1, v[14:15], v[16:17] offset0:16 offset1:20
	s_waitcnt vmcnt(2)
	ds_write2st64_b64 v1, v[18:19], v[20:21] offset0:24 offset1:28
	s_waitcnt vmcnt(0)
	ds_write2st64_b64 v1, v[12:13], v[22:23] offset0:32 offset1:36
	s_waitcnt lgkmcnt(0)
	s_barrier
	ds_read_b128 v[18:21], v24
	ds_read_b128 v[14:17], v24 offset:16
	ds_read_b128 v[10:13], v24 offset:32
	;; [unrolled: 1-line block ×4, first 2 shown]
	s_waitcnt lgkmcnt(4)
	v_mov_b32_e32 v26, v18
	v_mov_b32_e32 v27, v19
	s_waitcnt lgkmcnt(3)
	v_mov_b32_e32 v28, v14
	v_mov_b32_e32 v29, v15
	;; [unrolled: 3-line block ×4, first 2 shown]
	s_add_i32 s33, s33, s20
	s_cbranch_execz .LBB333_7
	s_branch .LBB333_28
.LBB333_6:
	s_mov_b64 s[6:7], 0
                                        ; implicit-def: $vgpr2_vgpr3
                                        ; implicit-def: $vgpr10_vgpr11
                                        ; implicit-def: $vgpr14_vgpr15
                                        ; implicit-def: $vgpr18_vgpr19
                                        ; implicit-def: $vgpr6_vgpr7
                                        ; implicit-def: $vgpr22_vgpr23_vgpr24_vgpr25
                                        ; implicit-def: $vgpr26_vgpr27_vgpr28_vgpr29
	s_add_i32 s33, s33, s20
	s_andn2_b64 vcc, exec, s[8:9]
	s_cbranch_vccnz .LBB333_28
.LBB333_7:
	v_cmp_gt_u32_e32 vcc, s33, v0
                                        ; implicit-def: $vgpr2_vgpr3
	s_and_saveexec_b64 s[6:7], vcc
	s_cbranch_execz .LBB333_9
; %bb.8:
	v_lshlrev_b32_e32 v1, 3, v0
	v_readfirstlane_b32 s8, v30
	v_readfirstlane_b32 s9, v31
	s_nop 4
	global_load_dwordx2 v[2:3], v1, s[8:9]
.LBB333_9:
	s_or_b64 exec, exec, s[6:7]
	v_or_b32_e32 v1, 0x100, v0
	v_cmp_gt_u32_e32 vcc, s33, v1
                                        ; implicit-def: $vgpr4_vgpr5
	s_and_saveexec_b64 s[6:7], vcc
	s_cbranch_execz .LBB333_11
; %bb.10:
	v_lshlrev_b32_e32 v1, 3, v0
	v_readfirstlane_b32 s8, v30
	v_readfirstlane_b32 s9, v31
	s_nop 4
	global_load_dwordx2 v[4:5], v1, s[8:9] offset:2048
.LBB333_11:
	s_or_b64 exec, exec, s[6:7]
	v_or_b32_e32 v1, 0x200, v0
	v_cmp_gt_u32_e32 vcc, s33, v1
                                        ; implicit-def: $vgpr6_vgpr7
	s_and_saveexec_b64 s[6:7], vcc
	s_cbranch_execz .LBB333_13
; %bb.12:
	v_lshlrev_b32_e32 v1, 3, v1
	v_readfirstlane_b32 s8, v30
	v_readfirstlane_b32 s9, v31
	s_waitcnt lgkmcnt(0)
	s_nop 3
	global_load_dwordx2 v[6:7], v1, s[8:9]
.LBB333_13:
	s_or_b64 exec, exec, s[6:7]
	v_or_b32_e32 v1, 0x300, v0
	v_cmp_gt_u32_e32 vcc, s33, v1
                                        ; implicit-def: $vgpr8_vgpr9
	s_and_saveexec_b64 s[6:7], vcc
	s_cbranch_execz .LBB333_15
; %bb.14:
	v_lshlrev_b32_e32 v1, 3, v1
	v_readfirstlane_b32 s8, v30
	v_readfirstlane_b32 s9, v31
	s_waitcnt lgkmcnt(0)
	s_nop 3
	global_load_dwordx2 v[8:9], v1, s[8:9]
.LBB333_15:
	s_or_b64 exec, exec, s[6:7]
	v_or_b32_e32 v1, 0x400, v0
	v_cmp_gt_u32_e32 vcc, s33, v1
                                        ; implicit-def: $vgpr10_vgpr11
	s_and_saveexec_b64 s[6:7], vcc
	s_cbranch_execz .LBB333_17
; %bb.16:
	v_lshlrev_b32_e32 v1, 3, v1
	v_readfirstlane_b32 s8, v30
	v_readfirstlane_b32 s9, v31
	s_nop 4
	global_load_dwordx2 v[10:11], v1, s[8:9]
.LBB333_17:
	s_or_b64 exec, exec, s[6:7]
	v_or_b32_e32 v1, 0x500, v0
	v_cmp_gt_u32_e32 vcc, s33, v1
                                        ; implicit-def: $vgpr12_vgpr13
	s_and_saveexec_b64 s[6:7], vcc
	s_cbranch_execz .LBB333_19
; %bb.18:
	v_lshlrev_b32_e32 v1, 3, v1
	v_readfirstlane_b32 s8, v30
	v_readfirstlane_b32 s9, v31
	s_nop 4
	global_load_dwordx2 v[12:13], v1, s[8:9]
.LBB333_19:
	s_or_b64 exec, exec, s[6:7]
	v_or_b32_e32 v1, 0x600, v0
	v_cmp_gt_u32_e32 vcc, s33, v1
                                        ; implicit-def: $vgpr14_vgpr15
	s_and_saveexec_b64 s[6:7], vcc
	s_cbranch_execz .LBB333_21
; %bb.20:
	v_lshlrev_b32_e32 v1, 3, v1
	v_readfirstlane_b32 s8, v30
	v_readfirstlane_b32 s9, v31
	s_nop 4
	global_load_dwordx2 v[14:15], v1, s[8:9]
.LBB333_21:
	s_or_b64 exec, exec, s[6:7]
	v_or_b32_e32 v1, 0x700, v0
	v_cmp_gt_u32_e32 vcc, s33, v1
                                        ; implicit-def: $vgpr16_vgpr17
	s_and_saveexec_b64 s[6:7], vcc
	s_cbranch_execz .LBB333_23
; %bb.22:
	v_lshlrev_b32_e32 v1, 3, v1
	v_readfirstlane_b32 s8, v30
	v_readfirstlane_b32 s9, v31
	s_nop 4
	global_load_dwordx2 v[16:17], v1, s[8:9]
.LBB333_23:
	s_or_b64 exec, exec, s[6:7]
	v_or_b32_e32 v1, 0x800, v0
	v_cmp_gt_u32_e32 vcc, s33, v1
                                        ; implicit-def: $vgpr18_vgpr19
	s_and_saveexec_b64 s[6:7], vcc
	s_cbranch_execz .LBB333_25
; %bb.24:
	v_lshlrev_b32_e32 v1, 3, v1
	v_readfirstlane_b32 s8, v30
	v_readfirstlane_b32 s9, v31
	s_nop 4
	global_load_dwordx2 v[18:19], v1, s[8:9]
.LBB333_25:
	s_or_b64 exec, exec, s[6:7]
	v_or_b32_e32 v1, 0x900, v0
	v_cmp_gt_u32_e32 vcc, s33, v1
                                        ; implicit-def: $vgpr20_vgpr21
	s_and_saveexec_b64 s[6:7], vcc
	s_cbranch_execz .LBB333_27
; %bb.26:
	v_lshlrev_b32_e32 v1, 3, v1
	v_readfirstlane_b32 s8, v30
	v_readfirstlane_b32 s9, v31
	s_nop 4
	global_load_dwordx2 v[20:21], v1, s[8:9]
.LBB333_27:
	s_or_b64 exec, exec, s[6:7]
	v_lshlrev_b32_e32 v1, 3, v0
	s_movk_i32 s6, 0x48
	s_waitcnt vmcnt(0)
	ds_write2st64_b64 v1, v[2:3], v[4:5] offset1:4
	s_waitcnt lgkmcnt(1)
	ds_write2st64_b64 v1, v[6:7], v[8:9] offset0:8 offset1:12
	ds_write2st64_b64 v1, v[10:11], v[12:13] offset0:16 offset1:20
	;; [unrolled: 1-line block ×4, first 2 shown]
	v_mad_u32_u24 v1, v0, s6, v1
	s_waitcnt lgkmcnt(0)
	s_barrier
	ds_read_b128 v[18:21], v1
	ds_read_b128 v[14:17], v1 offset:16
	ds_read_b128 v[10:13], v1 offset:32
	;; [unrolled: 1-line block ×4, first 2 shown]
	v_mad_u32_u24 v1, v0, 10, 9
	v_cmp_gt_u32_e64 s[6:7], s33, v1
	s_waitcnt lgkmcnt(4)
	v_mov_b32_e32 v26, v18
	v_mov_b32_e32 v27, v19
	s_waitcnt lgkmcnt(3)
	v_mov_b32_e32 v28, v14
	v_mov_b32_e32 v29, v15
	;; [unrolled: 3-line block ×4, first 2 shown]
.LBB333_28:
	v_mov_b32_e32 v48, s12
                                        ; implicit-def: $vgpr49
	s_and_saveexec_b64 s[8:9], s[6:7]
; %bb.29:
	v_mov_b32_e32 v49, s12
; %bb.30:
	s_or_b64 exec, exec, s[8:9]
	s_cmp_eq_u64 s[42:43], 0
	s_cselect_b64 s[30:31], -1, 0
	s_cmp_lg_u64 s[42:43], 0
	s_mov_b64 s[44:45], 0
	s_cselect_b64 s[46:47], -1, 0
	s_and_b64 vcc, exec, s[4:5]
	s_waitcnt lgkmcnt(0)
	s_barrier
	s_cbranch_vccz .LBB333_36
; %bb.31:
	s_and_b64 vcc, exec, s[46:47]
	s_cbranch_vccz .LBB333_37
; %bb.32:
	global_load_dwordx2 v[32:33], v[30:31], off offset:-8
	v_lshlrev_b32_e32 v1, 3, v0
	v_cmp_neq_f64_e32 vcc, v[6:7], v[8:9]
	v_cmp_neq_f64_e64 s[4:5], v[4:5], v[6:7]
	v_cmp_neq_f64_e64 s[6:7], v[2:3], v[4:5]
	;; [unrolled: 1-line block ×8, first 2 shown]
	ds_write_b64 v1, v[8:9]
	s_waitcnt lgkmcnt(0)
	s_barrier
	s_and_saveexec_b64 s[44:45], s[2:3]
	s_cbranch_execz .LBB333_34
; %bb.33:
	v_add_u32_e32 v1, -8, v1
	s_waitcnt vmcnt(0)
	ds_read_b64 v[32:33], v1
.LBB333_34:
	s_or_b64 exec, exec, s[44:45]
	v_cndmask_b32_e64 v1, 0, 1, vcc
	v_cndmask_b32_e64 v54, 0, 1, s[4:5]
	v_cndmask_b32_e64 v55, 0, 1, s[6:7]
	v_cndmask_b32_e64 v56, 0, 1, s[8:9]
	v_cndmask_b32_e64 v57, 0, 1, s[10:11]
	v_cndmask_b32_e64 v58, 0, 1, s[12:13]
	v_cndmask_b32_e64 v59, 0, 1, s[14:15]
	v_cndmask_b32_e64 v60, 0, 1, s[16:17]
	v_cndmask_b32_e64 v61, 0, 1, s[18:19]
	s_waitcnt vmcnt(0) lgkmcnt(0)
	v_cmp_neq_f64_e64 s[4:5], v[32:33], v[18:19]
	s_mov_b64 s[44:45], -1
.LBB333_35:
                                        ; implicit-def: $sgpr8
	s_branch .LBB333_49
.LBB333_36:
                                        ; implicit-def: $sgpr4_sgpr5
                                        ; implicit-def: $vgpr1
                                        ; implicit-def: $vgpr54
                                        ; implicit-def: $vgpr55
                                        ; implicit-def: $vgpr56
                                        ; implicit-def: $vgpr57
                                        ; implicit-def: $vgpr58
                                        ; implicit-def: $vgpr59
                                        ; implicit-def: $vgpr60
                                        ; implicit-def: $vgpr61
                                        ; implicit-def: $sgpr8
	s_cbranch_execnz .LBB333_41
	s_branch .LBB333_49
.LBB333_37:
                                        ; implicit-def: $sgpr4_sgpr5
                                        ; implicit-def: $vgpr1
                                        ; implicit-def: $vgpr54
                                        ; implicit-def: $vgpr55
                                        ; implicit-def: $vgpr56
                                        ; implicit-def: $vgpr57
                                        ; implicit-def: $vgpr58
                                        ; implicit-def: $vgpr59
                                        ; implicit-def: $vgpr60
                                        ; implicit-def: $vgpr61
	s_cbranch_execz .LBB333_35
; %bb.38:
	v_cmp_neq_f64_e32 vcc, v[6:7], v[8:9]
	v_cndmask_b32_e64 v1, 0, 1, vcc
	v_cmp_neq_f64_e32 vcc, v[20:21], v[26:27]
	v_cndmask_b32_e64 v61, 0, 1, vcc
	;; [unrolled: 2-line block ×8, first 2 shown]
	v_cmp_neq_f64_e32 vcc, v[6:7], v[4:5]
	v_lshlrev_b32_e32 v32, 3, v0
	v_cndmask_b32_e64 v54, 0, 1, vcc
	ds_write_b64 v32, v[8:9]
	s_waitcnt lgkmcnt(0)
	s_barrier
	s_waitcnt lgkmcnt(0)
                                        ; implicit-def: $sgpr4_sgpr5
	s_and_saveexec_b64 s[6:7], s[2:3]
	s_xor_b64 s[6:7], exec, s[6:7]
	s_cbranch_execz .LBB333_40
; %bb.39:
	v_add_u32_e32 v22, -8, v32
	ds_read_b64 v[22:23], v22
	s_or_b64 s[44:45], s[44:45], exec
	s_waitcnt lgkmcnt(0)
	v_cmp_neq_f64_e32 vcc, v[22:23], v[18:19]
	s_and_b64 s[4:5], vcc, exec
.LBB333_40:
	s_or_b64 exec, exec, s[6:7]
	s_mov_b32 s8, 1
	s_branch .LBB333_49
.LBB333_41:
	s_mul_hi_u32 s5, s42, 0xfffff600
	s_mul_i32 s4, s43, 0xfffff600
	s_sub_i32 s5, s5, s42
	s_add_i32 s5, s5, s4
	s_mul_i32 s4, s42, 0xfffff600
	s_add_u32 s42, s4, s20
	s_addc_u32 s43, s5, s21
	s_and_b64 vcc, exec, s[46:47]
	v_cmp_neq_f64_e64 s[20:21], v[6:7], v[8:9]
	v_cmp_neq_f64_e64 s[18:19], v[4:5], v[6:7]
	;; [unrolled: 1-line block ×9, first 2 shown]
	v_mul_u32_u24_e32 v22, 10, v0
	v_mad_u32_u24 v24, v0, 10, 9
	v_mad_u32_u24 v40, v0, 10, 8
	v_mad_u32_u24 v38, v0, 10, 7
	v_mad_u32_u24 v36, v0, 10, 6
	v_mad_u32_u24 v34, v0, 10, 5
	v_mad_u32_u24 v32, v0, 10, 4
	v_mad_u32_u24 v28, v0, 10, 3
	v_mad_u32_u24 v26, v0, 10, 2
	s_cbranch_vccz .LBB333_46
; %bb.42:
	global_load_dwordx2 v[30:31], v[30:31], off offset:-8
	v_mov_b32_e32 v25, 0
	v_cmp_gt_u64_e32 vcc, s[42:43], v[24:25]
	v_mov_b32_e32 v41, v25
	s_and_b64 s[20:21], vcc, s[20:21]
	v_cmp_gt_u64_e32 vcc, s[42:43], v[40:41]
	v_mov_b32_e32 v39, v25
	s_and_b64 s[18:19], vcc, s[18:19]
	;; [unrolled: 3-line block ×7, first 2 shown]
	v_cmp_gt_u64_e32 vcc, s[42:43], v[26:27]
	v_or_b32_e32 v42, 1, v22
	v_mov_b32_e32 v43, v25
	s_and_b64 s[6:7], vcc, s[6:7]
	v_cmp_gt_u64_e32 vcc, s[42:43], v[42:43]
	v_lshlrev_b32_e32 v1, 3, v0
	s_and_b64 s[4:5], vcc, s[4:5]
	ds_write_b64 v1, v[8:9]
	s_waitcnt lgkmcnt(0)
	s_barrier
	s_and_saveexec_b64 s[44:45], s[2:3]
	s_cbranch_execz .LBB333_44
; %bb.43:
	v_add_u32_e32 v1, -8, v1
	s_waitcnt vmcnt(0)
	ds_read_b64 v[30:31], v1
.LBB333_44:
	s_or_b64 exec, exec, s[44:45]
	v_mov_b32_e32 v23, v25
	v_cndmask_b32_e64 v61, 0, 1, s[4:5]
	v_cmp_gt_u64_e32 vcc, s[42:43], v[22:23]
	s_waitcnt vmcnt(0) lgkmcnt(0)
	v_cmp_neq_f64_e64 s[4:5], v[30:31], v[18:19]
	v_cndmask_b32_e64 v1, 0, 1, s[20:21]
	v_cndmask_b32_e64 v54, 0, 1, s[18:19]
	;; [unrolled: 1-line block ×8, first 2 shown]
	s_and_b64 s[4:5], vcc, s[4:5]
	s_mov_b64 s[44:45], -1
.LBB333_45:
                                        ; implicit-def: $sgpr8
	v_mov_b32_e32 v62, s8
	s_and_saveexec_b64 s[2:3], s[44:45]
	s_cbranch_execnz .LBB333_50
	s_branch .LBB333_51
.LBB333_46:
                                        ; implicit-def: $sgpr4_sgpr5
                                        ; implicit-def: $vgpr1
                                        ; implicit-def: $vgpr54
                                        ; implicit-def: $vgpr55
                                        ; implicit-def: $vgpr56
                                        ; implicit-def: $vgpr57
                                        ; implicit-def: $vgpr58
                                        ; implicit-def: $vgpr59
                                        ; implicit-def: $vgpr60
                                        ; implicit-def: $vgpr61
	s_cbranch_execz .LBB333_45
; %bb.47:
	v_mov_b32_e32 v25, 0
	v_cmp_gt_u64_e32 vcc, s[42:43], v[24:25]
	v_cmp_neq_f64_e64 s[4:5], v[6:7], v[8:9]
	s_and_b64 s[4:5], vcc, s[4:5]
	v_mov_b32_e32 v41, v25
	v_cndmask_b32_e64 v1, 0, 1, s[4:5]
	v_cmp_gt_u64_e32 vcc, s[42:43], v[40:41]
	v_cmp_neq_f64_e64 s[4:5], v[4:5], v[6:7]
	s_and_b64 s[4:5], vcc, s[4:5]
	v_mov_b32_e32 v39, v25
	v_cndmask_b32_e64 v54, 0, 1, s[4:5]
	;; [unrolled: 5-line block ×7, first 2 shown]
	v_cmp_gt_u64_e32 vcc, s[42:43], v[26:27]
	v_cmp_neq_f64_e64 s[4:5], v[20:21], v[14:15]
	s_and_b64 s[4:5], vcc, s[4:5]
	v_or_b32_e32 v24, 1, v22
	v_cndmask_b32_e64 v60, 0, 1, s[4:5]
	v_cmp_gt_u64_e32 vcc, s[42:43], v[24:25]
	v_cmp_neq_f64_e64 s[4:5], v[18:19], v[20:21]
	s_and_b64 s[4:5], vcc, s[4:5]
	v_lshlrev_b32_e32 v23, 3, v0
	s_mov_b32 s8, 1
	v_cndmask_b32_e64 v61, 0, 1, s[4:5]
	ds_write_b64 v23, v[8:9]
	s_waitcnt lgkmcnt(0)
	s_barrier
	s_waitcnt lgkmcnt(0)
                                        ; implicit-def: $sgpr4_sgpr5
	s_and_saveexec_b64 s[6:7], s[2:3]
	s_cbranch_execz .LBB333_130
; %bb.48:
	v_add_u32_e32 v23, -8, v23
	ds_read_b64 v[26:27], v23
	v_mov_b32_e32 v23, v25
	v_cmp_gt_u64_e32 vcc, s[42:43], v[22:23]
	s_or_b64 s[44:45], s[44:45], exec
	s_waitcnt lgkmcnt(0)
	v_cmp_neq_f64_e64 s[2:3], v[26:27], v[18:19]
	s_and_b64 s[2:3], vcc, s[2:3]
	s_and_b64 s[4:5], s[2:3], exec
	s_or_b64 exec, exec, s[6:7]
.LBB333_49:
	v_mov_b32_e32 v62, s8
	s_and_saveexec_b64 s[2:3], s[44:45]
.LBB333_50:
	v_cndmask_b32_e64 v62, 0, 1, s[4:5]
.LBB333_51:
	s_or_b64 exec, exec, s[2:3]
	s_cmp_eq_u64 s[26:27], 0
	v_add_u32_e32 v22, v61, v62
	s_cselect_b64 s[26:27], -1, 0
	s_cmp_lg_u32 s48, 0
	v_cmp_eq_u32_e64 s[16:17], 0, v61
	v_cmp_eq_u32_e64 s[14:15], 0, v60
	v_add3_u32 v53, v22, v60, v59
	v_cmp_eq_u32_e64 s[12:13], 0, v59
	v_cmp_eq_u32_e64 s[10:11], 0, v58
	;; [unrolled: 1-line block ×6, first 2 shown]
	v_cmp_eq_u32_e32 vcc, 0, v1
	v_mbcnt_lo_u32_b32 v52, -1, 0
	v_lshrrev_b32_e32 v50, 6, v0
	v_or_b32_e32 v51, 63, v0
	s_cbranch_scc0 .LBB333_78
; %bb.52:
	v_cndmask_b32_e64 v22, 0, v48, s[16:17]
	v_add_u32_e32 v22, v22, v48
	v_cndmask_b32_e64 v22, 0, v22, s[14:15]
	v_add_u32_e32 v22, v22, v48
	;; [unrolled: 2-line block ×7, first 2 shown]
	v_cndmask_b32_e64 v22, 0, v22, s[2:3]
	v_add3_u32 v23, v53, v58, v57
	v_add_u32_e32 v22, v22, v48
	v_add3_u32 v23, v23, v56, v55
	v_cndmask_b32_e32 v22, 0, v22, vcc
	v_add3_u32 v23, v23, v54, v1
	v_add_u32_e32 v22, v22, v49
	v_mbcnt_hi_u32_b32 v31, -1, v52
	v_and_b32_e32 v24, 15, v31
	v_mov_b32_dpp v26, v22 row_shr:1 row_mask:0xf bank_mask:0xf
	v_cmp_eq_u32_e32 vcc, 0, v23
	v_mov_b32_dpp v25, v23 row_shr:1 row_mask:0xf bank_mask:0xf
	v_cndmask_b32_e32 v26, 0, v26, vcc
	v_cmp_eq_u32_e32 vcc, 0, v24
	v_cndmask_b32_e64 v25, v25, 0, vcc
	v_add_u32_e32 v23, v25, v23
	v_cndmask_b32_e64 v25, v26, 0, vcc
	v_add_u32_e32 v22, v25, v22
	v_cmp_eq_u32_e32 vcc, 0, v23
	v_mov_b32_dpp v25, v23 row_shr:2 row_mask:0xf bank_mask:0xf
	v_cmp_lt_u32_e64 s[18:19], 1, v24
	v_mov_b32_dpp v26, v22 row_shr:2 row_mask:0xf bank_mask:0xf
	v_cndmask_b32_e64 v25, 0, v25, s[18:19]
	s_and_b64 vcc, s[18:19], vcc
	v_cndmask_b32_e32 v26, 0, v26, vcc
	v_add_u32_e32 v23, v23, v25
	v_add_u32_e32 v22, v26, v22
	v_cmp_eq_u32_e32 vcc, 0, v23
	v_mov_b32_dpp v25, v23 row_shr:4 row_mask:0xf bank_mask:0xf
	v_cmp_lt_u32_e64 s[18:19], 3, v24
	v_mov_b32_dpp v26, v22 row_shr:4 row_mask:0xf bank_mask:0xf
	v_cndmask_b32_e64 v25, 0, v25, s[18:19]
	s_and_b64 vcc, s[18:19], vcc
	v_cndmask_b32_e32 v26, 0, v26, vcc
	v_add_u32_e32 v23, v25, v23
	v_add_u32_e32 v22, v22, v26
	v_cmp_eq_u32_e32 vcc, 0, v23
	v_cmp_lt_u32_e64 s[18:19], 7, v24
	v_mov_b32_dpp v25, v23 row_shr:8 row_mask:0xf bank_mask:0xf
	v_mov_b32_dpp v26, v22 row_shr:8 row_mask:0xf bank_mask:0xf
	s_and_b64 vcc, s[18:19], vcc
	v_cndmask_b32_e64 v24, 0, v25, s[18:19]
	v_cndmask_b32_e32 v25, 0, v26, vcc
	v_add_u32_e32 v22, v25, v22
	v_add_u32_e32 v23, v24, v23
	v_bfe_i32 v26, v31, 4, 1
	v_mov_b32_dpp v25, v22 row_bcast:15 row_mask:0xf bank_mask:0xf
	v_mov_b32_dpp v24, v23 row_bcast:15 row_mask:0xf bank_mask:0xf
	v_cmp_eq_u32_e32 vcc, 0, v23
	v_cndmask_b32_e32 v25, 0, v25, vcc
	v_and_b32_e32 v24, v26, v24
	v_add_u32_e32 v23, v24, v23
	v_and_b32_e32 v24, v26, v25
	v_add_u32_e32 v24, v24, v22
	v_mov_b32_dpp v22, v23 row_bcast:31 row_mask:0xf bank_mask:0xf
	v_cmp_eq_u32_e32 vcc, 0, v23
	v_cmp_lt_u32_e64 s[18:19], 31, v31
	v_mov_b32_dpp v25, v24 row_bcast:31 row_mask:0xf bank_mask:0xf
	v_cndmask_b32_e64 v22, 0, v22, s[18:19]
	s_and_b64 vcc, s[18:19], vcc
	v_add_u32_e32 v22, v22, v23
	v_cndmask_b32_e32 v23, 0, v25, vcc
	v_add_u32_e32 v23, v23, v24
	v_cmp_eq_u32_e32 vcc, v51, v0
	v_lshlrev_b32_e32 v24, 3, v50
	s_and_saveexec_b64 s[18:19], vcc
	s_cbranch_execz .LBB333_54
; %bb.53:
	ds_write_b64 v24, v[22:23] offset:4112
.LBB333_54:
	s_or_b64 exec, exec, s[18:19]
	v_cmp_gt_u32_e32 vcc, 4, v0
	s_waitcnt lgkmcnt(0)
	s_barrier
	s_and_saveexec_b64 s[20:21], vcc
	s_cbranch_execz .LBB333_56
; %bb.55:
	v_lshlrev_b32_e32 v25, 3, v0
	ds_read_b64 v[26:27], v25 offset:4112
	v_and_b32_e32 v28, 3, v31
	v_cmp_lt_u32_e64 s[18:19], 1, v28
	s_waitcnt lgkmcnt(0)
	v_mov_b32_dpp v30, v27 row_shr:1 row_mask:0xf bank_mask:0xf
	v_cmp_eq_u32_e32 vcc, 0, v26
	v_mov_b32_dpp v29, v26 row_shr:1 row_mask:0xf bank_mask:0xf
	v_cndmask_b32_e32 v30, 0, v30, vcc
	v_cmp_eq_u32_e32 vcc, 0, v28
	v_cndmask_b32_e64 v29, v29, 0, vcc
	v_add_u32_e32 v26, v29, v26
	v_cndmask_b32_e64 v29, v30, 0, vcc
	v_add_u32_e32 v27, v29, v27
	v_cmp_eq_u32_e32 vcc, 0, v26
	v_mov_b32_dpp v29, v26 row_shr:2 row_mask:0xf bank_mask:0xf
	v_mov_b32_dpp v30, v27 row_shr:2 row_mask:0xf bank_mask:0xf
	v_cndmask_b32_e64 v28, 0, v29, s[18:19]
	s_and_b64 vcc, s[18:19], vcc
	v_add_u32_e32 v26, v28, v26
	v_cndmask_b32_e32 v28, 0, v30, vcc
	v_add_u32_e32 v27, v28, v27
	ds_write_b64 v25, v[26:27] offset:4112
.LBB333_56:
	s_or_b64 exec, exec, s[20:21]
	v_cmp_gt_u32_e32 vcc, 64, v0
	v_cmp_lt_u32_e64 s[18:19], 63, v0
	v_mov_b32_e32 v28, 0
	v_mov_b32_e32 v29, 0
	s_waitcnt lgkmcnt(0)
	s_barrier
	s_and_saveexec_b64 s[20:21], s[18:19]
	s_cbranch_execz .LBB333_58
; %bb.57:
	ds_read_b64 v[28:29], v24 offset:4104
	v_cmp_eq_u32_e64 s[18:19], 0, v22
	s_waitcnt lgkmcnt(0)
	v_add_u32_e32 v24, v28, v22
	v_cndmask_b32_e64 v22, 0, v29, s[18:19]
	v_add_u32_e32 v23, v22, v23
	v_mov_b32_e32 v22, v24
.LBB333_58:
	s_or_b64 exec, exec, s[20:21]
	v_add_u32_e32 v24, -1, v31
	v_and_b32_e32 v25, 64, v31
	v_cmp_lt_i32_e64 s[18:19], v24, v25
	v_cndmask_b32_e64 v24, v24, v31, s[18:19]
	v_lshlrev_b32_e32 v24, 2, v24
	ds_bpermute_b32 v36, v24, v22
	ds_bpermute_b32 v37, v24, v23
	v_cmp_eq_u32_e64 s[18:19], 0, v31
	s_and_saveexec_b64 s[42:43], vcc
	s_cbranch_execz .LBB333_77
; %bb.59:
	v_mov_b32_e32 v27, 0
	ds_read_b64 v[22:23], v27 offset:4136
	s_waitcnt lgkmcnt(0)
	v_readfirstlane_b32 s46, v22
	v_readfirstlane_b32 s47, v23
	s_and_saveexec_b64 s[20:21], s[18:19]
	s_cbranch_execz .LBB333_61
; %bb.60:
	s_add_i32 s44, s48, 64
	s_mov_b32 s45, 0
	s_lshl_b64 s[50:51], s[44:45], 4
	s_add_u32 s50, s24, s50
	s_addc_u32 s51, s25, s51
	s_and_b32 s53, s47, 0xff000000
	s_mov_b32 s52, s45
	s_and_b32 s55, s47, 0xff0000
	s_mov_b32 s54, s45
	s_or_b64 s[52:53], s[54:55], s[52:53]
	s_and_b32 s55, s47, 0xff00
	s_or_b64 s[52:53], s[52:53], s[54:55]
	s_and_b32 s55, s47, 0xff
	s_or_b64 s[44:45], s[52:53], s[54:55]
	v_mov_b32_e32 v24, s46
	v_mov_b32_e32 v25, s45
	;; [unrolled: 1-line block ×3, first 2 shown]
	v_pk_mov_b32 v[22:23], s[50:51], s[50:51] op_sel:[0,1]
	;;#ASMSTART
	global_store_dwordx4 v[22:23], v[24:27] off	
s_waitcnt vmcnt(0)
	;;#ASMEND
.LBB333_61:
	s_or_b64 exec, exec, s[20:21]
	v_xad_u32 v30, v31, -1, s48
	v_add_u32_e32 v26, 64, v30
	v_lshlrev_b64 v[22:23], 4, v[26:27]
	v_mov_b32_e32 v24, s25
	v_add_co_u32_e32 v32, vcc, s24, v22
	v_addc_co_u32_e32 v33, vcc, v24, v23, vcc
	;;#ASMSTART
	global_load_dwordx4 v[22:25], v[32:33] off glc	
s_waitcnt vmcnt(0)
	;;#ASMEND
	v_and_b32_e32 v25, 0xff, v23
	v_and_b32_e32 v26, 0xff00, v23
	v_or3_b32 v25, 0, v25, v26
	v_or3_b32 v22, v22, 0, 0
	v_and_b32_e32 v26, 0xff000000, v23
	v_and_b32_e32 v23, 0xff0000, v23
	v_or3_b32 v23, v25, v23, v26
	v_or3_b32 v22, v22, 0, 0
	v_cmp_eq_u16_sdwa s[44:45], v24, v27 src0_sel:BYTE_0 src1_sel:DWORD
	s_and_saveexec_b64 s[20:21], s[44:45]
	s_cbranch_execz .LBB333_65
; %bb.62:
	s_mov_b64 s[44:45], 0
	v_mov_b32_e32 v26, 0
.LBB333_63:                             ; =>This Inner Loop Header: Depth=1
	;;#ASMSTART
	global_load_dwordx4 v[22:25], v[32:33] off glc	
s_waitcnt vmcnt(0)
	;;#ASMEND
	v_cmp_ne_u16_sdwa s[50:51], v24, v26 src0_sel:BYTE_0 src1_sel:DWORD
	s_or_b64 s[44:45], s[50:51], s[44:45]
	s_andn2_b64 exec, exec, s[44:45]
	s_cbranch_execnz .LBB333_63
; %bb.64:
	s_or_b64 exec, exec, s[44:45]
.LBB333_65:
	s_or_b64 exec, exec, s[20:21]
	v_mov_b32_e32 v38, 2
	v_cmp_eq_u16_sdwa s[20:21], v24, v38 src0_sel:BYTE_0 src1_sel:DWORD
	v_lshlrev_b64 v[32:33], v31, -1
	v_and_b32_e32 v25, s21, v33
	v_and_b32_e32 v39, 63, v31
	v_or_b32_e32 v25, 0x80000000, v25
	v_cmp_ne_u32_e32 vcc, 63, v39
	v_and_b32_e32 v26, s20, v32
	v_ffbl_b32_e32 v25, v25
	v_addc_co_u32_e32 v27, vcc, 0, v31, vcc
	v_add_u32_e32 v25, 32, v25
	v_ffbl_b32_e32 v26, v26
	v_lshlrev_b32_e32 v40, 2, v27
	v_min_u32_e32 v25, v26, v25
	ds_bpermute_b32 v26, v40, v23
	v_cmp_eq_u32_e32 vcc, 0, v22
	v_cmp_lt_u32_e64 s[20:21], v39, v25
	ds_bpermute_b32 v27, v40, v22
	s_and_b64 vcc, s[20:21], vcc
	s_waitcnt lgkmcnt(1)
	v_cndmask_b32_e32 v26, 0, v26, vcc
	v_cmp_gt_u32_e32 vcc, 62, v39
	v_add_u32_e32 v23, v26, v23
	v_cndmask_b32_e64 v26, 0, 1, vcc
	v_lshlrev_b32_e32 v26, 1, v26
	v_add_lshl_u32 v41, v26, v31, 2
	s_waitcnt lgkmcnt(0)
	v_cndmask_b32_e64 v27, 0, v27, s[20:21]
	ds_bpermute_b32 v26, v41, v23
	v_add_u32_e32 v22, v27, v22
	ds_bpermute_b32 v27, v41, v22
	v_add_u32_e32 v42, 2, v39
	v_cmp_eq_u32_e32 vcc, 0, v22
	s_waitcnt lgkmcnt(1)
	v_cndmask_b32_e32 v26, 0, v26, vcc
	v_cmp_gt_u32_e32 vcc, v42, v25
	v_cndmask_b32_e64 v26, v26, 0, vcc
	v_add_u32_e32 v23, v26, v23
	s_waitcnt lgkmcnt(0)
	v_cndmask_b32_e64 v26, v27, 0, vcc
	v_cmp_gt_u32_e32 vcc, 60, v39
	v_cndmask_b32_e64 v27, 0, 1, vcc
	v_lshlrev_b32_e32 v27, 2, v27
	v_add_lshl_u32 v43, v27, v31, 2
	ds_bpermute_b32 v27, v43, v23
	v_add_u32_e32 v22, v22, v26
	ds_bpermute_b32 v26, v43, v22
	v_add_u32_e32 v44, 4, v39
	v_cmp_eq_u32_e32 vcc, 0, v22
	s_waitcnt lgkmcnt(1)
	v_cndmask_b32_e32 v27, 0, v27, vcc
	v_cmp_gt_u32_e32 vcc, v44, v25
	v_cndmask_b32_e64 v27, v27, 0, vcc
	s_waitcnt lgkmcnt(0)
	v_cndmask_b32_e64 v26, v26, 0, vcc
	v_cmp_gt_u32_e32 vcc, 56, v39
	v_add_u32_e32 v23, v23, v27
	v_cndmask_b32_e64 v27, 0, 1, vcc
	v_lshlrev_b32_e32 v27, 3, v27
	v_add_lshl_u32 v45, v27, v31, 2
	ds_bpermute_b32 v27, v45, v23
	v_add_u32_e32 v22, v22, v26
	ds_bpermute_b32 v26, v45, v22
	v_add_u32_e32 v46, 8, v39
	v_cmp_eq_u32_e32 vcc, 0, v22
	s_waitcnt lgkmcnt(1)
	v_cndmask_b32_e32 v27, 0, v27, vcc
	v_cmp_gt_u32_e32 vcc, v46, v25
	v_cndmask_b32_e64 v27, v27, 0, vcc
	s_waitcnt lgkmcnt(0)
	v_cndmask_b32_e64 v26, v26, 0, vcc
	v_cmp_gt_u32_e32 vcc, 48, v39
	v_add_u32_e32 v23, v23, v27
	;; [unrolled: 16-line block ×3, first 2 shown]
	v_cndmask_b32_e64 v27, 0, 1, vcc
	v_lshlrev_b32_e32 v27, 5, v27
	v_add_lshl_u32 v64, v27, v31, 2
	ds_bpermute_b32 v27, v64, v23
	v_add_u32_e32 v22, v22, v26
	ds_bpermute_b32 v26, v64, v22
	v_add_u32_e32 v65, 32, v39
	v_cmp_eq_u32_e32 vcc, 0, v22
	s_waitcnt lgkmcnt(1)
	v_cndmask_b32_e32 v27, 0, v27, vcc
	v_cmp_gt_u32_e32 vcc, v65, v25
	v_cndmask_b32_e64 v25, v27, 0, vcc
	v_add_u32_e32 v23, v25, v23
	s_waitcnt lgkmcnt(0)
	v_cndmask_b32_e64 v25, v26, 0, vcc
	v_add_u32_e32 v22, v25, v22
	v_mov_b32_e32 v31, 0
	s_branch .LBB333_67
.LBB333_66:                             ;   in Loop: Header=BB333_67 Depth=1
	s_or_b64 exec, exec, s[20:21]
	v_cmp_eq_u16_sdwa s[20:21], v24, v38 src0_sel:BYTE_0 src1_sel:DWORD
	v_and_b32_e32 v25, s21, v33
	v_or_b32_e32 v25, 0x80000000, v25
	v_and_b32_e32 v34, s20, v32
	v_ffbl_b32_e32 v25, v25
	v_add_u32_e32 v25, 32, v25
	v_ffbl_b32_e32 v34, v34
	v_min_u32_e32 v25, v34, v25
	ds_bpermute_b32 v34, v40, v23
	v_cmp_eq_u32_e32 vcc, 0, v22
	v_cmp_lt_u32_e64 s[20:21], v39, v25
	ds_bpermute_b32 v35, v40, v22
	s_and_b64 vcc, s[20:21], vcc
	s_waitcnt lgkmcnt(1)
	v_cndmask_b32_e32 v34, 0, v34, vcc
	v_add_u32_e32 v23, v34, v23
	ds_bpermute_b32 v34, v41, v23
	s_waitcnt lgkmcnt(1)
	v_cndmask_b32_e64 v35, 0, v35, s[20:21]
	v_add_u32_e32 v22, v35, v22
	v_cmp_eq_u32_e32 vcc, 0, v22
	ds_bpermute_b32 v35, v41, v22
	s_waitcnt lgkmcnt(1)
	v_cndmask_b32_e32 v34, 0, v34, vcc
	v_cmp_gt_u32_e32 vcc, v42, v25
	v_cndmask_b32_e64 v34, v34, 0, vcc
	v_add_u32_e32 v23, v34, v23
	ds_bpermute_b32 v34, v43, v23
	s_waitcnt lgkmcnt(1)
	v_cndmask_b32_e64 v35, v35, 0, vcc
	v_add_u32_e32 v22, v22, v35
	v_cmp_eq_u32_e32 vcc, 0, v22
	ds_bpermute_b32 v35, v43, v22
	s_waitcnt lgkmcnt(1)
	v_cndmask_b32_e32 v34, 0, v34, vcc
	v_cmp_gt_u32_e32 vcc, v44, v25
	v_cndmask_b32_e64 v34, v34, 0, vcc
	v_add_u32_e32 v23, v23, v34
	ds_bpermute_b32 v34, v45, v23
	s_waitcnt lgkmcnt(1)
	v_cndmask_b32_e64 v35, v35, 0, vcc
	v_add_u32_e32 v22, v22, v35
	ds_bpermute_b32 v35, v45, v22
	v_cmp_eq_u32_e32 vcc, 0, v22
	s_waitcnt lgkmcnt(1)
	v_cndmask_b32_e32 v34, 0, v34, vcc
	v_cmp_gt_u32_e32 vcc, v46, v25
	v_cndmask_b32_e64 v34, v34, 0, vcc
	v_add_u32_e32 v23, v23, v34
	ds_bpermute_b32 v34, v47, v23
	s_waitcnt lgkmcnt(1)
	v_cndmask_b32_e64 v35, v35, 0, vcc
	v_add_u32_e32 v22, v22, v35
	ds_bpermute_b32 v35, v47, v22
	v_cmp_eq_u32_e32 vcc, 0, v22
	;; [unrolled: 11-line block ×3, first 2 shown]
	s_waitcnt lgkmcnt(1)
	v_cndmask_b32_e32 v34, 0, v34, vcc
	v_cmp_gt_u32_e32 vcc, v65, v25
	v_cndmask_b32_e64 v25, v34, 0, vcc
	v_add_u32_e32 v23, v25, v23
	s_waitcnt lgkmcnt(0)
	v_cndmask_b32_e64 v25, v35, 0, vcc
	v_cmp_eq_u32_e32 vcc, 0, v26
	v_cndmask_b32_e32 v23, 0, v23, vcc
	v_subrev_u32_e32 v30, 64, v30
	v_add3_u32 v22, v22, v26, v25
	v_add_u32_e32 v23, v23, v27
.LBB333_67:                             ; =>This Loop Header: Depth=1
                                        ;     Child Loop BB333_70 Depth 2
	v_cmp_ne_u16_sdwa s[20:21], v24, v38 src0_sel:BYTE_0 src1_sel:DWORD
	v_mov_b32_e32 v27, v23
	v_cndmask_b32_e64 v23, 0, 1, s[20:21]
	;;#ASMSTART
	;;#ASMEND
	v_cmp_ne_u32_e32 vcc, 0, v23
	s_cmp_lg_u64 vcc, exec
	v_mov_b32_e32 v26, v22
	s_cbranch_scc1 .LBB333_72
; %bb.68:                               ;   in Loop: Header=BB333_67 Depth=1
	v_lshlrev_b64 v[22:23], 4, v[30:31]
	v_mov_b32_e32 v24, s25
	v_add_co_u32_e32 v34, vcc, s24, v22
	v_addc_co_u32_e32 v35, vcc, v24, v23, vcc
	;;#ASMSTART
	global_load_dwordx4 v[22:25], v[34:35] off glc	
s_waitcnt vmcnt(0)
	;;#ASMEND
	v_and_b32_e32 v25, 0xff, v23
	v_and_b32_e32 v66, 0xff00, v23
	v_or3_b32 v25, 0, v25, v66
	v_or3_b32 v22, v22, 0, 0
	v_and_b32_e32 v66, 0xff000000, v23
	v_and_b32_e32 v23, 0xff0000, v23
	v_or3_b32 v23, v25, v23, v66
	v_or3_b32 v22, v22, 0, 0
	v_cmp_eq_u16_sdwa s[44:45], v24, v31 src0_sel:BYTE_0 src1_sel:DWORD
	s_and_saveexec_b64 s[20:21], s[44:45]
	s_cbranch_execz .LBB333_66
; %bb.69:                               ;   in Loop: Header=BB333_67 Depth=1
	s_mov_b64 s[44:45], 0
.LBB333_70:                             ;   Parent Loop BB333_67 Depth=1
                                        ; =>  This Inner Loop Header: Depth=2
	;;#ASMSTART
	global_load_dwordx4 v[22:25], v[34:35] off glc	
s_waitcnt vmcnt(0)
	;;#ASMEND
	v_cmp_ne_u16_sdwa s[50:51], v24, v31 src0_sel:BYTE_0 src1_sel:DWORD
	s_or_b64 s[44:45], s[50:51], s[44:45]
	s_andn2_b64 exec, exec, s[44:45]
	s_cbranch_execnz .LBB333_70
; %bb.71:                               ;   in Loop: Header=BB333_67 Depth=1
	s_or_b64 exec, exec, s[44:45]
	s_branch .LBB333_66
.LBB333_72:                             ;   in Loop: Header=BB333_67 Depth=1
                                        ; implicit-def: $vgpr23
                                        ; implicit-def: $vgpr22
                                        ; implicit-def: $vgpr24
	s_cbranch_execz .LBB333_67
; %bb.73:
	s_and_saveexec_b64 s[20:21], s[18:19]
	s_cbranch_execz .LBB333_75
; %bb.74:
	s_cmp_eq_u32 s46, 0
	s_cselect_b64 vcc, -1, 0
	s_mov_b32 s45, 0
	v_cndmask_b32_e32 v22, 0, v27, vcc
	s_add_i32 s44, s48, 64
	v_add_u32_e32 v22, s47, v22
	s_lshl_b64 s[44:45], s[44:45], 4
	s_add_u32 s44, s24, s44
	v_and_b32_e32 v23, 0xff000000, v22
	v_and_b32_e32 v24, 0xff0000, v22
	s_addc_u32 s45, s25, s45
	v_or_b32_e32 v23, v24, v23
	v_and_b32_e32 v24, 0xff00, v22
	v_and_b32_e32 v22, 0xff, v22
	v_add_u32_e32 v30, s46, v26
	v_mov_b32_e32 v33, 0
	v_or3_b32 v31, v23, v24, v22
	v_mov_b32_e32 v32, 2
	v_pk_mov_b32 v[22:23], s[44:45], s[44:45] op_sel:[0,1]
	;;#ASMSTART
	global_store_dwordx4 v[22:23], v[30:33] off	
s_waitcnt vmcnt(0)
	;;#ASMEND
	v_mov_b32_e32 v24, s46
	v_mov_b32_e32 v25, s47
	ds_write_b128 v33, v[24:27] offset:4096
.LBB333_75:
	s_or_b64 exec, exec, s[20:21]
	s_and_b64 exec, exec, s[0:1]
	s_cbranch_execz .LBB333_77
; %bb.76:
	v_mov_b32_e32 v22, 0
	ds_write_b64 v22, v[26:27] offset:4136
.LBB333_77:
	s_or_b64 exec, exec, s[42:43]
	v_mov_b32_e32 v24, 0
	s_waitcnt lgkmcnt(0)
	s_barrier
	ds_read_b64 v[22:23], v24 offset:4136
	v_cndmask_b32_e64 v26, v36, v28, s[18:19]
	v_cmp_eq_u32_e32 vcc, 0, v26
	v_cndmask_b32_e64 v25, v37, v29, s[18:19]
	s_waitcnt lgkmcnt(0)
	v_cndmask_b32_e32 v27, 0, v23, vcc
	v_add_u32_e32 v25, v27, v25
	v_cndmask_b32_e64 v47, v25, v23, s[0:1]
	v_cndmask_b32_e64 v23, v26, 0, s[0:1]
	v_cmp_eq_u32_e32 vcc, 0, v62
	v_add_u32_e32 v46, v22, v23
	v_cndmask_b32_e32 v22, 0, v47, vcc
	v_add_u32_e32 v45, v22, v48
	v_cndmask_b32_e64 v22, 0, v45, s[16:17]
	v_add_u32_e32 v43, v22, v48
	v_cndmask_b32_e64 v22, 0, v43, s[14:15]
	;; [unrolled: 2-line block ×5, first 2 shown]
	v_add_u32_e32 v35, v22, v48
	v_add_u32_e32 v44, v46, v62
	v_cndmask_b32_e64 v22, 0, v35, s[6:7]
	v_add_u32_e32 v42, v44, v61
	v_add_u32_e32 v33, v22, v48
	s_barrier
	ds_read_b128 v[22:25], v24 offset:4096
	v_add_u32_e32 v40, v42, v60
	v_add_u32_e32 v38, v40, v59
	;; [unrolled: 1-line block ×4, first 2 shown]
	v_cndmask_b32_e64 v26, 0, v33, s[4:5]
	v_add_u32_e32 v32, v34, v56
	v_add_u32_e32 v29, v26, v48
	s_waitcnt lgkmcnt(0)
	v_cmp_eq_u32_e32 vcc, 0, v22
	v_add_u32_e32 v28, v32, v55
	v_cndmask_b32_e64 v26, 0, v29, s[2:3]
	v_cndmask_b32_e32 v25, 0, v25, vcc
	v_add_u32_e32 v30, v28, v54
	v_add_u32_e32 v31, v26, v48
	;; [unrolled: 1-line block ×3, first 2 shown]
	s_branch .LBB333_90
.LBB333_78:
                                        ; implicit-def: $vgpr22
                                        ; implicit-def: $vgpr26
                                        ; implicit-def: $vgpr30_vgpr31
                                        ; implicit-def: $vgpr28_vgpr29
                                        ; implicit-def: $vgpr32_vgpr33
                                        ; implicit-def: $vgpr34_vgpr35
                                        ; implicit-def: $vgpr46_vgpr47
                                        ; implicit-def: $vgpr44_vgpr45
                                        ; implicit-def: $vgpr42_vgpr43
                                        ; implicit-def: $vgpr40_vgpr41
                                        ; implicit-def: $vgpr38_vgpr39
                                        ; implicit-def: $vgpr36_vgpr37
	s_cbranch_execz .LBB333_90
; %bb.79:
	s_and_b64 s[2:3], s[26:27], exec
	s_cselect_b32 s3, 0, s41
	s_cselect_b32 s2, 0, s40
	s_cmp_eq_u64 s[2:3], 0
	v_mov_b32_e32 v26, v48
	s_cbranch_scc1 .LBB333_81
; %bb.80:
	v_mov_b32_e32 v22, 0
	global_load_dword v26, v22, s[2:3]
.LBB333_81:
	v_cmp_eq_u32_e64 s[2:3], 0, v61
	v_cndmask_b32_e64 v22, 0, v48, s[2:3]
	v_add_u32_e32 v22, v22, v48
	v_cmp_eq_u32_e64 s[4:5], 0, v60
	v_cndmask_b32_e64 v22, 0, v22, s[4:5]
	v_add_u32_e32 v22, v22, v48
	;; [unrolled: 3-line block ×7, first 2 shown]
	v_cmp_eq_u32_e32 vcc, 0, v54
	v_cndmask_b32_e32 v22, 0, v22, vcc
	v_add3_u32 v23, v53, v58, v57
	v_add_u32_e32 v22, v22, v48
	v_cmp_eq_u32_e64 s[16:17], 0, v1
	v_add3_u32 v23, v23, v56, v55
	v_cndmask_b32_e64 v22, 0, v22, s[16:17]
	v_add3_u32 v23, v23, v54, v1
	v_add_u32_e32 v22, v22, v49
	v_mbcnt_hi_u32_b32 v27, -1, v52
	v_and_b32_e32 v24, 15, v27
	v_mov_b32_dpp v28, v22 row_shr:1 row_mask:0xf bank_mask:0xf
	v_cmp_eq_u32_e64 s[16:17], 0, v23
	v_mov_b32_dpp v25, v23 row_shr:1 row_mask:0xf bank_mask:0xf
	v_cndmask_b32_e64 v28, 0, v28, s[16:17]
	v_cmp_eq_u32_e64 s[16:17], 0, v24
	v_cndmask_b32_e64 v25, v25, 0, s[16:17]
	v_add_u32_e32 v23, v25, v23
	v_cndmask_b32_e64 v25, v28, 0, s[16:17]
	v_add_u32_e32 v22, v25, v22
	v_cmp_eq_u32_e64 s[16:17], 0, v23
	v_mov_b32_dpp v25, v23 row_shr:2 row_mask:0xf bank_mask:0xf
	v_cmp_lt_u32_e64 s[18:19], 1, v24
	v_mov_b32_dpp v28, v22 row_shr:2 row_mask:0xf bank_mask:0xf
	v_cndmask_b32_e64 v25, 0, v25, s[18:19]
	s_and_b64 s[16:17], s[18:19], s[16:17]
	v_cndmask_b32_e64 v28, 0, v28, s[16:17]
	v_add_u32_e32 v23, v23, v25
	v_add_u32_e32 v22, v28, v22
	v_cmp_eq_u32_e64 s[16:17], 0, v23
	v_mov_b32_dpp v25, v23 row_shr:4 row_mask:0xf bank_mask:0xf
	v_cmp_lt_u32_e64 s[18:19], 3, v24
	v_mov_b32_dpp v28, v22 row_shr:4 row_mask:0xf bank_mask:0xf
	v_cndmask_b32_e64 v25, 0, v25, s[18:19]
	s_and_b64 s[16:17], s[18:19], s[16:17]
	v_cndmask_b32_e64 v28, 0, v28, s[16:17]
	v_add_u32_e32 v23, v25, v23
	v_add_u32_e32 v22, v22, v28
	v_cmp_eq_u32_e64 s[16:17], 0, v23
	v_cmp_lt_u32_e64 s[18:19], 7, v24
	v_mov_b32_dpp v25, v23 row_shr:8 row_mask:0xf bank_mask:0xf
	v_mov_b32_dpp v28, v22 row_shr:8 row_mask:0xf bank_mask:0xf
	s_and_b64 s[16:17], s[18:19], s[16:17]
	v_cndmask_b32_e64 v24, 0, v25, s[18:19]
	v_cndmask_b32_e64 v25, 0, v28, s[16:17]
	v_add_u32_e32 v22, v25, v22
	v_add_u32_e32 v23, v24, v23
	v_bfe_i32 v28, v27, 4, 1
	v_mov_b32_dpp v25, v22 row_bcast:15 row_mask:0xf bank_mask:0xf
	v_mov_b32_dpp v24, v23 row_bcast:15 row_mask:0xf bank_mask:0xf
	v_cmp_eq_u32_e64 s[16:17], 0, v23
	v_cndmask_b32_e64 v25, 0, v25, s[16:17]
	v_and_b32_e32 v24, v28, v24
	v_add_u32_e32 v23, v24, v23
	v_and_b32_e32 v24, v28, v25
	v_add_u32_e32 v24, v24, v22
	v_mov_b32_dpp v22, v23 row_bcast:31 row_mask:0xf bank_mask:0xf
	v_cmp_eq_u32_e64 s[16:17], 0, v23
	v_cmp_lt_u32_e64 s[18:19], 31, v27
	v_mov_b32_dpp v25, v24 row_bcast:31 row_mask:0xf bank_mask:0xf
	v_cndmask_b32_e64 v22, 0, v22, s[18:19]
	s_and_b64 s[16:17], s[18:19], s[16:17]
	v_add_u32_e32 v22, v22, v23
	v_cndmask_b32_e64 v23, 0, v25, s[16:17]
	v_add_u32_e32 v23, v23, v24
	v_cmp_eq_u32_e64 s[16:17], v51, v0
	v_lshlrev_b32_e32 v25, 3, v50
	s_and_saveexec_b64 s[18:19], s[16:17]
	s_cbranch_execz .LBB333_83
; %bb.82:
	ds_write_b64 v25, v[22:23] offset:4112
.LBB333_83:
	s_or_b64 exec, exec, s[18:19]
	v_cmp_gt_u32_e64 s[16:17], 4, v0
	s_waitcnt lgkmcnt(0)
	s_barrier
	s_and_saveexec_b64 s[20:21], s[16:17]
	s_cbranch_execz .LBB333_85
; %bb.84:
	v_lshlrev_b32_e32 v24, 3, v0
	ds_read_b64 v[28:29], v24 offset:4112
	v_and_b32_e32 v30, 3, v27
	v_cmp_lt_u32_e64 s[18:19], 1, v30
	s_waitcnt lgkmcnt(0)
	v_mov_b32_dpp v32, v29 row_shr:1 row_mask:0xf bank_mask:0xf
	v_cmp_eq_u32_e64 s[16:17], 0, v28
	v_mov_b32_dpp v31, v28 row_shr:1 row_mask:0xf bank_mask:0xf
	v_cndmask_b32_e64 v32, 0, v32, s[16:17]
	v_cmp_eq_u32_e64 s[16:17], 0, v30
	v_cndmask_b32_e64 v31, v31, 0, s[16:17]
	v_add_u32_e32 v28, v31, v28
	v_cndmask_b32_e64 v31, v32, 0, s[16:17]
	v_add_u32_e32 v29, v31, v29
	v_cmp_eq_u32_e64 s[16:17], 0, v28
	v_mov_b32_dpp v31, v28 row_shr:2 row_mask:0xf bank_mask:0xf
	v_mov_b32_dpp v32, v29 row_shr:2 row_mask:0xf bank_mask:0xf
	v_cndmask_b32_e64 v30, 0, v31, s[18:19]
	s_and_b64 s[16:17], s[18:19], s[16:17]
	v_add_u32_e32 v28, v30, v28
	v_cndmask_b32_e64 v30, 0, v32, s[16:17]
	v_add_u32_e32 v29, v30, v29
	ds_write_b64 v24, v[28:29] offset:4112
.LBB333_85:
	s_or_b64 exec, exec, s[20:21]
	v_cmp_lt_u32_e64 s[16:17], 63, v0
	v_mov_b32_e32 v29, 0
	v_mov_b32_e32 v24, 0
	s_waitcnt vmcnt(0)
	v_mov_b32_e32 v28, v26
	s_waitcnt lgkmcnt(0)
	s_barrier
	s_and_saveexec_b64 s[18:19], s[16:17]
	s_cbranch_execz .LBB333_87
; %bb.86:
	ds_read_b64 v[24:25], v25 offset:4104
	s_waitcnt lgkmcnt(0)
	v_cmp_eq_u32_e64 s[16:17], 0, v24
	v_cndmask_b32_e64 v28, 0, v26, s[16:17]
	v_add_u32_e32 v28, v28, v25
.LBB333_87:
	s_or_b64 exec, exec, s[18:19]
	v_cmp_eq_u32_e64 s[16:17], 0, v22
	v_add_u32_e32 v25, v24, v22
	v_cndmask_b32_e64 v22, 0, v28, s[16:17]
	v_add_u32_e32 v22, v22, v23
	v_add_u32_e32 v23, -1, v27
	v_and_b32_e32 v30, 64, v27
	v_cmp_lt_i32_e64 s[16:17], v23, v30
	v_cndmask_b32_e64 v23, v23, v27, s[16:17]
	v_lshlrev_b32_e32 v23, 2, v23
	ds_bpermute_b32 v22, v23, v22
	ds_bpermute_b32 v25, v23, v25
	v_cmp_eq_u32_e64 s[16:17], 0, v27
	s_waitcnt lgkmcnt(1)
	v_cndmask_b32_e64 v22, v22, v28, s[16:17]
	s_waitcnt lgkmcnt(0)
	v_cndmask_b32_e64 v23, v25, v24, s[16:17]
	v_cndmask_b32_e64 v47, v22, v26, s[0:1]
	v_cmp_eq_u32_e64 s[16:17], 0, v62
	v_cndmask_b32_e64 v22, 0, v47, s[16:17]
	v_add_u32_e32 v45, v22, v48
	v_cndmask_b32_e64 v22, 0, v45, s[2:3]
	v_add_u32_e32 v43, v22, v48
	;; [unrolled: 2-line block ×5, first 2 shown]
	v_cndmask_b32_e64 v22, 0, v37, s[10:11]
	v_cndmask_b32_e64 v46, v23, 0, s[0:1]
	v_add_u32_e32 v35, v22, v48
	v_add_u32_e32 v44, v46, v62
	v_cndmask_b32_e64 v22, 0, v35, s[12:13]
	v_add_u32_e32 v42, v44, v61
	v_add_u32_e32 v33, v22, v48
	ds_read_b64 v[22:23], v29 offset:4136
	v_add_u32_e32 v40, v42, v60
	v_add_u32_e32 v38, v40, v59
	;; [unrolled: 1-line block ×3, first 2 shown]
	v_cndmask_b32_e64 v24, 0, v33, s[14:15]
	v_add_u32_e32 v34, v36, v57
	v_add_u32_e32 v29, v24, v48
	;; [unrolled: 1-line block ×3, first 2 shown]
	v_cndmask_b32_e32 v24, 0, v29, vcc
	s_waitcnt lgkmcnt(0)
	v_cmp_eq_u32_e32 vcc, 0, v22
	v_add_u32_e32 v28, v32, v55
	v_add_u32_e32 v31, v24, v48
	v_cndmask_b32_e32 v24, 0, v26, vcc
	v_add_u32_e32 v30, v28, v54
	v_add_u32_e32 v26, v24, v23
	s_and_saveexec_b64 s[2:3], s[0:1]
	s_cbranch_execz .LBB333_89
; %bb.88:
	s_add_u32 s4, s24, 0x400
	v_and_b32_e32 v23, 0xff000000, v26
	v_and_b32_e32 v24, 0xff0000, v26
	s_addc_u32 s5, s25, 0
	v_or_b32_e32 v23, v24, v23
	v_and_b32_e32 v24, 0xff00, v26
	v_and_b32_e32 v27, 0xff, v26
	v_mov_b32_e32 v25, 0
	v_or3_b32 v23, v23, v24, v27
	v_mov_b32_e32 v24, 2
	v_pk_mov_b32 v[48:49], s[4:5], s[4:5] op_sel:[0,1]
	;;#ASMSTART
	global_store_dwordx4 v[48:49], v[22:25] off	
s_waitcnt vmcnt(0)
	;;#ASMEND
.LBB333_89:
	s_or_b64 exec, exec, s[2:3]
	v_mov_b32_e32 v24, 0
.LBB333_90:
	s_and_b64 s[2:3], s[26:27], exec
	s_cselect_b32 s3, 0, s23
	s_cselect_b32 s2, 0, s22
	s_cmp_eq_u64 s[2:3], 0
	v_pk_mov_b32 v[48:49], 0, 0
	s_barrier
	s_cbranch_scc1 .LBB333_92
; %bb.91:
	v_mov_b32_e32 v23, 0
	global_load_dwordx2 v[48:49], v23, s[2:3]
.LBB333_92:
	s_waitcnt vmcnt(0)
	v_lshlrev_b64 v[50:51], 3, v[48:49]
	v_mov_b32_e32 v23, s37
	v_add_co_u32_e32 v27, vcc, s36, v50
	v_mov_b32_e32 v25, 0
	v_addc_co_u32_e32 v63, vcc, v23, v51, vcc
	v_lshlrev_b64 v[52:53], 3, v[24:25]
	v_add_co_u32_e32 v23, vcc, v27, v52
	v_addc_co_u32_e32 v25, vcc, v63, v53, vcc
	v_cmp_eq_u32_e32 vcc, 0, v62
	v_cndmask_b32_e64 v27, 1, 2, vcc
	v_cmp_eq_u32_e32 vcc, 0, v61
	v_cndmask_b32_e64 v63, 1, 2, vcc
	v_cmp_eq_u32_e32 vcc, 0, v60
	v_and_b32_e32 v27, v63, v27
	v_cndmask_b32_e64 v63, 1, 2, vcc
	v_cmp_eq_u32_e32 vcc, 0, v59
	v_and_b32_e32 v27, v27, v63
	;; [unrolled: 3-line block ×8, first 2 shown]
	v_cndmask_b32_e64 v63, 1, 2, vcc
	s_movk_i32 s22, 0x100
	v_and_b32_e32 v27, v27, v63
	v_cmp_gt_u32_e32 vcc, s22, v22
	v_cmp_ne_u32_e64 s[20:21], 0, v62
	v_cmp_ne_u32_e64 s[18:19], 0, v61
	;; [unrolled: 1-line block ×10, first 2 shown]
	s_mov_b64 s[24:25], -1
	v_cmp_gt_i16_e64 s[22:23], 2, v27
	s_cbranch_vccz .LBB333_99
; %bb.93:
	s_and_saveexec_b64 s[24:25], s[22:23]
	s_cbranch_execz .LBB333_98
; %bb.94:
	v_cmp_ne_u16_e32 vcc, 1, v27
	s_mov_b64 s[26:27], 0
	s_and_saveexec_b64 s[22:23], vcc
	s_xor_b64 s[22:23], exec, s[22:23]
	s_cbranch_execnz .LBB333_131
; %bb.95:
	s_andn2_saveexec_b64 s[22:23], s[22:23]
	s_cbranch_execnz .LBB333_142
.LBB333_96:
	s_or_b64 exec, exec, s[22:23]
	s_and_b64 exec, exec, s[26:27]
	s_cbranch_execz .LBB333_98
.LBB333_97:
	v_sub_u32_e32 v64, v30, v24
	v_mov_b32_e32 v65, 0
	v_lshlrev_b64 v[64:65], 3, v[64:65]
	v_add_co_u32_e32 v64, vcc, v23, v64
	v_addc_co_u32_e32 v65, vcc, v25, v65, vcc
	global_store_dwordx2 v[64:65], v[8:9], off
.LBB333_98:
	s_or_b64 exec, exec, s[24:25]
	s_mov_b64 s[24:25], 0
.LBB333_99:
	s_and_b64 vcc, exec, s[24:25]
	s_cbranch_vccz .LBB333_109
; %bb.100:
	v_cmp_gt_i16_e32 vcc, 2, v27
	s_and_saveexec_b64 s[22:23], vcc
	s_cbranch_execz .LBB333_105
; %bb.101:
	v_cmp_ne_u16_e32 vcc, 1, v27
	s_mov_b64 s[26:27], 0
	s_and_saveexec_b64 s[24:25], vcc
	s_xor_b64 s[24:25], exec, s[24:25]
	s_cbranch_execnz .LBB333_143
; %bb.102:
	s_andn2_saveexec_b64 s[2:3], s[24:25]
	s_cbranch_execnz .LBB333_154
.LBB333_103:
	s_or_b64 exec, exec, s[2:3]
	s_and_b64 exec, exec, s[26:27]
	s_cbranch_execz .LBB333_105
.LBB333_104:
	v_sub_u32_e32 v2, v30, v24
	v_lshlrev_b32_e32 v2, 3, v2
	ds_write_b64 v2, v[8:9]
.LBB333_105:
	s_or_b64 exec, exec, s[22:23]
	v_cmp_lt_u32_e32 vcc, v0, v22
	s_waitcnt lgkmcnt(0)
	s_barrier
	s_and_saveexec_b64 s[2:3], vcc
	s_cbranch_execz .LBB333_108
; %bb.106:
	v_lshlrev_b32_e32 v4, 3, v0
	s_mov_b64 s[4:5], 0
	v_mov_b32_e32 v3, 0
	v_mov_b32_e32 v2, v0
.LBB333_107:                            ; =>This Inner Loop Header: Depth=1
	ds_read_b64 v[6:7], v4
	v_lshlrev_b64 v[8:9], 3, v[2:3]
	v_add_co_u32_e32 v8, vcc, v23, v8
	v_add_u32_e32 v2, 0x100, v2
	v_addc_co_u32_e32 v9, vcc, v25, v9, vcc
	v_cmp_ge_u32_e32 vcc, v2, v22
	v_add_u32_e32 v4, 0x800, v4
	s_or_b64 s[4:5], vcc, s[4:5]
	s_waitcnt lgkmcnt(0)
	global_store_dwordx2 v[8:9], v[6:7], off
	s_andn2_b64 exec, exec, s[4:5]
	s_cbranch_execnz .LBB333_107
.LBB333_108:
	s_or_b64 exec, exec, s[2:3]
.LBB333_109:
	s_cmpk_lg_i32 s33, 0xa00
	s_cselect_b64 s[2:3], -1, 0
	v_cndmask_b32_e64 v2, 0, 1, s[30:31]
	s_and_b64 s[2:3], s[2:3], s[28:29]
	v_sub_u32_e32 v3, v22, v2
	v_cndmask_b32_e64 v4, 0, 1, s[2:3]
	s_and_b64 s[0:1], s[0:1], s[30:31]
	v_add_u32_e32 v4, v3, v4
	v_cndmask_b32_e64 v3, v62, 0, s[0:1]
	s_mul_hi_u32 s0, s33, 0xcccccccd
	s_lshr_b32 s0, s0, 3
	v_mad_i32_i24 v5, v0, -10, s33
	v_cmp_eq_u32_e32 vcc, s0, v0
	v_cmp_ne_u32_e64 s[0:1], 0, v5
	v_cndmask_b32_e64 v6, 1, v3, s[0:1]
	v_cmp_ne_u32_e64 s[0:1], 1, v5
	v_cndmask_b32_e64 v7, 1, v61, s[0:1]
	v_cmp_ne_u32_e64 s[0:1], 2, v5
	v_cndmask_b32_e64 v8, 1, v60, s[0:1]
	v_cmp_ne_u32_e64 s[0:1], 3, v5
	v_cndmask_b32_e64 v9, 1, v59, s[0:1]
	v_cmp_ne_u32_e64 s[0:1], 4, v5
	v_cndmask_b32_e64 v10, 1, v58, s[0:1]
	v_cmp_ne_u32_e64 s[0:1], 5, v5
	v_cndmask_b32_e64 v11, 1, v57, s[0:1]
	v_cmp_ne_u32_e64 s[0:1], 6, v5
	v_cndmask_b32_e64 v12, 1, v56, s[0:1]
	v_cmp_ne_u32_e64 s[0:1], 7, v5
	v_cndmask_b32_e64 v13, 1, v55, s[0:1]
	v_cmp_ne_u32_e64 s[0:1], 8, v5
	v_cndmask_b32_e64 v14, 1, v54, s[0:1]
	v_cmp_ne_u32_e64 s[0:1], 9, v5
	v_cndmask_b32_e64 v5, 1, v1, s[0:1]
	s_and_b64 vcc, vcc, s[28:29]
	v_cndmask_b32_e32 v15, v1, v5, vcc
	v_cndmask_b32_e32 v14, v54, v14, vcc
	;; [unrolled: 1-line block ×10, first 2 shown]
	v_mov_b32_e32 v1, s39
	v_add_co_u32_e32 v5, vcc, s38, v50
	v_addc_co_u32_e32 v6, vcc, v1, v51, vcc
	v_add_co_u32_e32 v1, vcc, v5, v52
	v_addc_co_u32_e32 v5, vcc, v6, v53, vcc
	v_lshlrev_b32_e32 v6, 3, v2
	v_add_co_u32_e32 v6, vcc, v6, v1
	v_addc_co_u32_e32 v7, vcc, 0, v5, vcc
	v_add_co_u32_e32 v6, vcc, -8, v6
	v_addc_co_u32_e32 v7, vcc, -1, v7, vcc
	v_cmp_eq_u32_e32 vcc, 0, v3
	v_cmp_ne_u32_e64 s[18:19], 0, v3
	v_cndmask_b32_e64 v3, 1, 2, vcc
	v_cmp_eq_u32_e32 vcc, 0, v16
	v_cmp_ne_u32_e64 s[16:17], 0, v16
	v_cndmask_b32_e64 v16, 1, 2, vcc
	v_cmp_eq_u32_e32 vcc, 0, v8
	v_and_b32_e32 v3, v16, v3
	v_cmp_ne_u32_e64 s[14:15], 0, v8
	v_cndmask_b32_e64 v8, 1, 2, vcc
	v_cmp_eq_u32_e32 vcc, 0, v9
	v_and_b32_e32 v3, v3, v8
	v_cndmask_b32_e64 v8, 1, 2, vcc
	v_cmp_eq_u32_e32 vcc, 0, v10
	v_and_b32_e32 v3, v3, v8
	;; [unrolled: 3-line block ×7, first 2 shown]
	v_cndmask_b32_e64 v8, 1, 2, vcc
	s_movk_i32 s20, 0x100
	v_and_b32_e32 v3, v3, v8
	v_cmp_gt_u32_e32 vcc, s20, v4
	v_add_u32_e32 v2, v24, v2
	v_cmp_ne_u32_e64 s[12:13], 0, v9
	v_cmp_ne_u32_e64 s[10:11], 0, v10
	;; [unrolled: 1-line block ×7, first 2 shown]
	s_mov_b64 s[22:23], -1
	v_cmp_gt_i16_e64 s[20:21], 2, v3
	s_barrier
	s_cbranch_vccz .LBB333_116
; %bb.110:
	s_and_saveexec_b64 s[22:23], s[20:21]
	s_cbranch_execz .LBB333_115
; %bb.111:
	v_cmp_ne_u16_e32 vcc, 1, v3
	s_mov_b64 s[24:25], 0
	s_and_saveexec_b64 s[20:21], vcc
	s_xor_b64 s[20:21], exec, s[20:21]
	s_cbranch_execnz .LBB333_155
; %bb.112:
	s_andn2_saveexec_b64 s[20:21], s[20:21]
	s_cbranch_execnz .LBB333_166
.LBB333_113:
	s_or_b64 exec, exec, s[20:21]
	s_and_b64 exec, exec, s[24:25]
	s_cbranch_execz .LBB333_115
.LBB333_114:
	v_mov_b32_e32 v9, 0
	v_sub_u32_e32 v10, v30, v2
	v_mov_b32_e32 v11, v9
	v_lshlrev_b64 v[10:11], 3, v[10:11]
	v_add_co_u32_e32 v10, vcc, v6, v10
	v_mov_b32_e32 v8, v31
	v_addc_co_u32_e32 v11, vcc, v7, v11, vcc
	global_store_dwordx2 v[10:11], v[8:9], off
.LBB333_115:
	s_or_b64 exec, exec, s[22:23]
	s_mov_b64 s[22:23], 0
.LBB333_116:
	s_and_b64 vcc, exec, s[22:23]
	s_cbranch_vccz .LBB333_126
; %bb.117:
	v_cmp_gt_i16_e32 vcc, 2, v3
	s_and_saveexec_b64 s[20:21], vcc
	s_cbranch_execz .LBB333_122
; %bb.118:
	v_cmp_ne_u16_e32 vcc, 1, v3
	s_mov_b64 s[24:25], 0
	s_and_saveexec_b64 s[22:23], vcc
	s_xor_b64 s[22:23], exec, s[22:23]
	s_cbranch_execnz .LBB333_167
; %bb.119:
	s_andn2_saveexec_b64 s[0:1], s[22:23]
	s_cbranch_execnz .LBB333_178
.LBB333_120:
	s_or_b64 exec, exec, s[0:1]
	s_and_b64 exec, exec, s[24:25]
	s_cbranch_execz .LBB333_122
.LBB333_121:
	v_sub_u32_e32 v2, v30, v2
	v_lshlrev_b32_e32 v2, 2, v2
	ds_write_b32 v2, v31
.LBB333_122:
	s_or_b64 exec, exec, s[20:21]
	v_cmp_lt_u32_e32 vcc, v0, v4
	s_waitcnt lgkmcnt(0)
	s_barrier
	s_and_saveexec_b64 s[0:1], vcc
	s_cbranch_execz .LBB333_125
; %bb.123:
	v_lshlrev_b32_e32 v8, 2, v0
	s_mov_b64 s[2:3], 0
	v_mov_b32_e32 v3, 0
	v_mov_b32_e32 v2, v0
.LBB333_124:                            ; =>This Inner Loop Header: Depth=1
	ds_read_b32 v10, v8
	v_lshlrev_b64 v[12:13], 3, v[2:3]
	v_add_co_u32_e32 v12, vcc, v6, v12
	v_add_u32_e32 v2, 0x100, v2
	v_addc_co_u32_e32 v13, vcc, v7, v13, vcc
	v_cmp_ge_u32_e32 vcc, v2, v4
	v_mov_b32_e32 v11, v3
	v_add_u32_e32 v8, 0x400, v8
	s_or_b64 s[2:3], vcc, s[2:3]
	s_waitcnt lgkmcnt(0)
	global_store_dwordx2 v[12:13], v[10:11], off
	s_andn2_b64 exec, exec, s[2:3]
	s_cbranch_execnz .LBB333_124
.LBB333_125:
	s_or_b64 exec, exec, s[0:1]
.LBB333_126:
	s_movk_i32 s0, 0xff
	v_cmp_eq_u32_e32 vcc, s0, v0
	s_and_b64 s[0:1], vcc, s[28:29]
	s_and_saveexec_b64 s[2:3], s[0:1]
	s_cbranch_execz .LBB333_129
; %bb.127:
	v_add_co_u32_e32 v0, vcc, v22, v24
	v_addc_co_u32_e64 v3, s[0:1], 0, 0, vcc
	v_add_co_u32_e32 v2, vcc, v0, v48
	v_mov_b32_e32 v23, 0
	v_addc_co_u32_e32 v3, vcc, v3, v49, vcc
	s_cmpk_lg_i32 s33, 0xa00
	global_store_dwordx2 v23, v[2:3], s[34:35]
	s_cbranch_scc1 .LBB333_129
; %bb.128:
	v_lshlrev_b64 v[2:3], 3, v[22:23]
	v_add_co_u32_e32 v0, vcc, v1, v2
	v_mov_b32_e32 v27, v23
	v_addc_co_u32_e32 v1, vcc, v5, v3, vcc
	global_store_dwordx2 v[0:1], v[26:27], off offset:-8
.LBB333_129:
	s_endpgm
.LBB333_130:
	s_or_b64 exec, exec, s[6:7]
	v_mov_b32_e32 v62, s8
	s_and_saveexec_b64 s[2:3], s[44:45]
	s_cbranch_execnz .LBB333_50
	s_branch .LBB333_51
.LBB333_131:
	s_and_saveexec_b64 s[26:27], s[20:21]
	s_cbranch_execnz .LBB333_179
; %bb.132:
	s_or_b64 exec, exec, s[26:27]
	s_and_saveexec_b64 s[26:27], s[18:19]
	s_cbranch_execnz .LBB333_180
.LBB333_133:
	s_or_b64 exec, exec, s[26:27]
	s_and_saveexec_b64 s[26:27], s[16:17]
	s_cbranch_execnz .LBB333_181
.LBB333_134:
	s_or_b64 exec, exec, s[26:27]
	s_and_saveexec_b64 s[26:27], s[14:15]
	s_cbranch_execnz .LBB333_182
.LBB333_135:
	s_or_b64 exec, exec, s[26:27]
	s_and_saveexec_b64 s[26:27], s[12:13]
	s_cbranch_execnz .LBB333_183
.LBB333_136:
	s_or_b64 exec, exec, s[26:27]
	s_and_saveexec_b64 s[26:27], s[10:11]
	s_cbranch_execnz .LBB333_184
.LBB333_137:
	s_or_b64 exec, exec, s[26:27]
	s_and_saveexec_b64 s[26:27], s[8:9]
	s_cbranch_execnz .LBB333_185
.LBB333_138:
	s_or_b64 exec, exec, s[26:27]
	s_and_saveexec_b64 s[26:27], s[6:7]
	s_cbranch_execnz .LBB333_186
.LBB333_139:
	s_or_b64 exec, exec, s[26:27]
	s_and_saveexec_b64 s[26:27], s[4:5]
	s_cbranch_execz .LBB333_141
.LBB333_140:
	v_sub_u32_e32 v64, v28, v24
	v_mov_b32_e32 v65, 0
	v_lshlrev_b64 v[64:65], 3, v[64:65]
	v_add_co_u32_e32 v64, vcc, v23, v64
	v_addc_co_u32_e32 v65, vcc, v25, v65, vcc
	global_store_dwordx2 v[64:65], v[6:7], off
.LBB333_141:
	s_or_b64 exec, exec, s[26:27]
	s_and_b64 s[26:27], s[2:3], exec
	s_andn2_saveexec_b64 s[22:23], s[22:23]
	s_cbranch_execz .LBB333_96
.LBB333_142:
	v_sub_u32_e32 v64, v46, v24
	v_mov_b32_e32 v65, 0
	v_lshlrev_b64 v[66:67], 3, v[64:65]
	v_add_co_u32_e32 v66, vcc, v23, v66
	v_addc_co_u32_e32 v67, vcc, v25, v67, vcc
	v_sub_u32_e32 v64, v44, v24
	global_store_dwordx2 v[66:67], v[18:19], off
	v_lshlrev_b64 v[66:67], 3, v[64:65]
	v_add_co_u32_e32 v66, vcc, v23, v66
	v_addc_co_u32_e32 v67, vcc, v25, v67, vcc
	v_sub_u32_e32 v64, v42, v24
	global_store_dwordx2 v[66:67], v[20:21], off
	;; [unrolled: 5-line block ×7, first 2 shown]
	v_lshlrev_b64 v[66:67], 3, v[64:65]
	v_add_co_u32_e32 v66, vcc, v23, v66
	v_sub_u32_e32 v64, v28, v24
	v_addc_co_u32_e32 v67, vcc, v25, v67, vcc
	v_lshlrev_b64 v[64:65], 3, v[64:65]
	v_add_co_u32_e32 v64, vcc, v23, v64
	v_addc_co_u32_e32 v65, vcc, v25, v65, vcc
	s_or_b64 s[26:27], s[26:27], exec
	global_store_dwordx2 v[66:67], v[4:5], off
	global_store_dwordx2 v[64:65], v[6:7], off
	s_or_b64 exec, exec, s[22:23]
	s_and_b64 exec, exec, s[26:27]
	s_cbranch_execnz .LBB333_97
	s_branch .LBB333_98
.LBB333_143:
	s_and_saveexec_b64 s[26:27], s[20:21]
	s_cbranch_execnz .LBB333_187
; %bb.144:
	s_or_b64 exec, exec, s[26:27]
	s_and_saveexec_b64 s[20:21], s[18:19]
	s_cbranch_execnz .LBB333_188
.LBB333_145:
	s_or_b64 exec, exec, s[20:21]
	s_and_saveexec_b64 s[18:19], s[16:17]
	s_cbranch_execnz .LBB333_189
.LBB333_146:
	s_or_b64 exec, exec, s[18:19]
	s_and_saveexec_b64 s[16:17], s[14:15]
	s_cbranch_execnz .LBB333_190
.LBB333_147:
	s_or_b64 exec, exec, s[16:17]
	s_and_saveexec_b64 s[14:15], s[12:13]
	s_cbranch_execnz .LBB333_191
.LBB333_148:
	s_or_b64 exec, exec, s[14:15]
	s_and_saveexec_b64 s[12:13], s[10:11]
	s_cbranch_execnz .LBB333_192
.LBB333_149:
	s_or_b64 exec, exec, s[12:13]
	s_and_saveexec_b64 s[10:11], s[8:9]
	s_cbranch_execnz .LBB333_193
.LBB333_150:
	s_or_b64 exec, exec, s[10:11]
	s_and_saveexec_b64 s[8:9], s[6:7]
	s_cbranch_execnz .LBB333_194
.LBB333_151:
	s_or_b64 exec, exec, s[8:9]
	s_and_saveexec_b64 s[6:7], s[4:5]
	s_cbranch_execz .LBB333_153
.LBB333_152:
	v_sub_u32_e32 v2, v28, v24
	v_lshlrev_b32_e32 v2, 3, v2
	ds_write_b64 v2, v[6:7]
.LBB333_153:
	s_or_b64 exec, exec, s[6:7]
	s_and_b64 s[26:27], s[2:3], exec
                                        ; implicit-def: $vgpr4_vgpr5
                                        ; implicit-def: $vgpr12_vgpr13
                                        ; implicit-def: $vgpr16_vgpr17
                                        ; implicit-def: $vgpr20_vgpr21
	s_andn2_saveexec_b64 s[2:3], s[24:25]
	s_cbranch_execz .LBB333_103
.LBB333_154:
	v_sub_u32_e32 v27, v46, v24
	v_lshlrev_b32_e32 v27, 3, v27
	ds_write_b64 v27, v[18:19]
	v_sub_u32_e32 v18, v44, v24
	v_lshlrev_b32_e32 v18, 3, v18
	ds_write_b64 v18, v[20:21]
	v_sub_u32_e32 v18, v42, v24
	v_lshlrev_b32_e32 v18, 3, v18
	ds_write_b64 v18, v[14:15]
	v_sub_u32_e32 v14, v40, v24
	v_lshlrev_b32_e32 v14, 3, v14
	ds_write_b64 v14, v[16:17]
	v_sub_u32_e32 v14, v38, v24
	v_lshlrev_b32_e32 v14, 3, v14
	ds_write_b64 v14, v[10:11]
	v_sub_u32_e32 v10, v36, v24
	v_lshlrev_b32_e32 v10, 3, v10
	ds_write_b64 v10, v[12:13]
	v_sub_u32_e32 v10, v34, v24
	v_lshlrev_b32_e32 v10, 3, v10
	ds_write_b64 v10, v[2:3]
	v_sub_u32_e32 v2, v32, v24
	v_lshlrev_b32_e32 v2, 3, v2
	ds_write_b64 v2, v[4:5]
	v_sub_u32_e32 v2, v28, v24
	v_lshlrev_b32_e32 v2, 3, v2
	s_or_b64 s[26:27], s[26:27], exec
	ds_write_b64 v2, v[6:7]
	s_or_b64 exec, exec, s[2:3]
	s_and_b64 exec, exec, s[26:27]
	s_cbranch_execnz .LBB333_104
	s_branch .LBB333_105
.LBB333_155:
	s_and_saveexec_b64 s[24:25], s[18:19]
	s_cbranch_execnz .LBB333_195
; %bb.156:
	s_or_b64 exec, exec, s[24:25]
	s_and_saveexec_b64 s[24:25], s[16:17]
	s_cbranch_execnz .LBB333_196
.LBB333_157:
	s_or_b64 exec, exec, s[24:25]
	s_and_saveexec_b64 s[24:25], s[14:15]
	s_cbranch_execnz .LBB333_197
.LBB333_158:
	s_or_b64 exec, exec, s[24:25]
	s_and_saveexec_b64 s[24:25], s[12:13]
	s_cbranch_execnz .LBB333_198
.LBB333_159:
	s_or_b64 exec, exec, s[24:25]
	s_and_saveexec_b64 s[24:25], s[10:11]
	s_cbranch_execnz .LBB333_199
.LBB333_160:
	s_or_b64 exec, exec, s[24:25]
	s_and_saveexec_b64 s[24:25], s[8:9]
	s_cbranch_execnz .LBB333_200
.LBB333_161:
	s_or_b64 exec, exec, s[24:25]
	s_and_saveexec_b64 s[24:25], s[6:7]
	s_cbranch_execnz .LBB333_201
.LBB333_162:
	s_or_b64 exec, exec, s[24:25]
	s_and_saveexec_b64 s[24:25], s[4:5]
	s_cbranch_execnz .LBB333_202
.LBB333_163:
	s_or_b64 exec, exec, s[24:25]
	s_and_saveexec_b64 s[24:25], s[2:3]
	s_cbranch_execz .LBB333_165
.LBB333_164:
	v_sub_u32_e32 v8, v28, v2
	v_mov_b32_e32 v9, 0
	v_lshlrev_b64 v[10:11], 3, v[8:9]
	v_add_co_u32_e32 v10, vcc, v6, v10
	v_addc_co_u32_e32 v11, vcc, v7, v11, vcc
	v_mov_b32_e32 v8, v29
	global_store_dwordx2 v[10:11], v[8:9], off
.LBB333_165:
	s_or_b64 exec, exec, s[24:25]
	s_and_b64 s[24:25], s[0:1], exec
	s_andn2_saveexec_b64 s[20:21], s[20:21]
	s_cbranch_execz .LBB333_113
.LBB333_166:
	v_mov_b32_e32 v9, 0
	v_sub_u32_e32 v10, v46, v2
	v_mov_b32_e32 v11, v9
	v_lshlrev_b64 v[10:11], 3, v[10:11]
	v_add_co_u32_e32 v10, vcc, v6, v10
	v_mov_b32_e32 v8, v47
	v_addc_co_u32_e32 v11, vcc, v7, v11, vcc
	global_store_dwordx2 v[10:11], v[8:9], off
	v_sub_u32_e32 v10, v44, v2
	v_mov_b32_e32 v11, v9
	v_lshlrev_b64 v[10:11], 3, v[10:11]
	v_add_co_u32_e32 v10, vcc, v6, v10
	v_mov_b32_e32 v8, v45
	v_addc_co_u32_e32 v11, vcc, v7, v11, vcc
	global_store_dwordx2 v[10:11], v[8:9], off
	;; [unrolled: 7-line block ×8, first 2 shown]
	v_sub_u32_e32 v10, v28, v2
	v_mov_b32_e32 v11, v9
	v_lshlrev_b64 v[10:11], 3, v[10:11]
	v_add_co_u32_e32 v10, vcc, v6, v10
	v_mov_b32_e32 v8, v29
	v_addc_co_u32_e32 v11, vcc, v7, v11, vcc
	s_or_b64 s[24:25], s[24:25], exec
	global_store_dwordx2 v[10:11], v[8:9], off
	s_or_b64 exec, exec, s[20:21]
	s_and_b64 exec, exec, s[24:25]
	s_cbranch_execnz .LBB333_114
	s_branch .LBB333_115
.LBB333_167:
	s_and_saveexec_b64 s[24:25], s[18:19]
	s_cbranch_execnz .LBB333_203
; %bb.168:
	s_or_b64 exec, exec, s[24:25]
	s_and_saveexec_b64 s[18:19], s[16:17]
	s_cbranch_execnz .LBB333_204
.LBB333_169:
	s_or_b64 exec, exec, s[18:19]
	s_and_saveexec_b64 s[16:17], s[14:15]
	s_cbranch_execnz .LBB333_205
.LBB333_170:
	s_or_b64 exec, exec, s[16:17]
	s_and_saveexec_b64 s[14:15], s[12:13]
	s_cbranch_execnz .LBB333_206
.LBB333_171:
	s_or_b64 exec, exec, s[14:15]
	s_and_saveexec_b64 s[12:13], s[10:11]
	s_cbranch_execnz .LBB333_207
.LBB333_172:
	s_or_b64 exec, exec, s[12:13]
	s_and_saveexec_b64 s[10:11], s[8:9]
	s_cbranch_execnz .LBB333_208
.LBB333_173:
	s_or_b64 exec, exec, s[10:11]
	s_and_saveexec_b64 s[8:9], s[6:7]
	s_cbranch_execnz .LBB333_209
.LBB333_174:
	s_or_b64 exec, exec, s[8:9]
	s_and_saveexec_b64 s[6:7], s[4:5]
	s_cbranch_execnz .LBB333_210
.LBB333_175:
	s_or_b64 exec, exec, s[6:7]
	s_and_saveexec_b64 s[4:5], s[2:3]
	s_cbranch_execz .LBB333_177
.LBB333_176:
	v_sub_u32_e32 v3, v28, v2
	v_lshlrev_b32_e32 v3, 2, v3
	ds_write_b32 v3, v29
.LBB333_177:
	s_or_b64 exec, exec, s[4:5]
	s_and_b64 s[24:25], s[0:1], exec
                                        ; implicit-def: $vgpr28_vgpr29
                                        ; implicit-def: $vgpr32_vgpr33
                                        ; implicit-def: $vgpr34_vgpr35
                                        ; implicit-def: $vgpr46_vgpr47
                                        ; implicit-def: $vgpr44_vgpr45
                                        ; implicit-def: $vgpr42_vgpr43
                                        ; implicit-def: $vgpr40_vgpr41
                                        ; implicit-def: $vgpr38_vgpr39
                                        ; implicit-def: $vgpr36_vgpr37
	s_andn2_saveexec_b64 s[0:1], s[22:23]
	s_cbranch_execz .LBB333_120
.LBB333_178:
	v_sub_u32_e32 v3, v46, v2
	v_lshlrev_b32_e32 v3, 2, v3
	ds_write_b32 v3, v47
	v_sub_u32_e32 v3, v44, v2
	v_lshlrev_b32_e32 v3, 2, v3
	ds_write_b32 v3, v45
	;; [unrolled: 3-line block ×8, first 2 shown]
	v_sub_u32_e32 v3, v28, v2
	v_lshlrev_b32_e32 v3, 2, v3
	s_or_b64 s[24:25], s[24:25], exec
	ds_write_b32 v3, v29
	s_or_b64 exec, exec, s[0:1]
	s_and_b64 exec, exec, s[24:25]
	s_cbranch_execnz .LBB333_121
	s_branch .LBB333_122
.LBB333_179:
	v_sub_u32_e32 v64, v46, v24
	v_mov_b32_e32 v65, 0
	v_lshlrev_b64 v[64:65], 3, v[64:65]
	v_add_co_u32_e32 v64, vcc, v23, v64
	v_addc_co_u32_e32 v65, vcc, v25, v65, vcc
	global_store_dwordx2 v[64:65], v[18:19], off
	s_or_b64 exec, exec, s[26:27]
	s_and_saveexec_b64 s[26:27], s[18:19]
	s_cbranch_execz .LBB333_133
.LBB333_180:
	v_sub_u32_e32 v64, v44, v24
	v_mov_b32_e32 v65, 0
	v_lshlrev_b64 v[64:65], 3, v[64:65]
	v_add_co_u32_e32 v64, vcc, v23, v64
	v_addc_co_u32_e32 v65, vcc, v25, v65, vcc
	global_store_dwordx2 v[64:65], v[20:21], off
	s_or_b64 exec, exec, s[26:27]
	s_and_saveexec_b64 s[26:27], s[16:17]
	s_cbranch_execz .LBB333_134
.LBB333_181:
	v_sub_u32_e32 v64, v42, v24
	v_mov_b32_e32 v65, 0
	v_lshlrev_b64 v[64:65], 3, v[64:65]
	v_add_co_u32_e32 v64, vcc, v23, v64
	v_addc_co_u32_e32 v65, vcc, v25, v65, vcc
	global_store_dwordx2 v[64:65], v[14:15], off
	s_or_b64 exec, exec, s[26:27]
	s_and_saveexec_b64 s[26:27], s[14:15]
	s_cbranch_execz .LBB333_135
.LBB333_182:
	v_sub_u32_e32 v64, v40, v24
	v_mov_b32_e32 v65, 0
	v_lshlrev_b64 v[64:65], 3, v[64:65]
	v_add_co_u32_e32 v64, vcc, v23, v64
	v_addc_co_u32_e32 v65, vcc, v25, v65, vcc
	global_store_dwordx2 v[64:65], v[16:17], off
	s_or_b64 exec, exec, s[26:27]
	s_and_saveexec_b64 s[26:27], s[12:13]
	s_cbranch_execz .LBB333_136
.LBB333_183:
	v_sub_u32_e32 v64, v38, v24
	v_mov_b32_e32 v65, 0
	v_lshlrev_b64 v[64:65], 3, v[64:65]
	v_add_co_u32_e32 v64, vcc, v23, v64
	v_addc_co_u32_e32 v65, vcc, v25, v65, vcc
	global_store_dwordx2 v[64:65], v[10:11], off
	s_or_b64 exec, exec, s[26:27]
	s_and_saveexec_b64 s[26:27], s[10:11]
	s_cbranch_execz .LBB333_137
.LBB333_184:
	v_sub_u32_e32 v64, v36, v24
	v_mov_b32_e32 v65, 0
	v_lshlrev_b64 v[64:65], 3, v[64:65]
	v_add_co_u32_e32 v64, vcc, v23, v64
	v_addc_co_u32_e32 v65, vcc, v25, v65, vcc
	global_store_dwordx2 v[64:65], v[12:13], off
	s_or_b64 exec, exec, s[26:27]
	s_and_saveexec_b64 s[26:27], s[8:9]
	s_cbranch_execz .LBB333_138
.LBB333_185:
	v_sub_u32_e32 v64, v34, v24
	v_mov_b32_e32 v65, 0
	v_lshlrev_b64 v[64:65], 3, v[64:65]
	v_add_co_u32_e32 v64, vcc, v23, v64
	v_addc_co_u32_e32 v65, vcc, v25, v65, vcc
	global_store_dwordx2 v[64:65], v[2:3], off
	s_or_b64 exec, exec, s[26:27]
	s_and_saveexec_b64 s[26:27], s[6:7]
	s_cbranch_execz .LBB333_139
.LBB333_186:
	v_sub_u32_e32 v64, v32, v24
	v_mov_b32_e32 v65, 0
	v_lshlrev_b64 v[64:65], 3, v[64:65]
	v_add_co_u32_e32 v64, vcc, v23, v64
	v_addc_co_u32_e32 v65, vcc, v25, v65, vcc
	global_store_dwordx2 v[64:65], v[4:5], off
	s_or_b64 exec, exec, s[26:27]
	s_and_saveexec_b64 s[26:27], s[4:5]
	s_cbranch_execnz .LBB333_140
	s_branch .LBB333_141
.LBB333_187:
	v_sub_u32_e32 v27, v46, v24
	v_lshlrev_b32_e32 v27, 3, v27
	ds_write_b64 v27, v[18:19]
	s_or_b64 exec, exec, s[26:27]
	s_and_saveexec_b64 s[20:21], s[18:19]
	s_cbranch_execz .LBB333_145
.LBB333_188:
	v_sub_u32_e32 v18, v44, v24
	v_lshlrev_b32_e32 v18, 3, v18
	ds_write_b64 v18, v[20:21]
	s_or_b64 exec, exec, s[20:21]
	s_and_saveexec_b64 s[18:19], s[16:17]
	s_cbranch_execz .LBB333_146
.LBB333_189:
	v_sub_u32_e32 v18, v42, v24
	v_lshlrev_b32_e32 v18, 3, v18
	ds_write_b64 v18, v[14:15]
	s_or_b64 exec, exec, s[18:19]
	s_and_saveexec_b64 s[16:17], s[14:15]
	s_cbranch_execz .LBB333_147
.LBB333_190:
	v_sub_u32_e32 v14, v40, v24
	v_lshlrev_b32_e32 v14, 3, v14
	ds_write_b64 v14, v[16:17]
	s_or_b64 exec, exec, s[16:17]
	s_and_saveexec_b64 s[14:15], s[12:13]
	s_cbranch_execz .LBB333_148
.LBB333_191:
	v_sub_u32_e32 v14, v38, v24
	v_lshlrev_b32_e32 v14, 3, v14
	ds_write_b64 v14, v[10:11]
	s_or_b64 exec, exec, s[14:15]
	s_and_saveexec_b64 s[12:13], s[10:11]
	s_cbranch_execz .LBB333_149
.LBB333_192:
	v_sub_u32_e32 v10, v36, v24
	v_lshlrev_b32_e32 v10, 3, v10
	ds_write_b64 v10, v[12:13]
	s_or_b64 exec, exec, s[12:13]
	s_and_saveexec_b64 s[10:11], s[8:9]
	s_cbranch_execz .LBB333_150
.LBB333_193:
	v_sub_u32_e32 v10, v34, v24
	v_lshlrev_b32_e32 v10, 3, v10
	ds_write_b64 v10, v[2:3]
	s_or_b64 exec, exec, s[10:11]
	s_and_saveexec_b64 s[8:9], s[6:7]
	s_cbranch_execz .LBB333_151
.LBB333_194:
	v_sub_u32_e32 v2, v32, v24
	v_lshlrev_b32_e32 v2, 3, v2
	ds_write_b64 v2, v[4:5]
	s_or_b64 exec, exec, s[8:9]
	s_and_saveexec_b64 s[6:7], s[4:5]
	s_cbranch_execnz .LBB333_152
	s_branch .LBB333_153
.LBB333_195:
	v_sub_u32_e32 v8, v46, v2
	v_mov_b32_e32 v9, 0
	v_lshlrev_b64 v[10:11], 3, v[8:9]
	v_add_co_u32_e32 v10, vcc, v6, v10
	v_addc_co_u32_e32 v11, vcc, v7, v11, vcc
	v_mov_b32_e32 v8, v47
	global_store_dwordx2 v[10:11], v[8:9], off
	s_or_b64 exec, exec, s[24:25]
	s_and_saveexec_b64 s[24:25], s[16:17]
	s_cbranch_execz .LBB333_157
.LBB333_196:
	v_sub_u32_e32 v8, v44, v2
	v_mov_b32_e32 v9, 0
	v_lshlrev_b64 v[10:11], 3, v[8:9]
	v_add_co_u32_e32 v10, vcc, v6, v10
	v_addc_co_u32_e32 v11, vcc, v7, v11, vcc
	v_mov_b32_e32 v8, v45
	global_store_dwordx2 v[10:11], v[8:9], off
	s_or_b64 exec, exec, s[24:25]
	s_and_saveexec_b64 s[24:25], s[14:15]
	s_cbranch_execz .LBB333_158
.LBB333_197:
	v_sub_u32_e32 v8, v42, v2
	v_mov_b32_e32 v9, 0
	v_lshlrev_b64 v[10:11], 3, v[8:9]
	v_add_co_u32_e32 v10, vcc, v6, v10
	v_addc_co_u32_e32 v11, vcc, v7, v11, vcc
	v_mov_b32_e32 v8, v43
	global_store_dwordx2 v[10:11], v[8:9], off
	s_or_b64 exec, exec, s[24:25]
	s_and_saveexec_b64 s[24:25], s[12:13]
	s_cbranch_execz .LBB333_159
.LBB333_198:
	v_sub_u32_e32 v8, v40, v2
	v_mov_b32_e32 v9, 0
	v_lshlrev_b64 v[10:11], 3, v[8:9]
	v_add_co_u32_e32 v10, vcc, v6, v10
	v_addc_co_u32_e32 v11, vcc, v7, v11, vcc
	v_mov_b32_e32 v8, v41
	global_store_dwordx2 v[10:11], v[8:9], off
	s_or_b64 exec, exec, s[24:25]
	s_and_saveexec_b64 s[24:25], s[10:11]
	s_cbranch_execz .LBB333_160
.LBB333_199:
	v_sub_u32_e32 v8, v38, v2
	v_mov_b32_e32 v9, 0
	v_lshlrev_b64 v[10:11], 3, v[8:9]
	v_add_co_u32_e32 v10, vcc, v6, v10
	v_addc_co_u32_e32 v11, vcc, v7, v11, vcc
	v_mov_b32_e32 v8, v39
	global_store_dwordx2 v[10:11], v[8:9], off
	s_or_b64 exec, exec, s[24:25]
	s_and_saveexec_b64 s[24:25], s[8:9]
	s_cbranch_execz .LBB333_161
.LBB333_200:
	v_sub_u32_e32 v8, v36, v2
	v_mov_b32_e32 v9, 0
	v_lshlrev_b64 v[10:11], 3, v[8:9]
	v_add_co_u32_e32 v10, vcc, v6, v10
	v_addc_co_u32_e32 v11, vcc, v7, v11, vcc
	v_mov_b32_e32 v8, v37
	global_store_dwordx2 v[10:11], v[8:9], off
	s_or_b64 exec, exec, s[24:25]
	s_and_saveexec_b64 s[24:25], s[6:7]
	s_cbranch_execz .LBB333_162
.LBB333_201:
	v_sub_u32_e32 v8, v34, v2
	v_mov_b32_e32 v9, 0
	v_lshlrev_b64 v[10:11], 3, v[8:9]
	v_add_co_u32_e32 v10, vcc, v6, v10
	v_addc_co_u32_e32 v11, vcc, v7, v11, vcc
	v_mov_b32_e32 v8, v35
	global_store_dwordx2 v[10:11], v[8:9], off
	s_or_b64 exec, exec, s[24:25]
	s_and_saveexec_b64 s[24:25], s[4:5]
	s_cbranch_execz .LBB333_163
.LBB333_202:
	v_sub_u32_e32 v8, v32, v2
	v_mov_b32_e32 v9, 0
	v_lshlrev_b64 v[10:11], 3, v[8:9]
	v_add_co_u32_e32 v10, vcc, v6, v10
	v_addc_co_u32_e32 v11, vcc, v7, v11, vcc
	v_mov_b32_e32 v8, v33
	global_store_dwordx2 v[10:11], v[8:9], off
	s_or_b64 exec, exec, s[24:25]
	s_and_saveexec_b64 s[24:25], s[2:3]
	s_cbranch_execnz .LBB333_164
	s_branch .LBB333_165
.LBB333_203:
	v_sub_u32_e32 v3, v46, v2
	v_lshlrev_b32_e32 v3, 2, v3
	ds_write_b32 v3, v47
	s_or_b64 exec, exec, s[24:25]
	s_and_saveexec_b64 s[18:19], s[16:17]
	s_cbranch_execz .LBB333_169
.LBB333_204:
	v_sub_u32_e32 v3, v44, v2
	v_lshlrev_b32_e32 v3, 2, v3
	ds_write_b32 v3, v45
	s_or_b64 exec, exec, s[18:19]
	s_and_saveexec_b64 s[16:17], s[14:15]
	s_cbranch_execz .LBB333_170
.LBB333_205:
	v_sub_u32_e32 v3, v42, v2
	v_lshlrev_b32_e32 v3, 2, v3
	ds_write_b32 v3, v43
	s_or_b64 exec, exec, s[16:17]
	s_and_saveexec_b64 s[14:15], s[12:13]
	s_cbranch_execz .LBB333_171
.LBB333_206:
	v_sub_u32_e32 v3, v40, v2
	v_lshlrev_b32_e32 v3, 2, v3
	ds_write_b32 v3, v41
	s_or_b64 exec, exec, s[14:15]
	s_and_saveexec_b64 s[12:13], s[10:11]
	s_cbranch_execz .LBB333_172
.LBB333_207:
	v_sub_u32_e32 v3, v38, v2
	v_lshlrev_b32_e32 v3, 2, v3
	ds_write_b32 v3, v39
	s_or_b64 exec, exec, s[12:13]
	s_and_saveexec_b64 s[10:11], s[8:9]
	s_cbranch_execz .LBB333_173
.LBB333_208:
	v_sub_u32_e32 v3, v36, v2
	v_lshlrev_b32_e32 v3, 2, v3
	ds_write_b32 v3, v37
	s_or_b64 exec, exec, s[10:11]
	s_and_saveexec_b64 s[8:9], s[6:7]
	s_cbranch_execz .LBB333_174
.LBB333_209:
	v_sub_u32_e32 v3, v34, v2
	v_lshlrev_b32_e32 v3, 2, v3
	ds_write_b32 v3, v35
	s_or_b64 exec, exec, s[8:9]
	s_and_saveexec_b64 s[6:7], s[4:5]
	s_cbranch_execz .LBB333_175
.LBB333_210:
	v_sub_u32_e32 v3, v32, v2
	v_lshlrev_b32_e32 v3, 2, v3
	ds_write_b32 v3, v33
	s_or_b64 exec, exec, s[6:7]
	s_and_saveexec_b64 s[4:5], s[2:3]
	s_cbranch_execnz .LBB333_176
	s_branch .LBB333_177
	.section	.rodata,"a",@progbits
	.p2align	6, 0x0
	.amdhsa_kernel _ZN7rocprim17ROCPRIM_400000_NS6detail17trampoline_kernelINS0_14default_configENS1_33run_length_encode_config_selectorIdjNS0_4plusIjEEEEZZNS1_33reduce_by_key_impl_wrapped_configILNS1_25lookback_scan_determinismE0ES3_S7_PKdNS0_17constant_iteratorIjlEEPdPlSF_S6_NS0_8equal_toIdEEEE10hipError_tPvRmT2_T3_mT4_T5_T6_T7_T8_P12ihipStream_tbENKUlT_T0_E_clISt17integral_constantIbLb0EESY_IbLb1EEEEDaSU_SV_EUlSU_E_NS1_11comp_targetILNS1_3genE4ELNS1_11target_archE910ELNS1_3gpuE8ELNS1_3repE0EEENS1_30default_config_static_selectorELNS0_4arch9wavefront6targetE1EEEvT1_
		.amdhsa_group_segment_fixed_size 20480
		.amdhsa_private_segment_fixed_size 0
		.amdhsa_kernarg_size 128
		.amdhsa_user_sgpr_count 6
		.amdhsa_user_sgpr_private_segment_buffer 1
		.amdhsa_user_sgpr_dispatch_ptr 0
		.amdhsa_user_sgpr_queue_ptr 0
		.amdhsa_user_sgpr_kernarg_segment_ptr 1
		.amdhsa_user_sgpr_dispatch_id 0
		.amdhsa_user_sgpr_flat_scratch_init 0
		.amdhsa_user_sgpr_kernarg_preload_length 0
		.amdhsa_user_sgpr_kernarg_preload_offset 0
		.amdhsa_user_sgpr_private_segment_size 0
		.amdhsa_uses_dynamic_stack 0
		.amdhsa_system_sgpr_private_segment_wavefront_offset 0
		.amdhsa_system_sgpr_workgroup_id_x 1
		.amdhsa_system_sgpr_workgroup_id_y 0
		.amdhsa_system_sgpr_workgroup_id_z 0
		.amdhsa_system_sgpr_workgroup_info 0
		.amdhsa_system_vgpr_workitem_id 0
		.amdhsa_next_free_vgpr 68
		.amdhsa_next_free_sgpr 56
		.amdhsa_accum_offset 68
		.amdhsa_reserve_vcc 1
		.amdhsa_reserve_flat_scratch 0
		.amdhsa_float_round_mode_32 0
		.amdhsa_float_round_mode_16_64 0
		.amdhsa_float_denorm_mode_32 3
		.amdhsa_float_denorm_mode_16_64 3
		.amdhsa_dx10_clamp 1
		.amdhsa_ieee_mode 1
		.amdhsa_fp16_overflow 0
		.amdhsa_tg_split 0
		.amdhsa_exception_fp_ieee_invalid_op 0
		.amdhsa_exception_fp_denorm_src 0
		.amdhsa_exception_fp_ieee_div_zero 0
		.amdhsa_exception_fp_ieee_overflow 0
		.amdhsa_exception_fp_ieee_underflow 0
		.amdhsa_exception_fp_ieee_inexact 0
		.amdhsa_exception_int_div_zero 0
	.end_amdhsa_kernel
	.section	.text._ZN7rocprim17ROCPRIM_400000_NS6detail17trampoline_kernelINS0_14default_configENS1_33run_length_encode_config_selectorIdjNS0_4plusIjEEEEZZNS1_33reduce_by_key_impl_wrapped_configILNS1_25lookback_scan_determinismE0ES3_S7_PKdNS0_17constant_iteratorIjlEEPdPlSF_S6_NS0_8equal_toIdEEEE10hipError_tPvRmT2_T3_mT4_T5_T6_T7_T8_P12ihipStream_tbENKUlT_T0_E_clISt17integral_constantIbLb0EESY_IbLb1EEEEDaSU_SV_EUlSU_E_NS1_11comp_targetILNS1_3genE4ELNS1_11target_archE910ELNS1_3gpuE8ELNS1_3repE0EEENS1_30default_config_static_selectorELNS0_4arch9wavefront6targetE1EEEvT1_,"axG",@progbits,_ZN7rocprim17ROCPRIM_400000_NS6detail17trampoline_kernelINS0_14default_configENS1_33run_length_encode_config_selectorIdjNS0_4plusIjEEEEZZNS1_33reduce_by_key_impl_wrapped_configILNS1_25lookback_scan_determinismE0ES3_S7_PKdNS0_17constant_iteratorIjlEEPdPlSF_S6_NS0_8equal_toIdEEEE10hipError_tPvRmT2_T3_mT4_T5_T6_T7_T8_P12ihipStream_tbENKUlT_T0_E_clISt17integral_constantIbLb0EESY_IbLb1EEEEDaSU_SV_EUlSU_E_NS1_11comp_targetILNS1_3genE4ELNS1_11target_archE910ELNS1_3gpuE8ELNS1_3repE0EEENS1_30default_config_static_selectorELNS0_4arch9wavefront6targetE1EEEvT1_,comdat
.Lfunc_end333:
	.size	_ZN7rocprim17ROCPRIM_400000_NS6detail17trampoline_kernelINS0_14default_configENS1_33run_length_encode_config_selectorIdjNS0_4plusIjEEEEZZNS1_33reduce_by_key_impl_wrapped_configILNS1_25lookback_scan_determinismE0ES3_S7_PKdNS0_17constant_iteratorIjlEEPdPlSF_S6_NS0_8equal_toIdEEEE10hipError_tPvRmT2_T3_mT4_T5_T6_T7_T8_P12ihipStream_tbENKUlT_T0_E_clISt17integral_constantIbLb0EESY_IbLb1EEEEDaSU_SV_EUlSU_E_NS1_11comp_targetILNS1_3genE4ELNS1_11target_archE910ELNS1_3gpuE8ELNS1_3repE0EEENS1_30default_config_static_selectorELNS0_4arch9wavefront6targetE1EEEvT1_, .Lfunc_end333-_ZN7rocprim17ROCPRIM_400000_NS6detail17trampoline_kernelINS0_14default_configENS1_33run_length_encode_config_selectorIdjNS0_4plusIjEEEEZZNS1_33reduce_by_key_impl_wrapped_configILNS1_25lookback_scan_determinismE0ES3_S7_PKdNS0_17constant_iteratorIjlEEPdPlSF_S6_NS0_8equal_toIdEEEE10hipError_tPvRmT2_T3_mT4_T5_T6_T7_T8_P12ihipStream_tbENKUlT_T0_E_clISt17integral_constantIbLb0EESY_IbLb1EEEEDaSU_SV_EUlSU_E_NS1_11comp_targetILNS1_3genE4ELNS1_11target_archE910ELNS1_3gpuE8ELNS1_3repE0EEENS1_30default_config_static_selectorELNS0_4arch9wavefront6targetE1EEEvT1_
                                        ; -- End function
	.section	.AMDGPU.csdata,"",@progbits
; Kernel info:
; codeLenInByte = 11096
; NumSgprs: 60
; NumVgprs: 68
; NumAgprs: 0
; TotalNumVgprs: 68
; ScratchSize: 0
; MemoryBound: 0
; FloatMode: 240
; IeeeMode: 1
; LDSByteSize: 20480 bytes/workgroup (compile time only)
; SGPRBlocks: 7
; VGPRBlocks: 8
; NumSGPRsForWavesPerEU: 60
; NumVGPRsForWavesPerEU: 68
; AccumOffset: 68
; Occupancy: 3
; WaveLimiterHint : 1
; COMPUTE_PGM_RSRC2:SCRATCH_EN: 0
; COMPUTE_PGM_RSRC2:USER_SGPR: 6
; COMPUTE_PGM_RSRC2:TRAP_HANDLER: 0
; COMPUTE_PGM_RSRC2:TGID_X_EN: 1
; COMPUTE_PGM_RSRC2:TGID_Y_EN: 0
; COMPUTE_PGM_RSRC2:TGID_Z_EN: 0
; COMPUTE_PGM_RSRC2:TIDIG_COMP_CNT: 0
; COMPUTE_PGM_RSRC3_GFX90A:ACCUM_OFFSET: 16
; COMPUTE_PGM_RSRC3_GFX90A:TG_SPLIT: 0
	.section	.text._ZN7rocprim17ROCPRIM_400000_NS6detail17trampoline_kernelINS0_14default_configENS1_33run_length_encode_config_selectorIdjNS0_4plusIjEEEEZZNS1_33reduce_by_key_impl_wrapped_configILNS1_25lookback_scan_determinismE0ES3_S7_PKdNS0_17constant_iteratorIjlEEPdPlSF_S6_NS0_8equal_toIdEEEE10hipError_tPvRmT2_T3_mT4_T5_T6_T7_T8_P12ihipStream_tbENKUlT_T0_E_clISt17integral_constantIbLb0EESY_IbLb1EEEEDaSU_SV_EUlSU_E_NS1_11comp_targetILNS1_3genE3ELNS1_11target_archE908ELNS1_3gpuE7ELNS1_3repE0EEENS1_30default_config_static_selectorELNS0_4arch9wavefront6targetE1EEEvT1_,"axG",@progbits,_ZN7rocprim17ROCPRIM_400000_NS6detail17trampoline_kernelINS0_14default_configENS1_33run_length_encode_config_selectorIdjNS0_4plusIjEEEEZZNS1_33reduce_by_key_impl_wrapped_configILNS1_25lookback_scan_determinismE0ES3_S7_PKdNS0_17constant_iteratorIjlEEPdPlSF_S6_NS0_8equal_toIdEEEE10hipError_tPvRmT2_T3_mT4_T5_T6_T7_T8_P12ihipStream_tbENKUlT_T0_E_clISt17integral_constantIbLb0EESY_IbLb1EEEEDaSU_SV_EUlSU_E_NS1_11comp_targetILNS1_3genE3ELNS1_11target_archE908ELNS1_3gpuE7ELNS1_3repE0EEENS1_30default_config_static_selectorELNS0_4arch9wavefront6targetE1EEEvT1_,comdat
	.protected	_ZN7rocprim17ROCPRIM_400000_NS6detail17trampoline_kernelINS0_14default_configENS1_33run_length_encode_config_selectorIdjNS0_4plusIjEEEEZZNS1_33reduce_by_key_impl_wrapped_configILNS1_25lookback_scan_determinismE0ES3_S7_PKdNS0_17constant_iteratorIjlEEPdPlSF_S6_NS0_8equal_toIdEEEE10hipError_tPvRmT2_T3_mT4_T5_T6_T7_T8_P12ihipStream_tbENKUlT_T0_E_clISt17integral_constantIbLb0EESY_IbLb1EEEEDaSU_SV_EUlSU_E_NS1_11comp_targetILNS1_3genE3ELNS1_11target_archE908ELNS1_3gpuE7ELNS1_3repE0EEENS1_30default_config_static_selectorELNS0_4arch9wavefront6targetE1EEEvT1_ ; -- Begin function _ZN7rocprim17ROCPRIM_400000_NS6detail17trampoline_kernelINS0_14default_configENS1_33run_length_encode_config_selectorIdjNS0_4plusIjEEEEZZNS1_33reduce_by_key_impl_wrapped_configILNS1_25lookback_scan_determinismE0ES3_S7_PKdNS0_17constant_iteratorIjlEEPdPlSF_S6_NS0_8equal_toIdEEEE10hipError_tPvRmT2_T3_mT4_T5_T6_T7_T8_P12ihipStream_tbENKUlT_T0_E_clISt17integral_constantIbLb0EESY_IbLb1EEEEDaSU_SV_EUlSU_E_NS1_11comp_targetILNS1_3genE3ELNS1_11target_archE908ELNS1_3gpuE7ELNS1_3repE0EEENS1_30default_config_static_selectorELNS0_4arch9wavefront6targetE1EEEvT1_
	.globl	_ZN7rocprim17ROCPRIM_400000_NS6detail17trampoline_kernelINS0_14default_configENS1_33run_length_encode_config_selectorIdjNS0_4plusIjEEEEZZNS1_33reduce_by_key_impl_wrapped_configILNS1_25lookback_scan_determinismE0ES3_S7_PKdNS0_17constant_iteratorIjlEEPdPlSF_S6_NS0_8equal_toIdEEEE10hipError_tPvRmT2_T3_mT4_T5_T6_T7_T8_P12ihipStream_tbENKUlT_T0_E_clISt17integral_constantIbLb0EESY_IbLb1EEEEDaSU_SV_EUlSU_E_NS1_11comp_targetILNS1_3genE3ELNS1_11target_archE908ELNS1_3gpuE7ELNS1_3repE0EEENS1_30default_config_static_selectorELNS0_4arch9wavefront6targetE1EEEvT1_
	.p2align	8
	.type	_ZN7rocprim17ROCPRIM_400000_NS6detail17trampoline_kernelINS0_14default_configENS1_33run_length_encode_config_selectorIdjNS0_4plusIjEEEEZZNS1_33reduce_by_key_impl_wrapped_configILNS1_25lookback_scan_determinismE0ES3_S7_PKdNS0_17constant_iteratorIjlEEPdPlSF_S6_NS0_8equal_toIdEEEE10hipError_tPvRmT2_T3_mT4_T5_T6_T7_T8_P12ihipStream_tbENKUlT_T0_E_clISt17integral_constantIbLb0EESY_IbLb1EEEEDaSU_SV_EUlSU_E_NS1_11comp_targetILNS1_3genE3ELNS1_11target_archE908ELNS1_3gpuE7ELNS1_3repE0EEENS1_30default_config_static_selectorELNS0_4arch9wavefront6targetE1EEEvT1_,@function
_ZN7rocprim17ROCPRIM_400000_NS6detail17trampoline_kernelINS0_14default_configENS1_33run_length_encode_config_selectorIdjNS0_4plusIjEEEEZZNS1_33reduce_by_key_impl_wrapped_configILNS1_25lookback_scan_determinismE0ES3_S7_PKdNS0_17constant_iteratorIjlEEPdPlSF_S6_NS0_8equal_toIdEEEE10hipError_tPvRmT2_T3_mT4_T5_T6_T7_T8_P12ihipStream_tbENKUlT_T0_E_clISt17integral_constantIbLb0EESY_IbLb1EEEEDaSU_SV_EUlSU_E_NS1_11comp_targetILNS1_3genE3ELNS1_11target_archE908ELNS1_3gpuE7ELNS1_3repE0EEENS1_30default_config_static_selectorELNS0_4arch9wavefront6targetE1EEEvT1_: ; @_ZN7rocprim17ROCPRIM_400000_NS6detail17trampoline_kernelINS0_14default_configENS1_33run_length_encode_config_selectorIdjNS0_4plusIjEEEEZZNS1_33reduce_by_key_impl_wrapped_configILNS1_25lookback_scan_determinismE0ES3_S7_PKdNS0_17constant_iteratorIjlEEPdPlSF_S6_NS0_8equal_toIdEEEE10hipError_tPvRmT2_T3_mT4_T5_T6_T7_T8_P12ihipStream_tbENKUlT_T0_E_clISt17integral_constantIbLb0EESY_IbLb1EEEEDaSU_SV_EUlSU_E_NS1_11comp_targetILNS1_3genE3ELNS1_11target_archE908ELNS1_3gpuE7ELNS1_3repE0EEENS1_30default_config_static_selectorELNS0_4arch9wavefront6targetE1EEEvT1_
; %bb.0:
	.section	.rodata,"a",@progbits
	.p2align	6, 0x0
	.amdhsa_kernel _ZN7rocprim17ROCPRIM_400000_NS6detail17trampoline_kernelINS0_14default_configENS1_33run_length_encode_config_selectorIdjNS0_4plusIjEEEEZZNS1_33reduce_by_key_impl_wrapped_configILNS1_25lookback_scan_determinismE0ES3_S7_PKdNS0_17constant_iteratorIjlEEPdPlSF_S6_NS0_8equal_toIdEEEE10hipError_tPvRmT2_T3_mT4_T5_T6_T7_T8_P12ihipStream_tbENKUlT_T0_E_clISt17integral_constantIbLb0EESY_IbLb1EEEEDaSU_SV_EUlSU_E_NS1_11comp_targetILNS1_3genE3ELNS1_11target_archE908ELNS1_3gpuE7ELNS1_3repE0EEENS1_30default_config_static_selectorELNS0_4arch9wavefront6targetE1EEEvT1_
		.amdhsa_group_segment_fixed_size 0
		.amdhsa_private_segment_fixed_size 0
		.amdhsa_kernarg_size 128
		.amdhsa_user_sgpr_count 6
		.amdhsa_user_sgpr_private_segment_buffer 1
		.amdhsa_user_sgpr_dispatch_ptr 0
		.amdhsa_user_sgpr_queue_ptr 0
		.amdhsa_user_sgpr_kernarg_segment_ptr 1
		.amdhsa_user_sgpr_dispatch_id 0
		.amdhsa_user_sgpr_flat_scratch_init 0
		.amdhsa_user_sgpr_kernarg_preload_length 0
		.amdhsa_user_sgpr_kernarg_preload_offset 0
		.amdhsa_user_sgpr_private_segment_size 0
		.amdhsa_uses_dynamic_stack 0
		.amdhsa_system_sgpr_private_segment_wavefront_offset 0
		.amdhsa_system_sgpr_workgroup_id_x 1
		.amdhsa_system_sgpr_workgroup_id_y 0
		.amdhsa_system_sgpr_workgroup_id_z 0
		.amdhsa_system_sgpr_workgroup_info 0
		.amdhsa_system_vgpr_workitem_id 0
		.amdhsa_next_free_vgpr 1
		.amdhsa_next_free_sgpr 0
		.amdhsa_accum_offset 4
		.amdhsa_reserve_vcc 0
		.amdhsa_reserve_flat_scratch 0
		.amdhsa_float_round_mode_32 0
		.amdhsa_float_round_mode_16_64 0
		.amdhsa_float_denorm_mode_32 3
		.amdhsa_float_denorm_mode_16_64 3
		.amdhsa_dx10_clamp 1
		.amdhsa_ieee_mode 1
		.amdhsa_fp16_overflow 0
		.amdhsa_tg_split 0
		.amdhsa_exception_fp_ieee_invalid_op 0
		.amdhsa_exception_fp_denorm_src 0
		.amdhsa_exception_fp_ieee_div_zero 0
		.amdhsa_exception_fp_ieee_overflow 0
		.amdhsa_exception_fp_ieee_underflow 0
		.amdhsa_exception_fp_ieee_inexact 0
		.amdhsa_exception_int_div_zero 0
	.end_amdhsa_kernel
	.section	.text._ZN7rocprim17ROCPRIM_400000_NS6detail17trampoline_kernelINS0_14default_configENS1_33run_length_encode_config_selectorIdjNS0_4plusIjEEEEZZNS1_33reduce_by_key_impl_wrapped_configILNS1_25lookback_scan_determinismE0ES3_S7_PKdNS0_17constant_iteratorIjlEEPdPlSF_S6_NS0_8equal_toIdEEEE10hipError_tPvRmT2_T3_mT4_T5_T6_T7_T8_P12ihipStream_tbENKUlT_T0_E_clISt17integral_constantIbLb0EESY_IbLb1EEEEDaSU_SV_EUlSU_E_NS1_11comp_targetILNS1_3genE3ELNS1_11target_archE908ELNS1_3gpuE7ELNS1_3repE0EEENS1_30default_config_static_selectorELNS0_4arch9wavefront6targetE1EEEvT1_,"axG",@progbits,_ZN7rocprim17ROCPRIM_400000_NS6detail17trampoline_kernelINS0_14default_configENS1_33run_length_encode_config_selectorIdjNS0_4plusIjEEEEZZNS1_33reduce_by_key_impl_wrapped_configILNS1_25lookback_scan_determinismE0ES3_S7_PKdNS0_17constant_iteratorIjlEEPdPlSF_S6_NS0_8equal_toIdEEEE10hipError_tPvRmT2_T3_mT4_T5_T6_T7_T8_P12ihipStream_tbENKUlT_T0_E_clISt17integral_constantIbLb0EESY_IbLb1EEEEDaSU_SV_EUlSU_E_NS1_11comp_targetILNS1_3genE3ELNS1_11target_archE908ELNS1_3gpuE7ELNS1_3repE0EEENS1_30default_config_static_selectorELNS0_4arch9wavefront6targetE1EEEvT1_,comdat
.Lfunc_end334:
	.size	_ZN7rocprim17ROCPRIM_400000_NS6detail17trampoline_kernelINS0_14default_configENS1_33run_length_encode_config_selectorIdjNS0_4plusIjEEEEZZNS1_33reduce_by_key_impl_wrapped_configILNS1_25lookback_scan_determinismE0ES3_S7_PKdNS0_17constant_iteratorIjlEEPdPlSF_S6_NS0_8equal_toIdEEEE10hipError_tPvRmT2_T3_mT4_T5_T6_T7_T8_P12ihipStream_tbENKUlT_T0_E_clISt17integral_constantIbLb0EESY_IbLb1EEEEDaSU_SV_EUlSU_E_NS1_11comp_targetILNS1_3genE3ELNS1_11target_archE908ELNS1_3gpuE7ELNS1_3repE0EEENS1_30default_config_static_selectorELNS0_4arch9wavefront6targetE1EEEvT1_, .Lfunc_end334-_ZN7rocprim17ROCPRIM_400000_NS6detail17trampoline_kernelINS0_14default_configENS1_33run_length_encode_config_selectorIdjNS0_4plusIjEEEEZZNS1_33reduce_by_key_impl_wrapped_configILNS1_25lookback_scan_determinismE0ES3_S7_PKdNS0_17constant_iteratorIjlEEPdPlSF_S6_NS0_8equal_toIdEEEE10hipError_tPvRmT2_T3_mT4_T5_T6_T7_T8_P12ihipStream_tbENKUlT_T0_E_clISt17integral_constantIbLb0EESY_IbLb1EEEEDaSU_SV_EUlSU_E_NS1_11comp_targetILNS1_3genE3ELNS1_11target_archE908ELNS1_3gpuE7ELNS1_3repE0EEENS1_30default_config_static_selectorELNS0_4arch9wavefront6targetE1EEEvT1_
                                        ; -- End function
	.section	.AMDGPU.csdata,"",@progbits
; Kernel info:
; codeLenInByte = 0
; NumSgprs: 4
; NumVgprs: 0
; NumAgprs: 0
; TotalNumVgprs: 0
; ScratchSize: 0
; MemoryBound: 0
; FloatMode: 240
; IeeeMode: 1
; LDSByteSize: 0 bytes/workgroup (compile time only)
; SGPRBlocks: 0
; VGPRBlocks: 0
; NumSGPRsForWavesPerEU: 4
; NumVGPRsForWavesPerEU: 1
; AccumOffset: 4
; Occupancy: 8
; WaveLimiterHint : 0
; COMPUTE_PGM_RSRC2:SCRATCH_EN: 0
; COMPUTE_PGM_RSRC2:USER_SGPR: 6
; COMPUTE_PGM_RSRC2:TRAP_HANDLER: 0
; COMPUTE_PGM_RSRC2:TGID_X_EN: 1
; COMPUTE_PGM_RSRC2:TGID_Y_EN: 0
; COMPUTE_PGM_RSRC2:TGID_Z_EN: 0
; COMPUTE_PGM_RSRC2:TIDIG_COMP_CNT: 0
; COMPUTE_PGM_RSRC3_GFX90A:ACCUM_OFFSET: 0
; COMPUTE_PGM_RSRC3_GFX90A:TG_SPLIT: 0
	.section	.text._ZN7rocprim17ROCPRIM_400000_NS6detail17trampoline_kernelINS0_14default_configENS1_33run_length_encode_config_selectorIdjNS0_4plusIjEEEEZZNS1_33reduce_by_key_impl_wrapped_configILNS1_25lookback_scan_determinismE0ES3_S7_PKdNS0_17constant_iteratorIjlEEPdPlSF_S6_NS0_8equal_toIdEEEE10hipError_tPvRmT2_T3_mT4_T5_T6_T7_T8_P12ihipStream_tbENKUlT_T0_E_clISt17integral_constantIbLb0EESY_IbLb1EEEEDaSU_SV_EUlSU_E_NS1_11comp_targetILNS1_3genE2ELNS1_11target_archE906ELNS1_3gpuE6ELNS1_3repE0EEENS1_30default_config_static_selectorELNS0_4arch9wavefront6targetE1EEEvT1_,"axG",@progbits,_ZN7rocprim17ROCPRIM_400000_NS6detail17trampoline_kernelINS0_14default_configENS1_33run_length_encode_config_selectorIdjNS0_4plusIjEEEEZZNS1_33reduce_by_key_impl_wrapped_configILNS1_25lookback_scan_determinismE0ES3_S7_PKdNS0_17constant_iteratorIjlEEPdPlSF_S6_NS0_8equal_toIdEEEE10hipError_tPvRmT2_T3_mT4_T5_T6_T7_T8_P12ihipStream_tbENKUlT_T0_E_clISt17integral_constantIbLb0EESY_IbLb1EEEEDaSU_SV_EUlSU_E_NS1_11comp_targetILNS1_3genE2ELNS1_11target_archE906ELNS1_3gpuE6ELNS1_3repE0EEENS1_30default_config_static_selectorELNS0_4arch9wavefront6targetE1EEEvT1_,comdat
	.protected	_ZN7rocprim17ROCPRIM_400000_NS6detail17trampoline_kernelINS0_14default_configENS1_33run_length_encode_config_selectorIdjNS0_4plusIjEEEEZZNS1_33reduce_by_key_impl_wrapped_configILNS1_25lookback_scan_determinismE0ES3_S7_PKdNS0_17constant_iteratorIjlEEPdPlSF_S6_NS0_8equal_toIdEEEE10hipError_tPvRmT2_T3_mT4_T5_T6_T7_T8_P12ihipStream_tbENKUlT_T0_E_clISt17integral_constantIbLb0EESY_IbLb1EEEEDaSU_SV_EUlSU_E_NS1_11comp_targetILNS1_3genE2ELNS1_11target_archE906ELNS1_3gpuE6ELNS1_3repE0EEENS1_30default_config_static_selectorELNS0_4arch9wavefront6targetE1EEEvT1_ ; -- Begin function _ZN7rocprim17ROCPRIM_400000_NS6detail17trampoline_kernelINS0_14default_configENS1_33run_length_encode_config_selectorIdjNS0_4plusIjEEEEZZNS1_33reduce_by_key_impl_wrapped_configILNS1_25lookback_scan_determinismE0ES3_S7_PKdNS0_17constant_iteratorIjlEEPdPlSF_S6_NS0_8equal_toIdEEEE10hipError_tPvRmT2_T3_mT4_T5_T6_T7_T8_P12ihipStream_tbENKUlT_T0_E_clISt17integral_constantIbLb0EESY_IbLb1EEEEDaSU_SV_EUlSU_E_NS1_11comp_targetILNS1_3genE2ELNS1_11target_archE906ELNS1_3gpuE6ELNS1_3repE0EEENS1_30default_config_static_selectorELNS0_4arch9wavefront6targetE1EEEvT1_
	.globl	_ZN7rocprim17ROCPRIM_400000_NS6detail17trampoline_kernelINS0_14default_configENS1_33run_length_encode_config_selectorIdjNS0_4plusIjEEEEZZNS1_33reduce_by_key_impl_wrapped_configILNS1_25lookback_scan_determinismE0ES3_S7_PKdNS0_17constant_iteratorIjlEEPdPlSF_S6_NS0_8equal_toIdEEEE10hipError_tPvRmT2_T3_mT4_T5_T6_T7_T8_P12ihipStream_tbENKUlT_T0_E_clISt17integral_constantIbLb0EESY_IbLb1EEEEDaSU_SV_EUlSU_E_NS1_11comp_targetILNS1_3genE2ELNS1_11target_archE906ELNS1_3gpuE6ELNS1_3repE0EEENS1_30default_config_static_selectorELNS0_4arch9wavefront6targetE1EEEvT1_
	.p2align	8
	.type	_ZN7rocprim17ROCPRIM_400000_NS6detail17trampoline_kernelINS0_14default_configENS1_33run_length_encode_config_selectorIdjNS0_4plusIjEEEEZZNS1_33reduce_by_key_impl_wrapped_configILNS1_25lookback_scan_determinismE0ES3_S7_PKdNS0_17constant_iteratorIjlEEPdPlSF_S6_NS0_8equal_toIdEEEE10hipError_tPvRmT2_T3_mT4_T5_T6_T7_T8_P12ihipStream_tbENKUlT_T0_E_clISt17integral_constantIbLb0EESY_IbLb1EEEEDaSU_SV_EUlSU_E_NS1_11comp_targetILNS1_3genE2ELNS1_11target_archE906ELNS1_3gpuE6ELNS1_3repE0EEENS1_30default_config_static_selectorELNS0_4arch9wavefront6targetE1EEEvT1_,@function
_ZN7rocprim17ROCPRIM_400000_NS6detail17trampoline_kernelINS0_14default_configENS1_33run_length_encode_config_selectorIdjNS0_4plusIjEEEEZZNS1_33reduce_by_key_impl_wrapped_configILNS1_25lookback_scan_determinismE0ES3_S7_PKdNS0_17constant_iteratorIjlEEPdPlSF_S6_NS0_8equal_toIdEEEE10hipError_tPvRmT2_T3_mT4_T5_T6_T7_T8_P12ihipStream_tbENKUlT_T0_E_clISt17integral_constantIbLb0EESY_IbLb1EEEEDaSU_SV_EUlSU_E_NS1_11comp_targetILNS1_3genE2ELNS1_11target_archE906ELNS1_3gpuE6ELNS1_3repE0EEENS1_30default_config_static_selectorELNS0_4arch9wavefront6targetE1EEEvT1_: ; @_ZN7rocprim17ROCPRIM_400000_NS6detail17trampoline_kernelINS0_14default_configENS1_33run_length_encode_config_selectorIdjNS0_4plusIjEEEEZZNS1_33reduce_by_key_impl_wrapped_configILNS1_25lookback_scan_determinismE0ES3_S7_PKdNS0_17constant_iteratorIjlEEPdPlSF_S6_NS0_8equal_toIdEEEE10hipError_tPvRmT2_T3_mT4_T5_T6_T7_T8_P12ihipStream_tbENKUlT_T0_E_clISt17integral_constantIbLb0EESY_IbLb1EEEEDaSU_SV_EUlSU_E_NS1_11comp_targetILNS1_3genE2ELNS1_11target_archE906ELNS1_3gpuE6ELNS1_3repE0EEENS1_30default_config_static_selectorELNS0_4arch9wavefront6targetE1EEEvT1_
; %bb.0:
	.section	.rodata,"a",@progbits
	.p2align	6, 0x0
	.amdhsa_kernel _ZN7rocprim17ROCPRIM_400000_NS6detail17trampoline_kernelINS0_14default_configENS1_33run_length_encode_config_selectorIdjNS0_4plusIjEEEEZZNS1_33reduce_by_key_impl_wrapped_configILNS1_25lookback_scan_determinismE0ES3_S7_PKdNS0_17constant_iteratorIjlEEPdPlSF_S6_NS0_8equal_toIdEEEE10hipError_tPvRmT2_T3_mT4_T5_T6_T7_T8_P12ihipStream_tbENKUlT_T0_E_clISt17integral_constantIbLb0EESY_IbLb1EEEEDaSU_SV_EUlSU_E_NS1_11comp_targetILNS1_3genE2ELNS1_11target_archE906ELNS1_3gpuE6ELNS1_3repE0EEENS1_30default_config_static_selectorELNS0_4arch9wavefront6targetE1EEEvT1_
		.amdhsa_group_segment_fixed_size 0
		.amdhsa_private_segment_fixed_size 0
		.amdhsa_kernarg_size 128
		.amdhsa_user_sgpr_count 6
		.amdhsa_user_sgpr_private_segment_buffer 1
		.amdhsa_user_sgpr_dispatch_ptr 0
		.amdhsa_user_sgpr_queue_ptr 0
		.amdhsa_user_sgpr_kernarg_segment_ptr 1
		.amdhsa_user_sgpr_dispatch_id 0
		.amdhsa_user_sgpr_flat_scratch_init 0
		.amdhsa_user_sgpr_kernarg_preload_length 0
		.amdhsa_user_sgpr_kernarg_preload_offset 0
		.amdhsa_user_sgpr_private_segment_size 0
		.amdhsa_uses_dynamic_stack 0
		.amdhsa_system_sgpr_private_segment_wavefront_offset 0
		.amdhsa_system_sgpr_workgroup_id_x 1
		.amdhsa_system_sgpr_workgroup_id_y 0
		.amdhsa_system_sgpr_workgroup_id_z 0
		.amdhsa_system_sgpr_workgroup_info 0
		.amdhsa_system_vgpr_workitem_id 0
		.amdhsa_next_free_vgpr 1
		.amdhsa_next_free_sgpr 0
		.amdhsa_accum_offset 4
		.amdhsa_reserve_vcc 0
		.amdhsa_reserve_flat_scratch 0
		.amdhsa_float_round_mode_32 0
		.amdhsa_float_round_mode_16_64 0
		.amdhsa_float_denorm_mode_32 3
		.amdhsa_float_denorm_mode_16_64 3
		.amdhsa_dx10_clamp 1
		.amdhsa_ieee_mode 1
		.amdhsa_fp16_overflow 0
		.amdhsa_tg_split 0
		.amdhsa_exception_fp_ieee_invalid_op 0
		.amdhsa_exception_fp_denorm_src 0
		.amdhsa_exception_fp_ieee_div_zero 0
		.amdhsa_exception_fp_ieee_overflow 0
		.amdhsa_exception_fp_ieee_underflow 0
		.amdhsa_exception_fp_ieee_inexact 0
		.amdhsa_exception_int_div_zero 0
	.end_amdhsa_kernel
	.section	.text._ZN7rocprim17ROCPRIM_400000_NS6detail17trampoline_kernelINS0_14default_configENS1_33run_length_encode_config_selectorIdjNS0_4plusIjEEEEZZNS1_33reduce_by_key_impl_wrapped_configILNS1_25lookback_scan_determinismE0ES3_S7_PKdNS0_17constant_iteratorIjlEEPdPlSF_S6_NS0_8equal_toIdEEEE10hipError_tPvRmT2_T3_mT4_T5_T6_T7_T8_P12ihipStream_tbENKUlT_T0_E_clISt17integral_constantIbLb0EESY_IbLb1EEEEDaSU_SV_EUlSU_E_NS1_11comp_targetILNS1_3genE2ELNS1_11target_archE906ELNS1_3gpuE6ELNS1_3repE0EEENS1_30default_config_static_selectorELNS0_4arch9wavefront6targetE1EEEvT1_,"axG",@progbits,_ZN7rocprim17ROCPRIM_400000_NS6detail17trampoline_kernelINS0_14default_configENS1_33run_length_encode_config_selectorIdjNS0_4plusIjEEEEZZNS1_33reduce_by_key_impl_wrapped_configILNS1_25lookback_scan_determinismE0ES3_S7_PKdNS0_17constant_iteratorIjlEEPdPlSF_S6_NS0_8equal_toIdEEEE10hipError_tPvRmT2_T3_mT4_T5_T6_T7_T8_P12ihipStream_tbENKUlT_T0_E_clISt17integral_constantIbLb0EESY_IbLb1EEEEDaSU_SV_EUlSU_E_NS1_11comp_targetILNS1_3genE2ELNS1_11target_archE906ELNS1_3gpuE6ELNS1_3repE0EEENS1_30default_config_static_selectorELNS0_4arch9wavefront6targetE1EEEvT1_,comdat
.Lfunc_end335:
	.size	_ZN7rocprim17ROCPRIM_400000_NS6detail17trampoline_kernelINS0_14default_configENS1_33run_length_encode_config_selectorIdjNS0_4plusIjEEEEZZNS1_33reduce_by_key_impl_wrapped_configILNS1_25lookback_scan_determinismE0ES3_S7_PKdNS0_17constant_iteratorIjlEEPdPlSF_S6_NS0_8equal_toIdEEEE10hipError_tPvRmT2_T3_mT4_T5_T6_T7_T8_P12ihipStream_tbENKUlT_T0_E_clISt17integral_constantIbLb0EESY_IbLb1EEEEDaSU_SV_EUlSU_E_NS1_11comp_targetILNS1_3genE2ELNS1_11target_archE906ELNS1_3gpuE6ELNS1_3repE0EEENS1_30default_config_static_selectorELNS0_4arch9wavefront6targetE1EEEvT1_, .Lfunc_end335-_ZN7rocprim17ROCPRIM_400000_NS6detail17trampoline_kernelINS0_14default_configENS1_33run_length_encode_config_selectorIdjNS0_4plusIjEEEEZZNS1_33reduce_by_key_impl_wrapped_configILNS1_25lookback_scan_determinismE0ES3_S7_PKdNS0_17constant_iteratorIjlEEPdPlSF_S6_NS0_8equal_toIdEEEE10hipError_tPvRmT2_T3_mT4_T5_T6_T7_T8_P12ihipStream_tbENKUlT_T0_E_clISt17integral_constantIbLb0EESY_IbLb1EEEEDaSU_SV_EUlSU_E_NS1_11comp_targetILNS1_3genE2ELNS1_11target_archE906ELNS1_3gpuE6ELNS1_3repE0EEENS1_30default_config_static_selectorELNS0_4arch9wavefront6targetE1EEEvT1_
                                        ; -- End function
	.section	.AMDGPU.csdata,"",@progbits
; Kernel info:
; codeLenInByte = 0
; NumSgprs: 4
; NumVgprs: 0
; NumAgprs: 0
; TotalNumVgprs: 0
; ScratchSize: 0
; MemoryBound: 0
; FloatMode: 240
; IeeeMode: 1
; LDSByteSize: 0 bytes/workgroup (compile time only)
; SGPRBlocks: 0
; VGPRBlocks: 0
; NumSGPRsForWavesPerEU: 4
; NumVGPRsForWavesPerEU: 1
; AccumOffset: 4
; Occupancy: 8
; WaveLimiterHint : 0
; COMPUTE_PGM_RSRC2:SCRATCH_EN: 0
; COMPUTE_PGM_RSRC2:USER_SGPR: 6
; COMPUTE_PGM_RSRC2:TRAP_HANDLER: 0
; COMPUTE_PGM_RSRC2:TGID_X_EN: 1
; COMPUTE_PGM_RSRC2:TGID_Y_EN: 0
; COMPUTE_PGM_RSRC2:TGID_Z_EN: 0
; COMPUTE_PGM_RSRC2:TIDIG_COMP_CNT: 0
; COMPUTE_PGM_RSRC3_GFX90A:ACCUM_OFFSET: 0
; COMPUTE_PGM_RSRC3_GFX90A:TG_SPLIT: 0
	.section	.text._ZN7rocprim17ROCPRIM_400000_NS6detail17trampoline_kernelINS0_14default_configENS1_33run_length_encode_config_selectorIdjNS0_4plusIjEEEEZZNS1_33reduce_by_key_impl_wrapped_configILNS1_25lookback_scan_determinismE0ES3_S7_PKdNS0_17constant_iteratorIjlEEPdPlSF_S6_NS0_8equal_toIdEEEE10hipError_tPvRmT2_T3_mT4_T5_T6_T7_T8_P12ihipStream_tbENKUlT_T0_E_clISt17integral_constantIbLb0EESY_IbLb1EEEEDaSU_SV_EUlSU_E_NS1_11comp_targetILNS1_3genE10ELNS1_11target_archE1201ELNS1_3gpuE5ELNS1_3repE0EEENS1_30default_config_static_selectorELNS0_4arch9wavefront6targetE1EEEvT1_,"axG",@progbits,_ZN7rocprim17ROCPRIM_400000_NS6detail17trampoline_kernelINS0_14default_configENS1_33run_length_encode_config_selectorIdjNS0_4plusIjEEEEZZNS1_33reduce_by_key_impl_wrapped_configILNS1_25lookback_scan_determinismE0ES3_S7_PKdNS0_17constant_iteratorIjlEEPdPlSF_S6_NS0_8equal_toIdEEEE10hipError_tPvRmT2_T3_mT4_T5_T6_T7_T8_P12ihipStream_tbENKUlT_T0_E_clISt17integral_constantIbLb0EESY_IbLb1EEEEDaSU_SV_EUlSU_E_NS1_11comp_targetILNS1_3genE10ELNS1_11target_archE1201ELNS1_3gpuE5ELNS1_3repE0EEENS1_30default_config_static_selectorELNS0_4arch9wavefront6targetE1EEEvT1_,comdat
	.protected	_ZN7rocprim17ROCPRIM_400000_NS6detail17trampoline_kernelINS0_14default_configENS1_33run_length_encode_config_selectorIdjNS0_4plusIjEEEEZZNS1_33reduce_by_key_impl_wrapped_configILNS1_25lookback_scan_determinismE0ES3_S7_PKdNS0_17constant_iteratorIjlEEPdPlSF_S6_NS0_8equal_toIdEEEE10hipError_tPvRmT2_T3_mT4_T5_T6_T7_T8_P12ihipStream_tbENKUlT_T0_E_clISt17integral_constantIbLb0EESY_IbLb1EEEEDaSU_SV_EUlSU_E_NS1_11comp_targetILNS1_3genE10ELNS1_11target_archE1201ELNS1_3gpuE5ELNS1_3repE0EEENS1_30default_config_static_selectorELNS0_4arch9wavefront6targetE1EEEvT1_ ; -- Begin function _ZN7rocprim17ROCPRIM_400000_NS6detail17trampoline_kernelINS0_14default_configENS1_33run_length_encode_config_selectorIdjNS0_4plusIjEEEEZZNS1_33reduce_by_key_impl_wrapped_configILNS1_25lookback_scan_determinismE0ES3_S7_PKdNS0_17constant_iteratorIjlEEPdPlSF_S6_NS0_8equal_toIdEEEE10hipError_tPvRmT2_T3_mT4_T5_T6_T7_T8_P12ihipStream_tbENKUlT_T0_E_clISt17integral_constantIbLb0EESY_IbLb1EEEEDaSU_SV_EUlSU_E_NS1_11comp_targetILNS1_3genE10ELNS1_11target_archE1201ELNS1_3gpuE5ELNS1_3repE0EEENS1_30default_config_static_selectorELNS0_4arch9wavefront6targetE1EEEvT1_
	.globl	_ZN7rocprim17ROCPRIM_400000_NS6detail17trampoline_kernelINS0_14default_configENS1_33run_length_encode_config_selectorIdjNS0_4plusIjEEEEZZNS1_33reduce_by_key_impl_wrapped_configILNS1_25lookback_scan_determinismE0ES3_S7_PKdNS0_17constant_iteratorIjlEEPdPlSF_S6_NS0_8equal_toIdEEEE10hipError_tPvRmT2_T3_mT4_T5_T6_T7_T8_P12ihipStream_tbENKUlT_T0_E_clISt17integral_constantIbLb0EESY_IbLb1EEEEDaSU_SV_EUlSU_E_NS1_11comp_targetILNS1_3genE10ELNS1_11target_archE1201ELNS1_3gpuE5ELNS1_3repE0EEENS1_30default_config_static_selectorELNS0_4arch9wavefront6targetE1EEEvT1_
	.p2align	8
	.type	_ZN7rocprim17ROCPRIM_400000_NS6detail17trampoline_kernelINS0_14default_configENS1_33run_length_encode_config_selectorIdjNS0_4plusIjEEEEZZNS1_33reduce_by_key_impl_wrapped_configILNS1_25lookback_scan_determinismE0ES3_S7_PKdNS0_17constant_iteratorIjlEEPdPlSF_S6_NS0_8equal_toIdEEEE10hipError_tPvRmT2_T3_mT4_T5_T6_T7_T8_P12ihipStream_tbENKUlT_T0_E_clISt17integral_constantIbLb0EESY_IbLb1EEEEDaSU_SV_EUlSU_E_NS1_11comp_targetILNS1_3genE10ELNS1_11target_archE1201ELNS1_3gpuE5ELNS1_3repE0EEENS1_30default_config_static_selectorELNS0_4arch9wavefront6targetE1EEEvT1_,@function
_ZN7rocprim17ROCPRIM_400000_NS6detail17trampoline_kernelINS0_14default_configENS1_33run_length_encode_config_selectorIdjNS0_4plusIjEEEEZZNS1_33reduce_by_key_impl_wrapped_configILNS1_25lookback_scan_determinismE0ES3_S7_PKdNS0_17constant_iteratorIjlEEPdPlSF_S6_NS0_8equal_toIdEEEE10hipError_tPvRmT2_T3_mT4_T5_T6_T7_T8_P12ihipStream_tbENKUlT_T0_E_clISt17integral_constantIbLb0EESY_IbLb1EEEEDaSU_SV_EUlSU_E_NS1_11comp_targetILNS1_3genE10ELNS1_11target_archE1201ELNS1_3gpuE5ELNS1_3repE0EEENS1_30default_config_static_selectorELNS0_4arch9wavefront6targetE1EEEvT1_: ; @_ZN7rocprim17ROCPRIM_400000_NS6detail17trampoline_kernelINS0_14default_configENS1_33run_length_encode_config_selectorIdjNS0_4plusIjEEEEZZNS1_33reduce_by_key_impl_wrapped_configILNS1_25lookback_scan_determinismE0ES3_S7_PKdNS0_17constant_iteratorIjlEEPdPlSF_S6_NS0_8equal_toIdEEEE10hipError_tPvRmT2_T3_mT4_T5_T6_T7_T8_P12ihipStream_tbENKUlT_T0_E_clISt17integral_constantIbLb0EESY_IbLb1EEEEDaSU_SV_EUlSU_E_NS1_11comp_targetILNS1_3genE10ELNS1_11target_archE1201ELNS1_3gpuE5ELNS1_3repE0EEENS1_30default_config_static_selectorELNS0_4arch9wavefront6targetE1EEEvT1_
; %bb.0:
	.section	.rodata,"a",@progbits
	.p2align	6, 0x0
	.amdhsa_kernel _ZN7rocprim17ROCPRIM_400000_NS6detail17trampoline_kernelINS0_14default_configENS1_33run_length_encode_config_selectorIdjNS0_4plusIjEEEEZZNS1_33reduce_by_key_impl_wrapped_configILNS1_25lookback_scan_determinismE0ES3_S7_PKdNS0_17constant_iteratorIjlEEPdPlSF_S6_NS0_8equal_toIdEEEE10hipError_tPvRmT2_T3_mT4_T5_T6_T7_T8_P12ihipStream_tbENKUlT_T0_E_clISt17integral_constantIbLb0EESY_IbLb1EEEEDaSU_SV_EUlSU_E_NS1_11comp_targetILNS1_3genE10ELNS1_11target_archE1201ELNS1_3gpuE5ELNS1_3repE0EEENS1_30default_config_static_selectorELNS0_4arch9wavefront6targetE1EEEvT1_
		.amdhsa_group_segment_fixed_size 0
		.amdhsa_private_segment_fixed_size 0
		.amdhsa_kernarg_size 128
		.amdhsa_user_sgpr_count 6
		.amdhsa_user_sgpr_private_segment_buffer 1
		.amdhsa_user_sgpr_dispatch_ptr 0
		.amdhsa_user_sgpr_queue_ptr 0
		.amdhsa_user_sgpr_kernarg_segment_ptr 1
		.amdhsa_user_sgpr_dispatch_id 0
		.amdhsa_user_sgpr_flat_scratch_init 0
		.amdhsa_user_sgpr_kernarg_preload_length 0
		.amdhsa_user_sgpr_kernarg_preload_offset 0
		.amdhsa_user_sgpr_private_segment_size 0
		.amdhsa_uses_dynamic_stack 0
		.amdhsa_system_sgpr_private_segment_wavefront_offset 0
		.amdhsa_system_sgpr_workgroup_id_x 1
		.amdhsa_system_sgpr_workgroup_id_y 0
		.amdhsa_system_sgpr_workgroup_id_z 0
		.amdhsa_system_sgpr_workgroup_info 0
		.amdhsa_system_vgpr_workitem_id 0
		.amdhsa_next_free_vgpr 1
		.amdhsa_next_free_sgpr 0
		.amdhsa_accum_offset 4
		.amdhsa_reserve_vcc 0
		.amdhsa_reserve_flat_scratch 0
		.amdhsa_float_round_mode_32 0
		.amdhsa_float_round_mode_16_64 0
		.amdhsa_float_denorm_mode_32 3
		.amdhsa_float_denorm_mode_16_64 3
		.amdhsa_dx10_clamp 1
		.amdhsa_ieee_mode 1
		.amdhsa_fp16_overflow 0
		.amdhsa_tg_split 0
		.amdhsa_exception_fp_ieee_invalid_op 0
		.amdhsa_exception_fp_denorm_src 0
		.amdhsa_exception_fp_ieee_div_zero 0
		.amdhsa_exception_fp_ieee_overflow 0
		.amdhsa_exception_fp_ieee_underflow 0
		.amdhsa_exception_fp_ieee_inexact 0
		.amdhsa_exception_int_div_zero 0
	.end_amdhsa_kernel
	.section	.text._ZN7rocprim17ROCPRIM_400000_NS6detail17trampoline_kernelINS0_14default_configENS1_33run_length_encode_config_selectorIdjNS0_4plusIjEEEEZZNS1_33reduce_by_key_impl_wrapped_configILNS1_25lookback_scan_determinismE0ES3_S7_PKdNS0_17constant_iteratorIjlEEPdPlSF_S6_NS0_8equal_toIdEEEE10hipError_tPvRmT2_T3_mT4_T5_T6_T7_T8_P12ihipStream_tbENKUlT_T0_E_clISt17integral_constantIbLb0EESY_IbLb1EEEEDaSU_SV_EUlSU_E_NS1_11comp_targetILNS1_3genE10ELNS1_11target_archE1201ELNS1_3gpuE5ELNS1_3repE0EEENS1_30default_config_static_selectorELNS0_4arch9wavefront6targetE1EEEvT1_,"axG",@progbits,_ZN7rocprim17ROCPRIM_400000_NS6detail17trampoline_kernelINS0_14default_configENS1_33run_length_encode_config_selectorIdjNS0_4plusIjEEEEZZNS1_33reduce_by_key_impl_wrapped_configILNS1_25lookback_scan_determinismE0ES3_S7_PKdNS0_17constant_iteratorIjlEEPdPlSF_S6_NS0_8equal_toIdEEEE10hipError_tPvRmT2_T3_mT4_T5_T6_T7_T8_P12ihipStream_tbENKUlT_T0_E_clISt17integral_constantIbLb0EESY_IbLb1EEEEDaSU_SV_EUlSU_E_NS1_11comp_targetILNS1_3genE10ELNS1_11target_archE1201ELNS1_3gpuE5ELNS1_3repE0EEENS1_30default_config_static_selectorELNS0_4arch9wavefront6targetE1EEEvT1_,comdat
.Lfunc_end336:
	.size	_ZN7rocprim17ROCPRIM_400000_NS6detail17trampoline_kernelINS0_14default_configENS1_33run_length_encode_config_selectorIdjNS0_4plusIjEEEEZZNS1_33reduce_by_key_impl_wrapped_configILNS1_25lookback_scan_determinismE0ES3_S7_PKdNS0_17constant_iteratorIjlEEPdPlSF_S6_NS0_8equal_toIdEEEE10hipError_tPvRmT2_T3_mT4_T5_T6_T7_T8_P12ihipStream_tbENKUlT_T0_E_clISt17integral_constantIbLb0EESY_IbLb1EEEEDaSU_SV_EUlSU_E_NS1_11comp_targetILNS1_3genE10ELNS1_11target_archE1201ELNS1_3gpuE5ELNS1_3repE0EEENS1_30default_config_static_selectorELNS0_4arch9wavefront6targetE1EEEvT1_, .Lfunc_end336-_ZN7rocprim17ROCPRIM_400000_NS6detail17trampoline_kernelINS0_14default_configENS1_33run_length_encode_config_selectorIdjNS0_4plusIjEEEEZZNS1_33reduce_by_key_impl_wrapped_configILNS1_25lookback_scan_determinismE0ES3_S7_PKdNS0_17constant_iteratorIjlEEPdPlSF_S6_NS0_8equal_toIdEEEE10hipError_tPvRmT2_T3_mT4_T5_T6_T7_T8_P12ihipStream_tbENKUlT_T0_E_clISt17integral_constantIbLb0EESY_IbLb1EEEEDaSU_SV_EUlSU_E_NS1_11comp_targetILNS1_3genE10ELNS1_11target_archE1201ELNS1_3gpuE5ELNS1_3repE0EEENS1_30default_config_static_selectorELNS0_4arch9wavefront6targetE1EEEvT1_
                                        ; -- End function
	.section	.AMDGPU.csdata,"",@progbits
; Kernel info:
; codeLenInByte = 0
; NumSgprs: 4
; NumVgprs: 0
; NumAgprs: 0
; TotalNumVgprs: 0
; ScratchSize: 0
; MemoryBound: 0
; FloatMode: 240
; IeeeMode: 1
; LDSByteSize: 0 bytes/workgroup (compile time only)
; SGPRBlocks: 0
; VGPRBlocks: 0
; NumSGPRsForWavesPerEU: 4
; NumVGPRsForWavesPerEU: 1
; AccumOffset: 4
; Occupancy: 8
; WaveLimiterHint : 0
; COMPUTE_PGM_RSRC2:SCRATCH_EN: 0
; COMPUTE_PGM_RSRC2:USER_SGPR: 6
; COMPUTE_PGM_RSRC2:TRAP_HANDLER: 0
; COMPUTE_PGM_RSRC2:TGID_X_EN: 1
; COMPUTE_PGM_RSRC2:TGID_Y_EN: 0
; COMPUTE_PGM_RSRC2:TGID_Z_EN: 0
; COMPUTE_PGM_RSRC2:TIDIG_COMP_CNT: 0
; COMPUTE_PGM_RSRC3_GFX90A:ACCUM_OFFSET: 0
; COMPUTE_PGM_RSRC3_GFX90A:TG_SPLIT: 0
	.section	.text._ZN7rocprim17ROCPRIM_400000_NS6detail17trampoline_kernelINS0_14default_configENS1_33run_length_encode_config_selectorIdjNS0_4plusIjEEEEZZNS1_33reduce_by_key_impl_wrapped_configILNS1_25lookback_scan_determinismE0ES3_S7_PKdNS0_17constant_iteratorIjlEEPdPlSF_S6_NS0_8equal_toIdEEEE10hipError_tPvRmT2_T3_mT4_T5_T6_T7_T8_P12ihipStream_tbENKUlT_T0_E_clISt17integral_constantIbLb0EESY_IbLb1EEEEDaSU_SV_EUlSU_E_NS1_11comp_targetILNS1_3genE10ELNS1_11target_archE1200ELNS1_3gpuE4ELNS1_3repE0EEENS1_30default_config_static_selectorELNS0_4arch9wavefront6targetE1EEEvT1_,"axG",@progbits,_ZN7rocprim17ROCPRIM_400000_NS6detail17trampoline_kernelINS0_14default_configENS1_33run_length_encode_config_selectorIdjNS0_4plusIjEEEEZZNS1_33reduce_by_key_impl_wrapped_configILNS1_25lookback_scan_determinismE0ES3_S7_PKdNS0_17constant_iteratorIjlEEPdPlSF_S6_NS0_8equal_toIdEEEE10hipError_tPvRmT2_T3_mT4_T5_T6_T7_T8_P12ihipStream_tbENKUlT_T0_E_clISt17integral_constantIbLb0EESY_IbLb1EEEEDaSU_SV_EUlSU_E_NS1_11comp_targetILNS1_3genE10ELNS1_11target_archE1200ELNS1_3gpuE4ELNS1_3repE0EEENS1_30default_config_static_selectorELNS0_4arch9wavefront6targetE1EEEvT1_,comdat
	.protected	_ZN7rocprim17ROCPRIM_400000_NS6detail17trampoline_kernelINS0_14default_configENS1_33run_length_encode_config_selectorIdjNS0_4plusIjEEEEZZNS1_33reduce_by_key_impl_wrapped_configILNS1_25lookback_scan_determinismE0ES3_S7_PKdNS0_17constant_iteratorIjlEEPdPlSF_S6_NS0_8equal_toIdEEEE10hipError_tPvRmT2_T3_mT4_T5_T6_T7_T8_P12ihipStream_tbENKUlT_T0_E_clISt17integral_constantIbLb0EESY_IbLb1EEEEDaSU_SV_EUlSU_E_NS1_11comp_targetILNS1_3genE10ELNS1_11target_archE1200ELNS1_3gpuE4ELNS1_3repE0EEENS1_30default_config_static_selectorELNS0_4arch9wavefront6targetE1EEEvT1_ ; -- Begin function _ZN7rocprim17ROCPRIM_400000_NS6detail17trampoline_kernelINS0_14default_configENS1_33run_length_encode_config_selectorIdjNS0_4plusIjEEEEZZNS1_33reduce_by_key_impl_wrapped_configILNS1_25lookback_scan_determinismE0ES3_S7_PKdNS0_17constant_iteratorIjlEEPdPlSF_S6_NS0_8equal_toIdEEEE10hipError_tPvRmT2_T3_mT4_T5_T6_T7_T8_P12ihipStream_tbENKUlT_T0_E_clISt17integral_constantIbLb0EESY_IbLb1EEEEDaSU_SV_EUlSU_E_NS1_11comp_targetILNS1_3genE10ELNS1_11target_archE1200ELNS1_3gpuE4ELNS1_3repE0EEENS1_30default_config_static_selectorELNS0_4arch9wavefront6targetE1EEEvT1_
	.globl	_ZN7rocprim17ROCPRIM_400000_NS6detail17trampoline_kernelINS0_14default_configENS1_33run_length_encode_config_selectorIdjNS0_4plusIjEEEEZZNS1_33reduce_by_key_impl_wrapped_configILNS1_25lookback_scan_determinismE0ES3_S7_PKdNS0_17constant_iteratorIjlEEPdPlSF_S6_NS0_8equal_toIdEEEE10hipError_tPvRmT2_T3_mT4_T5_T6_T7_T8_P12ihipStream_tbENKUlT_T0_E_clISt17integral_constantIbLb0EESY_IbLb1EEEEDaSU_SV_EUlSU_E_NS1_11comp_targetILNS1_3genE10ELNS1_11target_archE1200ELNS1_3gpuE4ELNS1_3repE0EEENS1_30default_config_static_selectorELNS0_4arch9wavefront6targetE1EEEvT1_
	.p2align	8
	.type	_ZN7rocprim17ROCPRIM_400000_NS6detail17trampoline_kernelINS0_14default_configENS1_33run_length_encode_config_selectorIdjNS0_4plusIjEEEEZZNS1_33reduce_by_key_impl_wrapped_configILNS1_25lookback_scan_determinismE0ES3_S7_PKdNS0_17constant_iteratorIjlEEPdPlSF_S6_NS0_8equal_toIdEEEE10hipError_tPvRmT2_T3_mT4_T5_T6_T7_T8_P12ihipStream_tbENKUlT_T0_E_clISt17integral_constantIbLb0EESY_IbLb1EEEEDaSU_SV_EUlSU_E_NS1_11comp_targetILNS1_3genE10ELNS1_11target_archE1200ELNS1_3gpuE4ELNS1_3repE0EEENS1_30default_config_static_selectorELNS0_4arch9wavefront6targetE1EEEvT1_,@function
_ZN7rocprim17ROCPRIM_400000_NS6detail17trampoline_kernelINS0_14default_configENS1_33run_length_encode_config_selectorIdjNS0_4plusIjEEEEZZNS1_33reduce_by_key_impl_wrapped_configILNS1_25lookback_scan_determinismE0ES3_S7_PKdNS0_17constant_iteratorIjlEEPdPlSF_S6_NS0_8equal_toIdEEEE10hipError_tPvRmT2_T3_mT4_T5_T6_T7_T8_P12ihipStream_tbENKUlT_T0_E_clISt17integral_constantIbLb0EESY_IbLb1EEEEDaSU_SV_EUlSU_E_NS1_11comp_targetILNS1_3genE10ELNS1_11target_archE1200ELNS1_3gpuE4ELNS1_3repE0EEENS1_30default_config_static_selectorELNS0_4arch9wavefront6targetE1EEEvT1_: ; @_ZN7rocprim17ROCPRIM_400000_NS6detail17trampoline_kernelINS0_14default_configENS1_33run_length_encode_config_selectorIdjNS0_4plusIjEEEEZZNS1_33reduce_by_key_impl_wrapped_configILNS1_25lookback_scan_determinismE0ES3_S7_PKdNS0_17constant_iteratorIjlEEPdPlSF_S6_NS0_8equal_toIdEEEE10hipError_tPvRmT2_T3_mT4_T5_T6_T7_T8_P12ihipStream_tbENKUlT_T0_E_clISt17integral_constantIbLb0EESY_IbLb1EEEEDaSU_SV_EUlSU_E_NS1_11comp_targetILNS1_3genE10ELNS1_11target_archE1200ELNS1_3gpuE4ELNS1_3repE0EEENS1_30default_config_static_selectorELNS0_4arch9wavefront6targetE1EEEvT1_
; %bb.0:
	.section	.rodata,"a",@progbits
	.p2align	6, 0x0
	.amdhsa_kernel _ZN7rocprim17ROCPRIM_400000_NS6detail17trampoline_kernelINS0_14default_configENS1_33run_length_encode_config_selectorIdjNS0_4plusIjEEEEZZNS1_33reduce_by_key_impl_wrapped_configILNS1_25lookback_scan_determinismE0ES3_S7_PKdNS0_17constant_iteratorIjlEEPdPlSF_S6_NS0_8equal_toIdEEEE10hipError_tPvRmT2_T3_mT4_T5_T6_T7_T8_P12ihipStream_tbENKUlT_T0_E_clISt17integral_constantIbLb0EESY_IbLb1EEEEDaSU_SV_EUlSU_E_NS1_11comp_targetILNS1_3genE10ELNS1_11target_archE1200ELNS1_3gpuE4ELNS1_3repE0EEENS1_30default_config_static_selectorELNS0_4arch9wavefront6targetE1EEEvT1_
		.amdhsa_group_segment_fixed_size 0
		.amdhsa_private_segment_fixed_size 0
		.amdhsa_kernarg_size 128
		.amdhsa_user_sgpr_count 6
		.amdhsa_user_sgpr_private_segment_buffer 1
		.amdhsa_user_sgpr_dispatch_ptr 0
		.amdhsa_user_sgpr_queue_ptr 0
		.amdhsa_user_sgpr_kernarg_segment_ptr 1
		.amdhsa_user_sgpr_dispatch_id 0
		.amdhsa_user_sgpr_flat_scratch_init 0
		.amdhsa_user_sgpr_kernarg_preload_length 0
		.amdhsa_user_sgpr_kernarg_preload_offset 0
		.amdhsa_user_sgpr_private_segment_size 0
		.amdhsa_uses_dynamic_stack 0
		.amdhsa_system_sgpr_private_segment_wavefront_offset 0
		.amdhsa_system_sgpr_workgroup_id_x 1
		.amdhsa_system_sgpr_workgroup_id_y 0
		.amdhsa_system_sgpr_workgroup_id_z 0
		.amdhsa_system_sgpr_workgroup_info 0
		.amdhsa_system_vgpr_workitem_id 0
		.amdhsa_next_free_vgpr 1
		.amdhsa_next_free_sgpr 0
		.amdhsa_accum_offset 4
		.amdhsa_reserve_vcc 0
		.amdhsa_reserve_flat_scratch 0
		.amdhsa_float_round_mode_32 0
		.amdhsa_float_round_mode_16_64 0
		.amdhsa_float_denorm_mode_32 3
		.amdhsa_float_denorm_mode_16_64 3
		.amdhsa_dx10_clamp 1
		.amdhsa_ieee_mode 1
		.amdhsa_fp16_overflow 0
		.amdhsa_tg_split 0
		.amdhsa_exception_fp_ieee_invalid_op 0
		.amdhsa_exception_fp_denorm_src 0
		.amdhsa_exception_fp_ieee_div_zero 0
		.amdhsa_exception_fp_ieee_overflow 0
		.amdhsa_exception_fp_ieee_underflow 0
		.amdhsa_exception_fp_ieee_inexact 0
		.amdhsa_exception_int_div_zero 0
	.end_amdhsa_kernel
	.section	.text._ZN7rocprim17ROCPRIM_400000_NS6detail17trampoline_kernelINS0_14default_configENS1_33run_length_encode_config_selectorIdjNS0_4plusIjEEEEZZNS1_33reduce_by_key_impl_wrapped_configILNS1_25lookback_scan_determinismE0ES3_S7_PKdNS0_17constant_iteratorIjlEEPdPlSF_S6_NS0_8equal_toIdEEEE10hipError_tPvRmT2_T3_mT4_T5_T6_T7_T8_P12ihipStream_tbENKUlT_T0_E_clISt17integral_constantIbLb0EESY_IbLb1EEEEDaSU_SV_EUlSU_E_NS1_11comp_targetILNS1_3genE10ELNS1_11target_archE1200ELNS1_3gpuE4ELNS1_3repE0EEENS1_30default_config_static_selectorELNS0_4arch9wavefront6targetE1EEEvT1_,"axG",@progbits,_ZN7rocprim17ROCPRIM_400000_NS6detail17trampoline_kernelINS0_14default_configENS1_33run_length_encode_config_selectorIdjNS0_4plusIjEEEEZZNS1_33reduce_by_key_impl_wrapped_configILNS1_25lookback_scan_determinismE0ES3_S7_PKdNS0_17constant_iteratorIjlEEPdPlSF_S6_NS0_8equal_toIdEEEE10hipError_tPvRmT2_T3_mT4_T5_T6_T7_T8_P12ihipStream_tbENKUlT_T0_E_clISt17integral_constantIbLb0EESY_IbLb1EEEEDaSU_SV_EUlSU_E_NS1_11comp_targetILNS1_3genE10ELNS1_11target_archE1200ELNS1_3gpuE4ELNS1_3repE0EEENS1_30default_config_static_selectorELNS0_4arch9wavefront6targetE1EEEvT1_,comdat
.Lfunc_end337:
	.size	_ZN7rocprim17ROCPRIM_400000_NS6detail17trampoline_kernelINS0_14default_configENS1_33run_length_encode_config_selectorIdjNS0_4plusIjEEEEZZNS1_33reduce_by_key_impl_wrapped_configILNS1_25lookback_scan_determinismE0ES3_S7_PKdNS0_17constant_iteratorIjlEEPdPlSF_S6_NS0_8equal_toIdEEEE10hipError_tPvRmT2_T3_mT4_T5_T6_T7_T8_P12ihipStream_tbENKUlT_T0_E_clISt17integral_constantIbLb0EESY_IbLb1EEEEDaSU_SV_EUlSU_E_NS1_11comp_targetILNS1_3genE10ELNS1_11target_archE1200ELNS1_3gpuE4ELNS1_3repE0EEENS1_30default_config_static_selectorELNS0_4arch9wavefront6targetE1EEEvT1_, .Lfunc_end337-_ZN7rocprim17ROCPRIM_400000_NS6detail17trampoline_kernelINS0_14default_configENS1_33run_length_encode_config_selectorIdjNS0_4plusIjEEEEZZNS1_33reduce_by_key_impl_wrapped_configILNS1_25lookback_scan_determinismE0ES3_S7_PKdNS0_17constant_iteratorIjlEEPdPlSF_S6_NS0_8equal_toIdEEEE10hipError_tPvRmT2_T3_mT4_T5_T6_T7_T8_P12ihipStream_tbENKUlT_T0_E_clISt17integral_constantIbLb0EESY_IbLb1EEEEDaSU_SV_EUlSU_E_NS1_11comp_targetILNS1_3genE10ELNS1_11target_archE1200ELNS1_3gpuE4ELNS1_3repE0EEENS1_30default_config_static_selectorELNS0_4arch9wavefront6targetE1EEEvT1_
                                        ; -- End function
	.section	.AMDGPU.csdata,"",@progbits
; Kernel info:
; codeLenInByte = 0
; NumSgprs: 4
; NumVgprs: 0
; NumAgprs: 0
; TotalNumVgprs: 0
; ScratchSize: 0
; MemoryBound: 0
; FloatMode: 240
; IeeeMode: 1
; LDSByteSize: 0 bytes/workgroup (compile time only)
; SGPRBlocks: 0
; VGPRBlocks: 0
; NumSGPRsForWavesPerEU: 4
; NumVGPRsForWavesPerEU: 1
; AccumOffset: 4
; Occupancy: 8
; WaveLimiterHint : 0
; COMPUTE_PGM_RSRC2:SCRATCH_EN: 0
; COMPUTE_PGM_RSRC2:USER_SGPR: 6
; COMPUTE_PGM_RSRC2:TRAP_HANDLER: 0
; COMPUTE_PGM_RSRC2:TGID_X_EN: 1
; COMPUTE_PGM_RSRC2:TGID_Y_EN: 0
; COMPUTE_PGM_RSRC2:TGID_Z_EN: 0
; COMPUTE_PGM_RSRC2:TIDIG_COMP_CNT: 0
; COMPUTE_PGM_RSRC3_GFX90A:ACCUM_OFFSET: 0
; COMPUTE_PGM_RSRC3_GFX90A:TG_SPLIT: 0
	.section	.text._ZN7rocprim17ROCPRIM_400000_NS6detail17trampoline_kernelINS0_14default_configENS1_33run_length_encode_config_selectorIdjNS0_4plusIjEEEEZZNS1_33reduce_by_key_impl_wrapped_configILNS1_25lookback_scan_determinismE0ES3_S7_PKdNS0_17constant_iteratorIjlEEPdPlSF_S6_NS0_8equal_toIdEEEE10hipError_tPvRmT2_T3_mT4_T5_T6_T7_T8_P12ihipStream_tbENKUlT_T0_E_clISt17integral_constantIbLb0EESY_IbLb1EEEEDaSU_SV_EUlSU_E_NS1_11comp_targetILNS1_3genE9ELNS1_11target_archE1100ELNS1_3gpuE3ELNS1_3repE0EEENS1_30default_config_static_selectorELNS0_4arch9wavefront6targetE1EEEvT1_,"axG",@progbits,_ZN7rocprim17ROCPRIM_400000_NS6detail17trampoline_kernelINS0_14default_configENS1_33run_length_encode_config_selectorIdjNS0_4plusIjEEEEZZNS1_33reduce_by_key_impl_wrapped_configILNS1_25lookback_scan_determinismE0ES3_S7_PKdNS0_17constant_iteratorIjlEEPdPlSF_S6_NS0_8equal_toIdEEEE10hipError_tPvRmT2_T3_mT4_T5_T6_T7_T8_P12ihipStream_tbENKUlT_T0_E_clISt17integral_constantIbLb0EESY_IbLb1EEEEDaSU_SV_EUlSU_E_NS1_11comp_targetILNS1_3genE9ELNS1_11target_archE1100ELNS1_3gpuE3ELNS1_3repE0EEENS1_30default_config_static_selectorELNS0_4arch9wavefront6targetE1EEEvT1_,comdat
	.protected	_ZN7rocprim17ROCPRIM_400000_NS6detail17trampoline_kernelINS0_14default_configENS1_33run_length_encode_config_selectorIdjNS0_4plusIjEEEEZZNS1_33reduce_by_key_impl_wrapped_configILNS1_25lookback_scan_determinismE0ES3_S7_PKdNS0_17constant_iteratorIjlEEPdPlSF_S6_NS0_8equal_toIdEEEE10hipError_tPvRmT2_T3_mT4_T5_T6_T7_T8_P12ihipStream_tbENKUlT_T0_E_clISt17integral_constantIbLb0EESY_IbLb1EEEEDaSU_SV_EUlSU_E_NS1_11comp_targetILNS1_3genE9ELNS1_11target_archE1100ELNS1_3gpuE3ELNS1_3repE0EEENS1_30default_config_static_selectorELNS0_4arch9wavefront6targetE1EEEvT1_ ; -- Begin function _ZN7rocprim17ROCPRIM_400000_NS6detail17trampoline_kernelINS0_14default_configENS1_33run_length_encode_config_selectorIdjNS0_4plusIjEEEEZZNS1_33reduce_by_key_impl_wrapped_configILNS1_25lookback_scan_determinismE0ES3_S7_PKdNS0_17constant_iteratorIjlEEPdPlSF_S6_NS0_8equal_toIdEEEE10hipError_tPvRmT2_T3_mT4_T5_T6_T7_T8_P12ihipStream_tbENKUlT_T0_E_clISt17integral_constantIbLb0EESY_IbLb1EEEEDaSU_SV_EUlSU_E_NS1_11comp_targetILNS1_3genE9ELNS1_11target_archE1100ELNS1_3gpuE3ELNS1_3repE0EEENS1_30default_config_static_selectorELNS0_4arch9wavefront6targetE1EEEvT1_
	.globl	_ZN7rocprim17ROCPRIM_400000_NS6detail17trampoline_kernelINS0_14default_configENS1_33run_length_encode_config_selectorIdjNS0_4plusIjEEEEZZNS1_33reduce_by_key_impl_wrapped_configILNS1_25lookback_scan_determinismE0ES3_S7_PKdNS0_17constant_iteratorIjlEEPdPlSF_S6_NS0_8equal_toIdEEEE10hipError_tPvRmT2_T3_mT4_T5_T6_T7_T8_P12ihipStream_tbENKUlT_T0_E_clISt17integral_constantIbLb0EESY_IbLb1EEEEDaSU_SV_EUlSU_E_NS1_11comp_targetILNS1_3genE9ELNS1_11target_archE1100ELNS1_3gpuE3ELNS1_3repE0EEENS1_30default_config_static_selectorELNS0_4arch9wavefront6targetE1EEEvT1_
	.p2align	8
	.type	_ZN7rocprim17ROCPRIM_400000_NS6detail17trampoline_kernelINS0_14default_configENS1_33run_length_encode_config_selectorIdjNS0_4plusIjEEEEZZNS1_33reduce_by_key_impl_wrapped_configILNS1_25lookback_scan_determinismE0ES3_S7_PKdNS0_17constant_iteratorIjlEEPdPlSF_S6_NS0_8equal_toIdEEEE10hipError_tPvRmT2_T3_mT4_T5_T6_T7_T8_P12ihipStream_tbENKUlT_T0_E_clISt17integral_constantIbLb0EESY_IbLb1EEEEDaSU_SV_EUlSU_E_NS1_11comp_targetILNS1_3genE9ELNS1_11target_archE1100ELNS1_3gpuE3ELNS1_3repE0EEENS1_30default_config_static_selectorELNS0_4arch9wavefront6targetE1EEEvT1_,@function
_ZN7rocprim17ROCPRIM_400000_NS6detail17trampoline_kernelINS0_14default_configENS1_33run_length_encode_config_selectorIdjNS0_4plusIjEEEEZZNS1_33reduce_by_key_impl_wrapped_configILNS1_25lookback_scan_determinismE0ES3_S7_PKdNS0_17constant_iteratorIjlEEPdPlSF_S6_NS0_8equal_toIdEEEE10hipError_tPvRmT2_T3_mT4_T5_T6_T7_T8_P12ihipStream_tbENKUlT_T0_E_clISt17integral_constantIbLb0EESY_IbLb1EEEEDaSU_SV_EUlSU_E_NS1_11comp_targetILNS1_3genE9ELNS1_11target_archE1100ELNS1_3gpuE3ELNS1_3repE0EEENS1_30default_config_static_selectorELNS0_4arch9wavefront6targetE1EEEvT1_: ; @_ZN7rocprim17ROCPRIM_400000_NS6detail17trampoline_kernelINS0_14default_configENS1_33run_length_encode_config_selectorIdjNS0_4plusIjEEEEZZNS1_33reduce_by_key_impl_wrapped_configILNS1_25lookback_scan_determinismE0ES3_S7_PKdNS0_17constant_iteratorIjlEEPdPlSF_S6_NS0_8equal_toIdEEEE10hipError_tPvRmT2_T3_mT4_T5_T6_T7_T8_P12ihipStream_tbENKUlT_T0_E_clISt17integral_constantIbLb0EESY_IbLb1EEEEDaSU_SV_EUlSU_E_NS1_11comp_targetILNS1_3genE9ELNS1_11target_archE1100ELNS1_3gpuE3ELNS1_3repE0EEENS1_30default_config_static_selectorELNS0_4arch9wavefront6targetE1EEEvT1_
; %bb.0:
	.section	.rodata,"a",@progbits
	.p2align	6, 0x0
	.amdhsa_kernel _ZN7rocprim17ROCPRIM_400000_NS6detail17trampoline_kernelINS0_14default_configENS1_33run_length_encode_config_selectorIdjNS0_4plusIjEEEEZZNS1_33reduce_by_key_impl_wrapped_configILNS1_25lookback_scan_determinismE0ES3_S7_PKdNS0_17constant_iteratorIjlEEPdPlSF_S6_NS0_8equal_toIdEEEE10hipError_tPvRmT2_T3_mT4_T5_T6_T7_T8_P12ihipStream_tbENKUlT_T0_E_clISt17integral_constantIbLb0EESY_IbLb1EEEEDaSU_SV_EUlSU_E_NS1_11comp_targetILNS1_3genE9ELNS1_11target_archE1100ELNS1_3gpuE3ELNS1_3repE0EEENS1_30default_config_static_selectorELNS0_4arch9wavefront6targetE1EEEvT1_
		.amdhsa_group_segment_fixed_size 0
		.amdhsa_private_segment_fixed_size 0
		.amdhsa_kernarg_size 128
		.amdhsa_user_sgpr_count 6
		.amdhsa_user_sgpr_private_segment_buffer 1
		.amdhsa_user_sgpr_dispatch_ptr 0
		.amdhsa_user_sgpr_queue_ptr 0
		.amdhsa_user_sgpr_kernarg_segment_ptr 1
		.amdhsa_user_sgpr_dispatch_id 0
		.amdhsa_user_sgpr_flat_scratch_init 0
		.amdhsa_user_sgpr_kernarg_preload_length 0
		.amdhsa_user_sgpr_kernarg_preload_offset 0
		.amdhsa_user_sgpr_private_segment_size 0
		.amdhsa_uses_dynamic_stack 0
		.amdhsa_system_sgpr_private_segment_wavefront_offset 0
		.amdhsa_system_sgpr_workgroup_id_x 1
		.amdhsa_system_sgpr_workgroup_id_y 0
		.amdhsa_system_sgpr_workgroup_id_z 0
		.amdhsa_system_sgpr_workgroup_info 0
		.amdhsa_system_vgpr_workitem_id 0
		.amdhsa_next_free_vgpr 1
		.amdhsa_next_free_sgpr 0
		.amdhsa_accum_offset 4
		.amdhsa_reserve_vcc 0
		.amdhsa_reserve_flat_scratch 0
		.amdhsa_float_round_mode_32 0
		.amdhsa_float_round_mode_16_64 0
		.amdhsa_float_denorm_mode_32 3
		.amdhsa_float_denorm_mode_16_64 3
		.amdhsa_dx10_clamp 1
		.amdhsa_ieee_mode 1
		.amdhsa_fp16_overflow 0
		.amdhsa_tg_split 0
		.amdhsa_exception_fp_ieee_invalid_op 0
		.amdhsa_exception_fp_denorm_src 0
		.amdhsa_exception_fp_ieee_div_zero 0
		.amdhsa_exception_fp_ieee_overflow 0
		.amdhsa_exception_fp_ieee_underflow 0
		.amdhsa_exception_fp_ieee_inexact 0
		.amdhsa_exception_int_div_zero 0
	.end_amdhsa_kernel
	.section	.text._ZN7rocprim17ROCPRIM_400000_NS6detail17trampoline_kernelINS0_14default_configENS1_33run_length_encode_config_selectorIdjNS0_4plusIjEEEEZZNS1_33reduce_by_key_impl_wrapped_configILNS1_25lookback_scan_determinismE0ES3_S7_PKdNS0_17constant_iteratorIjlEEPdPlSF_S6_NS0_8equal_toIdEEEE10hipError_tPvRmT2_T3_mT4_T5_T6_T7_T8_P12ihipStream_tbENKUlT_T0_E_clISt17integral_constantIbLb0EESY_IbLb1EEEEDaSU_SV_EUlSU_E_NS1_11comp_targetILNS1_3genE9ELNS1_11target_archE1100ELNS1_3gpuE3ELNS1_3repE0EEENS1_30default_config_static_selectorELNS0_4arch9wavefront6targetE1EEEvT1_,"axG",@progbits,_ZN7rocprim17ROCPRIM_400000_NS6detail17trampoline_kernelINS0_14default_configENS1_33run_length_encode_config_selectorIdjNS0_4plusIjEEEEZZNS1_33reduce_by_key_impl_wrapped_configILNS1_25lookback_scan_determinismE0ES3_S7_PKdNS0_17constant_iteratorIjlEEPdPlSF_S6_NS0_8equal_toIdEEEE10hipError_tPvRmT2_T3_mT4_T5_T6_T7_T8_P12ihipStream_tbENKUlT_T0_E_clISt17integral_constantIbLb0EESY_IbLb1EEEEDaSU_SV_EUlSU_E_NS1_11comp_targetILNS1_3genE9ELNS1_11target_archE1100ELNS1_3gpuE3ELNS1_3repE0EEENS1_30default_config_static_selectorELNS0_4arch9wavefront6targetE1EEEvT1_,comdat
.Lfunc_end338:
	.size	_ZN7rocprim17ROCPRIM_400000_NS6detail17trampoline_kernelINS0_14default_configENS1_33run_length_encode_config_selectorIdjNS0_4plusIjEEEEZZNS1_33reduce_by_key_impl_wrapped_configILNS1_25lookback_scan_determinismE0ES3_S7_PKdNS0_17constant_iteratorIjlEEPdPlSF_S6_NS0_8equal_toIdEEEE10hipError_tPvRmT2_T3_mT4_T5_T6_T7_T8_P12ihipStream_tbENKUlT_T0_E_clISt17integral_constantIbLb0EESY_IbLb1EEEEDaSU_SV_EUlSU_E_NS1_11comp_targetILNS1_3genE9ELNS1_11target_archE1100ELNS1_3gpuE3ELNS1_3repE0EEENS1_30default_config_static_selectorELNS0_4arch9wavefront6targetE1EEEvT1_, .Lfunc_end338-_ZN7rocprim17ROCPRIM_400000_NS6detail17trampoline_kernelINS0_14default_configENS1_33run_length_encode_config_selectorIdjNS0_4plusIjEEEEZZNS1_33reduce_by_key_impl_wrapped_configILNS1_25lookback_scan_determinismE0ES3_S7_PKdNS0_17constant_iteratorIjlEEPdPlSF_S6_NS0_8equal_toIdEEEE10hipError_tPvRmT2_T3_mT4_T5_T6_T7_T8_P12ihipStream_tbENKUlT_T0_E_clISt17integral_constantIbLb0EESY_IbLb1EEEEDaSU_SV_EUlSU_E_NS1_11comp_targetILNS1_3genE9ELNS1_11target_archE1100ELNS1_3gpuE3ELNS1_3repE0EEENS1_30default_config_static_selectorELNS0_4arch9wavefront6targetE1EEEvT1_
                                        ; -- End function
	.section	.AMDGPU.csdata,"",@progbits
; Kernel info:
; codeLenInByte = 0
; NumSgprs: 4
; NumVgprs: 0
; NumAgprs: 0
; TotalNumVgprs: 0
; ScratchSize: 0
; MemoryBound: 0
; FloatMode: 240
; IeeeMode: 1
; LDSByteSize: 0 bytes/workgroup (compile time only)
; SGPRBlocks: 0
; VGPRBlocks: 0
; NumSGPRsForWavesPerEU: 4
; NumVGPRsForWavesPerEU: 1
; AccumOffset: 4
; Occupancy: 8
; WaveLimiterHint : 0
; COMPUTE_PGM_RSRC2:SCRATCH_EN: 0
; COMPUTE_PGM_RSRC2:USER_SGPR: 6
; COMPUTE_PGM_RSRC2:TRAP_HANDLER: 0
; COMPUTE_PGM_RSRC2:TGID_X_EN: 1
; COMPUTE_PGM_RSRC2:TGID_Y_EN: 0
; COMPUTE_PGM_RSRC2:TGID_Z_EN: 0
; COMPUTE_PGM_RSRC2:TIDIG_COMP_CNT: 0
; COMPUTE_PGM_RSRC3_GFX90A:ACCUM_OFFSET: 0
; COMPUTE_PGM_RSRC3_GFX90A:TG_SPLIT: 0
	.section	.text._ZN7rocprim17ROCPRIM_400000_NS6detail17trampoline_kernelINS0_14default_configENS1_33run_length_encode_config_selectorIdjNS0_4plusIjEEEEZZNS1_33reduce_by_key_impl_wrapped_configILNS1_25lookback_scan_determinismE0ES3_S7_PKdNS0_17constant_iteratorIjlEEPdPlSF_S6_NS0_8equal_toIdEEEE10hipError_tPvRmT2_T3_mT4_T5_T6_T7_T8_P12ihipStream_tbENKUlT_T0_E_clISt17integral_constantIbLb0EESY_IbLb1EEEEDaSU_SV_EUlSU_E_NS1_11comp_targetILNS1_3genE8ELNS1_11target_archE1030ELNS1_3gpuE2ELNS1_3repE0EEENS1_30default_config_static_selectorELNS0_4arch9wavefront6targetE1EEEvT1_,"axG",@progbits,_ZN7rocprim17ROCPRIM_400000_NS6detail17trampoline_kernelINS0_14default_configENS1_33run_length_encode_config_selectorIdjNS0_4plusIjEEEEZZNS1_33reduce_by_key_impl_wrapped_configILNS1_25lookback_scan_determinismE0ES3_S7_PKdNS0_17constant_iteratorIjlEEPdPlSF_S6_NS0_8equal_toIdEEEE10hipError_tPvRmT2_T3_mT4_T5_T6_T7_T8_P12ihipStream_tbENKUlT_T0_E_clISt17integral_constantIbLb0EESY_IbLb1EEEEDaSU_SV_EUlSU_E_NS1_11comp_targetILNS1_3genE8ELNS1_11target_archE1030ELNS1_3gpuE2ELNS1_3repE0EEENS1_30default_config_static_selectorELNS0_4arch9wavefront6targetE1EEEvT1_,comdat
	.protected	_ZN7rocprim17ROCPRIM_400000_NS6detail17trampoline_kernelINS0_14default_configENS1_33run_length_encode_config_selectorIdjNS0_4plusIjEEEEZZNS1_33reduce_by_key_impl_wrapped_configILNS1_25lookback_scan_determinismE0ES3_S7_PKdNS0_17constant_iteratorIjlEEPdPlSF_S6_NS0_8equal_toIdEEEE10hipError_tPvRmT2_T3_mT4_T5_T6_T7_T8_P12ihipStream_tbENKUlT_T0_E_clISt17integral_constantIbLb0EESY_IbLb1EEEEDaSU_SV_EUlSU_E_NS1_11comp_targetILNS1_3genE8ELNS1_11target_archE1030ELNS1_3gpuE2ELNS1_3repE0EEENS1_30default_config_static_selectorELNS0_4arch9wavefront6targetE1EEEvT1_ ; -- Begin function _ZN7rocprim17ROCPRIM_400000_NS6detail17trampoline_kernelINS0_14default_configENS1_33run_length_encode_config_selectorIdjNS0_4plusIjEEEEZZNS1_33reduce_by_key_impl_wrapped_configILNS1_25lookback_scan_determinismE0ES3_S7_PKdNS0_17constant_iteratorIjlEEPdPlSF_S6_NS0_8equal_toIdEEEE10hipError_tPvRmT2_T3_mT4_T5_T6_T7_T8_P12ihipStream_tbENKUlT_T0_E_clISt17integral_constantIbLb0EESY_IbLb1EEEEDaSU_SV_EUlSU_E_NS1_11comp_targetILNS1_3genE8ELNS1_11target_archE1030ELNS1_3gpuE2ELNS1_3repE0EEENS1_30default_config_static_selectorELNS0_4arch9wavefront6targetE1EEEvT1_
	.globl	_ZN7rocprim17ROCPRIM_400000_NS6detail17trampoline_kernelINS0_14default_configENS1_33run_length_encode_config_selectorIdjNS0_4plusIjEEEEZZNS1_33reduce_by_key_impl_wrapped_configILNS1_25lookback_scan_determinismE0ES3_S7_PKdNS0_17constant_iteratorIjlEEPdPlSF_S6_NS0_8equal_toIdEEEE10hipError_tPvRmT2_T3_mT4_T5_T6_T7_T8_P12ihipStream_tbENKUlT_T0_E_clISt17integral_constantIbLb0EESY_IbLb1EEEEDaSU_SV_EUlSU_E_NS1_11comp_targetILNS1_3genE8ELNS1_11target_archE1030ELNS1_3gpuE2ELNS1_3repE0EEENS1_30default_config_static_selectorELNS0_4arch9wavefront6targetE1EEEvT1_
	.p2align	8
	.type	_ZN7rocprim17ROCPRIM_400000_NS6detail17trampoline_kernelINS0_14default_configENS1_33run_length_encode_config_selectorIdjNS0_4plusIjEEEEZZNS1_33reduce_by_key_impl_wrapped_configILNS1_25lookback_scan_determinismE0ES3_S7_PKdNS0_17constant_iteratorIjlEEPdPlSF_S6_NS0_8equal_toIdEEEE10hipError_tPvRmT2_T3_mT4_T5_T6_T7_T8_P12ihipStream_tbENKUlT_T0_E_clISt17integral_constantIbLb0EESY_IbLb1EEEEDaSU_SV_EUlSU_E_NS1_11comp_targetILNS1_3genE8ELNS1_11target_archE1030ELNS1_3gpuE2ELNS1_3repE0EEENS1_30default_config_static_selectorELNS0_4arch9wavefront6targetE1EEEvT1_,@function
_ZN7rocprim17ROCPRIM_400000_NS6detail17trampoline_kernelINS0_14default_configENS1_33run_length_encode_config_selectorIdjNS0_4plusIjEEEEZZNS1_33reduce_by_key_impl_wrapped_configILNS1_25lookback_scan_determinismE0ES3_S7_PKdNS0_17constant_iteratorIjlEEPdPlSF_S6_NS0_8equal_toIdEEEE10hipError_tPvRmT2_T3_mT4_T5_T6_T7_T8_P12ihipStream_tbENKUlT_T0_E_clISt17integral_constantIbLb0EESY_IbLb1EEEEDaSU_SV_EUlSU_E_NS1_11comp_targetILNS1_3genE8ELNS1_11target_archE1030ELNS1_3gpuE2ELNS1_3repE0EEENS1_30default_config_static_selectorELNS0_4arch9wavefront6targetE1EEEvT1_: ; @_ZN7rocprim17ROCPRIM_400000_NS6detail17trampoline_kernelINS0_14default_configENS1_33run_length_encode_config_selectorIdjNS0_4plusIjEEEEZZNS1_33reduce_by_key_impl_wrapped_configILNS1_25lookback_scan_determinismE0ES3_S7_PKdNS0_17constant_iteratorIjlEEPdPlSF_S6_NS0_8equal_toIdEEEE10hipError_tPvRmT2_T3_mT4_T5_T6_T7_T8_P12ihipStream_tbENKUlT_T0_E_clISt17integral_constantIbLb0EESY_IbLb1EEEEDaSU_SV_EUlSU_E_NS1_11comp_targetILNS1_3genE8ELNS1_11target_archE1030ELNS1_3gpuE2ELNS1_3repE0EEENS1_30default_config_static_selectorELNS0_4arch9wavefront6targetE1EEEvT1_
; %bb.0:
	.section	.rodata,"a",@progbits
	.p2align	6, 0x0
	.amdhsa_kernel _ZN7rocprim17ROCPRIM_400000_NS6detail17trampoline_kernelINS0_14default_configENS1_33run_length_encode_config_selectorIdjNS0_4plusIjEEEEZZNS1_33reduce_by_key_impl_wrapped_configILNS1_25lookback_scan_determinismE0ES3_S7_PKdNS0_17constant_iteratorIjlEEPdPlSF_S6_NS0_8equal_toIdEEEE10hipError_tPvRmT2_T3_mT4_T5_T6_T7_T8_P12ihipStream_tbENKUlT_T0_E_clISt17integral_constantIbLb0EESY_IbLb1EEEEDaSU_SV_EUlSU_E_NS1_11comp_targetILNS1_3genE8ELNS1_11target_archE1030ELNS1_3gpuE2ELNS1_3repE0EEENS1_30default_config_static_selectorELNS0_4arch9wavefront6targetE1EEEvT1_
		.amdhsa_group_segment_fixed_size 0
		.amdhsa_private_segment_fixed_size 0
		.amdhsa_kernarg_size 128
		.amdhsa_user_sgpr_count 6
		.amdhsa_user_sgpr_private_segment_buffer 1
		.amdhsa_user_sgpr_dispatch_ptr 0
		.amdhsa_user_sgpr_queue_ptr 0
		.amdhsa_user_sgpr_kernarg_segment_ptr 1
		.amdhsa_user_sgpr_dispatch_id 0
		.amdhsa_user_sgpr_flat_scratch_init 0
		.amdhsa_user_sgpr_kernarg_preload_length 0
		.amdhsa_user_sgpr_kernarg_preload_offset 0
		.amdhsa_user_sgpr_private_segment_size 0
		.amdhsa_uses_dynamic_stack 0
		.amdhsa_system_sgpr_private_segment_wavefront_offset 0
		.amdhsa_system_sgpr_workgroup_id_x 1
		.amdhsa_system_sgpr_workgroup_id_y 0
		.amdhsa_system_sgpr_workgroup_id_z 0
		.amdhsa_system_sgpr_workgroup_info 0
		.amdhsa_system_vgpr_workitem_id 0
		.amdhsa_next_free_vgpr 1
		.amdhsa_next_free_sgpr 0
		.amdhsa_accum_offset 4
		.amdhsa_reserve_vcc 0
		.amdhsa_reserve_flat_scratch 0
		.amdhsa_float_round_mode_32 0
		.amdhsa_float_round_mode_16_64 0
		.amdhsa_float_denorm_mode_32 3
		.amdhsa_float_denorm_mode_16_64 3
		.amdhsa_dx10_clamp 1
		.amdhsa_ieee_mode 1
		.amdhsa_fp16_overflow 0
		.amdhsa_tg_split 0
		.amdhsa_exception_fp_ieee_invalid_op 0
		.amdhsa_exception_fp_denorm_src 0
		.amdhsa_exception_fp_ieee_div_zero 0
		.amdhsa_exception_fp_ieee_overflow 0
		.amdhsa_exception_fp_ieee_underflow 0
		.amdhsa_exception_fp_ieee_inexact 0
		.amdhsa_exception_int_div_zero 0
	.end_amdhsa_kernel
	.section	.text._ZN7rocprim17ROCPRIM_400000_NS6detail17trampoline_kernelINS0_14default_configENS1_33run_length_encode_config_selectorIdjNS0_4plusIjEEEEZZNS1_33reduce_by_key_impl_wrapped_configILNS1_25lookback_scan_determinismE0ES3_S7_PKdNS0_17constant_iteratorIjlEEPdPlSF_S6_NS0_8equal_toIdEEEE10hipError_tPvRmT2_T3_mT4_T5_T6_T7_T8_P12ihipStream_tbENKUlT_T0_E_clISt17integral_constantIbLb0EESY_IbLb1EEEEDaSU_SV_EUlSU_E_NS1_11comp_targetILNS1_3genE8ELNS1_11target_archE1030ELNS1_3gpuE2ELNS1_3repE0EEENS1_30default_config_static_selectorELNS0_4arch9wavefront6targetE1EEEvT1_,"axG",@progbits,_ZN7rocprim17ROCPRIM_400000_NS6detail17trampoline_kernelINS0_14default_configENS1_33run_length_encode_config_selectorIdjNS0_4plusIjEEEEZZNS1_33reduce_by_key_impl_wrapped_configILNS1_25lookback_scan_determinismE0ES3_S7_PKdNS0_17constant_iteratorIjlEEPdPlSF_S6_NS0_8equal_toIdEEEE10hipError_tPvRmT2_T3_mT4_T5_T6_T7_T8_P12ihipStream_tbENKUlT_T0_E_clISt17integral_constantIbLb0EESY_IbLb1EEEEDaSU_SV_EUlSU_E_NS1_11comp_targetILNS1_3genE8ELNS1_11target_archE1030ELNS1_3gpuE2ELNS1_3repE0EEENS1_30default_config_static_selectorELNS0_4arch9wavefront6targetE1EEEvT1_,comdat
.Lfunc_end339:
	.size	_ZN7rocprim17ROCPRIM_400000_NS6detail17trampoline_kernelINS0_14default_configENS1_33run_length_encode_config_selectorIdjNS0_4plusIjEEEEZZNS1_33reduce_by_key_impl_wrapped_configILNS1_25lookback_scan_determinismE0ES3_S7_PKdNS0_17constant_iteratorIjlEEPdPlSF_S6_NS0_8equal_toIdEEEE10hipError_tPvRmT2_T3_mT4_T5_T6_T7_T8_P12ihipStream_tbENKUlT_T0_E_clISt17integral_constantIbLb0EESY_IbLb1EEEEDaSU_SV_EUlSU_E_NS1_11comp_targetILNS1_3genE8ELNS1_11target_archE1030ELNS1_3gpuE2ELNS1_3repE0EEENS1_30default_config_static_selectorELNS0_4arch9wavefront6targetE1EEEvT1_, .Lfunc_end339-_ZN7rocprim17ROCPRIM_400000_NS6detail17trampoline_kernelINS0_14default_configENS1_33run_length_encode_config_selectorIdjNS0_4plusIjEEEEZZNS1_33reduce_by_key_impl_wrapped_configILNS1_25lookback_scan_determinismE0ES3_S7_PKdNS0_17constant_iteratorIjlEEPdPlSF_S6_NS0_8equal_toIdEEEE10hipError_tPvRmT2_T3_mT4_T5_T6_T7_T8_P12ihipStream_tbENKUlT_T0_E_clISt17integral_constantIbLb0EESY_IbLb1EEEEDaSU_SV_EUlSU_E_NS1_11comp_targetILNS1_3genE8ELNS1_11target_archE1030ELNS1_3gpuE2ELNS1_3repE0EEENS1_30default_config_static_selectorELNS0_4arch9wavefront6targetE1EEEvT1_
                                        ; -- End function
	.section	.AMDGPU.csdata,"",@progbits
; Kernel info:
; codeLenInByte = 0
; NumSgprs: 4
; NumVgprs: 0
; NumAgprs: 0
; TotalNumVgprs: 0
; ScratchSize: 0
; MemoryBound: 0
; FloatMode: 240
; IeeeMode: 1
; LDSByteSize: 0 bytes/workgroup (compile time only)
; SGPRBlocks: 0
; VGPRBlocks: 0
; NumSGPRsForWavesPerEU: 4
; NumVGPRsForWavesPerEU: 1
; AccumOffset: 4
; Occupancy: 8
; WaveLimiterHint : 0
; COMPUTE_PGM_RSRC2:SCRATCH_EN: 0
; COMPUTE_PGM_RSRC2:USER_SGPR: 6
; COMPUTE_PGM_RSRC2:TRAP_HANDLER: 0
; COMPUTE_PGM_RSRC2:TGID_X_EN: 1
; COMPUTE_PGM_RSRC2:TGID_Y_EN: 0
; COMPUTE_PGM_RSRC2:TGID_Z_EN: 0
; COMPUTE_PGM_RSRC2:TIDIG_COMP_CNT: 0
; COMPUTE_PGM_RSRC3_GFX90A:ACCUM_OFFSET: 0
; COMPUTE_PGM_RSRC3_GFX90A:TG_SPLIT: 0
	.section	.text._ZN2at6native8internal12_GLOBAL__N_126adjacent_difference_kernelIPKfEEvlT_Pi,"axG",@progbits,_ZN2at6native8internal12_GLOBAL__N_126adjacent_difference_kernelIPKfEEvlT_Pi,comdat
	.globl	_ZN2at6native8internal12_GLOBAL__N_126adjacent_difference_kernelIPKfEEvlT_Pi ; -- Begin function _ZN2at6native8internal12_GLOBAL__N_126adjacent_difference_kernelIPKfEEvlT_Pi
	.p2align	8
	.type	_ZN2at6native8internal12_GLOBAL__N_126adjacent_difference_kernelIPKfEEvlT_Pi,@function
_ZN2at6native8internal12_GLOBAL__N_126adjacent_difference_kernelIPKfEEvlT_Pi: ; @_ZN2at6native8internal12_GLOBAL__N_126adjacent_difference_kernelIPKfEEvlT_Pi
; %bb.0:
	s_load_dword s7, s[4:5], 0x24
	s_load_dwordx4 s[0:3], s[4:5], 0x0
	s_add_u32 s10, s4, 24
	s_addc_u32 s11, s5, 0
	v_mov_b32_e32 v1, 0
	s_waitcnt lgkmcnt(0)
	s_and_b32 s7, s7, 0xffff
	v_mov_b32_e32 v2, s6
	v_mad_u64_u32 v[4:5], s[8:9], s7, v2, v[0:1]
	v_cmp_gt_i64_e32 vcc, s[0:1], v[4:5]
	s_and_saveexec_b64 s[8:9], vcc
	s_cbranch_execz .LBB340_5
; %bb.1:
	s_load_dword s12, s[10:11], 0x0
	s_load_dwordx2 s[8:9], s[4:5], 0x10
	s_mul_hi_u32 s13, s7, s6
	s_mul_i32 s10, s7, s6
	s_mov_b32 s6, 0
	s_waitcnt lgkmcnt(0)
	s_mul_i32 s11, s12, s7
	v_mov_b32_e32 v2, v1
	v_mov_b32_e32 v3, v4
	s_mov_b64 s[4:5], 0
	v_mov_b32_e32 v6, s9
	v_mov_b32_e32 v7, s6
	;; [unrolled: 1-line block ×4, first 2 shown]
	v_pk_mov_b32 v[4:5], v[0:1], v[0:1] op_sel:[0,1]
	s_branch .LBB340_3
.LBB340_2:                              ;   in Loop: Header=BB340_3 Depth=1
	s_or_b64 exec, exec, s[6:7]
	v_ashrrev_i64 v[10:11], 30, v[2:3]
	v_add_co_u32_e32 v10, vcc, s8, v10
	v_addc_co_u32_e32 v11, vcc, v6, v11, vcc
	v_add_co_u32_e32 v4, vcc, s11, v4
	v_addc_co_u32_e32 v5, vcc, v5, v7, vcc
	global_store_dword v[10:11], v0, off
	v_add_co_u32_e32 v10, vcc, s10, v4
	v_addc_co_u32_e32 v11, vcc, v8, v5, vcc
	v_cmp_le_i64_e32 vcc, s[0:1], v[10:11]
	s_or_b64 s[4:5], vcc, s[4:5]
	v_add_co_u32_e32 v2, vcc, 0, v2
	v_addc_co_u32_e32 v3, vcc, v3, v9, vcc
	s_andn2_b64 exec, exec, s[4:5]
	s_cbranch_execz .LBB340_5
.LBB340_3:                              ; =>This Inner Loop Header: Depth=1
	v_add_u32_e32 v0, s10, v4
	v_cmp_lt_i32_e32 vcc, 0, v0
	v_mov_b32_e32 v0, 0
	s_and_saveexec_b64 s[6:7], vcc
	s_cbranch_execz .LBB340_2
; %bb.4:                                ;   in Loop: Header=BB340_3 Depth=1
	v_add_u32_e32 v12, s10, v4
	v_and_b32_e32 v0, 0x7fffffff, v12
	v_lshlrev_b64 v[10:11], 2, v[0:1]
	v_mov_b32_e32 v14, s3
	v_add_co_u32_e32 v10, vcc, s2, v10
	v_add_u32_e32 v0, -1, v12
	v_addc_co_u32_e32 v11, vcc, v14, v11, vcc
	v_lshlrev_b64 v[12:13], 2, v[0:1]
	v_add_co_u32_e32 v12, vcc, s2, v12
	v_addc_co_u32_e32 v13, vcc, v14, v13, vcc
	global_load_dword v0, v[10:11], off
	global_load_dword v14, v[12:13], off
	s_waitcnt vmcnt(0)
	v_cmp_neq_f32_e32 vcc, v0, v14
	v_cndmask_b32_e64 v0, 0, 1, vcc
	s_branch .LBB340_2
.LBB340_5:
	s_endpgm
	.section	.rodata,"a",@progbits
	.p2align	6, 0x0
	.amdhsa_kernel _ZN2at6native8internal12_GLOBAL__N_126adjacent_difference_kernelIPKfEEvlT_Pi
		.amdhsa_group_segment_fixed_size 0
		.amdhsa_private_segment_fixed_size 0
		.amdhsa_kernarg_size 280
		.amdhsa_user_sgpr_count 6
		.amdhsa_user_sgpr_private_segment_buffer 1
		.amdhsa_user_sgpr_dispatch_ptr 0
		.amdhsa_user_sgpr_queue_ptr 0
		.amdhsa_user_sgpr_kernarg_segment_ptr 1
		.amdhsa_user_sgpr_dispatch_id 0
		.amdhsa_user_sgpr_flat_scratch_init 0
		.amdhsa_user_sgpr_kernarg_preload_length 0
		.amdhsa_user_sgpr_kernarg_preload_offset 0
		.amdhsa_user_sgpr_private_segment_size 0
		.amdhsa_uses_dynamic_stack 0
		.amdhsa_system_sgpr_private_segment_wavefront_offset 0
		.amdhsa_system_sgpr_workgroup_id_x 1
		.amdhsa_system_sgpr_workgroup_id_y 0
		.amdhsa_system_sgpr_workgroup_id_z 0
		.amdhsa_system_sgpr_workgroup_info 0
		.amdhsa_system_vgpr_workitem_id 0
		.amdhsa_next_free_vgpr 15
		.amdhsa_next_free_sgpr 14
		.amdhsa_accum_offset 16
		.amdhsa_reserve_vcc 1
		.amdhsa_reserve_flat_scratch 0
		.amdhsa_float_round_mode_32 0
		.amdhsa_float_round_mode_16_64 0
		.amdhsa_float_denorm_mode_32 3
		.amdhsa_float_denorm_mode_16_64 3
		.amdhsa_dx10_clamp 1
		.amdhsa_ieee_mode 1
		.amdhsa_fp16_overflow 0
		.amdhsa_tg_split 0
		.amdhsa_exception_fp_ieee_invalid_op 0
		.amdhsa_exception_fp_denorm_src 0
		.amdhsa_exception_fp_ieee_div_zero 0
		.amdhsa_exception_fp_ieee_overflow 0
		.amdhsa_exception_fp_ieee_underflow 0
		.amdhsa_exception_fp_ieee_inexact 0
		.amdhsa_exception_int_div_zero 0
	.end_amdhsa_kernel
	.section	.text._ZN2at6native8internal12_GLOBAL__N_126adjacent_difference_kernelIPKfEEvlT_Pi,"axG",@progbits,_ZN2at6native8internal12_GLOBAL__N_126adjacent_difference_kernelIPKfEEvlT_Pi,comdat
.Lfunc_end340:
	.size	_ZN2at6native8internal12_GLOBAL__N_126adjacent_difference_kernelIPKfEEvlT_Pi, .Lfunc_end340-_ZN2at6native8internal12_GLOBAL__N_126adjacent_difference_kernelIPKfEEvlT_Pi
                                        ; -- End function
	.section	.AMDGPU.csdata,"",@progbits
; Kernel info:
; codeLenInByte = 320
; NumSgprs: 18
; NumVgprs: 15
; NumAgprs: 0
; TotalNumVgprs: 15
; ScratchSize: 0
; MemoryBound: 0
; FloatMode: 240
; IeeeMode: 1
; LDSByteSize: 0 bytes/workgroup (compile time only)
; SGPRBlocks: 2
; VGPRBlocks: 1
; NumSGPRsForWavesPerEU: 18
; NumVGPRsForWavesPerEU: 15
; AccumOffset: 16
; Occupancy: 8
; WaveLimiterHint : 0
; COMPUTE_PGM_RSRC2:SCRATCH_EN: 0
; COMPUTE_PGM_RSRC2:USER_SGPR: 6
; COMPUTE_PGM_RSRC2:TRAP_HANDLER: 0
; COMPUTE_PGM_RSRC2:TGID_X_EN: 1
; COMPUTE_PGM_RSRC2:TGID_Y_EN: 0
; COMPUTE_PGM_RSRC2:TGID_Z_EN: 0
; COMPUTE_PGM_RSRC2:TIDIG_COMP_CNT: 0
; COMPUTE_PGM_RSRC3_GFX90A:ACCUM_OFFSET: 3
; COMPUTE_PGM_RSRC3_GFX90A:TG_SPLIT: 0
	.section	.text._ZN7rocprim17ROCPRIM_400000_NS6detail17trampoline_kernelINS0_14default_configENS1_25partition_config_selectorILNS1_17partition_subalgoE8EfNS0_10empty_typeEbEEZZNS1_14partition_implILS5_8ELb0ES3_jPKfPS6_PKS6_NS0_5tupleIJPfS6_EEENSE_IJSB_SB_EEENS0_18inequality_wrapperIN6hipcub16HIPCUB_304000_NS8EqualityEEEPlJS6_EEE10hipError_tPvRmT3_T4_T5_T6_T7_T9_mT8_P12ihipStream_tbDpT10_ENKUlT_T0_E_clISt17integral_constantIbLb0EES17_EEDaS12_S13_EUlS12_E_NS1_11comp_targetILNS1_3genE0ELNS1_11target_archE4294967295ELNS1_3gpuE0ELNS1_3repE0EEENS1_30default_config_static_selectorELNS0_4arch9wavefront6targetE1EEEvT1_,"axG",@progbits,_ZN7rocprim17ROCPRIM_400000_NS6detail17trampoline_kernelINS0_14default_configENS1_25partition_config_selectorILNS1_17partition_subalgoE8EfNS0_10empty_typeEbEEZZNS1_14partition_implILS5_8ELb0ES3_jPKfPS6_PKS6_NS0_5tupleIJPfS6_EEENSE_IJSB_SB_EEENS0_18inequality_wrapperIN6hipcub16HIPCUB_304000_NS8EqualityEEEPlJS6_EEE10hipError_tPvRmT3_T4_T5_T6_T7_T9_mT8_P12ihipStream_tbDpT10_ENKUlT_T0_E_clISt17integral_constantIbLb0EES17_EEDaS12_S13_EUlS12_E_NS1_11comp_targetILNS1_3genE0ELNS1_11target_archE4294967295ELNS1_3gpuE0ELNS1_3repE0EEENS1_30default_config_static_selectorELNS0_4arch9wavefront6targetE1EEEvT1_,comdat
	.protected	_ZN7rocprim17ROCPRIM_400000_NS6detail17trampoline_kernelINS0_14default_configENS1_25partition_config_selectorILNS1_17partition_subalgoE8EfNS0_10empty_typeEbEEZZNS1_14partition_implILS5_8ELb0ES3_jPKfPS6_PKS6_NS0_5tupleIJPfS6_EEENSE_IJSB_SB_EEENS0_18inequality_wrapperIN6hipcub16HIPCUB_304000_NS8EqualityEEEPlJS6_EEE10hipError_tPvRmT3_T4_T5_T6_T7_T9_mT8_P12ihipStream_tbDpT10_ENKUlT_T0_E_clISt17integral_constantIbLb0EES17_EEDaS12_S13_EUlS12_E_NS1_11comp_targetILNS1_3genE0ELNS1_11target_archE4294967295ELNS1_3gpuE0ELNS1_3repE0EEENS1_30default_config_static_selectorELNS0_4arch9wavefront6targetE1EEEvT1_ ; -- Begin function _ZN7rocprim17ROCPRIM_400000_NS6detail17trampoline_kernelINS0_14default_configENS1_25partition_config_selectorILNS1_17partition_subalgoE8EfNS0_10empty_typeEbEEZZNS1_14partition_implILS5_8ELb0ES3_jPKfPS6_PKS6_NS0_5tupleIJPfS6_EEENSE_IJSB_SB_EEENS0_18inequality_wrapperIN6hipcub16HIPCUB_304000_NS8EqualityEEEPlJS6_EEE10hipError_tPvRmT3_T4_T5_T6_T7_T9_mT8_P12ihipStream_tbDpT10_ENKUlT_T0_E_clISt17integral_constantIbLb0EES17_EEDaS12_S13_EUlS12_E_NS1_11comp_targetILNS1_3genE0ELNS1_11target_archE4294967295ELNS1_3gpuE0ELNS1_3repE0EEENS1_30default_config_static_selectorELNS0_4arch9wavefront6targetE1EEEvT1_
	.globl	_ZN7rocprim17ROCPRIM_400000_NS6detail17trampoline_kernelINS0_14default_configENS1_25partition_config_selectorILNS1_17partition_subalgoE8EfNS0_10empty_typeEbEEZZNS1_14partition_implILS5_8ELb0ES3_jPKfPS6_PKS6_NS0_5tupleIJPfS6_EEENSE_IJSB_SB_EEENS0_18inequality_wrapperIN6hipcub16HIPCUB_304000_NS8EqualityEEEPlJS6_EEE10hipError_tPvRmT3_T4_T5_T6_T7_T9_mT8_P12ihipStream_tbDpT10_ENKUlT_T0_E_clISt17integral_constantIbLb0EES17_EEDaS12_S13_EUlS12_E_NS1_11comp_targetILNS1_3genE0ELNS1_11target_archE4294967295ELNS1_3gpuE0ELNS1_3repE0EEENS1_30default_config_static_selectorELNS0_4arch9wavefront6targetE1EEEvT1_
	.p2align	8
	.type	_ZN7rocprim17ROCPRIM_400000_NS6detail17trampoline_kernelINS0_14default_configENS1_25partition_config_selectorILNS1_17partition_subalgoE8EfNS0_10empty_typeEbEEZZNS1_14partition_implILS5_8ELb0ES3_jPKfPS6_PKS6_NS0_5tupleIJPfS6_EEENSE_IJSB_SB_EEENS0_18inequality_wrapperIN6hipcub16HIPCUB_304000_NS8EqualityEEEPlJS6_EEE10hipError_tPvRmT3_T4_T5_T6_T7_T9_mT8_P12ihipStream_tbDpT10_ENKUlT_T0_E_clISt17integral_constantIbLb0EES17_EEDaS12_S13_EUlS12_E_NS1_11comp_targetILNS1_3genE0ELNS1_11target_archE4294967295ELNS1_3gpuE0ELNS1_3repE0EEENS1_30default_config_static_selectorELNS0_4arch9wavefront6targetE1EEEvT1_,@function
_ZN7rocprim17ROCPRIM_400000_NS6detail17trampoline_kernelINS0_14default_configENS1_25partition_config_selectorILNS1_17partition_subalgoE8EfNS0_10empty_typeEbEEZZNS1_14partition_implILS5_8ELb0ES3_jPKfPS6_PKS6_NS0_5tupleIJPfS6_EEENSE_IJSB_SB_EEENS0_18inequality_wrapperIN6hipcub16HIPCUB_304000_NS8EqualityEEEPlJS6_EEE10hipError_tPvRmT3_T4_T5_T6_T7_T9_mT8_P12ihipStream_tbDpT10_ENKUlT_T0_E_clISt17integral_constantIbLb0EES17_EEDaS12_S13_EUlS12_E_NS1_11comp_targetILNS1_3genE0ELNS1_11target_archE4294967295ELNS1_3gpuE0ELNS1_3repE0EEENS1_30default_config_static_selectorELNS0_4arch9wavefront6targetE1EEEvT1_: ; @_ZN7rocprim17ROCPRIM_400000_NS6detail17trampoline_kernelINS0_14default_configENS1_25partition_config_selectorILNS1_17partition_subalgoE8EfNS0_10empty_typeEbEEZZNS1_14partition_implILS5_8ELb0ES3_jPKfPS6_PKS6_NS0_5tupleIJPfS6_EEENSE_IJSB_SB_EEENS0_18inequality_wrapperIN6hipcub16HIPCUB_304000_NS8EqualityEEEPlJS6_EEE10hipError_tPvRmT3_T4_T5_T6_T7_T9_mT8_P12ihipStream_tbDpT10_ENKUlT_T0_E_clISt17integral_constantIbLb0EES17_EEDaS12_S13_EUlS12_E_NS1_11comp_targetILNS1_3genE0ELNS1_11target_archE4294967295ELNS1_3gpuE0ELNS1_3repE0EEENS1_30default_config_static_selectorELNS0_4arch9wavefront6targetE1EEEvT1_
; %bb.0:
	.section	.rodata,"a",@progbits
	.p2align	6, 0x0
	.amdhsa_kernel _ZN7rocprim17ROCPRIM_400000_NS6detail17trampoline_kernelINS0_14default_configENS1_25partition_config_selectorILNS1_17partition_subalgoE8EfNS0_10empty_typeEbEEZZNS1_14partition_implILS5_8ELb0ES3_jPKfPS6_PKS6_NS0_5tupleIJPfS6_EEENSE_IJSB_SB_EEENS0_18inequality_wrapperIN6hipcub16HIPCUB_304000_NS8EqualityEEEPlJS6_EEE10hipError_tPvRmT3_T4_T5_T6_T7_T9_mT8_P12ihipStream_tbDpT10_ENKUlT_T0_E_clISt17integral_constantIbLb0EES17_EEDaS12_S13_EUlS12_E_NS1_11comp_targetILNS1_3genE0ELNS1_11target_archE4294967295ELNS1_3gpuE0ELNS1_3repE0EEENS1_30default_config_static_selectorELNS0_4arch9wavefront6targetE1EEEvT1_
		.amdhsa_group_segment_fixed_size 0
		.amdhsa_private_segment_fixed_size 0
		.amdhsa_kernarg_size 112
		.amdhsa_user_sgpr_count 6
		.amdhsa_user_sgpr_private_segment_buffer 1
		.amdhsa_user_sgpr_dispatch_ptr 0
		.amdhsa_user_sgpr_queue_ptr 0
		.amdhsa_user_sgpr_kernarg_segment_ptr 1
		.amdhsa_user_sgpr_dispatch_id 0
		.amdhsa_user_sgpr_flat_scratch_init 0
		.amdhsa_user_sgpr_kernarg_preload_length 0
		.amdhsa_user_sgpr_kernarg_preload_offset 0
		.amdhsa_user_sgpr_private_segment_size 0
		.amdhsa_uses_dynamic_stack 0
		.amdhsa_system_sgpr_private_segment_wavefront_offset 0
		.amdhsa_system_sgpr_workgroup_id_x 1
		.amdhsa_system_sgpr_workgroup_id_y 0
		.amdhsa_system_sgpr_workgroup_id_z 0
		.amdhsa_system_sgpr_workgroup_info 0
		.amdhsa_system_vgpr_workitem_id 0
		.amdhsa_next_free_vgpr 1
		.amdhsa_next_free_sgpr 0
		.amdhsa_accum_offset 4
		.amdhsa_reserve_vcc 0
		.amdhsa_reserve_flat_scratch 0
		.amdhsa_float_round_mode_32 0
		.amdhsa_float_round_mode_16_64 0
		.amdhsa_float_denorm_mode_32 3
		.amdhsa_float_denorm_mode_16_64 3
		.amdhsa_dx10_clamp 1
		.amdhsa_ieee_mode 1
		.amdhsa_fp16_overflow 0
		.amdhsa_tg_split 0
		.amdhsa_exception_fp_ieee_invalid_op 0
		.amdhsa_exception_fp_denorm_src 0
		.amdhsa_exception_fp_ieee_div_zero 0
		.amdhsa_exception_fp_ieee_overflow 0
		.amdhsa_exception_fp_ieee_underflow 0
		.amdhsa_exception_fp_ieee_inexact 0
		.amdhsa_exception_int_div_zero 0
	.end_amdhsa_kernel
	.section	.text._ZN7rocprim17ROCPRIM_400000_NS6detail17trampoline_kernelINS0_14default_configENS1_25partition_config_selectorILNS1_17partition_subalgoE8EfNS0_10empty_typeEbEEZZNS1_14partition_implILS5_8ELb0ES3_jPKfPS6_PKS6_NS0_5tupleIJPfS6_EEENSE_IJSB_SB_EEENS0_18inequality_wrapperIN6hipcub16HIPCUB_304000_NS8EqualityEEEPlJS6_EEE10hipError_tPvRmT3_T4_T5_T6_T7_T9_mT8_P12ihipStream_tbDpT10_ENKUlT_T0_E_clISt17integral_constantIbLb0EES17_EEDaS12_S13_EUlS12_E_NS1_11comp_targetILNS1_3genE0ELNS1_11target_archE4294967295ELNS1_3gpuE0ELNS1_3repE0EEENS1_30default_config_static_selectorELNS0_4arch9wavefront6targetE1EEEvT1_,"axG",@progbits,_ZN7rocprim17ROCPRIM_400000_NS6detail17trampoline_kernelINS0_14default_configENS1_25partition_config_selectorILNS1_17partition_subalgoE8EfNS0_10empty_typeEbEEZZNS1_14partition_implILS5_8ELb0ES3_jPKfPS6_PKS6_NS0_5tupleIJPfS6_EEENSE_IJSB_SB_EEENS0_18inequality_wrapperIN6hipcub16HIPCUB_304000_NS8EqualityEEEPlJS6_EEE10hipError_tPvRmT3_T4_T5_T6_T7_T9_mT8_P12ihipStream_tbDpT10_ENKUlT_T0_E_clISt17integral_constantIbLb0EES17_EEDaS12_S13_EUlS12_E_NS1_11comp_targetILNS1_3genE0ELNS1_11target_archE4294967295ELNS1_3gpuE0ELNS1_3repE0EEENS1_30default_config_static_selectorELNS0_4arch9wavefront6targetE1EEEvT1_,comdat
.Lfunc_end341:
	.size	_ZN7rocprim17ROCPRIM_400000_NS6detail17trampoline_kernelINS0_14default_configENS1_25partition_config_selectorILNS1_17partition_subalgoE8EfNS0_10empty_typeEbEEZZNS1_14partition_implILS5_8ELb0ES3_jPKfPS6_PKS6_NS0_5tupleIJPfS6_EEENSE_IJSB_SB_EEENS0_18inequality_wrapperIN6hipcub16HIPCUB_304000_NS8EqualityEEEPlJS6_EEE10hipError_tPvRmT3_T4_T5_T6_T7_T9_mT8_P12ihipStream_tbDpT10_ENKUlT_T0_E_clISt17integral_constantIbLb0EES17_EEDaS12_S13_EUlS12_E_NS1_11comp_targetILNS1_3genE0ELNS1_11target_archE4294967295ELNS1_3gpuE0ELNS1_3repE0EEENS1_30default_config_static_selectorELNS0_4arch9wavefront6targetE1EEEvT1_, .Lfunc_end341-_ZN7rocprim17ROCPRIM_400000_NS6detail17trampoline_kernelINS0_14default_configENS1_25partition_config_selectorILNS1_17partition_subalgoE8EfNS0_10empty_typeEbEEZZNS1_14partition_implILS5_8ELb0ES3_jPKfPS6_PKS6_NS0_5tupleIJPfS6_EEENSE_IJSB_SB_EEENS0_18inequality_wrapperIN6hipcub16HIPCUB_304000_NS8EqualityEEEPlJS6_EEE10hipError_tPvRmT3_T4_T5_T6_T7_T9_mT8_P12ihipStream_tbDpT10_ENKUlT_T0_E_clISt17integral_constantIbLb0EES17_EEDaS12_S13_EUlS12_E_NS1_11comp_targetILNS1_3genE0ELNS1_11target_archE4294967295ELNS1_3gpuE0ELNS1_3repE0EEENS1_30default_config_static_selectorELNS0_4arch9wavefront6targetE1EEEvT1_
                                        ; -- End function
	.section	.AMDGPU.csdata,"",@progbits
; Kernel info:
; codeLenInByte = 0
; NumSgprs: 4
; NumVgprs: 0
; NumAgprs: 0
; TotalNumVgprs: 0
; ScratchSize: 0
; MemoryBound: 0
; FloatMode: 240
; IeeeMode: 1
; LDSByteSize: 0 bytes/workgroup (compile time only)
; SGPRBlocks: 0
; VGPRBlocks: 0
; NumSGPRsForWavesPerEU: 4
; NumVGPRsForWavesPerEU: 1
; AccumOffset: 4
; Occupancy: 8
; WaveLimiterHint : 0
; COMPUTE_PGM_RSRC2:SCRATCH_EN: 0
; COMPUTE_PGM_RSRC2:USER_SGPR: 6
; COMPUTE_PGM_RSRC2:TRAP_HANDLER: 0
; COMPUTE_PGM_RSRC2:TGID_X_EN: 1
; COMPUTE_PGM_RSRC2:TGID_Y_EN: 0
; COMPUTE_PGM_RSRC2:TGID_Z_EN: 0
; COMPUTE_PGM_RSRC2:TIDIG_COMP_CNT: 0
; COMPUTE_PGM_RSRC3_GFX90A:ACCUM_OFFSET: 0
; COMPUTE_PGM_RSRC3_GFX90A:TG_SPLIT: 0
	.section	.text._ZN7rocprim17ROCPRIM_400000_NS6detail17trampoline_kernelINS0_14default_configENS1_25partition_config_selectorILNS1_17partition_subalgoE8EfNS0_10empty_typeEbEEZZNS1_14partition_implILS5_8ELb0ES3_jPKfPS6_PKS6_NS0_5tupleIJPfS6_EEENSE_IJSB_SB_EEENS0_18inequality_wrapperIN6hipcub16HIPCUB_304000_NS8EqualityEEEPlJS6_EEE10hipError_tPvRmT3_T4_T5_T6_T7_T9_mT8_P12ihipStream_tbDpT10_ENKUlT_T0_E_clISt17integral_constantIbLb0EES17_EEDaS12_S13_EUlS12_E_NS1_11comp_targetILNS1_3genE5ELNS1_11target_archE942ELNS1_3gpuE9ELNS1_3repE0EEENS1_30default_config_static_selectorELNS0_4arch9wavefront6targetE1EEEvT1_,"axG",@progbits,_ZN7rocprim17ROCPRIM_400000_NS6detail17trampoline_kernelINS0_14default_configENS1_25partition_config_selectorILNS1_17partition_subalgoE8EfNS0_10empty_typeEbEEZZNS1_14partition_implILS5_8ELb0ES3_jPKfPS6_PKS6_NS0_5tupleIJPfS6_EEENSE_IJSB_SB_EEENS0_18inequality_wrapperIN6hipcub16HIPCUB_304000_NS8EqualityEEEPlJS6_EEE10hipError_tPvRmT3_T4_T5_T6_T7_T9_mT8_P12ihipStream_tbDpT10_ENKUlT_T0_E_clISt17integral_constantIbLb0EES17_EEDaS12_S13_EUlS12_E_NS1_11comp_targetILNS1_3genE5ELNS1_11target_archE942ELNS1_3gpuE9ELNS1_3repE0EEENS1_30default_config_static_selectorELNS0_4arch9wavefront6targetE1EEEvT1_,comdat
	.protected	_ZN7rocprim17ROCPRIM_400000_NS6detail17trampoline_kernelINS0_14default_configENS1_25partition_config_selectorILNS1_17partition_subalgoE8EfNS0_10empty_typeEbEEZZNS1_14partition_implILS5_8ELb0ES3_jPKfPS6_PKS6_NS0_5tupleIJPfS6_EEENSE_IJSB_SB_EEENS0_18inequality_wrapperIN6hipcub16HIPCUB_304000_NS8EqualityEEEPlJS6_EEE10hipError_tPvRmT3_T4_T5_T6_T7_T9_mT8_P12ihipStream_tbDpT10_ENKUlT_T0_E_clISt17integral_constantIbLb0EES17_EEDaS12_S13_EUlS12_E_NS1_11comp_targetILNS1_3genE5ELNS1_11target_archE942ELNS1_3gpuE9ELNS1_3repE0EEENS1_30default_config_static_selectorELNS0_4arch9wavefront6targetE1EEEvT1_ ; -- Begin function _ZN7rocprim17ROCPRIM_400000_NS6detail17trampoline_kernelINS0_14default_configENS1_25partition_config_selectorILNS1_17partition_subalgoE8EfNS0_10empty_typeEbEEZZNS1_14partition_implILS5_8ELb0ES3_jPKfPS6_PKS6_NS0_5tupleIJPfS6_EEENSE_IJSB_SB_EEENS0_18inequality_wrapperIN6hipcub16HIPCUB_304000_NS8EqualityEEEPlJS6_EEE10hipError_tPvRmT3_T4_T5_T6_T7_T9_mT8_P12ihipStream_tbDpT10_ENKUlT_T0_E_clISt17integral_constantIbLb0EES17_EEDaS12_S13_EUlS12_E_NS1_11comp_targetILNS1_3genE5ELNS1_11target_archE942ELNS1_3gpuE9ELNS1_3repE0EEENS1_30default_config_static_selectorELNS0_4arch9wavefront6targetE1EEEvT1_
	.globl	_ZN7rocprim17ROCPRIM_400000_NS6detail17trampoline_kernelINS0_14default_configENS1_25partition_config_selectorILNS1_17partition_subalgoE8EfNS0_10empty_typeEbEEZZNS1_14partition_implILS5_8ELb0ES3_jPKfPS6_PKS6_NS0_5tupleIJPfS6_EEENSE_IJSB_SB_EEENS0_18inequality_wrapperIN6hipcub16HIPCUB_304000_NS8EqualityEEEPlJS6_EEE10hipError_tPvRmT3_T4_T5_T6_T7_T9_mT8_P12ihipStream_tbDpT10_ENKUlT_T0_E_clISt17integral_constantIbLb0EES17_EEDaS12_S13_EUlS12_E_NS1_11comp_targetILNS1_3genE5ELNS1_11target_archE942ELNS1_3gpuE9ELNS1_3repE0EEENS1_30default_config_static_selectorELNS0_4arch9wavefront6targetE1EEEvT1_
	.p2align	8
	.type	_ZN7rocprim17ROCPRIM_400000_NS6detail17trampoline_kernelINS0_14default_configENS1_25partition_config_selectorILNS1_17partition_subalgoE8EfNS0_10empty_typeEbEEZZNS1_14partition_implILS5_8ELb0ES3_jPKfPS6_PKS6_NS0_5tupleIJPfS6_EEENSE_IJSB_SB_EEENS0_18inequality_wrapperIN6hipcub16HIPCUB_304000_NS8EqualityEEEPlJS6_EEE10hipError_tPvRmT3_T4_T5_T6_T7_T9_mT8_P12ihipStream_tbDpT10_ENKUlT_T0_E_clISt17integral_constantIbLb0EES17_EEDaS12_S13_EUlS12_E_NS1_11comp_targetILNS1_3genE5ELNS1_11target_archE942ELNS1_3gpuE9ELNS1_3repE0EEENS1_30default_config_static_selectorELNS0_4arch9wavefront6targetE1EEEvT1_,@function
_ZN7rocprim17ROCPRIM_400000_NS6detail17trampoline_kernelINS0_14default_configENS1_25partition_config_selectorILNS1_17partition_subalgoE8EfNS0_10empty_typeEbEEZZNS1_14partition_implILS5_8ELb0ES3_jPKfPS6_PKS6_NS0_5tupleIJPfS6_EEENSE_IJSB_SB_EEENS0_18inequality_wrapperIN6hipcub16HIPCUB_304000_NS8EqualityEEEPlJS6_EEE10hipError_tPvRmT3_T4_T5_T6_T7_T9_mT8_P12ihipStream_tbDpT10_ENKUlT_T0_E_clISt17integral_constantIbLb0EES17_EEDaS12_S13_EUlS12_E_NS1_11comp_targetILNS1_3genE5ELNS1_11target_archE942ELNS1_3gpuE9ELNS1_3repE0EEENS1_30default_config_static_selectorELNS0_4arch9wavefront6targetE1EEEvT1_: ; @_ZN7rocprim17ROCPRIM_400000_NS6detail17trampoline_kernelINS0_14default_configENS1_25partition_config_selectorILNS1_17partition_subalgoE8EfNS0_10empty_typeEbEEZZNS1_14partition_implILS5_8ELb0ES3_jPKfPS6_PKS6_NS0_5tupleIJPfS6_EEENSE_IJSB_SB_EEENS0_18inequality_wrapperIN6hipcub16HIPCUB_304000_NS8EqualityEEEPlJS6_EEE10hipError_tPvRmT3_T4_T5_T6_T7_T9_mT8_P12ihipStream_tbDpT10_ENKUlT_T0_E_clISt17integral_constantIbLb0EES17_EEDaS12_S13_EUlS12_E_NS1_11comp_targetILNS1_3genE5ELNS1_11target_archE942ELNS1_3gpuE9ELNS1_3repE0EEENS1_30default_config_static_selectorELNS0_4arch9wavefront6targetE1EEEvT1_
; %bb.0:
	.section	.rodata,"a",@progbits
	.p2align	6, 0x0
	.amdhsa_kernel _ZN7rocprim17ROCPRIM_400000_NS6detail17trampoline_kernelINS0_14default_configENS1_25partition_config_selectorILNS1_17partition_subalgoE8EfNS0_10empty_typeEbEEZZNS1_14partition_implILS5_8ELb0ES3_jPKfPS6_PKS6_NS0_5tupleIJPfS6_EEENSE_IJSB_SB_EEENS0_18inequality_wrapperIN6hipcub16HIPCUB_304000_NS8EqualityEEEPlJS6_EEE10hipError_tPvRmT3_T4_T5_T6_T7_T9_mT8_P12ihipStream_tbDpT10_ENKUlT_T0_E_clISt17integral_constantIbLb0EES17_EEDaS12_S13_EUlS12_E_NS1_11comp_targetILNS1_3genE5ELNS1_11target_archE942ELNS1_3gpuE9ELNS1_3repE0EEENS1_30default_config_static_selectorELNS0_4arch9wavefront6targetE1EEEvT1_
		.amdhsa_group_segment_fixed_size 0
		.amdhsa_private_segment_fixed_size 0
		.amdhsa_kernarg_size 112
		.amdhsa_user_sgpr_count 6
		.amdhsa_user_sgpr_private_segment_buffer 1
		.amdhsa_user_sgpr_dispatch_ptr 0
		.amdhsa_user_sgpr_queue_ptr 0
		.amdhsa_user_sgpr_kernarg_segment_ptr 1
		.amdhsa_user_sgpr_dispatch_id 0
		.amdhsa_user_sgpr_flat_scratch_init 0
		.amdhsa_user_sgpr_kernarg_preload_length 0
		.amdhsa_user_sgpr_kernarg_preload_offset 0
		.amdhsa_user_sgpr_private_segment_size 0
		.amdhsa_uses_dynamic_stack 0
		.amdhsa_system_sgpr_private_segment_wavefront_offset 0
		.amdhsa_system_sgpr_workgroup_id_x 1
		.amdhsa_system_sgpr_workgroup_id_y 0
		.amdhsa_system_sgpr_workgroup_id_z 0
		.amdhsa_system_sgpr_workgroup_info 0
		.amdhsa_system_vgpr_workitem_id 0
		.amdhsa_next_free_vgpr 1
		.amdhsa_next_free_sgpr 0
		.amdhsa_accum_offset 4
		.amdhsa_reserve_vcc 0
		.amdhsa_reserve_flat_scratch 0
		.amdhsa_float_round_mode_32 0
		.amdhsa_float_round_mode_16_64 0
		.amdhsa_float_denorm_mode_32 3
		.amdhsa_float_denorm_mode_16_64 3
		.amdhsa_dx10_clamp 1
		.amdhsa_ieee_mode 1
		.amdhsa_fp16_overflow 0
		.amdhsa_tg_split 0
		.amdhsa_exception_fp_ieee_invalid_op 0
		.amdhsa_exception_fp_denorm_src 0
		.amdhsa_exception_fp_ieee_div_zero 0
		.amdhsa_exception_fp_ieee_overflow 0
		.amdhsa_exception_fp_ieee_underflow 0
		.amdhsa_exception_fp_ieee_inexact 0
		.amdhsa_exception_int_div_zero 0
	.end_amdhsa_kernel
	.section	.text._ZN7rocprim17ROCPRIM_400000_NS6detail17trampoline_kernelINS0_14default_configENS1_25partition_config_selectorILNS1_17partition_subalgoE8EfNS0_10empty_typeEbEEZZNS1_14partition_implILS5_8ELb0ES3_jPKfPS6_PKS6_NS0_5tupleIJPfS6_EEENSE_IJSB_SB_EEENS0_18inequality_wrapperIN6hipcub16HIPCUB_304000_NS8EqualityEEEPlJS6_EEE10hipError_tPvRmT3_T4_T5_T6_T7_T9_mT8_P12ihipStream_tbDpT10_ENKUlT_T0_E_clISt17integral_constantIbLb0EES17_EEDaS12_S13_EUlS12_E_NS1_11comp_targetILNS1_3genE5ELNS1_11target_archE942ELNS1_3gpuE9ELNS1_3repE0EEENS1_30default_config_static_selectorELNS0_4arch9wavefront6targetE1EEEvT1_,"axG",@progbits,_ZN7rocprim17ROCPRIM_400000_NS6detail17trampoline_kernelINS0_14default_configENS1_25partition_config_selectorILNS1_17partition_subalgoE8EfNS0_10empty_typeEbEEZZNS1_14partition_implILS5_8ELb0ES3_jPKfPS6_PKS6_NS0_5tupleIJPfS6_EEENSE_IJSB_SB_EEENS0_18inequality_wrapperIN6hipcub16HIPCUB_304000_NS8EqualityEEEPlJS6_EEE10hipError_tPvRmT3_T4_T5_T6_T7_T9_mT8_P12ihipStream_tbDpT10_ENKUlT_T0_E_clISt17integral_constantIbLb0EES17_EEDaS12_S13_EUlS12_E_NS1_11comp_targetILNS1_3genE5ELNS1_11target_archE942ELNS1_3gpuE9ELNS1_3repE0EEENS1_30default_config_static_selectorELNS0_4arch9wavefront6targetE1EEEvT1_,comdat
.Lfunc_end342:
	.size	_ZN7rocprim17ROCPRIM_400000_NS6detail17trampoline_kernelINS0_14default_configENS1_25partition_config_selectorILNS1_17partition_subalgoE8EfNS0_10empty_typeEbEEZZNS1_14partition_implILS5_8ELb0ES3_jPKfPS6_PKS6_NS0_5tupleIJPfS6_EEENSE_IJSB_SB_EEENS0_18inequality_wrapperIN6hipcub16HIPCUB_304000_NS8EqualityEEEPlJS6_EEE10hipError_tPvRmT3_T4_T5_T6_T7_T9_mT8_P12ihipStream_tbDpT10_ENKUlT_T0_E_clISt17integral_constantIbLb0EES17_EEDaS12_S13_EUlS12_E_NS1_11comp_targetILNS1_3genE5ELNS1_11target_archE942ELNS1_3gpuE9ELNS1_3repE0EEENS1_30default_config_static_selectorELNS0_4arch9wavefront6targetE1EEEvT1_, .Lfunc_end342-_ZN7rocprim17ROCPRIM_400000_NS6detail17trampoline_kernelINS0_14default_configENS1_25partition_config_selectorILNS1_17partition_subalgoE8EfNS0_10empty_typeEbEEZZNS1_14partition_implILS5_8ELb0ES3_jPKfPS6_PKS6_NS0_5tupleIJPfS6_EEENSE_IJSB_SB_EEENS0_18inequality_wrapperIN6hipcub16HIPCUB_304000_NS8EqualityEEEPlJS6_EEE10hipError_tPvRmT3_T4_T5_T6_T7_T9_mT8_P12ihipStream_tbDpT10_ENKUlT_T0_E_clISt17integral_constantIbLb0EES17_EEDaS12_S13_EUlS12_E_NS1_11comp_targetILNS1_3genE5ELNS1_11target_archE942ELNS1_3gpuE9ELNS1_3repE0EEENS1_30default_config_static_selectorELNS0_4arch9wavefront6targetE1EEEvT1_
                                        ; -- End function
	.section	.AMDGPU.csdata,"",@progbits
; Kernel info:
; codeLenInByte = 0
; NumSgprs: 4
; NumVgprs: 0
; NumAgprs: 0
; TotalNumVgprs: 0
; ScratchSize: 0
; MemoryBound: 0
; FloatMode: 240
; IeeeMode: 1
; LDSByteSize: 0 bytes/workgroup (compile time only)
; SGPRBlocks: 0
; VGPRBlocks: 0
; NumSGPRsForWavesPerEU: 4
; NumVGPRsForWavesPerEU: 1
; AccumOffset: 4
; Occupancy: 8
; WaveLimiterHint : 0
; COMPUTE_PGM_RSRC2:SCRATCH_EN: 0
; COMPUTE_PGM_RSRC2:USER_SGPR: 6
; COMPUTE_PGM_RSRC2:TRAP_HANDLER: 0
; COMPUTE_PGM_RSRC2:TGID_X_EN: 1
; COMPUTE_PGM_RSRC2:TGID_Y_EN: 0
; COMPUTE_PGM_RSRC2:TGID_Z_EN: 0
; COMPUTE_PGM_RSRC2:TIDIG_COMP_CNT: 0
; COMPUTE_PGM_RSRC3_GFX90A:ACCUM_OFFSET: 0
; COMPUTE_PGM_RSRC3_GFX90A:TG_SPLIT: 0
	.section	.text._ZN7rocprim17ROCPRIM_400000_NS6detail17trampoline_kernelINS0_14default_configENS1_25partition_config_selectorILNS1_17partition_subalgoE8EfNS0_10empty_typeEbEEZZNS1_14partition_implILS5_8ELb0ES3_jPKfPS6_PKS6_NS0_5tupleIJPfS6_EEENSE_IJSB_SB_EEENS0_18inequality_wrapperIN6hipcub16HIPCUB_304000_NS8EqualityEEEPlJS6_EEE10hipError_tPvRmT3_T4_T5_T6_T7_T9_mT8_P12ihipStream_tbDpT10_ENKUlT_T0_E_clISt17integral_constantIbLb0EES17_EEDaS12_S13_EUlS12_E_NS1_11comp_targetILNS1_3genE4ELNS1_11target_archE910ELNS1_3gpuE8ELNS1_3repE0EEENS1_30default_config_static_selectorELNS0_4arch9wavefront6targetE1EEEvT1_,"axG",@progbits,_ZN7rocprim17ROCPRIM_400000_NS6detail17trampoline_kernelINS0_14default_configENS1_25partition_config_selectorILNS1_17partition_subalgoE8EfNS0_10empty_typeEbEEZZNS1_14partition_implILS5_8ELb0ES3_jPKfPS6_PKS6_NS0_5tupleIJPfS6_EEENSE_IJSB_SB_EEENS0_18inequality_wrapperIN6hipcub16HIPCUB_304000_NS8EqualityEEEPlJS6_EEE10hipError_tPvRmT3_T4_T5_T6_T7_T9_mT8_P12ihipStream_tbDpT10_ENKUlT_T0_E_clISt17integral_constantIbLb0EES17_EEDaS12_S13_EUlS12_E_NS1_11comp_targetILNS1_3genE4ELNS1_11target_archE910ELNS1_3gpuE8ELNS1_3repE0EEENS1_30default_config_static_selectorELNS0_4arch9wavefront6targetE1EEEvT1_,comdat
	.protected	_ZN7rocprim17ROCPRIM_400000_NS6detail17trampoline_kernelINS0_14default_configENS1_25partition_config_selectorILNS1_17partition_subalgoE8EfNS0_10empty_typeEbEEZZNS1_14partition_implILS5_8ELb0ES3_jPKfPS6_PKS6_NS0_5tupleIJPfS6_EEENSE_IJSB_SB_EEENS0_18inequality_wrapperIN6hipcub16HIPCUB_304000_NS8EqualityEEEPlJS6_EEE10hipError_tPvRmT3_T4_T5_T6_T7_T9_mT8_P12ihipStream_tbDpT10_ENKUlT_T0_E_clISt17integral_constantIbLb0EES17_EEDaS12_S13_EUlS12_E_NS1_11comp_targetILNS1_3genE4ELNS1_11target_archE910ELNS1_3gpuE8ELNS1_3repE0EEENS1_30default_config_static_selectorELNS0_4arch9wavefront6targetE1EEEvT1_ ; -- Begin function _ZN7rocprim17ROCPRIM_400000_NS6detail17trampoline_kernelINS0_14default_configENS1_25partition_config_selectorILNS1_17partition_subalgoE8EfNS0_10empty_typeEbEEZZNS1_14partition_implILS5_8ELb0ES3_jPKfPS6_PKS6_NS0_5tupleIJPfS6_EEENSE_IJSB_SB_EEENS0_18inequality_wrapperIN6hipcub16HIPCUB_304000_NS8EqualityEEEPlJS6_EEE10hipError_tPvRmT3_T4_T5_T6_T7_T9_mT8_P12ihipStream_tbDpT10_ENKUlT_T0_E_clISt17integral_constantIbLb0EES17_EEDaS12_S13_EUlS12_E_NS1_11comp_targetILNS1_3genE4ELNS1_11target_archE910ELNS1_3gpuE8ELNS1_3repE0EEENS1_30default_config_static_selectorELNS0_4arch9wavefront6targetE1EEEvT1_
	.globl	_ZN7rocprim17ROCPRIM_400000_NS6detail17trampoline_kernelINS0_14default_configENS1_25partition_config_selectorILNS1_17partition_subalgoE8EfNS0_10empty_typeEbEEZZNS1_14partition_implILS5_8ELb0ES3_jPKfPS6_PKS6_NS0_5tupleIJPfS6_EEENSE_IJSB_SB_EEENS0_18inequality_wrapperIN6hipcub16HIPCUB_304000_NS8EqualityEEEPlJS6_EEE10hipError_tPvRmT3_T4_T5_T6_T7_T9_mT8_P12ihipStream_tbDpT10_ENKUlT_T0_E_clISt17integral_constantIbLb0EES17_EEDaS12_S13_EUlS12_E_NS1_11comp_targetILNS1_3genE4ELNS1_11target_archE910ELNS1_3gpuE8ELNS1_3repE0EEENS1_30default_config_static_selectorELNS0_4arch9wavefront6targetE1EEEvT1_
	.p2align	8
	.type	_ZN7rocprim17ROCPRIM_400000_NS6detail17trampoline_kernelINS0_14default_configENS1_25partition_config_selectorILNS1_17partition_subalgoE8EfNS0_10empty_typeEbEEZZNS1_14partition_implILS5_8ELb0ES3_jPKfPS6_PKS6_NS0_5tupleIJPfS6_EEENSE_IJSB_SB_EEENS0_18inequality_wrapperIN6hipcub16HIPCUB_304000_NS8EqualityEEEPlJS6_EEE10hipError_tPvRmT3_T4_T5_T6_T7_T9_mT8_P12ihipStream_tbDpT10_ENKUlT_T0_E_clISt17integral_constantIbLb0EES17_EEDaS12_S13_EUlS12_E_NS1_11comp_targetILNS1_3genE4ELNS1_11target_archE910ELNS1_3gpuE8ELNS1_3repE0EEENS1_30default_config_static_selectorELNS0_4arch9wavefront6targetE1EEEvT1_,@function
_ZN7rocprim17ROCPRIM_400000_NS6detail17trampoline_kernelINS0_14default_configENS1_25partition_config_selectorILNS1_17partition_subalgoE8EfNS0_10empty_typeEbEEZZNS1_14partition_implILS5_8ELb0ES3_jPKfPS6_PKS6_NS0_5tupleIJPfS6_EEENSE_IJSB_SB_EEENS0_18inequality_wrapperIN6hipcub16HIPCUB_304000_NS8EqualityEEEPlJS6_EEE10hipError_tPvRmT3_T4_T5_T6_T7_T9_mT8_P12ihipStream_tbDpT10_ENKUlT_T0_E_clISt17integral_constantIbLb0EES17_EEDaS12_S13_EUlS12_E_NS1_11comp_targetILNS1_3genE4ELNS1_11target_archE910ELNS1_3gpuE8ELNS1_3repE0EEENS1_30default_config_static_selectorELNS0_4arch9wavefront6targetE1EEEvT1_: ; @_ZN7rocprim17ROCPRIM_400000_NS6detail17trampoline_kernelINS0_14default_configENS1_25partition_config_selectorILNS1_17partition_subalgoE8EfNS0_10empty_typeEbEEZZNS1_14partition_implILS5_8ELb0ES3_jPKfPS6_PKS6_NS0_5tupleIJPfS6_EEENSE_IJSB_SB_EEENS0_18inequality_wrapperIN6hipcub16HIPCUB_304000_NS8EqualityEEEPlJS6_EEE10hipError_tPvRmT3_T4_T5_T6_T7_T9_mT8_P12ihipStream_tbDpT10_ENKUlT_T0_E_clISt17integral_constantIbLb0EES17_EEDaS12_S13_EUlS12_E_NS1_11comp_targetILNS1_3genE4ELNS1_11target_archE910ELNS1_3gpuE8ELNS1_3repE0EEENS1_30default_config_static_selectorELNS0_4arch9wavefront6targetE1EEEvT1_
; %bb.0:
	s_load_dwordx2 s[8:9], s[4:5], 0x50
	s_load_dwordx4 s[0:3], s[4:5], 0x8
	s_load_dwordx4 s[24:27], s[4:5], 0x40
	s_load_dword s7, s[4:5], 0x68
	s_waitcnt lgkmcnt(0)
	v_mov_b32_e32 v3, s9
	s_lshl_b64 s[10:11], s[2:3], 2
	s_add_u32 s10, s0, s10
	s_mul_i32 s9, s7, 0xa00
	s_addc_u32 s11, s1, s11
	s_add_i32 s1, s9, s2
	s_add_i32 s12, s7, -1
	s_sub_i32 s7, s8, s1
	v_mov_b32_e32 v2, s8
	s_add_u32 s8, s2, s9
	s_addc_u32 s9, s3, 0
	s_cmp_eq_u32 s6, s12
	s_load_dwordx2 s[22:23], s[26:27], 0x0
	v_cmp_ge_u64_e32 vcc, s[8:9], v[2:3]
	s_cselect_b64 s[26:27], -1, 0
	s_mul_i32 s0, s6, 0xa00
	s_mov_b32 s1, 0
	s_and_b64 s[30:31], s[26:27], vcc
	s_xor_b64 s[28:29], s[30:31], -1
	s_lshl_b64 s[0:1], s[0:1], 2
	s_add_u32 s0, s10, s0
	s_mov_b64 s[8:9], -1
	s_addc_u32 s1, s11, s1
	s_and_b64 vcc, exec, s[28:29]
	s_cbranch_vccz .LBB343_2
; %bb.1:
	v_lshlrev_b32_e32 v1, 2, v0
	v_mov_b32_e32 v2, s1
	v_add_co_u32_e32 v4, vcc, s0, v1
	v_addc_co_u32_e32 v5, vcc, 0, v2, vcc
	v_add_co_u32_e32 v2, vcc, 0x1000, v4
	v_addc_co_u32_e32 v3, vcc, 0, v5, vcc
	global_load_dword v6, v1, s[0:1]
	global_load_dword v7, v1, s[0:1] offset:1024
	global_load_dword v8, v1, s[0:1] offset:2048
	;; [unrolled: 1-line block ×3, first 2 shown]
	global_load_dword v10, v[2:3], off
	global_load_dword v11, v[2:3], off offset:1024
	global_load_dword v12, v[2:3], off offset:2048
	;; [unrolled: 1-line block ×3, first 2 shown]
	v_add_co_u32_e32 v2, vcc, 0x2000, v4
	v_addc_co_u32_e32 v3, vcc, 0, v5, vcc
	global_load_dword v4, v[2:3], off
	global_load_dword v5, v[2:3], off offset:1024
	s_mov_b64 s[8:9], 0
	s_waitcnt vmcnt(8)
	ds_write2st64_b32 v1, v6, v7 offset1:4
	s_waitcnt vmcnt(6)
	ds_write2st64_b32 v1, v8, v9 offset0:8 offset1:12
	s_waitcnt vmcnt(4)
	ds_write2st64_b32 v1, v10, v11 offset0:16 offset1:20
	;; [unrolled: 2-line block ×4, first 2 shown]
	s_waitcnt lgkmcnt(0)
	s_barrier
.LBB343_2:
	s_andn2_b64 vcc, exec, s[8:9]
	s_addk_i32 s7, 0xa00
	s_cbranch_vccnz .LBB343_24
; %bb.3:
	v_cmp_gt_u32_e32 vcc, s7, v0
                                        ; implicit-def: $vgpr2_vgpr3_vgpr4_vgpr5_vgpr6_vgpr7_vgpr8_vgpr9_vgpr10_vgpr11
	s_and_saveexec_b64 s[8:9], vcc
	s_cbranch_execz .LBB343_5
; %bb.4:
	v_lshlrev_b32_e32 v1, 2, v0
	global_load_dword v2, v1, s[0:1]
.LBB343_5:
	s_or_b64 exec, exec, s[8:9]
	v_or_b32_e32 v1, 0x100, v0
	v_cmp_gt_u32_e32 vcc, s7, v1
	s_and_saveexec_b64 s[8:9], vcc
	s_cbranch_execz .LBB343_7
; %bb.6:
	v_lshlrev_b32_e32 v1, 2, v0
	global_load_dword v3, v1, s[0:1] offset:1024
.LBB343_7:
	s_or_b64 exec, exec, s[8:9]
	v_or_b32_e32 v1, 0x200, v0
	v_cmp_gt_u32_e32 vcc, s7, v1
	s_and_saveexec_b64 s[8:9], vcc
	s_cbranch_execz .LBB343_9
; %bb.8:
	v_lshlrev_b32_e32 v1, 2, v0
	global_load_dword v4, v1, s[0:1] offset:2048
.LBB343_9:
	;; [unrolled: 9-line block ×3, first 2 shown]
	s_or_b64 exec, exec, s[8:9]
	v_or_b32_e32 v1, 0x400, v0
	v_cmp_gt_u32_e32 vcc, s7, v1
	s_and_saveexec_b64 s[8:9], vcc
	s_cbranch_execz .LBB343_13
; %bb.12:
	v_lshlrev_b32_e32 v1, 2, v1
	global_load_dword v6, v1, s[0:1]
.LBB343_13:
	s_or_b64 exec, exec, s[8:9]
	v_or_b32_e32 v1, 0x500, v0
	v_cmp_gt_u32_e32 vcc, s7, v1
	s_and_saveexec_b64 s[8:9], vcc
	s_cbranch_execz .LBB343_15
; %bb.14:
	v_lshlrev_b32_e32 v1, 2, v1
	global_load_dword v7, v1, s[0:1]
.LBB343_15:
	;; [unrolled: 9-line block ×6, first 2 shown]
	s_or_b64 exec, exec, s[8:9]
	v_lshlrev_b32_e32 v1, 2, v0
	s_waitcnt vmcnt(0)
	ds_write2st64_b32 v1, v2, v3 offset1:4
	ds_write2st64_b32 v1, v4, v5 offset0:8 offset1:12
	ds_write2st64_b32 v1, v6, v7 offset0:16 offset1:20
	;; [unrolled: 1-line block ×4, first 2 shown]
	s_waitcnt lgkmcnt(0)
	s_barrier
.LBB343_24:
	v_mul_u32_u24_e32 v25, 10, v0
	v_lshlrev_b32_e32 v1, 2, v25
	s_waitcnt lgkmcnt(0)
	ds_read2_b64 v[6:9], v1 offset1:1
	ds_read2_b64 v[2:5], v1 offset0:2 offset1:3
	ds_read_b64 v[14:15], v1 offset:32
	s_cmp_lg_u32 s6, 0
	s_cselect_b64 s[34:35], -1, 0
	s_cmp_lg_u64 s[2:3], 0
	s_cselect_b64 s[2:3], -1, 0
	s_or_b64 s[2:3], s[34:35], s[2:3]
	v_or_b32_e32 v26, 1, v25
	v_mad_u32_u24 v24, v0, 10, 2
	v_mad_u32_u24 v23, v0, 10, 3
	;; [unrolled: 1-line block ×8, first 2 shown]
	s_mov_b64 s[36:37], 0
	s_and_b64 vcc, exec, s[2:3]
	s_waitcnt lgkmcnt(0)
	s_barrier
	s_cbranch_vccz .LBB343_29
; %bb.25:
	s_add_u32 s0, s0, -4
	s_addc_u32 s1, s1, -1
	s_load_dword s8, s[0:1], 0x0
	v_lshlrev_b32_e32 v10, 2, v0
	s_and_b64 vcc, exec, s[28:29]
	ds_write_b32 v10, v15
	s_cbranch_vccz .LBB343_31
; %bb.26:
	v_cmp_ne_u32_e32 vcc, 0, v0
	s_waitcnt lgkmcnt(0)
	v_mov_b32_e32 v11, s8
	s_barrier
	s_and_saveexec_b64 s[0:1], vcc
	s_cbranch_execz .LBB343_28
; %bb.27:
	v_add_u32_e32 v11, -4, v10
	ds_read_b32 v11, v11
.LBB343_28:
	s_or_b64 exec, exec, s[0:1]
	v_cmp_neq_f32_e32 vcc, v14, v15
	v_cndmask_b32_e64 v27, 0, 1, vcc
	v_cmp_neq_f32_e32 vcc, v5, v14
	v_cndmask_b32_e64 v28, 0, 1, vcc
	;; [unrolled: 2-line block ×9, first 2 shown]
	s_waitcnt lgkmcnt(0)
	v_cmp_neq_f32_e64 s[0:1], v11, v6
	v_lshlrev_b16_e32 v11, 8, v16
	v_or_b32_sdwa v11, v31, v11 dst_sel:WORD_1 dst_unused:UNUSED_PAD src0_sel:DWORD src1_sel:DWORD
	v_lshlrev_b16_e32 v16, 8, v32
	v_or_b32_e32 v16, v16, v11
	v_lshlrev_b16_e32 v11, 8, v29
	v_lshlrev_b16_e32 v12, 8, v12
	v_or_b32_e32 v11, v30, v11
	v_or_b32_sdwa v12, v17, v12 dst_sel:WORD_1 dst_unused:UNUSED_PAD src0_sel:DWORD src1_sel:DWORD
	v_or_b32_sdwa v17, v11, v12 dst_sel:DWORD dst_unused:UNUSED_PAD src0_sel:WORD_0 src1_sel:DWORD
	s_branch .LBB343_35
.LBB343_29:
                                        ; implicit-def: $sgpr0_sgpr1
                                        ; implicit-def: $vgpr27
                                        ; implicit-def: $vgpr28
                                        ; implicit-def: $vgpr17
	s_branch .LBB343_36
.LBB343_30:
                                        ; implicit-def: $vgpr10_vgpr11_vgpr12
	s_and_saveexec_b64 s[2:3], s[36:37]
	s_cbranch_execnz .LBB343_44
	s_branch .LBB343_45
.LBB343_31:
                                        ; implicit-def: $sgpr0_sgpr1
                                        ; implicit-def: $vgpr27
                                        ; implicit-def: $vgpr28
                                        ; implicit-def: $vgpr17
	s_cbranch_execz .LBB343_35
; %bb.32:
	v_cmp_ne_u32_e32 vcc, 0, v0
	s_waitcnt lgkmcnt(0)
	v_mov_b32_e32 v11, s8
	s_barrier
	s_and_saveexec_b64 s[0:1], vcc
	s_cbranch_execz .LBB343_34
; %bb.33:
	v_add_u32_e32 v10, -4, v10
	ds_read_b32 v11, v10
.LBB343_34:
	s_or_b64 exec, exec, s[0:1]
	v_cmp_gt_u32_e32 vcc, s7, v13
	v_cmp_neq_f32_e64 s[0:1], v14, v15
	s_and_b64 s[0:1], vcc, s[0:1]
	v_cndmask_b32_e64 v27, 0, 1, s[0:1]
	v_cmp_gt_u32_e32 vcc, s7, v18
	v_cmp_neq_f32_e64 s[0:1], v5, v14
	s_and_b64 s[0:1], vcc, s[0:1]
	v_cndmask_b32_e64 v28, 0, 1, s[0:1]
	;; [unrolled: 4-line block ×9, first 2 shown]
	s_waitcnt lgkmcnt(0)
	v_cmp_neq_f32_e64 s[0:1], v11, v6
	v_lshlrev_b16_e32 v11, 8, v16
	v_or_b32_sdwa v11, v30, v11 dst_sel:WORD_1 dst_unused:UNUSED_PAD src0_sel:DWORD src1_sel:DWORD
	v_lshlrev_b16_e32 v16, 8, v31
	v_or_b32_e32 v16, v16, v11
	v_lshlrev_b16_e32 v11, 8, v17
	v_lshlrev_b16_e32 v10, 8, v10
	v_cmp_gt_u32_e32 vcc, s7, v25
	v_or_b32_e32 v11, v29, v11
	v_or_b32_sdwa v10, v12, v10 dst_sel:WORD_1 dst_unused:UNUSED_PAD src0_sel:DWORD src1_sel:DWORD
	s_and_b64 s[0:1], vcc, s[0:1]
	v_or_b32_sdwa v17, v11, v10 dst_sel:DWORD dst_unused:UNUSED_PAD src0_sel:WORD_0 src1_sel:DWORD
.LBB343_35:
	s_mov_b64 s[36:37], -1
	s_cbranch_execnz .LBB343_30
.LBB343_36:
	s_movk_i32 s0, 0xffdc
	v_mad_i32_i24 v29, v0, s0, v1
	s_and_b64 vcc, exec, s[28:29]
	v_cmp_neq_f32_e64 s[0:1], v14, v15
	v_cmp_neq_f32_e64 s[2:3], v5, v14
	;; [unrolled: 1-line block ×3, first 2 shown]
	s_waitcnt lgkmcnt(0)
	v_cmp_neq_f32_e64 s[8:9], v3, v4
	v_cmp_neq_f32_e64 s[10:11], v2, v3
	;; [unrolled: 1-line block ×6, first 2 shown]
	ds_write_b32 v29, v15
	s_cbranch_vccz .LBB343_40
; %bb.37:
	v_cndmask_b32_e64 v10, 0, 1, s[20:21]
	v_cndmask_b32_e64 v12, 0, 1, s[10:11]
	;; [unrolled: 1-line block ×4, first 2 shown]
	v_lshlrev_b16_e32 v12, 8, v12
	v_lshlrev_b16_e32 v10, 8, v10
	v_cndmask_b32_e64 v27, 0, 1, s[0:1]
	v_or_b32_e32 v12, v16, v12
	v_or_b32_sdwa v10, v11, v10 dst_sel:WORD_1 dst_unused:UNUSED_PAD src0_sel:DWORD src1_sel:DWORD
	v_cndmask_b32_e64 v28, 0, 1, s[2:3]
	v_or_b32_sdwa v17, v12, v10 dst_sel:DWORD dst_unused:UNUSED_PAD src0_sel:WORD_0 src1_sel:DWORD
	v_lshlrev_b16_e32 v10, 8, v27
	v_cndmask_b32_e64 v30, 0, 1, s[14:15]
	v_cndmask_b32_e64 v32, 0, 1, s[18:19]
	v_or_b32_e32 v10, v28, v10
	v_cndmask_b32_e64 v31, 0, 1, s[16:17]
	v_and_b32_e32 v12, 0xffff, v10
	v_lshlrev_b16_e32 v10, 8, v30
	v_lshlrev_b16_e32 v11, 8, v32
	v_or_b32_sdwa v10, v31, v10 dst_sel:WORD_1 dst_unused:UNUSED_PAD src0_sel:DWORD src1_sel:DWORD
	v_or_b32_e32 v11, 1, v11
	v_or_b32_sdwa v16, v11, v10 dst_sel:DWORD dst_unused:UNUSED_PAD src0_sel:WORD_0 src1_sel:DWORD
	v_cmp_ne_u32_e32 vcc, 0, v0
	s_waitcnt lgkmcnt(0)
	s_barrier
	s_waitcnt lgkmcnt(0)
                                        ; implicit-def: $sgpr0_sgpr1
	s_and_saveexec_b64 s[2:3], vcc
	s_xor_b64 s[2:3], exec, s[2:3]
	s_cbranch_execz .LBB343_39
; %bb.38:
	v_add_u32_e32 v10, -4, v29
	ds_read_b32 v10, v10
	s_or_b64 s[36:37], s[36:37], exec
	s_waitcnt lgkmcnt(0)
	v_cmp_neq_f32_e32 vcc, v10, v6
	s_and_b64 s[0:1], vcc, exec
                                        ; implicit-def: $vgpr10_vgpr11_vgpr12
.LBB343_39:
	s_or_b64 exec, exec, s[2:3]
	s_branch .LBB343_43
.LBB343_40:
                                        ; implicit-def: $sgpr0_sgpr1
                                        ; implicit-def: $vgpr27
                                        ; implicit-def: $vgpr28
                                        ; implicit-def: $vgpr17
                                        ; implicit-def: $vgpr10_vgpr11_vgpr12
	s_cbranch_execz .LBB343_43
; %bb.41:
	v_cmp_gt_u32_e32 vcc, s7, v13
	v_cmp_neq_f32_e64 s[0:1], v14, v15
	s_and_b64 s[0:1], vcc, s[0:1]
	v_cndmask_b32_e64 v27, 0, 1, s[0:1]
	v_cmp_gt_u32_e32 vcc, s7, v18
	v_cmp_neq_f32_e64 s[0:1], v5, v14
	s_and_b64 s[0:1], vcc, s[0:1]
	v_cndmask_b32_e64 v28, 0, 1, s[0:1]
	;; [unrolled: 4-line block ×7, first 2 shown]
	v_cmp_gt_u32_e32 vcc, s7, v24
	v_cmp_neq_f32_e64 s[0:1], v7, v8
	s_and_b64 s[0:1], vcc, s[0:1]
	v_lshlrev_b16_e32 v12, 8, v12
	v_lshlrev_b16_e32 v10, 8, v10
	v_cndmask_b32_e64 v31, 0, 1, s[0:1]
	v_cmp_gt_u32_e32 vcc, s7, v26
	v_cmp_neq_f32_e64 s[0:1], v6, v7
	v_or_b32_e32 v12, v16, v12
	v_or_b32_sdwa v10, v11, v10 dst_sel:WORD_1 dst_unused:UNUSED_PAD src0_sel:DWORD src1_sel:DWORD
	s_and_b64 s[0:1], vcc, s[0:1]
	v_or_b32_sdwa v17, v12, v10 dst_sel:DWORD dst_unused:UNUSED_PAD src0_sel:WORD_0 src1_sel:DWORD
	v_lshlrev_b16_e32 v10, 8, v27
	v_cndmask_b32_e64 v32, 0, 1, s[0:1]
	v_or_b32_e32 v10, v28, v10
	v_and_b32_e32 v12, 0xffff, v10
	v_lshlrev_b16_e32 v10, 8, v30
	v_lshlrev_b16_e32 v11, 8, v32
	v_or_b32_sdwa v10, v31, v10 dst_sel:WORD_1 dst_unused:UNUSED_PAD src0_sel:DWORD src1_sel:DWORD
	v_or_b32_e32 v11, 1, v11
	v_or_b32_sdwa v16, v11, v10 dst_sel:DWORD dst_unused:UNUSED_PAD src0_sel:WORD_0 src1_sel:DWORD
	v_cmp_ne_u32_e32 vcc, 0, v0
	s_waitcnt lgkmcnt(0)
	s_barrier
	s_waitcnt lgkmcnt(0)
                                        ; implicit-def: $sgpr0_sgpr1
	s_and_saveexec_b64 s[2:3], vcc
	s_cbranch_execz .LBB343_156
; %bb.42:
	v_add_u32_e32 v10, -4, v29
	ds_read_b32 v10, v10
	v_cmp_gt_u32_e32 vcc, s7, v25
	s_or_b64 s[36:37], s[36:37], exec
	s_waitcnt lgkmcnt(0)
	v_cmp_neq_f32_e64 s[0:1], v10, v6
	s_and_b64 s[0:1], vcc, s[0:1]
	s_and_b64 s[0:1], s[0:1], exec
                                        ; implicit-def: $vgpr10_vgpr11_vgpr12
	s_or_b64 exec, exec, s[2:3]
.LBB343_43:
	s_and_saveexec_b64 s[2:3], s[36:37]
	s_cbranch_execz .LBB343_45
.LBB343_44:
	v_lshlrev_b16_e32 v11, 8, v27
	v_or_b32_sdwa v11, v28, v11 dst_sel:DWORD dst_unused:UNUSED_PAD src0_sel:BYTE_0 src1_sel:DWORD
	v_cndmask_b32_e64 v10, 0, 1, s[0:1]
	s_movk_i32 s0, 0xff
	v_and_b32_e32 v12, 0xffff, v11
	v_lshrrev_b32_e32 v11, 24, v16
	v_lshlrev_b16_e32 v11, 8, v11
	v_and_b32_sdwa v27, v16, s0 dst_sel:DWORD dst_unused:UNUSED_PAD src0_sel:WORD_1 src1_sel:DWORD
	v_or_b32_sdwa v11, v27, v11 dst_sel:WORD_1 dst_unused:UNUSED_PAD src0_sel:DWORD src1_sel:DWORD
	v_mov_b32_e32 v27, 8
	v_lshrrev_b32_sdwa v16, v27, v16 dst_sel:BYTE_1 dst_unused:UNUSED_PAD src0_sel:DWORD src1_sel:DWORD
	v_or_b32_e32 v10, v10, v16
	v_or_b32_sdwa v16, v10, v11 dst_sel:DWORD dst_unused:UNUSED_PAD src0_sel:WORD_0 src1_sel:DWORD
.LBB343_45:
	s_or_b64 exec, exec, s[2:3]
	s_load_dwordx2 s[20:21], s[4:5], 0x60
	s_andn2_b64 vcc, exec, s[30:31]
	s_cbranch_vccnz .LBB343_47
; %bb.46:
	v_and_b32_e32 v11, 0xffff0000, v16
	v_cmp_gt_u32_e32 vcc, s7, v25
	v_cndmask_b32_e32 v11, v11, v16, vcc
	v_and_b32_e32 v11, 0xffff00ff, v11
	v_cmp_gt_u32_e32 vcc, s7, v26
	v_cndmask_b32_e32 v11, v11, v16, vcc
	v_lshrrev_b32_e32 v25, 24, v11
	s_mov_b32 s0, 0x40c0100
	v_perm_b32 v11, v25, v11, s0
	v_cmp_gt_u32_e32 vcc, s7, v24
	v_cndmask_b32_e32 v11, v11, v16, vcc
	v_and_b32_e32 v11, 0xffffff, v11
	v_cmp_gt_u32_e32 vcc, s7, v23
	v_cndmask_b32_e32 v11, v11, v16, vcc
	v_and_b32_e32 v23, 0xffffff00, v17
	;; [unrolled: 3-line block ×3, first 2 shown]
	v_cndmask_b32_e32 v11, v11, v16, vcc
	v_cmp_gt_u32_e32 vcc, s7, v21
	v_cndmask_b32_e32 v21, v22, v17, vcc
	v_lshrrev_b32_e32 v22, 24, v21
	v_and_b32_e32 v10, 0xffff0000, v12
	v_cndmask_b32_e32 v11, v11, v16, vcc
	v_perm_b32 v21, v22, v21, s0
	v_cmp_gt_u32_e32 vcc, s7, v20
	v_cmp_gt_u32_e64 s[0:1], s7, v18
	v_cmp_gt_u32_e64 s[2:3], s7, v13
	v_cndmask_b32_e32 v20, v21, v17, vcc
	v_cndmask_b32_e32 v11, v11, v16, vcc
	v_cmp_gt_u32_e32 vcc, s7, v19
	v_cndmask_b32_e64 v10, v10, v12, s[0:1]
	s_or_b64 s[0:1], s[2:3], s[0:1]
	s_or_b64 vcc, s[0:1], vcc
	v_and_b32_e32 v10, 0xffff00ff, v10
	v_cndmask_b32_e32 v11, v11, v16, vcc
	s_mov_b32 s0, 0x3020104
	v_cndmask_b32_e64 v10, v10, v12, s[2:3]
	v_perm_b32 v16, v11, v11, s0
	v_mov_b32_e32 v11, 8
	v_lshrrev_b32_sdwa v11, v11, v10 dst_sel:BYTE_1 dst_unused:UNUSED_PAD src0_sel:DWORD src1_sel:DWORD
	v_and_b32_e32 v19, 0xffffff, v20
	v_or_b32_sdwa v10, v10, v11 dst_sel:DWORD dst_unused:UNUSED_PAD src0_sel:BYTE_0 src1_sel:DWORD
	v_cndmask_b32_e32 v17, v19, v17, vcc
	v_and_b32_e32 v12, 0xffff, v10
.LBB343_47:
	v_alignbit_b32 v10, v17, v16, 24
	v_bfe_u32 v27, v16, 16, 8
	v_and_b32_e32 v29, 0xff, v10
	v_add_u32_sdwa v11, v16, v16 dst_sel:DWORD dst_unused:UNUSED_PAD src0_sel:BYTE_1 src1_sel:BYTE_0
	v_and_b32_e32 v31, 0xff, v17
	v_bfe_u32 v33, v17, 8, 8
	v_add3_u32 v11, v11, v27, v29
	v_bfe_u32 v35, v17, 16, 8
	v_lshrrev_b32_e32 v13, 24, v17
	v_add3_u32 v11, v11, v31, v33
	v_and_b32_e32 v37, 0xff, v12
	v_bfe_u32 v10, v12, 8, 8
	v_add3_u32 v11, v11, v35, v13
	v_add3_u32 v42, v11, v37, v10
	v_mbcnt_lo_u32_b32 v10, -1, 0
	v_mbcnt_hi_u32_b32 v39, -1, v10
	v_and_b32_e32 v10, 15, v39
	v_cmp_eq_u32_e64 s[14:15], 0, v10
	v_cmp_lt_u32_e64 s[12:13], 1, v10
	v_cmp_lt_u32_e64 s[10:11], 3, v10
	s_waitcnt lgkmcnt(0)
	v_cmp_lt_u32_e64 s[8:9], 7, v10
	v_and_b32_e32 v10, 16, v39
	v_cmp_eq_u32_e64 s[18:19], 0, v10
	v_or_b32_e32 v10, 63, v0
	v_cmp_lt_u32_e64 s[0:1], 31, v39
	v_lshrrev_b32_e32 v41, 6, v0
	v_cmp_eq_u32_e64 s[2:3], v10, v0
	s_and_b64 vcc, exec, s[34:35]
	s_barrier
	s_cbranch_vccz .LBB343_74
; %bb.48:
	v_mov_b32_dpp v10, v42 row_shr:1 row_mask:0xf bank_mask:0xf
	v_cndmask_b32_e64 v10, v10, 0, s[14:15]
	v_add_u32_e32 v10, v10, v42
	s_nop 1
	v_mov_b32_dpp v11, v10 row_shr:2 row_mask:0xf bank_mask:0xf
	v_cndmask_b32_e64 v11, 0, v11, s[12:13]
	v_add_u32_e32 v10, v10, v11
	s_nop 1
	;; [unrolled: 4-line block ×4, first 2 shown]
	v_mov_b32_dpp v11, v10 row_bcast:15 row_mask:0xf bank_mask:0xf
	v_cndmask_b32_e64 v11, v11, 0, s[18:19]
	v_add_u32_e32 v10, v10, v11
	s_nop 1
	v_mov_b32_dpp v11, v10 row_bcast:31 row_mask:0xf bank_mask:0xf
	v_cndmask_b32_e64 v11, 0, v11, s[0:1]
	v_add_u32_e32 v10, v10, v11
	s_and_saveexec_b64 s[16:17], s[2:3]
	s_cbranch_execz .LBB343_50
; %bb.49:
	v_lshlrev_b32_e32 v11, 2, v41
	ds_write_b32 v11, v10
.LBB343_50:
	s_or_b64 exec, exec, s[16:17]
	v_cmp_gt_u32_e32 vcc, 4, v0
	s_waitcnt lgkmcnt(0)
	s_barrier
	s_and_saveexec_b64 s[16:17], vcc
	s_cbranch_execz .LBB343_52
; %bb.51:
	v_lshlrev_b32_e32 v11, 2, v0
	ds_read_b32 v18, v11
	v_and_b32_e32 v19, 3, v39
	v_cmp_ne_u32_e32 vcc, 0, v19
	s_waitcnt lgkmcnt(0)
	v_mov_b32_dpp v20, v18 row_shr:1 row_mask:0xf bank_mask:0xf
	v_cndmask_b32_e32 v20, 0, v20, vcc
	v_add_u32_e32 v18, v20, v18
	v_cmp_lt_u32_e32 vcc, 1, v19
	s_nop 0
	v_mov_b32_dpp v20, v18 row_shr:2 row_mask:0xf bank_mask:0xf
	v_cndmask_b32_e32 v19, 0, v20, vcc
	v_add_u32_e32 v18, v18, v19
	ds_write_b32 v11, v18
.LBB343_52:
	s_or_b64 exec, exec, s[16:17]
	v_cmp_gt_u32_e32 vcc, 64, v0
	v_cmp_lt_u32_e64 s[16:17], 63, v0
	s_waitcnt lgkmcnt(0)
	s_barrier
	s_waitcnt lgkmcnt(0)
                                        ; implicit-def: $vgpr26
	s_and_saveexec_b64 s[30:31], s[16:17]
	s_cbranch_execz .LBB343_54
; %bb.53:
	v_lshl_add_u32 v11, v41, 2, -4
	ds_read_b32 v26, v11
	s_waitcnt lgkmcnt(0)
	v_add_u32_e32 v10, v26, v10
.LBB343_54:
	s_or_b64 exec, exec, s[30:31]
	v_add_u32_e32 v11, -1, v39
	v_and_b32_e32 v18, 64, v39
	v_cmp_lt_i32_e64 s[16:17], v11, v18
	v_cndmask_b32_e64 v11, v11, v39, s[16:17]
	v_lshlrev_b32_e32 v11, 2, v11
	ds_bpermute_b32 v28, v11, v10
	v_cmp_eq_u32_e64 s[16:17], 0, v39
	s_and_saveexec_b64 s[30:31], vcc
	s_cbranch_execz .LBB343_73
; %bb.55:
	v_mov_b32_e32 v23, 0
	ds_read_b32 v10, v23 offset:12
	s_and_saveexec_b64 s[34:35], s[16:17]
	s_cbranch_execz .LBB343_57
; %bb.56:
	s_add_i32 s36, s6, 64
	s_mov_b32 s37, 0
	s_lshl_b64 s[36:37], s[36:37], 3
	s_add_u32 s36, s20, s36
	v_mov_b32_e32 v11, 1
	s_addc_u32 s37, s21, s37
	s_waitcnt lgkmcnt(0)
	global_store_dwordx2 v23, v[10:11], s[36:37]
.LBB343_57:
	s_or_b64 exec, exec, s[34:35]
	v_xad_u32 v18, v39, -1, s6
	v_add_u32_e32 v22, 64, v18
	v_lshlrev_b64 v[20:21], 3, v[22:23]
	v_mov_b32_e32 v11, s21
	v_add_co_u32_e32 v24, vcc, s20, v20
	v_addc_co_u32_e32 v25, vcc, v11, v21, vcc
	global_load_dwordx2 v[20:21], v[24:25], off glc
	s_waitcnt vmcnt(0)
	v_cmp_eq_u16_sdwa s[36:37], v21, v23 src0_sel:BYTE_0 src1_sel:DWORD
	s_and_saveexec_b64 s[34:35], s[36:37]
	s_cbranch_execz .LBB343_61
; %bb.58:
	s_mov_b64 s[36:37], 0
	v_mov_b32_e32 v11, 0
.LBB343_59:                             ; =>This Inner Loop Header: Depth=1
	global_load_dwordx2 v[20:21], v[24:25], off glc
	s_waitcnt vmcnt(0)
	v_cmp_ne_u16_sdwa s[38:39], v21, v11 src0_sel:BYTE_0 src1_sel:DWORD
	s_or_b64 s[36:37], s[38:39], s[36:37]
	s_andn2_b64 exec, exec, s[36:37]
	s_cbranch_execnz .LBB343_59
; %bb.60:
	s_or_b64 exec, exec, s[36:37]
.LBB343_61:
	s_or_b64 exec, exec, s[34:35]
	v_and_b32_e32 v32, 63, v39
	v_mov_b32_e32 v30, 2
	v_cmp_ne_u32_e32 vcc, 63, v32
	v_cmp_eq_u16_sdwa s[34:35], v21, v30 src0_sel:BYTE_0 src1_sel:DWORD
	v_lshlrev_b64 v[22:23], v39, -1
	v_addc_co_u32_e32 v24, vcc, 0, v39, vcc
	v_and_b32_e32 v11, s35, v23
	v_lshlrev_b32_e32 v34, 2, v24
	v_or_b32_e32 v11, 0x80000000, v11
	ds_bpermute_b32 v24, v34, v20
	v_and_b32_e32 v19, s34, v22
	v_ffbl_b32_e32 v11, v11
	v_add_u32_e32 v11, 32, v11
	v_ffbl_b32_e32 v19, v19
	v_min_u32_e32 v11, v19, v11
	v_cmp_lt_u32_e32 vcc, v32, v11
	s_waitcnt lgkmcnt(0)
	v_cndmask_b32_e32 v19, 0, v24, vcc
	v_cmp_gt_u32_e32 vcc, 62, v32
	v_add_u32_e32 v19, v19, v20
	v_cndmask_b32_e64 v20, 0, 1, vcc
	v_lshlrev_b32_e32 v20, 1, v20
	v_add_lshl_u32 v36, v20, v39, 2
	ds_bpermute_b32 v20, v36, v19
	v_add_u32_e32 v38, 2, v32
	v_cmp_le_u32_e32 vcc, v38, v11
	v_add_u32_e32 v43, 4, v32
	v_add_u32_e32 v45, 8, v32
	s_waitcnt lgkmcnt(0)
	v_cndmask_b32_e32 v20, 0, v20, vcc
	v_cmp_gt_u32_e32 vcc, 60, v32
	v_add_u32_e32 v19, v19, v20
	v_cndmask_b32_e64 v20, 0, 1, vcc
	v_lshlrev_b32_e32 v20, 2, v20
	v_add_lshl_u32 v40, v20, v39, 2
	ds_bpermute_b32 v20, v40, v19
	v_cmp_le_u32_e32 vcc, v43, v11
	v_add_u32_e32 v47, 16, v32
	v_add_u32_e32 v49, 32, v32
	s_waitcnt lgkmcnt(0)
	v_cndmask_b32_e32 v20, 0, v20, vcc
	v_cmp_gt_u32_e32 vcc, 56, v32
	v_add_u32_e32 v19, v19, v20
	v_cndmask_b32_e64 v20, 0, 1, vcc
	v_lshlrev_b32_e32 v20, 3, v20
	v_add_lshl_u32 v44, v20, v39, 2
	ds_bpermute_b32 v20, v44, v19
	v_cmp_le_u32_e32 vcc, v45, v11
	s_waitcnt lgkmcnt(0)
	v_cndmask_b32_e32 v20, 0, v20, vcc
	v_cmp_gt_u32_e32 vcc, 48, v32
	v_add_u32_e32 v19, v19, v20
	v_cndmask_b32_e64 v20, 0, 1, vcc
	v_lshlrev_b32_e32 v20, 4, v20
	v_add_lshl_u32 v46, v20, v39, 2
	ds_bpermute_b32 v20, v46, v19
	v_cmp_le_u32_e32 vcc, v47, v11
	;; [unrolled: 9-line block ×3, first 2 shown]
	s_waitcnt lgkmcnt(0)
	v_cndmask_b32_e32 v11, 0, v20, vcc
	v_add_u32_e32 v20, v19, v11
	v_mov_b32_e32 v19, 0
	s_branch .LBB343_63
.LBB343_62:                             ;   in Loop: Header=BB343_63 Depth=1
	s_or_b64 exec, exec, s[34:35]
	v_cmp_eq_u16_sdwa s[34:35], v21, v30 src0_sel:BYTE_0 src1_sel:DWORD
	v_and_b32_e32 v24, s35, v23
	v_or_b32_e32 v24, 0x80000000, v24
	ds_bpermute_b32 v50, v34, v20
	v_and_b32_e32 v25, s34, v22
	v_ffbl_b32_e32 v24, v24
	v_add_u32_e32 v24, 32, v24
	v_ffbl_b32_e32 v25, v25
	v_min_u32_e32 v24, v25, v24
	v_cmp_lt_u32_e32 vcc, v32, v24
	s_waitcnt lgkmcnt(0)
	v_cndmask_b32_e32 v25, 0, v50, vcc
	v_add_u32_e32 v20, v25, v20
	ds_bpermute_b32 v25, v36, v20
	v_cmp_le_u32_e32 vcc, v38, v24
	v_subrev_u32_e32 v18, 64, v18
	s_waitcnt lgkmcnt(0)
	v_cndmask_b32_e32 v25, 0, v25, vcc
	v_add_u32_e32 v20, v20, v25
	ds_bpermute_b32 v25, v40, v20
	v_cmp_le_u32_e32 vcc, v43, v24
	s_waitcnt lgkmcnt(0)
	v_cndmask_b32_e32 v25, 0, v25, vcc
	v_add_u32_e32 v20, v20, v25
	ds_bpermute_b32 v25, v44, v20
	v_cmp_le_u32_e32 vcc, v45, v24
	;; [unrolled: 5-line block ×4, first 2 shown]
	s_waitcnt lgkmcnt(0)
	v_cndmask_b32_e32 v24, 0, v25, vcc
	v_add3_u32 v20, v24, v11, v20
.LBB343_63:                             ; =>This Loop Header: Depth=1
                                        ;     Child Loop BB343_66 Depth 2
	v_cmp_ne_u16_sdwa s[34:35], v21, v30 src0_sel:BYTE_0 src1_sel:DWORD
	v_cndmask_b32_e64 v11, 0, 1, s[34:35]
	;;#ASMSTART
	;;#ASMEND
	v_cmp_ne_u32_e32 vcc, 0, v11
	s_cmp_lg_u64 vcc, exec
	v_mov_b32_e32 v11, v20
	s_cbranch_scc1 .LBB343_68
; %bb.64:                               ;   in Loop: Header=BB343_63 Depth=1
	v_lshlrev_b64 v[20:21], 3, v[18:19]
	v_mov_b32_e32 v25, s21
	v_add_co_u32_e32 v24, vcc, s20, v20
	v_addc_co_u32_e32 v25, vcc, v25, v21, vcc
	global_load_dwordx2 v[20:21], v[24:25], off glc
	s_waitcnt vmcnt(0)
	v_cmp_eq_u16_sdwa s[36:37], v21, v19 src0_sel:BYTE_0 src1_sel:DWORD
	s_and_saveexec_b64 s[34:35], s[36:37]
	s_cbranch_execz .LBB343_62
; %bb.65:                               ;   in Loop: Header=BB343_63 Depth=1
	s_mov_b64 s[36:37], 0
.LBB343_66:                             ;   Parent Loop BB343_63 Depth=1
                                        ; =>  This Inner Loop Header: Depth=2
	global_load_dwordx2 v[20:21], v[24:25], off glc
	s_waitcnt vmcnt(0)
	v_cmp_ne_u16_sdwa s[38:39], v21, v19 src0_sel:BYTE_0 src1_sel:DWORD
	s_or_b64 s[36:37], s[38:39], s[36:37]
	s_andn2_b64 exec, exec, s[36:37]
	s_cbranch_execnz .LBB343_66
; %bb.67:                               ;   in Loop: Header=BB343_63 Depth=1
	s_or_b64 exec, exec, s[36:37]
	s_branch .LBB343_62
.LBB343_68:                             ;   in Loop: Header=BB343_63 Depth=1
                                        ; implicit-def: $vgpr20
                                        ; implicit-def: $vgpr21
	s_cbranch_execz .LBB343_63
; %bb.69:
	s_and_saveexec_b64 s[34:35], s[16:17]
	s_cbranch_execz .LBB343_71
; %bb.70:
	s_add_i32 s6, s6, 64
	s_mov_b32 s7, 0
	s_lshl_b64 s[6:7], s[6:7], 3
	s_add_u32 s6, s20, s6
	v_add_u32_e32 v18, v11, v10
	v_mov_b32_e32 v19, 2
	s_addc_u32 s7, s21, s7
	v_mov_b32_e32 v20, 0
	global_store_dwordx2 v20, v[18:19], s[6:7]
	ds_write_b64 v20, v[10:11] offset:10240
.LBB343_71:
	s_or_b64 exec, exec, s[34:35]
	v_cmp_eq_u32_e32 vcc, 0, v0
	s_and_b64 exec, exec, vcc
	s_cbranch_execz .LBB343_73
; %bb.72:
	v_mov_b32_e32 v10, 0
	ds_write_b32 v10, v11 offset:12
.LBB343_73:
	s_or_b64 exec, exec, s[30:31]
	v_mov_b32_e32 v10, 0
	s_waitcnt lgkmcnt(0)
	s_barrier
	ds_read_b32 v11, v10 offset:12
	v_cndmask_b32_e64 v18, v28, v26, s[16:17]
	v_cmp_ne_u32_e32 vcc, 0, v0
	v_cndmask_b32_e32 v18, 0, v18, vcc
	s_waitcnt lgkmcnt(0)
	v_add_u32_e32 v40, v11, v18
	v_add_u32_sdwa v38, v40, v16 dst_sel:DWORD dst_unused:UNUSED_PAD src0_sel:DWORD src1_sel:BYTE_0
	v_add_u32_sdwa v36, v38, v16 dst_sel:DWORD dst_unused:UNUSED_PAD src0_sel:DWORD src1_sel:BYTE_1
	v_add_u32_e32 v34, v36, v27
	v_add_u32_e32 v32, v34, v29
	s_barrier
	ds_read_b64 v[10:11], v10 offset:10240
	v_add_u32_e32 v30, v32, v31
	v_add_u32_e32 v28, v30, v33
	;; [unrolled: 1-line block ×5, first 2 shown]
	s_waitcnt lgkmcnt(0)
	v_mov_b32_e32 v18, v11
	s_load_dwordx2 s[4:5], s[4:5], 0x28
	v_lshrrev_b64 v[24:25], 24, v[16:17]
	s_branch .LBB343_84
.LBB343_74:
                                        ; implicit-def: $vgpr18
                                        ; implicit-def: $vgpr10
                                        ; implicit-def: $vgpr20
                                        ; implicit-def: $vgpr22
                                        ; implicit-def: $vgpr26
                                        ; implicit-def: $vgpr28
                                        ; implicit-def: $vgpr30
                                        ; implicit-def: $vgpr32
                                        ; implicit-def: $vgpr34
                                        ; implicit-def: $vgpr36
                                        ; implicit-def: $vgpr38
                                        ; implicit-def: $vgpr40
	s_load_dwordx2 s[4:5], s[4:5], 0x28
	v_lshrrev_b64 v[24:25], 24, v[16:17]
	s_cbranch_execz .LBB343_84
; %bb.75:
	v_mov_b32_dpp v10, v42 row_shr:1 row_mask:0xf bank_mask:0xf
	v_cndmask_b32_e64 v10, v10, 0, s[14:15]
	v_add_u32_e32 v10, v10, v42
	s_nop 1
	v_mov_b32_dpp v11, v10 row_shr:2 row_mask:0xf bank_mask:0xf
	v_cndmask_b32_e64 v11, 0, v11, s[12:13]
	v_add_u32_e32 v10, v10, v11
	s_nop 1
	;; [unrolled: 4-line block ×4, first 2 shown]
	v_mov_b32_dpp v11, v10 row_bcast:15 row_mask:0xf bank_mask:0xf
	v_cndmask_b32_e64 v11, v11, 0, s[18:19]
	v_add_u32_e32 v10, v10, v11
	s_nop 1
	v_mov_b32_dpp v11, v10 row_bcast:31 row_mask:0xf bank_mask:0xf
	v_cndmask_b32_e64 v11, 0, v11, s[0:1]
	v_add_u32_e32 v10, v10, v11
	s_and_saveexec_b64 s[0:1], s[2:3]
	s_cbranch_execz .LBB343_77
; %bb.76:
	v_lshlrev_b32_e32 v11, 2, v41
	ds_write_b32 v11, v10
.LBB343_77:
	s_or_b64 exec, exec, s[0:1]
	v_cmp_gt_u32_e32 vcc, 4, v0
	s_waitcnt lgkmcnt(0)
	s_barrier
	s_and_saveexec_b64 s[0:1], vcc
	s_cbranch_execz .LBB343_79
; %bb.78:
	s_movk_i32 s2, 0xffdc
	v_mad_i32_i24 v1, v0, s2, v1
	ds_read_b32 v11, v1
	v_and_b32_e32 v18, 3, v39
	v_cmp_ne_u32_e32 vcc, 0, v18
	s_waitcnt lgkmcnt(0)
	v_mov_b32_dpp v19, v11 row_shr:1 row_mask:0xf bank_mask:0xf
	v_cndmask_b32_e32 v19, 0, v19, vcc
	v_add_u32_e32 v11, v19, v11
	v_cmp_lt_u32_e32 vcc, 1, v18
	s_nop 0
	v_mov_b32_dpp v19, v11 row_shr:2 row_mask:0xf bank_mask:0xf
	v_cndmask_b32_e32 v18, 0, v19, vcc
	v_add_u32_e32 v11, v11, v18
	ds_write_b32 v1, v11
.LBB343_79:
	s_or_b64 exec, exec, s[0:1]
	v_cmp_lt_u32_e32 vcc, 63, v0
	v_mov_b32_e32 v11, 0
	v_mov_b32_e32 v1, 0
	s_waitcnt lgkmcnt(0)
	s_barrier
	s_and_saveexec_b64 s[0:1], vcc
	s_cbranch_execz .LBB343_81
; %bb.80:
	v_lshl_add_u32 v1, v41, 2, -4
	ds_read_b32 v1, v1
.LBB343_81:
	s_or_b64 exec, exec, s[0:1]
	v_add_u32_e32 v18, -1, v39
	v_and_b32_e32 v19, 64, v39
	v_cmp_lt_i32_e32 vcc, v18, v19
	v_cndmask_b32_e32 v18, v18, v39, vcc
	s_waitcnt lgkmcnt(0)
	v_add_u32_e32 v10, v1, v10
	v_lshlrev_b32_e32 v18, 2, v18
	ds_bpermute_b32 v18, v18, v10
	ds_read_b32 v10, v11 offset:12
	v_cmp_eq_u32_e32 vcc, 0, v0
	s_and_saveexec_b64 s[0:1], vcc
	s_cbranch_execz .LBB343_83
; %bb.82:
	v_mov_b32_e32 v19, 0
	v_mov_b32_e32 v11, 2
	s_waitcnt lgkmcnt(0)
	global_store_dwordx2 v19, v[10:11], s[20:21] offset:512
.LBB343_83:
	s_or_b64 exec, exec, s[0:1]
	v_cmp_eq_u32_e64 s[0:1], 0, v39
	s_waitcnt lgkmcnt(1)
	v_cndmask_b32_e64 v1, v18, v1, s[0:1]
	v_cndmask_b32_e64 v40, v1, 0, vcc
	v_add_u32_sdwa v38, v40, v16 dst_sel:DWORD dst_unused:UNUSED_PAD src0_sel:DWORD src1_sel:BYTE_0
	v_add_u32_sdwa v36, v38, v16 dst_sel:DWORD dst_unused:UNUSED_PAD src0_sel:DWORD src1_sel:BYTE_1
	v_add_u32_e32 v34, v36, v27
	v_add_u32_e32 v32, v34, v29
	;; [unrolled: 1-line block ×6, first 2 shown]
	v_mov_b32_e32 v18, 0
	v_add_u32_e32 v20, v22, v37
	s_waitcnt lgkmcnt(0)
	s_barrier
.LBB343_84:
	s_movk_i32 s0, 0x101
	v_cmp_gt_u32_e32 vcc, s0, v10
	v_lshrrev_b32_e32 v19, 8, v16
	v_lshrrev_b32_e32 v11, 8, v17
	v_lshrrev_b32_e32 v1, 8, v12
	s_mov_b64 s[0:1], -1
	s_cbranch_vccnz .LBB343_88
; %bb.85:
	s_and_b64 vcc, exec, s[0:1]
	s_cbranch_vccnz .LBB343_119
.LBB343_86:
	v_cmp_eq_u32_e32 vcc, 0, v0
	s_and_b64 s[0:1], vcc, s[26:27]
	s_and_saveexec_b64 s[2:3], s[0:1]
	s_cbranch_execnz .LBB343_155
.LBB343_87:
	s_endpgm
.LBB343_88:
	v_add_u32_e32 v21, v18, v10
	s_lshl_b64 s[0:1], s[22:23], 2
	s_waitcnt lgkmcnt(0)
	s_add_u32 s2, s4, s0
	v_cmp_lt_u32_e32 vcc, v40, v21
	s_addc_u32 s3, s5, s1
	s_or_b64 s[6:7], s[28:29], vcc
	s_and_saveexec_b64 s[0:1], s[6:7]
	s_cbranch_execz .LBB343_91
; %bb.89:
	v_and_b32_e32 v23, 1, v16
	v_cmp_eq_u32_e32 vcc, 1, v23
	s_and_b64 exec, exec, vcc
	s_cbranch_execz .LBB343_91
; %bb.90:
	v_mov_b32_e32 v41, 0
	v_lshlrev_b64 v[42:43], 2, v[40:41]
	v_mov_b32_e32 v23, s3
	v_add_co_u32_e32 v42, vcc, s2, v42
	v_addc_co_u32_e32 v43, vcc, v23, v43, vcc
	global_store_dword v[42:43], v6, off
.LBB343_91:
	s_or_b64 exec, exec, s[0:1]
	v_cmp_lt_u32_e32 vcc, v38, v21
	s_or_b64 s[6:7], s[28:29], vcc
	s_and_saveexec_b64 s[0:1], s[6:7]
	s_cbranch_execz .LBB343_94
; %bb.92:
	v_and_b32_e32 v23, 1, v19
	v_cmp_eq_u32_e32 vcc, 1, v23
	s_and_b64 exec, exec, vcc
	s_cbranch_execz .LBB343_94
; %bb.93:
	v_mov_b32_e32 v39, 0
	v_lshlrev_b64 v[42:43], 2, v[38:39]
	v_mov_b32_e32 v23, s3
	v_add_co_u32_e32 v42, vcc, s2, v42
	v_addc_co_u32_e32 v43, vcc, v23, v43, vcc
	global_store_dword v[42:43], v7, off
.LBB343_94:
	s_or_b64 exec, exec, s[0:1]
	v_cmp_lt_u32_e32 vcc, v36, v21
	s_or_b64 s[6:7], s[28:29], vcc
	s_and_saveexec_b64 s[0:1], s[6:7]
	s_cbranch_execz .LBB343_97
; %bb.95:
	v_mov_b32_e32 v23, 1
	v_and_b32_sdwa v23, v23, v16 dst_sel:DWORD dst_unused:UNUSED_PAD src0_sel:DWORD src1_sel:WORD_1
	v_cmp_eq_u32_e32 vcc, 1, v23
	s_and_b64 exec, exec, vcc
	s_cbranch_execz .LBB343_97
; %bb.96:
	v_mov_b32_e32 v37, 0
	v_lshlrev_b64 v[42:43], 2, v[36:37]
	v_mov_b32_e32 v23, s3
	v_add_co_u32_e32 v42, vcc, s2, v42
	v_addc_co_u32_e32 v43, vcc, v23, v43, vcc
	global_store_dword v[42:43], v8, off
.LBB343_97:
	s_or_b64 exec, exec, s[0:1]
	v_cmp_lt_u32_e32 vcc, v34, v21
	s_or_b64 s[6:7], s[28:29], vcc
	s_and_saveexec_b64 s[0:1], s[6:7]
	s_cbranch_execz .LBB343_100
; %bb.98:
	v_and_b32_e32 v23, 1, v24
	v_cmp_eq_u32_e32 vcc, 1, v23
	s_and_b64 exec, exec, vcc
	s_cbranch_execz .LBB343_100
; %bb.99:
	v_mov_b32_e32 v35, 0
	v_lshlrev_b64 v[42:43], 2, v[34:35]
	v_mov_b32_e32 v23, s3
	v_add_co_u32_e32 v42, vcc, s2, v42
	v_addc_co_u32_e32 v43, vcc, v23, v43, vcc
	global_store_dword v[42:43], v9, off
.LBB343_100:
	s_or_b64 exec, exec, s[0:1]
	v_cmp_lt_u32_e32 vcc, v32, v21
	s_or_b64 s[6:7], s[28:29], vcc
	s_and_saveexec_b64 s[0:1], s[6:7]
	s_cbranch_execz .LBB343_103
; %bb.101:
	v_and_b32_e32 v23, 1, v17
	v_cmp_eq_u32_e32 vcc, 1, v23
	s_and_b64 exec, exec, vcc
	s_cbranch_execz .LBB343_103
; %bb.102:
	v_mov_b32_e32 v33, 0
	v_lshlrev_b64 v[42:43], 2, v[32:33]
	v_mov_b32_e32 v23, s3
	v_add_co_u32_e32 v42, vcc, s2, v42
	v_addc_co_u32_e32 v43, vcc, v23, v43, vcc
	global_store_dword v[42:43], v2, off
.LBB343_103:
	;; [unrolled: 18-line block ×3, first 2 shown]
	s_or_b64 exec, exec, s[0:1]
	v_cmp_lt_u32_e32 vcc, v28, v21
	s_or_b64 s[6:7], s[28:29], vcc
	s_and_saveexec_b64 s[0:1], s[6:7]
	s_cbranch_execz .LBB343_109
; %bb.107:
	v_mov_b32_e32 v23, 1
	v_and_b32_sdwa v23, v23, v17 dst_sel:DWORD dst_unused:UNUSED_PAD src0_sel:DWORD src1_sel:WORD_1
	v_cmp_eq_u32_e32 vcc, 1, v23
	s_and_b64 exec, exec, vcc
	s_cbranch_execz .LBB343_109
; %bb.108:
	v_mov_b32_e32 v29, 0
	v_lshlrev_b64 v[42:43], 2, v[28:29]
	v_mov_b32_e32 v23, s3
	v_add_co_u32_e32 v42, vcc, s2, v42
	v_addc_co_u32_e32 v43, vcc, v23, v43, vcc
	global_store_dword v[42:43], v4, off
.LBB343_109:
	s_or_b64 exec, exec, s[0:1]
	v_cmp_lt_u32_e32 vcc, v26, v21
	s_or_b64 s[6:7], s[28:29], vcc
	s_and_saveexec_b64 s[0:1], s[6:7]
	s_cbranch_execz .LBB343_112
; %bb.110:
	v_and_b32_e32 v23, 1, v13
	v_cmp_eq_u32_e32 vcc, 1, v23
	s_and_b64 exec, exec, vcc
	s_cbranch_execz .LBB343_112
; %bb.111:
	v_mov_b32_e32 v27, 0
	v_lshlrev_b64 v[42:43], 2, v[26:27]
	v_mov_b32_e32 v23, s3
	v_add_co_u32_e32 v42, vcc, s2, v42
	v_addc_co_u32_e32 v43, vcc, v23, v43, vcc
	global_store_dword v[42:43], v5, off
.LBB343_112:
	s_or_b64 exec, exec, s[0:1]
	v_cmp_lt_u32_e32 vcc, v22, v21
	s_or_b64 s[6:7], s[28:29], vcc
	s_and_saveexec_b64 s[0:1], s[6:7]
	s_cbranch_execz .LBB343_115
; %bb.113:
	v_and_b32_e32 v23, 1, v12
	v_cmp_eq_u32_e32 vcc, 1, v23
	s_and_b64 exec, exec, vcc
	s_cbranch_execz .LBB343_115
; %bb.114:
	v_mov_b32_e32 v23, 0
	v_lshlrev_b64 v[42:43], 2, v[22:23]
	v_mov_b32_e32 v23, s3
	v_add_co_u32_e32 v42, vcc, s2, v42
	v_addc_co_u32_e32 v43, vcc, v23, v43, vcc
	global_store_dword v[42:43], v14, off
.LBB343_115:
	;; [unrolled: 18-line block ×3, first 2 shown]
	s_or_b64 exec, exec, s[0:1]
	s_branch .LBB343_86
.LBB343_119:
	v_and_b32_e32 v21, 1, v16
	v_cmp_eq_u32_e32 vcc, 1, v21
	s_and_saveexec_b64 s[0:1], vcc
	s_cbranch_execz .LBB343_121
; %bb.120:
	v_sub_u32_e32 v21, v40, v18
	v_lshlrev_b32_e32 v21, 2, v21
	ds_write_b32 v21, v6
.LBB343_121:
	s_or_b64 exec, exec, s[0:1]
	v_and_b32_e32 v6, 1, v19
	v_cmp_eq_u32_e32 vcc, 1, v6
	s_and_saveexec_b64 s[0:1], vcc
	s_cbranch_execz .LBB343_123
; %bb.122:
	v_sub_u32_e32 v6, v38, v18
	v_lshlrev_b32_e32 v6, 2, v6
	ds_write_b32 v6, v7
.LBB343_123:
	s_or_b64 exec, exec, s[0:1]
	v_mov_b32_e32 v6, 1
	v_and_b32_sdwa v6, v6, v16 dst_sel:DWORD dst_unused:UNUSED_PAD src0_sel:DWORD src1_sel:WORD_1
	v_cmp_eq_u32_e32 vcc, 1, v6
	s_and_saveexec_b64 s[0:1], vcc
	s_cbranch_execz .LBB343_125
; %bb.124:
	v_sub_u32_e32 v6, v36, v18
	v_lshlrev_b32_e32 v6, 2, v6
	ds_write_b32 v6, v8
.LBB343_125:
	s_or_b64 exec, exec, s[0:1]
	v_and_b32_e32 v6, 1, v24
	v_cmp_eq_u32_e32 vcc, 1, v6
	s_and_saveexec_b64 s[0:1], vcc
	s_cbranch_execz .LBB343_127
; %bb.126:
	v_sub_u32_e32 v6, v34, v18
	v_lshlrev_b32_e32 v6, 2, v6
	ds_write_b32 v6, v9
.LBB343_127:
	s_or_b64 exec, exec, s[0:1]
	v_and_b32_e32 v6, 1, v17
	;; [unrolled: 10-line block ×3, first 2 shown]
	v_cmp_eq_u32_e32 vcc, 1, v2
	s_and_saveexec_b64 s[0:1], vcc
	s_cbranch_execz .LBB343_131
; %bb.130:
	v_sub_u32_e32 v2, v30, v18
	v_lshlrev_b32_e32 v2, 2, v2
	ds_write_b32 v2, v3
.LBB343_131:
	s_or_b64 exec, exec, s[0:1]
	v_mov_b32_e32 v2, 1
	v_and_b32_sdwa v2, v2, v17 dst_sel:DWORD dst_unused:UNUSED_PAD src0_sel:DWORD src1_sel:WORD_1
	v_cmp_eq_u32_e32 vcc, 1, v2
	s_and_saveexec_b64 s[0:1], vcc
	s_cbranch_execz .LBB343_133
; %bb.132:
	v_sub_u32_e32 v2, v28, v18
	v_lshlrev_b32_e32 v2, 2, v2
	ds_write_b32 v2, v4
.LBB343_133:
	s_or_b64 exec, exec, s[0:1]
	v_and_b32_e32 v2, 1, v13
	v_cmp_eq_u32_e32 vcc, 1, v2
	s_and_saveexec_b64 s[0:1], vcc
	s_cbranch_execz .LBB343_135
; %bb.134:
	v_sub_u32_e32 v2, v26, v18
	v_lshlrev_b32_e32 v2, 2, v2
	ds_write_b32 v2, v5
.LBB343_135:
	s_or_b64 exec, exec, s[0:1]
	v_and_b32_e32 v2, 1, v12
	;; [unrolled: 10-line block ×3, first 2 shown]
	v_cmp_eq_u32_e32 vcc, 1, v1
	s_and_saveexec_b64 s[0:1], vcc
	s_cbranch_execz .LBB343_139
; %bb.138:
	v_sub_u32_e32 v1, v20, v18
	v_lshlrev_b32_e32 v1, 2, v1
	ds_write_b32 v1, v15
.LBB343_139:
	s_or_b64 exec, exec, s[0:1]
	v_cmp_lt_u32_e32 vcc, v0, v10
	s_waitcnt lgkmcnt(0)
	s_barrier
	s_and_saveexec_b64 s[6:7], vcc
	s_cbranch_execz .LBB343_154
; %bb.140:
	s_lshl_b64 s[0:1], s[22:23], 2
	v_mov_b32_e32 v19, 0
	s_add_u32 s0, s4, s0
	s_addc_u32 s1, s5, s1
	v_lshlrev_b64 v[2:3], 2, v[18:19]
	v_mov_b32_e32 v1, s1
	v_add_co_u32_e32 v6, vcc, s0, v2
	v_addc_co_u32_e32 v7, vcc, v1, v3, vcc
	v_xad_u32 v1, v0, -1, v10
	s_movk_i32 s0, 0x1700
	v_cmp_gt_u32_e32 vcc, s0, v1
	s_movk_i32 s0, 0x16ff
	v_cmp_lt_u32_e64 s[0:1], s0, v1
	v_mov_b32_e32 v2, v0
	s_and_saveexec_b64 s[4:5], s[0:1]
	s_cbranch_execz .LBB343_151
; %bb.141:
	v_sub_u32_e32 v2, v0, v10
	v_or_b32_e32 v2, 0xff, v2
	v_cmp_ge_u32_e64 s[0:1], v2, v0
	s_mov_b64 s[2:3], -1
	v_mov_b32_e32 v2, v0
	s_and_saveexec_b64 s[8:9], s[0:1]
	s_cbranch_execz .LBB343_150
; %bb.142:
	v_lshrrev_b32_e32 v8, 8, v1
	v_add_u32_e32 v2, -1, v8
	v_or_b32_e32 v1, 0x100, v0
	v_lshrrev_b32_e32 v3, 1, v2
	v_add_u32_e32 v11, 1, v3
	v_cmp_lt_u32_e64 s[0:1], 13, v2
	v_mov_b32_e32 v14, 0
	v_lshlrev_b32_e32 v9, 2, v0
	v_pk_mov_b32 v[2:3], v[0:1], v[0:1] op_sel:[0,1]
	s_and_saveexec_b64 s[10:11], s[0:1]
	s_cbranch_execz .LBB343_146
; %bb.143:
	v_and_b32_e32 v12, -8, v11
	s_mov_b32 s14, 0
	s_mov_b64 s[12:13], 0
	v_mov_b32_e32 v5, 0
	v_mov_b32_e32 v13, v9
	v_pk_mov_b32 v[2:3], v[0:1], v[0:1] op_sel:[0,1]
.LBB343_144:                            ; =>This Inner Loop Header: Depth=1
	v_mov_b32_e32 v4, v2
	v_add_u32_e32 v12, -8, v12
	v_lshlrev_b64 v[46:47], 2, v[4:5]
	v_mov_b32_e32 v4, v3
	ds_read2st64_b32 v[16:17], v13 offset1:4
	s_add_i32 s14, s14, 16
	v_cmp_eq_u32_e64 s[0:1], 0, v12
	v_lshlrev_b64 v[50:51], 2, v[4:5]
	v_add_u32_e32 v4, 0x200, v2
	s_or_b64 s[12:13], s[0:1], s[12:13]
	v_add_co_u32_e64 v50, s[0:1], v6, v50
	v_add_u32_e32 v14, 0x200, v3
	ds_read2st64_b32 v[20:21], v13 offset0:8 offset1:12
	v_mov_b32_e32 v15, v5
	ds_read2st64_b32 v[24:25], v13 offset0:16 offset1:20
	v_add_co_u32_e64 v46, s[2:3], v6, v46
	v_addc_co_u32_e64 v51, s[0:1], v7, v51, s[0:1]
	v_lshlrev_b64 v[52:53], 2, v[4:5]
	v_lshlrev_b64 v[48:49], 2, v[14:15]
	v_addc_co_u32_e64 v47, s[2:3], v7, v47, s[2:3]
	v_add_u32_e32 v4, 0x400, v2
	v_add_co_u32_e64 v52, s[0:1], v6, v52
	v_add_u32_e32 v22, 0x400, v3
	v_mov_b32_e32 v23, v5
	ds_read2st64_b32 v[28:29], v13 offset0:24 offset1:28
	v_add_co_u32_e64 v48, s[2:3], v6, v48
	v_addc_co_u32_e64 v53, s[0:1], v7, v53, s[0:1]
	v_lshlrev_b64 v[54:55], 2, v[4:5]
	ds_read2st64_b32 v[32:33], v13 offset0:32 offset1:36
	ds_read2st64_b32 v[36:37], v13 offset0:40 offset1:44
	;; [unrolled: 1-line block ×4, first 2 shown]
	v_lshlrev_b64 v[22:23], 2, v[22:23]
	v_addc_co_u32_e64 v49, s[2:3], v7, v49, s[2:3]
	v_add_u32_e32 v4, 0x600, v2
	s_waitcnt lgkmcnt(7)
	global_store_dword v[46:47], v16, off
	global_store_dword v[50:51], v17, off
	s_waitcnt lgkmcnt(6)
	global_store_dword v[52:53], v20, off
	global_store_dword v[48:49], v21, off
	v_add_co_u32_e64 v16, s[0:1], v6, v54
	v_add_u32_e32 v26, 0x600, v3
	v_mov_b32_e32 v27, v5
	v_add_co_u32_e64 v22, s[2:3], v6, v22
	v_addc_co_u32_e64 v17, s[0:1], v7, v55, s[0:1]
	v_lshlrev_b64 v[20:21], 2, v[4:5]
	v_lshlrev_b64 v[26:27], 2, v[26:27]
	v_addc_co_u32_e64 v23, s[2:3], v7, v23, s[2:3]
	v_add_u32_e32 v4, 0x800, v2
	s_waitcnt lgkmcnt(5)
	global_store_dword v[16:17], v24, off
	global_store_dword v[22:23], v25, off
	v_add_co_u32_e64 v16, s[0:1], v6, v20
	v_add_u32_e32 v30, 0x800, v3
	v_mov_b32_e32 v31, v5
	v_add_co_u32_e64 v26, s[2:3], v6, v26
	v_addc_co_u32_e64 v17, s[0:1], v7, v21, s[0:1]
	v_lshlrev_b64 v[20:21], 2, v[4:5]
	v_lshlrev_b64 v[30:31], 2, v[30:31]
	v_addc_co_u32_e64 v27, s[2:3], v7, v27, s[2:3]
	v_add_u32_e32 v4, 0xa00, v2
	;; [unrolled: 12-line block ×4, first 2 shown]
	s_waitcnt lgkmcnt(2)
	global_store_dword v[16:17], v36, off
	global_store_dword v[34:35], v37, off
	v_add_co_u32_e64 v16, s[0:1], v6, v20
	v_add_u32_e32 v42, 0xe00, v3
	v_mov_b32_e32 v43, v5
	v_add_co_u32_e64 v38, s[2:3], v6, v38
	v_addc_co_u32_e64 v17, s[0:1], v7, v21, s[0:1]
	v_lshlrev_b64 v[20:21], 2, v[4:5]
	v_lshlrev_b64 v[42:43], 2, v[42:43]
	v_addc_co_u32_e64 v39, s[2:3], v7, v39, s[2:3]
	s_waitcnt lgkmcnt(1)
	global_store_dword v[16:17], v40, off
	global_store_dword v[38:39], v41, off
	v_add_co_u32_e64 v16, s[0:1], v6, v20
	v_add_u32_e32 v13, 0x4000, v13
	v_add_u32_e32 v3, 0x1000, v3
	v_mov_b32_e32 v14, s14
	v_add_co_u32_e64 v42, s[2:3], v6, v42
	v_add_u32_e32 v2, 0x1000, v2
	v_addc_co_u32_e64 v17, s[0:1], v7, v21, s[0:1]
	v_addc_co_u32_e64 v43, s[2:3], v7, v43, s[2:3]
	s_waitcnt lgkmcnt(0)
	global_store_dword v[16:17], v44, off
	global_store_dword v[42:43], v45, off
	s_andn2_b64 exec, exec, s[12:13]
	s_cbranch_execnz .LBB343_144
; %bb.145:
	s_or_b64 exec, exec, s[12:13]
.LBB343_146:
	s_or_b64 exec, exec, s[10:11]
	v_and_b32_e32 v1, 7, v11
	v_cmp_ne_u32_e64 s[0:1], 0, v1
	s_and_saveexec_b64 s[10:11], s[0:1]
	s_cbranch_execz .LBB343_149
; %bb.147:
	v_lshl_or_b32 v9, v14, 10, v9
	s_mov_b64 s[12:13], 0
	v_mov_b32_e32 v5, 0
.LBB343_148:                            ; =>This Inner Loop Header: Depth=1
	ds_read2st64_b32 v[12:13], v9 offset1:4
	v_mov_b32_e32 v4, v2
	v_add_u32_e32 v1, -1, v1
	v_lshlrev_b64 v[14:15], 2, v[4:5]
	v_mov_b32_e32 v4, v3
	v_cmp_eq_u32_e64 s[0:1], 0, v1
	v_add_co_u32_e64 v14, s[2:3], v6, v14
	v_lshlrev_b64 v[16:17], 2, v[4:5]
	v_add_u32_e32 v2, 0x200, v2
	v_add_u32_e32 v9, 0x800, v9
	;; [unrolled: 1-line block ×3, first 2 shown]
	v_addc_co_u32_e64 v15, s[2:3], v7, v15, s[2:3]
	s_or_b64 s[12:13], s[0:1], s[12:13]
	v_add_co_u32_e64 v16, s[0:1], v6, v16
	v_addc_co_u32_e64 v17, s[0:1], v7, v17, s[0:1]
	s_waitcnt lgkmcnt(0)
	global_store_dword v[14:15], v12, off
	global_store_dword v[16:17], v13, off
	s_andn2_b64 exec, exec, s[12:13]
	s_cbranch_execnz .LBB343_148
.LBB343_149:
	s_or_b64 exec, exec, s[10:11]
	v_add_u32_e32 v1, 1, v8
	v_and_b32_e32 v3, 0x1fffffe, v1
	v_cmp_ne_u32_e64 s[0:1], v1, v3
	v_lshl_or_b32 v2, v3, 8, v0
	s_orn2_b64 s[2:3], s[0:1], exec
.LBB343_150:
	s_or_b64 exec, exec, s[8:9]
	s_andn2_b64 s[0:1], vcc, exec
	s_and_b64 s[2:3], s[2:3], exec
	s_or_b64 vcc, s[0:1], s[2:3]
.LBB343_151:
	s_or_b64 exec, exec, s[4:5]
	s_and_b64 exec, exec, vcc
	s_cbranch_execz .LBB343_154
; %bb.152:
	v_lshlrev_b32_e32 v1, 2, v2
	s_mov_b64 s[0:1], 0
	v_mov_b32_e32 v3, 0
.LBB343_153:                            ; =>This Inner Loop Header: Depth=1
	ds_read_b32 v8, v1
	v_lshlrev_b64 v[4:5], 2, v[2:3]
	v_add_co_u32_e32 v4, vcc, v6, v4
	v_add_u32_e32 v2, 0x100, v2
	v_addc_co_u32_e32 v5, vcc, v7, v5, vcc
	v_cmp_ge_u32_e32 vcc, v2, v10
	v_add_u32_e32 v1, 0x400, v1
	s_or_b64 s[0:1], vcc, s[0:1]
	s_waitcnt lgkmcnt(0)
	global_store_dword v[4:5], v8, off
	s_andn2_b64 exec, exec, s[0:1]
	s_cbranch_execnz .LBB343_153
.LBB343_154:
	s_or_b64 exec, exec, s[6:7]
	v_cmp_eq_u32_e32 vcc, 0, v0
	s_and_b64 s[0:1], vcc, s[26:27]
	s_and_saveexec_b64 s[2:3], s[0:1]
	s_cbranch_execz .LBB343_87
.LBB343_155:
	v_mov_b32_e32 v0, s23
	v_add_co_u32_e32 v1, vcc, s22, v10
	v_addc_co_u32_e32 v3, vcc, 0, v0, vcc
	v_add_co_u32_e32 v0, vcc, v1, v18
	v_mov_b32_e32 v2, 0
	v_addc_co_u32_e32 v1, vcc, 0, v3, vcc
	global_store_dwordx2 v2, v[0:1], s[24:25]
	s_endpgm
.LBB343_156:
	s_or_b64 exec, exec, s[2:3]
	s_and_saveexec_b64 s[2:3], s[36:37]
	s_cbranch_execnz .LBB343_44
	s_branch .LBB343_45
	.section	.rodata,"a",@progbits
	.p2align	6, 0x0
	.amdhsa_kernel _ZN7rocprim17ROCPRIM_400000_NS6detail17trampoline_kernelINS0_14default_configENS1_25partition_config_selectorILNS1_17partition_subalgoE8EfNS0_10empty_typeEbEEZZNS1_14partition_implILS5_8ELb0ES3_jPKfPS6_PKS6_NS0_5tupleIJPfS6_EEENSE_IJSB_SB_EEENS0_18inequality_wrapperIN6hipcub16HIPCUB_304000_NS8EqualityEEEPlJS6_EEE10hipError_tPvRmT3_T4_T5_T6_T7_T9_mT8_P12ihipStream_tbDpT10_ENKUlT_T0_E_clISt17integral_constantIbLb0EES17_EEDaS12_S13_EUlS12_E_NS1_11comp_targetILNS1_3genE4ELNS1_11target_archE910ELNS1_3gpuE8ELNS1_3repE0EEENS1_30default_config_static_selectorELNS0_4arch9wavefront6targetE1EEEvT1_
		.amdhsa_group_segment_fixed_size 10248
		.amdhsa_private_segment_fixed_size 0
		.amdhsa_kernarg_size 112
		.amdhsa_user_sgpr_count 6
		.amdhsa_user_sgpr_private_segment_buffer 1
		.amdhsa_user_sgpr_dispatch_ptr 0
		.amdhsa_user_sgpr_queue_ptr 0
		.amdhsa_user_sgpr_kernarg_segment_ptr 1
		.amdhsa_user_sgpr_dispatch_id 0
		.amdhsa_user_sgpr_flat_scratch_init 0
		.amdhsa_user_sgpr_kernarg_preload_length 0
		.amdhsa_user_sgpr_kernarg_preload_offset 0
		.amdhsa_user_sgpr_private_segment_size 0
		.amdhsa_uses_dynamic_stack 0
		.amdhsa_system_sgpr_private_segment_wavefront_offset 0
		.amdhsa_system_sgpr_workgroup_id_x 1
		.amdhsa_system_sgpr_workgroup_id_y 0
		.amdhsa_system_sgpr_workgroup_id_z 0
		.amdhsa_system_sgpr_workgroup_info 0
		.amdhsa_system_vgpr_workitem_id 0
		.amdhsa_next_free_vgpr 56
		.amdhsa_next_free_sgpr 40
		.amdhsa_accum_offset 56
		.amdhsa_reserve_vcc 1
		.amdhsa_reserve_flat_scratch 0
		.amdhsa_float_round_mode_32 0
		.amdhsa_float_round_mode_16_64 0
		.amdhsa_float_denorm_mode_32 3
		.amdhsa_float_denorm_mode_16_64 3
		.amdhsa_dx10_clamp 1
		.amdhsa_ieee_mode 1
		.amdhsa_fp16_overflow 0
		.amdhsa_tg_split 0
		.amdhsa_exception_fp_ieee_invalid_op 0
		.amdhsa_exception_fp_denorm_src 0
		.amdhsa_exception_fp_ieee_div_zero 0
		.amdhsa_exception_fp_ieee_overflow 0
		.amdhsa_exception_fp_ieee_underflow 0
		.amdhsa_exception_fp_ieee_inexact 0
		.amdhsa_exception_int_div_zero 0
	.end_amdhsa_kernel
	.section	.text._ZN7rocprim17ROCPRIM_400000_NS6detail17trampoline_kernelINS0_14default_configENS1_25partition_config_selectorILNS1_17partition_subalgoE8EfNS0_10empty_typeEbEEZZNS1_14partition_implILS5_8ELb0ES3_jPKfPS6_PKS6_NS0_5tupleIJPfS6_EEENSE_IJSB_SB_EEENS0_18inequality_wrapperIN6hipcub16HIPCUB_304000_NS8EqualityEEEPlJS6_EEE10hipError_tPvRmT3_T4_T5_T6_T7_T9_mT8_P12ihipStream_tbDpT10_ENKUlT_T0_E_clISt17integral_constantIbLb0EES17_EEDaS12_S13_EUlS12_E_NS1_11comp_targetILNS1_3genE4ELNS1_11target_archE910ELNS1_3gpuE8ELNS1_3repE0EEENS1_30default_config_static_selectorELNS0_4arch9wavefront6targetE1EEEvT1_,"axG",@progbits,_ZN7rocprim17ROCPRIM_400000_NS6detail17trampoline_kernelINS0_14default_configENS1_25partition_config_selectorILNS1_17partition_subalgoE8EfNS0_10empty_typeEbEEZZNS1_14partition_implILS5_8ELb0ES3_jPKfPS6_PKS6_NS0_5tupleIJPfS6_EEENSE_IJSB_SB_EEENS0_18inequality_wrapperIN6hipcub16HIPCUB_304000_NS8EqualityEEEPlJS6_EEE10hipError_tPvRmT3_T4_T5_T6_T7_T9_mT8_P12ihipStream_tbDpT10_ENKUlT_T0_E_clISt17integral_constantIbLb0EES17_EEDaS12_S13_EUlS12_E_NS1_11comp_targetILNS1_3genE4ELNS1_11target_archE910ELNS1_3gpuE8ELNS1_3repE0EEENS1_30default_config_static_selectorELNS0_4arch9wavefront6targetE1EEEvT1_,comdat
.Lfunc_end343:
	.size	_ZN7rocprim17ROCPRIM_400000_NS6detail17trampoline_kernelINS0_14default_configENS1_25partition_config_selectorILNS1_17partition_subalgoE8EfNS0_10empty_typeEbEEZZNS1_14partition_implILS5_8ELb0ES3_jPKfPS6_PKS6_NS0_5tupleIJPfS6_EEENSE_IJSB_SB_EEENS0_18inequality_wrapperIN6hipcub16HIPCUB_304000_NS8EqualityEEEPlJS6_EEE10hipError_tPvRmT3_T4_T5_T6_T7_T9_mT8_P12ihipStream_tbDpT10_ENKUlT_T0_E_clISt17integral_constantIbLb0EES17_EEDaS12_S13_EUlS12_E_NS1_11comp_targetILNS1_3genE4ELNS1_11target_archE910ELNS1_3gpuE8ELNS1_3repE0EEENS1_30default_config_static_selectorELNS0_4arch9wavefront6targetE1EEEvT1_, .Lfunc_end343-_ZN7rocprim17ROCPRIM_400000_NS6detail17trampoline_kernelINS0_14default_configENS1_25partition_config_selectorILNS1_17partition_subalgoE8EfNS0_10empty_typeEbEEZZNS1_14partition_implILS5_8ELb0ES3_jPKfPS6_PKS6_NS0_5tupleIJPfS6_EEENSE_IJSB_SB_EEENS0_18inequality_wrapperIN6hipcub16HIPCUB_304000_NS8EqualityEEEPlJS6_EEE10hipError_tPvRmT3_T4_T5_T6_T7_T9_mT8_P12ihipStream_tbDpT10_ENKUlT_T0_E_clISt17integral_constantIbLb0EES17_EEDaS12_S13_EUlS12_E_NS1_11comp_targetILNS1_3genE4ELNS1_11target_archE910ELNS1_3gpuE8ELNS1_3repE0EEENS1_30default_config_static_selectorELNS0_4arch9wavefront6targetE1EEEvT1_
                                        ; -- End function
	.section	.AMDGPU.csdata,"",@progbits
; Kernel info:
; codeLenInByte = 7268
; NumSgprs: 44
; NumVgprs: 56
; NumAgprs: 0
; TotalNumVgprs: 56
; ScratchSize: 0
; MemoryBound: 0
; FloatMode: 240
; IeeeMode: 1
; LDSByteSize: 10248 bytes/workgroup (compile time only)
; SGPRBlocks: 5
; VGPRBlocks: 6
; NumSGPRsForWavesPerEU: 44
; NumVGPRsForWavesPerEU: 56
; AccumOffset: 56
; Occupancy: 6
; WaveLimiterHint : 1
; COMPUTE_PGM_RSRC2:SCRATCH_EN: 0
; COMPUTE_PGM_RSRC2:USER_SGPR: 6
; COMPUTE_PGM_RSRC2:TRAP_HANDLER: 0
; COMPUTE_PGM_RSRC2:TGID_X_EN: 1
; COMPUTE_PGM_RSRC2:TGID_Y_EN: 0
; COMPUTE_PGM_RSRC2:TGID_Z_EN: 0
; COMPUTE_PGM_RSRC2:TIDIG_COMP_CNT: 0
; COMPUTE_PGM_RSRC3_GFX90A:ACCUM_OFFSET: 13
; COMPUTE_PGM_RSRC3_GFX90A:TG_SPLIT: 0
	.section	.text._ZN7rocprim17ROCPRIM_400000_NS6detail17trampoline_kernelINS0_14default_configENS1_25partition_config_selectorILNS1_17partition_subalgoE8EfNS0_10empty_typeEbEEZZNS1_14partition_implILS5_8ELb0ES3_jPKfPS6_PKS6_NS0_5tupleIJPfS6_EEENSE_IJSB_SB_EEENS0_18inequality_wrapperIN6hipcub16HIPCUB_304000_NS8EqualityEEEPlJS6_EEE10hipError_tPvRmT3_T4_T5_T6_T7_T9_mT8_P12ihipStream_tbDpT10_ENKUlT_T0_E_clISt17integral_constantIbLb0EES17_EEDaS12_S13_EUlS12_E_NS1_11comp_targetILNS1_3genE3ELNS1_11target_archE908ELNS1_3gpuE7ELNS1_3repE0EEENS1_30default_config_static_selectorELNS0_4arch9wavefront6targetE1EEEvT1_,"axG",@progbits,_ZN7rocprim17ROCPRIM_400000_NS6detail17trampoline_kernelINS0_14default_configENS1_25partition_config_selectorILNS1_17partition_subalgoE8EfNS0_10empty_typeEbEEZZNS1_14partition_implILS5_8ELb0ES3_jPKfPS6_PKS6_NS0_5tupleIJPfS6_EEENSE_IJSB_SB_EEENS0_18inequality_wrapperIN6hipcub16HIPCUB_304000_NS8EqualityEEEPlJS6_EEE10hipError_tPvRmT3_T4_T5_T6_T7_T9_mT8_P12ihipStream_tbDpT10_ENKUlT_T0_E_clISt17integral_constantIbLb0EES17_EEDaS12_S13_EUlS12_E_NS1_11comp_targetILNS1_3genE3ELNS1_11target_archE908ELNS1_3gpuE7ELNS1_3repE0EEENS1_30default_config_static_selectorELNS0_4arch9wavefront6targetE1EEEvT1_,comdat
	.protected	_ZN7rocprim17ROCPRIM_400000_NS6detail17trampoline_kernelINS0_14default_configENS1_25partition_config_selectorILNS1_17partition_subalgoE8EfNS0_10empty_typeEbEEZZNS1_14partition_implILS5_8ELb0ES3_jPKfPS6_PKS6_NS0_5tupleIJPfS6_EEENSE_IJSB_SB_EEENS0_18inequality_wrapperIN6hipcub16HIPCUB_304000_NS8EqualityEEEPlJS6_EEE10hipError_tPvRmT3_T4_T5_T6_T7_T9_mT8_P12ihipStream_tbDpT10_ENKUlT_T0_E_clISt17integral_constantIbLb0EES17_EEDaS12_S13_EUlS12_E_NS1_11comp_targetILNS1_3genE3ELNS1_11target_archE908ELNS1_3gpuE7ELNS1_3repE0EEENS1_30default_config_static_selectorELNS0_4arch9wavefront6targetE1EEEvT1_ ; -- Begin function _ZN7rocprim17ROCPRIM_400000_NS6detail17trampoline_kernelINS0_14default_configENS1_25partition_config_selectorILNS1_17partition_subalgoE8EfNS0_10empty_typeEbEEZZNS1_14partition_implILS5_8ELb0ES3_jPKfPS6_PKS6_NS0_5tupleIJPfS6_EEENSE_IJSB_SB_EEENS0_18inequality_wrapperIN6hipcub16HIPCUB_304000_NS8EqualityEEEPlJS6_EEE10hipError_tPvRmT3_T4_T5_T6_T7_T9_mT8_P12ihipStream_tbDpT10_ENKUlT_T0_E_clISt17integral_constantIbLb0EES17_EEDaS12_S13_EUlS12_E_NS1_11comp_targetILNS1_3genE3ELNS1_11target_archE908ELNS1_3gpuE7ELNS1_3repE0EEENS1_30default_config_static_selectorELNS0_4arch9wavefront6targetE1EEEvT1_
	.globl	_ZN7rocprim17ROCPRIM_400000_NS6detail17trampoline_kernelINS0_14default_configENS1_25partition_config_selectorILNS1_17partition_subalgoE8EfNS0_10empty_typeEbEEZZNS1_14partition_implILS5_8ELb0ES3_jPKfPS6_PKS6_NS0_5tupleIJPfS6_EEENSE_IJSB_SB_EEENS0_18inequality_wrapperIN6hipcub16HIPCUB_304000_NS8EqualityEEEPlJS6_EEE10hipError_tPvRmT3_T4_T5_T6_T7_T9_mT8_P12ihipStream_tbDpT10_ENKUlT_T0_E_clISt17integral_constantIbLb0EES17_EEDaS12_S13_EUlS12_E_NS1_11comp_targetILNS1_3genE3ELNS1_11target_archE908ELNS1_3gpuE7ELNS1_3repE0EEENS1_30default_config_static_selectorELNS0_4arch9wavefront6targetE1EEEvT1_
	.p2align	8
	.type	_ZN7rocprim17ROCPRIM_400000_NS6detail17trampoline_kernelINS0_14default_configENS1_25partition_config_selectorILNS1_17partition_subalgoE8EfNS0_10empty_typeEbEEZZNS1_14partition_implILS5_8ELb0ES3_jPKfPS6_PKS6_NS0_5tupleIJPfS6_EEENSE_IJSB_SB_EEENS0_18inequality_wrapperIN6hipcub16HIPCUB_304000_NS8EqualityEEEPlJS6_EEE10hipError_tPvRmT3_T4_T5_T6_T7_T9_mT8_P12ihipStream_tbDpT10_ENKUlT_T0_E_clISt17integral_constantIbLb0EES17_EEDaS12_S13_EUlS12_E_NS1_11comp_targetILNS1_3genE3ELNS1_11target_archE908ELNS1_3gpuE7ELNS1_3repE0EEENS1_30default_config_static_selectorELNS0_4arch9wavefront6targetE1EEEvT1_,@function
_ZN7rocprim17ROCPRIM_400000_NS6detail17trampoline_kernelINS0_14default_configENS1_25partition_config_selectorILNS1_17partition_subalgoE8EfNS0_10empty_typeEbEEZZNS1_14partition_implILS5_8ELb0ES3_jPKfPS6_PKS6_NS0_5tupleIJPfS6_EEENSE_IJSB_SB_EEENS0_18inequality_wrapperIN6hipcub16HIPCUB_304000_NS8EqualityEEEPlJS6_EEE10hipError_tPvRmT3_T4_T5_T6_T7_T9_mT8_P12ihipStream_tbDpT10_ENKUlT_T0_E_clISt17integral_constantIbLb0EES17_EEDaS12_S13_EUlS12_E_NS1_11comp_targetILNS1_3genE3ELNS1_11target_archE908ELNS1_3gpuE7ELNS1_3repE0EEENS1_30default_config_static_selectorELNS0_4arch9wavefront6targetE1EEEvT1_: ; @_ZN7rocprim17ROCPRIM_400000_NS6detail17trampoline_kernelINS0_14default_configENS1_25partition_config_selectorILNS1_17partition_subalgoE8EfNS0_10empty_typeEbEEZZNS1_14partition_implILS5_8ELb0ES3_jPKfPS6_PKS6_NS0_5tupleIJPfS6_EEENSE_IJSB_SB_EEENS0_18inequality_wrapperIN6hipcub16HIPCUB_304000_NS8EqualityEEEPlJS6_EEE10hipError_tPvRmT3_T4_T5_T6_T7_T9_mT8_P12ihipStream_tbDpT10_ENKUlT_T0_E_clISt17integral_constantIbLb0EES17_EEDaS12_S13_EUlS12_E_NS1_11comp_targetILNS1_3genE3ELNS1_11target_archE908ELNS1_3gpuE7ELNS1_3repE0EEENS1_30default_config_static_selectorELNS0_4arch9wavefront6targetE1EEEvT1_
; %bb.0:
	.section	.rodata,"a",@progbits
	.p2align	6, 0x0
	.amdhsa_kernel _ZN7rocprim17ROCPRIM_400000_NS6detail17trampoline_kernelINS0_14default_configENS1_25partition_config_selectorILNS1_17partition_subalgoE8EfNS0_10empty_typeEbEEZZNS1_14partition_implILS5_8ELb0ES3_jPKfPS6_PKS6_NS0_5tupleIJPfS6_EEENSE_IJSB_SB_EEENS0_18inequality_wrapperIN6hipcub16HIPCUB_304000_NS8EqualityEEEPlJS6_EEE10hipError_tPvRmT3_T4_T5_T6_T7_T9_mT8_P12ihipStream_tbDpT10_ENKUlT_T0_E_clISt17integral_constantIbLb0EES17_EEDaS12_S13_EUlS12_E_NS1_11comp_targetILNS1_3genE3ELNS1_11target_archE908ELNS1_3gpuE7ELNS1_3repE0EEENS1_30default_config_static_selectorELNS0_4arch9wavefront6targetE1EEEvT1_
		.amdhsa_group_segment_fixed_size 0
		.amdhsa_private_segment_fixed_size 0
		.amdhsa_kernarg_size 112
		.amdhsa_user_sgpr_count 6
		.amdhsa_user_sgpr_private_segment_buffer 1
		.amdhsa_user_sgpr_dispatch_ptr 0
		.amdhsa_user_sgpr_queue_ptr 0
		.amdhsa_user_sgpr_kernarg_segment_ptr 1
		.amdhsa_user_sgpr_dispatch_id 0
		.amdhsa_user_sgpr_flat_scratch_init 0
		.amdhsa_user_sgpr_kernarg_preload_length 0
		.amdhsa_user_sgpr_kernarg_preload_offset 0
		.amdhsa_user_sgpr_private_segment_size 0
		.amdhsa_uses_dynamic_stack 0
		.amdhsa_system_sgpr_private_segment_wavefront_offset 0
		.amdhsa_system_sgpr_workgroup_id_x 1
		.amdhsa_system_sgpr_workgroup_id_y 0
		.amdhsa_system_sgpr_workgroup_id_z 0
		.amdhsa_system_sgpr_workgroup_info 0
		.amdhsa_system_vgpr_workitem_id 0
		.amdhsa_next_free_vgpr 1
		.amdhsa_next_free_sgpr 0
		.amdhsa_accum_offset 4
		.amdhsa_reserve_vcc 0
		.amdhsa_reserve_flat_scratch 0
		.amdhsa_float_round_mode_32 0
		.amdhsa_float_round_mode_16_64 0
		.amdhsa_float_denorm_mode_32 3
		.amdhsa_float_denorm_mode_16_64 3
		.amdhsa_dx10_clamp 1
		.amdhsa_ieee_mode 1
		.amdhsa_fp16_overflow 0
		.amdhsa_tg_split 0
		.amdhsa_exception_fp_ieee_invalid_op 0
		.amdhsa_exception_fp_denorm_src 0
		.amdhsa_exception_fp_ieee_div_zero 0
		.amdhsa_exception_fp_ieee_overflow 0
		.amdhsa_exception_fp_ieee_underflow 0
		.amdhsa_exception_fp_ieee_inexact 0
		.amdhsa_exception_int_div_zero 0
	.end_amdhsa_kernel
	.section	.text._ZN7rocprim17ROCPRIM_400000_NS6detail17trampoline_kernelINS0_14default_configENS1_25partition_config_selectorILNS1_17partition_subalgoE8EfNS0_10empty_typeEbEEZZNS1_14partition_implILS5_8ELb0ES3_jPKfPS6_PKS6_NS0_5tupleIJPfS6_EEENSE_IJSB_SB_EEENS0_18inequality_wrapperIN6hipcub16HIPCUB_304000_NS8EqualityEEEPlJS6_EEE10hipError_tPvRmT3_T4_T5_T6_T7_T9_mT8_P12ihipStream_tbDpT10_ENKUlT_T0_E_clISt17integral_constantIbLb0EES17_EEDaS12_S13_EUlS12_E_NS1_11comp_targetILNS1_3genE3ELNS1_11target_archE908ELNS1_3gpuE7ELNS1_3repE0EEENS1_30default_config_static_selectorELNS0_4arch9wavefront6targetE1EEEvT1_,"axG",@progbits,_ZN7rocprim17ROCPRIM_400000_NS6detail17trampoline_kernelINS0_14default_configENS1_25partition_config_selectorILNS1_17partition_subalgoE8EfNS0_10empty_typeEbEEZZNS1_14partition_implILS5_8ELb0ES3_jPKfPS6_PKS6_NS0_5tupleIJPfS6_EEENSE_IJSB_SB_EEENS0_18inequality_wrapperIN6hipcub16HIPCUB_304000_NS8EqualityEEEPlJS6_EEE10hipError_tPvRmT3_T4_T5_T6_T7_T9_mT8_P12ihipStream_tbDpT10_ENKUlT_T0_E_clISt17integral_constantIbLb0EES17_EEDaS12_S13_EUlS12_E_NS1_11comp_targetILNS1_3genE3ELNS1_11target_archE908ELNS1_3gpuE7ELNS1_3repE0EEENS1_30default_config_static_selectorELNS0_4arch9wavefront6targetE1EEEvT1_,comdat
.Lfunc_end344:
	.size	_ZN7rocprim17ROCPRIM_400000_NS6detail17trampoline_kernelINS0_14default_configENS1_25partition_config_selectorILNS1_17partition_subalgoE8EfNS0_10empty_typeEbEEZZNS1_14partition_implILS5_8ELb0ES3_jPKfPS6_PKS6_NS0_5tupleIJPfS6_EEENSE_IJSB_SB_EEENS0_18inequality_wrapperIN6hipcub16HIPCUB_304000_NS8EqualityEEEPlJS6_EEE10hipError_tPvRmT3_T4_T5_T6_T7_T9_mT8_P12ihipStream_tbDpT10_ENKUlT_T0_E_clISt17integral_constantIbLb0EES17_EEDaS12_S13_EUlS12_E_NS1_11comp_targetILNS1_3genE3ELNS1_11target_archE908ELNS1_3gpuE7ELNS1_3repE0EEENS1_30default_config_static_selectorELNS0_4arch9wavefront6targetE1EEEvT1_, .Lfunc_end344-_ZN7rocprim17ROCPRIM_400000_NS6detail17trampoline_kernelINS0_14default_configENS1_25partition_config_selectorILNS1_17partition_subalgoE8EfNS0_10empty_typeEbEEZZNS1_14partition_implILS5_8ELb0ES3_jPKfPS6_PKS6_NS0_5tupleIJPfS6_EEENSE_IJSB_SB_EEENS0_18inequality_wrapperIN6hipcub16HIPCUB_304000_NS8EqualityEEEPlJS6_EEE10hipError_tPvRmT3_T4_T5_T6_T7_T9_mT8_P12ihipStream_tbDpT10_ENKUlT_T0_E_clISt17integral_constantIbLb0EES17_EEDaS12_S13_EUlS12_E_NS1_11comp_targetILNS1_3genE3ELNS1_11target_archE908ELNS1_3gpuE7ELNS1_3repE0EEENS1_30default_config_static_selectorELNS0_4arch9wavefront6targetE1EEEvT1_
                                        ; -- End function
	.section	.AMDGPU.csdata,"",@progbits
; Kernel info:
; codeLenInByte = 0
; NumSgprs: 4
; NumVgprs: 0
; NumAgprs: 0
; TotalNumVgprs: 0
; ScratchSize: 0
; MemoryBound: 0
; FloatMode: 240
; IeeeMode: 1
; LDSByteSize: 0 bytes/workgroup (compile time only)
; SGPRBlocks: 0
; VGPRBlocks: 0
; NumSGPRsForWavesPerEU: 4
; NumVGPRsForWavesPerEU: 1
; AccumOffset: 4
; Occupancy: 8
; WaveLimiterHint : 0
; COMPUTE_PGM_RSRC2:SCRATCH_EN: 0
; COMPUTE_PGM_RSRC2:USER_SGPR: 6
; COMPUTE_PGM_RSRC2:TRAP_HANDLER: 0
; COMPUTE_PGM_RSRC2:TGID_X_EN: 1
; COMPUTE_PGM_RSRC2:TGID_Y_EN: 0
; COMPUTE_PGM_RSRC2:TGID_Z_EN: 0
; COMPUTE_PGM_RSRC2:TIDIG_COMP_CNT: 0
; COMPUTE_PGM_RSRC3_GFX90A:ACCUM_OFFSET: 0
; COMPUTE_PGM_RSRC3_GFX90A:TG_SPLIT: 0
	.section	.text._ZN7rocprim17ROCPRIM_400000_NS6detail17trampoline_kernelINS0_14default_configENS1_25partition_config_selectorILNS1_17partition_subalgoE8EfNS0_10empty_typeEbEEZZNS1_14partition_implILS5_8ELb0ES3_jPKfPS6_PKS6_NS0_5tupleIJPfS6_EEENSE_IJSB_SB_EEENS0_18inequality_wrapperIN6hipcub16HIPCUB_304000_NS8EqualityEEEPlJS6_EEE10hipError_tPvRmT3_T4_T5_T6_T7_T9_mT8_P12ihipStream_tbDpT10_ENKUlT_T0_E_clISt17integral_constantIbLb0EES17_EEDaS12_S13_EUlS12_E_NS1_11comp_targetILNS1_3genE2ELNS1_11target_archE906ELNS1_3gpuE6ELNS1_3repE0EEENS1_30default_config_static_selectorELNS0_4arch9wavefront6targetE1EEEvT1_,"axG",@progbits,_ZN7rocprim17ROCPRIM_400000_NS6detail17trampoline_kernelINS0_14default_configENS1_25partition_config_selectorILNS1_17partition_subalgoE8EfNS0_10empty_typeEbEEZZNS1_14partition_implILS5_8ELb0ES3_jPKfPS6_PKS6_NS0_5tupleIJPfS6_EEENSE_IJSB_SB_EEENS0_18inequality_wrapperIN6hipcub16HIPCUB_304000_NS8EqualityEEEPlJS6_EEE10hipError_tPvRmT3_T4_T5_T6_T7_T9_mT8_P12ihipStream_tbDpT10_ENKUlT_T0_E_clISt17integral_constantIbLb0EES17_EEDaS12_S13_EUlS12_E_NS1_11comp_targetILNS1_3genE2ELNS1_11target_archE906ELNS1_3gpuE6ELNS1_3repE0EEENS1_30default_config_static_selectorELNS0_4arch9wavefront6targetE1EEEvT1_,comdat
	.protected	_ZN7rocprim17ROCPRIM_400000_NS6detail17trampoline_kernelINS0_14default_configENS1_25partition_config_selectorILNS1_17partition_subalgoE8EfNS0_10empty_typeEbEEZZNS1_14partition_implILS5_8ELb0ES3_jPKfPS6_PKS6_NS0_5tupleIJPfS6_EEENSE_IJSB_SB_EEENS0_18inequality_wrapperIN6hipcub16HIPCUB_304000_NS8EqualityEEEPlJS6_EEE10hipError_tPvRmT3_T4_T5_T6_T7_T9_mT8_P12ihipStream_tbDpT10_ENKUlT_T0_E_clISt17integral_constantIbLb0EES17_EEDaS12_S13_EUlS12_E_NS1_11comp_targetILNS1_3genE2ELNS1_11target_archE906ELNS1_3gpuE6ELNS1_3repE0EEENS1_30default_config_static_selectorELNS0_4arch9wavefront6targetE1EEEvT1_ ; -- Begin function _ZN7rocprim17ROCPRIM_400000_NS6detail17trampoline_kernelINS0_14default_configENS1_25partition_config_selectorILNS1_17partition_subalgoE8EfNS0_10empty_typeEbEEZZNS1_14partition_implILS5_8ELb0ES3_jPKfPS6_PKS6_NS0_5tupleIJPfS6_EEENSE_IJSB_SB_EEENS0_18inequality_wrapperIN6hipcub16HIPCUB_304000_NS8EqualityEEEPlJS6_EEE10hipError_tPvRmT3_T4_T5_T6_T7_T9_mT8_P12ihipStream_tbDpT10_ENKUlT_T0_E_clISt17integral_constantIbLb0EES17_EEDaS12_S13_EUlS12_E_NS1_11comp_targetILNS1_3genE2ELNS1_11target_archE906ELNS1_3gpuE6ELNS1_3repE0EEENS1_30default_config_static_selectorELNS0_4arch9wavefront6targetE1EEEvT1_
	.globl	_ZN7rocprim17ROCPRIM_400000_NS6detail17trampoline_kernelINS0_14default_configENS1_25partition_config_selectorILNS1_17partition_subalgoE8EfNS0_10empty_typeEbEEZZNS1_14partition_implILS5_8ELb0ES3_jPKfPS6_PKS6_NS0_5tupleIJPfS6_EEENSE_IJSB_SB_EEENS0_18inequality_wrapperIN6hipcub16HIPCUB_304000_NS8EqualityEEEPlJS6_EEE10hipError_tPvRmT3_T4_T5_T6_T7_T9_mT8_P12ihipStream_tbDpT10_ENKUlT_T0_E_clISt17integral_constantIbLb0EES17_EEDaS12_S13_EUlS12_E_NS1_11comp_targetILNS1_3genE2ELNS1_11target_archE906ELNS1_3gpuE6ELNS1_3repE0EEENS1_30default_config_static_selectorELNS0_4arch9wavefront6targetE1EEEvT1_
	.p2align	8
	.type	_ZN7rocprim17ROCPRIM_400000_NS6detail17trampoline_kernelINS0_14default_configENS1_25partition_config_selectorILNS1_17partition_subalgoE8EfNS0_10empty_typeEbEEZZNS1_14partition_implILS5_8ELb0ES3_jPKfPS6_PKS6_NS0_5tupleIJPfS6_EEENSE_IJSB_SB_EEENS0_18inequality_wrapperIN6hipcub16HIPCUB_304000_NS8EqualityEEEPlJS6_EEE10hipError_tPvRmT3_T4_T5_T6_T7_T9_mT8_P12ihipStream_tbDpT10_ENKUlT_T0_E_clISt17integral_constantIbLb0EES17_EEDaS12_S13_EUlS12_E_NS1_11comp_targetILNS1_3genE2ELNS1_11target_archE906ELNS1_3gpuE6ELNS1_3repE0EEENS1_30default_config_static_selectorELNS0_4arch9wavefront6targetE1EEEvT1_,@function
_ZN7rocprim17ROCPRIM_400000_NS6detail17trampoline_kernelINS0_14default_configENS1_25partition_config_selectorILNS1_17partition_subalgoE8EfNS0_10empty_typeEbEEZZNS1_14partition_implILS5_8ELb0ES3_jPKfPS6_PKS6_NS0_5tupleIJPfS6_EEENSE_IJSB_SB_EEENS0_18inequality_wrapperIN6hipcub16HIPCUB_304000_NS8EqualityEEEPlJS6_EEE10hipError_tPvRmT3_T4_T5_T6_T7_T9_mT8_P12ihipStream_tbDpT10_ENKUlT_T0_E_clISt17integral_constantIbLb0EES17_EEDaS12_S13_EUlS12_E_NS1_11comp_targetILNS1_3genE2ELNS1_11target_archE906ELNS1_3gpuE6ELNS1_3repE0EEENS1_30default_config_static_selectorELNS0_4arch9wavefront6targetE1EEEvT1_: ; @_ZN7rocprim17ROCPRIM_400000_NS6detail17trampoline_kernelINS0_14default_configENS1_25partition_config_selectorILNS1_17partition_subalgoE8EfNS0_10empty_typeEbEEZZNS1_14partition_implILS5_8ELb0ES3_jPKfPS6_PKS6_NS0_5tupleIJPfS6_EEENSE_IJSB_SB_EEENS0_18inequality_wrapperIN6hipcub16HIPCUB_304000_NS8EqualityEEEPlJS6_EEE10hipError_tPvRmT3_T4_T5_T6_T7_T9_mT8_P12ihipStream_tbDpT10_ENKUlT_T0_E_clISt17integral_constantIbLb0EES17_EEDaS12_S13_EUlS12_E_NS1_11comp_targetILNS1_3genE2ELNS1_11target_archE906ELNS1_3gpuE6ELNS1_3repE0EEENS1_30default_config_static_selectorELNS0_4arch9wavefront6targetE1EEEvT1_
; %bb.0:
	.section	.rodata,"a",@progbits
	.p2align	6, 0x0
	.amdhsa_kernel _ZN7rocprim17ROCPRIM_400000_NS6detail17trampoline_kernelINS0_14default_configENS1_25partition_config_selectorILNS1_17partition_subalgoE8EfNS0_10empty_typeEbEEZZNS1_14partition_implILS5_8ELb0ES3_jPKfPS6_PKS6_NS0_5tupleIJPfS6_EEENSE_IJSB_SB_EEENS0_18inequality_wrapperIN6hipcub16HIPCUB_304000_NS8EqualityEEEPlJS6_EEE10hipError_tPvRmT3_T4_T5_T6_T7_T9_mT8_P12ihipStream_tbDpT10_ENKUlT_T0_E_clISt17integral_constantIbLb0EES17_EEDaS12_S13_EUlS12_E_NS1_11comp_targetILNS1_3genE2ELNS1_11target_archE906ELNS1_3gpuE6ELNS1_3repE0EEENS1_30default_config_static_selectorELNS0_4arch9wavefront6targetE1EEEvT1_
		.amdhsa_group_segment_fixed_size 0
		.amdhsa_private_segment_fixed_size 0
		.amdhsa_kernarg_size 112
		.amdhsa_user_sgpr_count 6
		.amdhsa_user_sgpr_private_segment_buffer 1
		.amdhsa_user_sgpr_dispatch_ptr 0
		.amdhsa_user_sgpr_queue_ptr 0
		.amdhsa_user_sgpr_kernarg_segment_ptr 1
		.amdhsa_user_sgpr_dispatch_id 0
		.amdhsa_user_sgpr_flat_scratch_init 0
		.amdhsa_user_sgpr_kernarg_preload_length 0
		.amdhsa_user_sgpr_kernarg_preload_offset 0
		.amdhsa_user_sgpr_private_segment_size 0
		.amdhsa_uses_dynamic_stack 0
		.amdhsa_system_sgpr_private_segment_wavefront_offset 0
		.amdhsa_system_sgpr_workgroup_id_x 1
		.amdhsa_system_sgpr_workgroup_id_y 0
		.amdhsa_system_sgpr_workgroup_id_z 0
		.amdhsa_system_sgpr_workgroup_info 0
		.amdhsa_system_vgpr_workitem_id 0
		.amdhsa_next_free_vgpr 1
		.amdhsa_next_free_sgpr 0
		.amdhsa_accum_offset 4
		.amdhsa_reserve_vcc 0
		.amdhsa_reserve_flat_scratch 0
		.amdhsa_float_round_mode_32 0
		.amdhsa_float_round_mode_16_64 0
		.amdhsa_float_denorm_mode_32 3
		.amdhsa_float_denorm_mode_16_64 3
		.amdhsa_dx10_clamp 1
		.amdhsa_ieee_mode 1
		.amdhsa_fp16_overflow 0
		.amdhsa_tg_split 0
		.amdhsa_exception_fp_ieee_invalid_op 0
		.amdhsa_exception_fp_denorm_src 0
		.amdhsa_exception_fp_ieee_div_zero 0
		.amdhsa_exception_fp_ieee_overflow 0
		.amdhsa_exception_fp_ieee_underflow 0
		.amdhsa_exception_fp_ieee_inexact 0
		.amdhsa_exception_int_div_zero 0
	.end_amdhsa_kernel
	.section	.text._ZN7rocprim17ROCPRIM_400000_NS6detail17trampoline_kernelINS0_14default_configENS1_25partition_config_selectorILNS1_17partition_subalgoE8EfNS0_10empty_typeEbEEZZNS1_14partition_implILS5_8ELb0ES3_jPKfPS6_PKS6_NS0_5tupleIJPfS6_EEENSE_IJSB_SB_EEENS0_18inequality_wrapperIN6hipcub16HIPCUB_304000_NS8EqualityEEEPlJS6_EEE10hipError_tPvRmT3_T4_T5_T6_T7_T9_mT8_P12ihipStream_tbDpT10_ENKUlT_T0_E_clISt17integral_constantIbLb0EES17_EEDaS12_S13_EUlS12_E_NS1_11comp_targetILNS1_3genE2ELNS1_11target_archE906ELNS1_3gpuE6ELNS1_3repE0EEENS1_30default_config_static_selectorELNS0_4arch9wavefront6targetE1EEEvT1_,"axG",@progbits,_ZN7rocprim17ROCPRIM_400000_NS6detail17trampoline_kernelINS0_14default_configENS1_25partition_config_selectorILNS1_17partition_subalgoE8EfNS0_10empty_typeEbEEZZNS1_14partition_implILS5_8ELb0ES3_jPKfPS6_PKS6_NS0_5tupleIJPfS6_EEENSE_IJSB_SB_EEENS0_18inequality_wrapperIN6hipcub16HIPCUB_304000_NS8EqualityEEEPlJS6_EEE10hipError_tPvRmT3_T4_T5_T6_T7_T9_mT8_P12ihipStream_tbDpT10_ENKUlT_T0_E_clISt17integral_constantIbLb0EES17_EEDaS12_S13_EUlS12_E_NS1_11comp_targetILNS1_3genE2ELNS1_11target_archE906ELNS1_3gpuE6ELNS1_3repE0EEENS1_30default_config_static_selectorELNS0_4arch9wavefront6targetE1EEEvT1_,comdat
.Lfunc_end345:
	.size	_ZN7rocprim17ROCPRIM_400000_NS6detail17trampoline_kernelINS0_14default_configENS1_25partition_config_selectorILNS1_17partition_subalgoE8EfNS0_10empty_typeEbEEZZNS1_14partition_implILS5_8ELb0ES3_jPKfPS6_PKS6_NS0_5tupleIJPfS6_EEENSE_IJSB_SB_EEENS0_18inequality_wrapperIN6hipcub16HIPCUB_304000_NS8EqualityEEEPlJS6_EEE10hipError_tPvRmT3_T4_T5_T6_T7_T9_mT8_P12ihipStream_tbDpT10_ENKUlT_T0_E_clISt17integral_constantIbLb0EES17_EEDaS12_S13_EUlS12_E_NS1_11comp_targetILNS1_3genE2ELNS1_11target_archE906ELNS1_3gpuE6ELNS1_3repE0EEENS1_30default_config_static_selectorELNS0_4arch9wavefront6targetE1EEEvT1_, .Lfunc_end345-_ZN7rocprim17ROCPRIM_400000_NS6detail17trampoline_kernelINS0_14default_configENS1_25partition_config_selectorILNS1_17partition_subalgoE8EfNS0_10empty_typeEbEEZZNS1_14partition_implILS5_8ELb0ES3_jPKfPS6_PKS6_NS0_5tupleIJPfS6_EEENSE_IJSB_SB_EEENS0_18inequality_wrapperIN6hipcub16HIPCUB_304000_NS8EqualityEEEPlJS6_EEE10hipError_tPvRmT3_T4_T5_T6_T7_T9_mT8_P12ihipStream_tbDpT10_ENKUlT_T0_E_clISt17integral_constantIbLb0EES17_EEDaS12_S13_EUlS12_E_NS1_11comp_targetILNS1_3genE2ELNS1_11target_archE906ELNS1_3gpuE6ELNS1_3repE0EEENS1_30default_config_static_selectorELNS0_4arch9wavefront6targetE1EEEvT1_
                                        ; -- End function
	.section	.AMDGPU.csdata,"",@progbits
; Kernel info:
; codeLenInByte = 0
; NumSgprs: 4
; NumVgprs: 0
; NumAgprs: 0
; TotalNumVgprs: 0
; ScratchSize: 0
; MemoryBound: 0
; FloatMode: 240
; IeeeMode: 1
; LDSByteSize: 0 bytes/workgroup (compile time only)
; SGPRBlocks: 0
; VGPRBlocks: 0
; NumSGPRsForWavesPerEU: 4
; NumVGPRsForWavesPerEU: 1
; AccumOffset: 4
; Occupancy: 8
; WaveLimiterHint : 0
; COMPUTE_PGM_RSRC2:SCRATCH_EN: 0
; COMPUTE_PGM_RSRC2:USER_SGPR: 6
; COMPUTE_PGM_RSRC2:TRAP_HANDLER: 0
; COMPUTE_PGM_RSRC2:TGID_X_EN: 1
; COMPUTE_PGM_RSRC2:TGID_Y_EN: 0
; COMPUTE_PGM_RSRC2:TGID_Z_EN: 0
; COMPUTE_PGM_RSRC2:TIDIG_COMP_CNT: 0
; COMPUTE_PGM_RSRC3_GFX90A:ACCUM_OFFSET: 0
; COMPUTE_PGM_RSRC3_GFX90A:TG_SPLIT: 0
	.section	.text._ZN7rocprim17ROCPRIM_400000_NS6detail17trampoline_kernelINS0_14default_configENS1_25partition_config_selectorILNS1_17partition_subalgoE8EfNS0_10empty_typeEbEEZZNS1_14partition_implILS5_8ELb0ES3_jPKfPS6_PKS6_NS0_5tupleIJPfS6_EEENSE_IJSB_SB_EEENS0_18inequality_wrapperIN6hipcub16HIPCUB_304000_NS8EqualityEEEPlJS6_EEE10hipError_tPvRmT3_T4_T5_T6_T7_T9_mT8_P12ihipStream_tbDpT10_ENKUlT_T0_E_clISt17integral_constantIbLb0EES17_EEDaS12_S13_EUlS12_E_NS1_11comp_targetILNS1_3genE10ELNS1_11target_archE1200ELNS1_3gpuE4ELNS1_3repE0EEENS1_30default_config_static_selectorELNS0_4arch9wavefront6targetE1EEEvT1_,"axG",@progbits,_ZN7rocprim17ROCPRIM_400000_NS6detail17trampoline_kernelINS0_14default_configENS1_25partition_config_selectorILNS1_17partition_subalgoE8EfNS0_10empty_typeEbEEZZNS1_14partition_implILS5_8ELb0ES3_jPKfPS6_PKS6_NS0_5tupleIJPfS6_EEENSE_IJSB_SB_EEENS0_18inequality_wrapperIN6hipcub16HIPCUB_304000_NS8EqualityEEEPlJS6_EEE10hipError_tPvRmT3_T4_T5_T6_T7_T9_mT8_P12ihipStream_tbDpT10_ENKUlT_T0_E_clISt17integral_constantIbLb0EES17_EEDaS12_S13_EUlS12_E_NS1_11comp_targetILNS1_3genE10ELNS1_11target_archE1200ELNS1_3gpuE4ELNS1_3repE0EEENS1_30default_config_static_selectorELNS0_4arch9wavefront6targetE1EEEvT1_,comdat
	.protected	_ZN7rocprim17ROCPRIM_400000_NS6detail17trampoline_kernelINS0_14default_configENS1_25partition_config_selectorILNS1_17partition_subalgoE8EfNS0_10empty_typeEbEEZZNS1_14partition_implILS5_8ELb0ES3_jPKfPS6_PKS6_NS0_5tupleIJPfS6_EEENSE_IJSB_SB_EEENS0_18inequality_wrapperIN6hipcub16HIPCUB_304000_NS8EqualityEEEPlJS6_EEE10hipError_tPvRmT3_T4_T5_T6_T7_T9_mT8_P12ihipStream_tbDpT10_ENKUlT_T0_E_clISt17integral_constantIbLb0EES17_EEDaS12_S13_EUlS12_E_NS1_11comp_targetILNS1_3genE10ELNS1_11target_archE1200ELNS1_3gpuE4ELNS1_3repE0EEENS1_30default_config_static_selectorELNS0_4arch9wavefront6targetE1EEEvT1_ ; -- Begin function _ZN7rocprim17ROCPRIM_400000_NS6detail17trampoline_kernelINS0_14default_configENS1_25partition_config_selectorILNS1_17partition_subalgoE8EfNS0_10empty_typeEbEEZZNS1_14partition_implILS5_8ELb0ES3_jPKfPS6_PKS6_NS0_5tupleIJPfS6_EEENSE_IJSB_SB_EEENS0_18inequality_wrapperIN6hipcub16HIPCUB_304000_NS8EqualityEEEPlJS6_EEE10hipError_tPvRmT3_T4_T5_T6_T7_T9_mT8_P12ihipStream_tbDpT10_ENKUlT_T0_E_clISt17integral_constantIbLb0EES17_EEDaS12_S13_EUlS12_E_NS1_11comp_targetILNS1_3genE10ELNS1_11target_archE1200ELNS1_3gpuE4ELNS1_3repE0EEENS1_30default_config_static_selectorELNS0_4arch9wavefront6targetE1EEEvT1_
	.globl	_ZN7rocprim17ROCPRIM_400000_NS6detail17trampoline_kernelINS0_14default_configENS1_25partition_config_selectorILNS1_17partition_subalgoE8EfNS0_10empty_typeEbEEZZNS1_14partition_implILS5_8ELb0ES3_jPKfPS6_PKS6_NS0_5tupleIJPfS6_EEENSE_IJSB_SB_EEENS0_18inequality_wrapperIN6hipcub16HIPCUB_304000_NS8EqualityEEEPlJS6_EEE10hipError_tPvRmT3_T4_T5_T6_T7_T9_mT8_P12ihipStream_tbDpT10_ENKUlT_T0_E_clISt17integral_constantIbLb0EES17_EEDaS12_S13_EUlS12_E_NS1_11comp_targetILNS1_3genE10ELNS1_11target_archE1200ELNS1_3gpuE4ELNS1_3repE0EEENS1_30default_config_static_selectorELNS0_4arch9wavefront6targetE1EEEvT1_
	.p2align	8
	.type	_ZN7rocprim17ROCPRIM_400000_NS6detail17trampoline_kernelINS0_14default_configENS1_25partition_config_selectorILNS1_17partition_subalgoE8EfNS0_10empty_typeEbEEZZNS1_14partition_implILS5_8ELb0ES3_jPKfPS6_PKS6_NS0_5tupleIJPfS6_EEENSE_IJSB_SB_EEENS0_18inequality_wrapperIN6hipcub16HIPCUB_304000_NS8EqualityEEEPlJS6_EEE10hipError_tPvRmT3_T4_T5_T6_T7_T9_mT8_P12ihipStream_tbDpT10_ENKUlT_T0_E_clISt17integral_constantIbLb0EES17_EEDaS12_S13_EUlS12_E_NS1_11comp_targetILNS1_3genE10ELNS1_11target_archE1200ELNS1_3gpuE4ELNS1_3repE0EEENS1_30default_config_static_selectorELNS0_4arch9wavefront6targetE1EEEvT1_,@function
_ZN7rocprim17ROCPRIM_400000_NS6detail17trampoline_kernelINS0_14default_configENS1_25partition_config_selectorILNS1_17partition_subalgoE8EfNS0_10empty_typeEbEEZZNS1_14partition_implILS5_8ELb0ES3_jPKfPS6_PKS6_NS0_5tupleIJPfS6_EEENSE_IJSB_SB_EEENS0_18inequality_wrapperIN6hipcub16HIPCUB_304000_NS8EqualityEEEPlJS6_EEE10hipError_tPvRmT3_T4_T5_T6_T7_T9_mT8_P12ihipStream_tbDpT10_ENKUlT_T0_E_clISt17integral_constantIbLb0EES17_EEDaS12_S13_EUlS12_E_NS1_11comp_targetILNS1_3genE10ELNS1_11target_archE1200ELNS1_3gpuE4ELNS1_3repE0EEENS1_30default_config_static_selectorELNS0_4arch9wavefront6targetE1EEEvT1_: ; @_ZN7rocprim17ROCPRIM_400000_NS6detail17trampoline_kernelINS0_14default_configENS1_25partition_config_selectorILNS1_17partition_subalgoE8EfNS0_10empty_typeEbEEZZNS1_14partition_implILS5_8ELb0ES3_jPKfPS6_PKS6_NS0_5tupleIJPfS6_EEENSE_IJSB_SB_EEENS0_18inequality_wrapperIN6hipcub16HIPCUB_304000_NS8EqualityEEEPlJS6_EEE10hipError_tPvRmT3_T4_T5_T6_T7_T9_mT8_P12ihipStream_tbDpT10_ENKUlT_T0_E_clISt17integral_constantIbLb0EES17_EEDaS12_S13_EUlS12_E_NS1_11comp_targetILNS1_3genE10ELNS1_11target_archE1200ELNS1_3gpuE4ELNS1_3repE0EEENS1_30default_config_static_selectorELNS0_4arch9wavefront6targetE1EEEvT1_
; %bb.0:
	.section	.rodata,"a",@progbits
	.p2align	6, 0x0
	.amdhsa_kernel _ZN7rocprim17ROCPRIM_400000_NS6detail17trampoline_kernelINS0_14default_configENS1_25partition_config_selectorILNS1_17partition_subalgoE8EfNS0_10empty_typeEbEEZZNS1_14partition_implILS5_8ELb0ES3_jPKfPS6_PKS6_NS0_5tupleIJPfS6_EEENSE_IJSB_SB_EEENS0_18inequality_wrapperIN6hipcub16HIPCUB_304000_NS8EqualityEEEPlJS6_EEE10hipError_tPvRmT3_T4_T5_T6_T7_T9_mT8_P12ihipStream_tbDpT10_ENKUlT_T0_E_clISt17integral_constantIbLb0EES17_EEDaS12_S13_EUlS12_E_NS1_11comp_targetILNS1_3genE10ELNS1_11target_archE1200ELNS1_3gpuE4ELNS1_3repE0EEENS1_30default_config_static_selectorELNS0_4arch9wavefront6targetE1EEEvT1_
		.amdhsa_group_segment_fixed_size 0
		.amdhsa_private_segment_fixed_size 0
		.amdhsa_kernarg_size 112
		.amdhsa_user_sgpr_count 6
		.amdhsa_user_sgpr_private_segment_buffer 1
		.amdhsa_user_sgpr_dispatch_ptr 0
		.amdhsa_user_sgpr_queue_ptr 0
		.amdhsa_user_sgpr_kernarg_segment_ptr 1
		.amdhsa_user_sgpr_dispatch_id 0
		.amdhsa_user_sgpr_flat_scratch_init 0
		.amdhsa_user_sgpr_kernarg_preload_length 0
		.amdhsa_user_sgpr_kernarg_preload_offset 0
		.amdhsa_user_sgpr_private_segment_size 0
		.amdhsa_uses_dynamic_stack 0
		.amdhsa_system_sgpr_private_segment_wavefront_offset 0
		.amdhsa_system_sgpr_workgroup_id_x 1
		.amdhsa_system_sgpr_workgroup_id_y 0
		.amdhsa_system_sgpr_workgroup_id_z 0
		.amdhsa_system_sgpr_workgroup_info 0
		.amdhsa_system_vgpr_workitem_id 0
		.amdhsa_next_free_vgpr 1
		.amdhsa_next_free_sgpr 0
		.amdhsa_accum_offset 4
		.amdhsa_reserve_vcc 0
		.amdhsa_reserve_flat_scratch 0
		.amdhsa_float_round_mode_32 0
		.amdhsa_float_round_mode_16_64 0
		.amdhsa_float_denorm_mode_32 3
		.amdhsa_float_denorm_mode_16_64 3
		.amdhsa_dx10_clamp 1
		.amdhsa_ieee_mode 1
		.amdhsa_fp16_overflow 0
		.amdhsa_tg_split 0
		.amdhsa_exception_fp_ieee_invalid_op 0
		.amdhsa_exception_fp_denorm_src 0
		.amdhsa_exception_fp_ieee_div_zero 0
		.amdhsa_exception_fp_ieee_overflow 0
		.amdhsa_exception_fp_ieee_underflow 0
		.amdhsa_exception_fp_ieee_inexact 0
		.amdhsa_exception_int_div_zero 0
	.end_amdhsa_kernel
	.section	.text._ZN7rocprim17ROCPRIM_400000_NS6detail17trampoline_kernelINS0_14default_configENS1_25partition_config_selectorILNS1_17partition_subalgoE8EfNS0_10empty_typeEbEEZZNS1_14partition_implILS5_8ELb0ES3_jPKfPS6_PKS6_NS0_5tupleIJPfS6_EEENSE_IJSB_SB_EEENS0_18inequality_wrapperIN6hipcub16HIPCUB_304000_NS8EqualityEEEPlJS6_EEE10hipError_tPvRmT3_T4_T5_T6_T7_T9_mT8_P12ihipStream_tbDpT10_ENKUlT_T0_E_clISt17integral_constantIbLb0EES17_EEDaS12_S13_EUlS12_E_NS1_11comp_targetILNS1_3genE10ELNS1_11target_archE1200ELNS1_3gpuE4ELNS1_3repE0EEENS1_30default_config_static_selectorELNS0_4arch9wavefront6targetE1EEEvT1_,"axG",@progbits,_ZN7rocprim17ROCPRIM_400000_NS6detail17trampoline_kernelINS0_14default_configENS1_25partition_config_selectorILNS1_17partition_subalgoE8EfNS0_10empty_typeEbEEZZNS1_14partition_implILS5_8ELb0ES3_jPKfPS6_PKS6_NS0_5tupleIJPfS6_EEENSE_IJSB_SB_EEENS0_18inequality_wrapperIN6hipcub16HIPCUB_304000_NS8EqualityEEEPlJS6_EEE10hipError_tPvRmT3_T4_T5_T6_T7_T9_mT8_P12ihipStream_tbDpT10_ENKUlT_T0_E_clISt17integral_constantIbLb0EES17_EEDaS12_S13_EUlS12_E_NS1_11comp_targetILNS1_3genE10ELNS1_11target_archE1200ELNS1_3gpuE4ELNS1_3repE0EEENS1_30default_config_static_selectorELNS0_4arch9wavefront6targetE1EEEvT1_,comdat
.Lfunc_end346:
	.size	_ZN7rocprim17ROCPRIM_400000_NS6detail17trampoline_kernelINS0_14default_configENS1_25partition_config_selectorILNS1_17partition_subalgoE8EfNS0_10empty_typeEbEEZZNS1_14partition_implILS5_8ELb0ES3_jPKfPS6_PKS6_NS0_5tupleIJPfS6_EEENSE_IJSB_SB_EEENS0_18inequality_wrapperIN6hipcub16HIPCUB_304000_NS8EqualityEEEPlJS6_EEE10hipError_tPvRmT3_T4_T5_T6_T7_T9_mT8_P12ihipStream_tbDpT10_ENKUlT_T0_E_clISt17integral_constantIbLb0EES17_EEDaS12_S13_EUlS12_E_NS1_11comp_targetILNS1_3genE10ELNS1_11target_archE1200ELNS1_3gpuE4ELNS1_3repE0EEENS1_30default_config_static_selectorELNS0_4arch9wavefront6targetE1EEEvT1_, .Lfunc_end346-_ZN7rocprim17ROCPRIM_400000_NS6detail17trampoline_kernelINS0_14default_configENS1_25partition_config_selectorILNS1_17partition_subalgoE8EfNS0_10empty_typeEbEEZZNS1_14partition_implILS5_8ELb0ES3_jPKfPS6_PKS6_NS0_5tupleIJPfS6_EEENSE_IJSB_SB_EEENS0_18inequality_wrapperIN6hipcub16HIPCUB_304000_NS8EqualityEEEPlJS6_EEE10hipError_tPvRmT3_T4_T5_T6_T7_T9_mT8_P12ihipStream_tbDpT10_ENKUlT_T0_E_clISt17integral_constantIbLb0EES17_EEDaS12_S13_EUlS12_E_NS1_11comp_targetILNS1_3genE10ELNS1_11target_archE1200ELNS1_3gpuE4ELNS1_3repE0EEENS1_30default_config_static_selectorELNS0_4arch9wavefront6targetE1EEEvT1_
                                        ; -- End function
	.section	.AMDGPU.csdata,"",@progbits
; Kernel info:
; codeLenInByte = 0
; NumSgprs: 4
; NumVgprs: 0
; NumAgprs: 0
; TotalNumVgprs: 0
; ScratchSize: 0
; MemoryBound: 0
; FloatMode: 240
; IeeeMode: 1
; LDSByteSize: 0 bytes/workgroup (compile time only)
; SGPRBlocks: 0
; VGPRBlocks: 0
; NumSGPRsForWavesPerEU: 4
; NumVGPRsForWavesPerEU: 1
; AccumOffset: 4
; Occupancy: 8
; WaveLimiterHint : 0
; COMPUTE_PGM_RSRC2:SCRATCH_EN: 0
; COMPUTE_PGM_RSRC2:USER_SGPR: 6
; COMPUTE_PGM_RSRC2:TRAP_HANDLER: 0
; COMPUTE_PGM_RSRC2:TGID_X_EN: 1
; COMPUTE_PGM_RSRC2:TGID_Y_EN: 0
; COMPUTE_PGM_RSRC2:TGID_Z_EN: 0
; COMPUTE_PGM_RSRC2:TIDIG_COMP_CNT: 0
; COMPUTE_PGM_RSRC3_GFX90A:ACCUM_OFFSET: 0
; COMPUTE_PGM_RSRC3_GFX90A:TG_SPLIT: 0
	.section	.text._ZN7rocprim17ROCPRIM_400000_NS6detail17trampoline_kernelINS0_14default_configENS1_25partition_config_selectorILNS1_17partition_subalgoE8EfNS0_10empty_typeEbEEZZNS1_14partition_implILS5_8ELb0ES3_jPKfPS6_PKS6_NS0_5tupleIJPfS6_EEENSE_IJSB_SB_EEENS0_18inequality_wrapperIN6hipcub16HIPCUB_304000_NS8EqualityEEEPlJS6_EEE10hipError_tPvRmT3_T4_T5_T6_T7_T9_mT8_P12ihipStream_tbDpT10_ENKUlT_T0_E_clISt17integral_constantIbLb0EES17_EEDaS12_S13_EUlS12_E_NS1_11comp_targetILNS1_3genE9ELNS1_11target_archE1100ELNS1_3gpuE3ELNS1_3repE0EEENS1_30default_config_static_selectorELNS0_4arch9wavefront6targetE1EEEvT1_,"axG",@progbits,_ZN7rocprim17ROCPRIM_400000_NS6detail17trampoline_kernelINS0_14default_configENS1_25partition_config_selectorILNS1_17partition_subalgoE8EfNS0_10empty_typeEbEEZZNS1_14partition_implILS5_8ELb0ES3_jPKfPS6_PKS6_NS0_5tupleIJPfS6_EEENSE_IJSB_SB_EEENS0_18inequality_wrapperIN6hipcub16HIPCUB_304000_NS8EqualityEEEPlJS6_EEE10hipError_tPvRmT3_T4_T5_T6_T7_T9_mT8_P12ihipStream_tbDpT10_ENKUlT_T0_E_clISt17integral_constantIbLb0EES17_EEDaS12_S13_EUlS12_E_NS1_11comp_targetILNS1_3genE9ELNS1_11target_archE1100ELNS1_3gpuE3ELNS1_3repE0EEENS1_30default_config_static_selectorELNS0_4arch9wavefront6targetE1EEEvT1_,comdat
	.protected	_ZN7rocprim17ROCPRIM_400000_NS6detail17trampoline_kernelINS0_14default_configENS1_25partition_config_selectorILNS1_17partition_subalgoE8EfNS0_10empty_typeEbEEZZNS1_14partition_implILS5_8ELb0ES3_jPKfPS6_PKS6_NS0_5tupleIJPfS6_EEENSE_IJSB_SB_EEENS0_18inequality_wrapperIN6hipcub16HIPCUB_304000_NS8EqualityEEEPlJS6_EEE10hipError_tPvRmT3_T4_T5_T6_T7_T9_mT8_P12ihipStream_tbDpT10_ENKUlT_T0_E_clISt17integral_constantIbLb0EES17_EEDaS12_S13_EUlS12_E_NS1_11comp_targetILNS1_3genE9ELNS1_11target_archE1100ELNS1_3gpuE3ELNS1_3repE0EEENS1_30default_config_static_selectorELNS0_4arch9wavefront6targetE1EEEvT1_ ; -- Begin function _ZN7rocprim17ROCPRIM_400000_NS6detail17trampoline_kernelINS0_14default_configENS1_25partition_config_selectorILNS1_17partition_subalgoE8EfNS0_10empty_typeEbEEZZNS1_14partition_implILS5_8ELb0ES3_jPKfPS6_PKS6_NS0_5tupleIJPfS6_EEENSE_IJSB_SB_EEENS0_18inequality_wrapperIN6hipcub16HIPCUB_304000_NS8EqualityEEEPlJS6_EEE10hipError_tPvRmT3_T4_T5_T6_T7_T9_mT8_P12ihipStream_tbDpT10_ENKUlT_T0_E_clISt17integral_constantIbLb0EES17_EEDaS12_S13_EUlS12_E_NS1_11comp_targetILNS1_3genE9ELNS1_11target_archE1100ELNS1_3gpuE3ELNS1_3repE0EEENS1_30default_config_static_selectorELNS0_4arch9wavefront6targetE1EEEvT1_
	.globl	_ZN7rocprim17ROCPRIM_400000_NS6detail17trampoline_kernelINS0_14default_configENS1_25partition_config_selectorILNS1_17partition_subalgoE8EfNS0_10empty_typeEbEEZZNS1_14partition_implILS5_8ELb0ES3_jPKfPS6_PKS6_NS0_5tupleIJPfS6_EEENSE_IJSB_SB_EEENS0_18inequality_wrapperIN6hipcub16HIPCUB_304000_NS8EqualityEEEPlJS6_EEE10hipError_tPvRmT3_T4_T5_T6_T7_T9_mT8_P12ihipStream_tbDpT10_ENKUlT_T0_E_clISt17integral_constantIbLb0EES17_EEDaS12_S13_EUlS12_E_NS1_11comp_targetILNS1_3genE9ELNS1_11target_archE1100ELNS1_3gpuE3ELNS1_3repE0EEENS1_30default_config_static_selectorELNS0_4arch9wavefront6targetE1EEEvT1_
	.p2align	8
	.type	_ZN7rocprim17ROCPRIM_400000_NS6detail17trampoline_kernelINS0_14default_configENS1_25partition_config_selectorILNS1_17partition_subalgoE8EfNS0_10empty_typeEbEEZZNS1_14partition_implILS5_8ELb0ES3_jPKfPS6_PKS6_NS0_5tupleIJPfS6_EEENSE_IJSB_SB_EEENS0_18inequality_wrapperIN6hipcub16HIPCUB_304000_NS8EqualityEEEPlJS6_EEE10hipError_tPvRmT3_T4_T5_T6_T7_T9_mT8_P12ihipStream_tbDpT10_ENKUlT_T0_E_clISt17integral_constantIbLb0EES17_EEDaS12_S13_EUlS12_E_NS1_11comp_targetILNS1_3genE9ELNS1_11target_archE1100ELNS1_3gpuE3ELNS1_3repE0EEENS1_30default_config_static_selectorELNS0_4arch9wavefront6targetE1EEEvT1_,@function
_ZN7rocprim17ROCPRIM_400000_NS6detail17trampoline_kernelINS0_14default_configENS1_25partition_config_selectorILNS1_17partition_subalgoE8EfNS0_10empty_typeEbEEZZNS1_14partition_implILS5_8ELb0ES3_jPKfPS6_PKS6_NS0_5tupleIJPfS6_EEENSE_IJSB_SB_EEENS0_18inequality_wrapperIN6hipcub16HIPCUB_304000_NS8EqualityEEEPlJS6_EEE10hipError_tPvRmT3_T4_T5_T6_T7_T9_mT8_P12ihipStream_tbDpT10_ENKUlT_T0_E_clISt17integral_constantIbLb0EES17_EEDaS12_S13_EUlS12_E_NS1_11comp_targetILNS1_3genE9ELNS1_11target_archE1100ELNS1_3gpuE3ELNS1_3repE0EEENS1_30default_config_static_selectorELNS0_4arch9wavefront6targetE1EEEvT1_: ; @_ZN7rocprim17ROCPRIM_400000_NS6detail17trampoline_kernelINS0_14default_configENS1_25partition_config_selectorILNS1_17partition_subalgoE8EfNS0_10empty_typeEbEEZZNS1_14partition_implILS5_8ELb0ES3_jPKfPS6_PKS6_NS0_5tupleIJPfS6_EEENSE_IJSB_SB_EEENS0_18inequality_wrapperIN6hipcub16HIPCUB_304000_NS8EqualityEEEPlJS6_EEE10hipError_tPvRmT3_T4_T5_T6_T7_T9_mT8_P12ihipStream_tbDpT10_ENKUlT_T0_E_clISt17integral_constantIbLb0EES17_EEDaS12_S13_EUlS12_E_NS1_11comp_targetILNS1_3genE9ELNS1_11target_archE1100ELNS1_3gpuE3ELNS1_3repE0EEENS1_30default_config_static_selectorELNS0_4arch9wavefront6targetE1EEEvT1_
; %bb.0:
	.section	.rodata,"a",@progbits
	.p2align	6, 0x0
	.amdhsa_kernel _ZN7rocprim17ROCPRIM_400000_NS6detail17trampoline_kernelINS0_14default_configENS1_25partition_config_selectorILNS1_17partition_subalgoE8EfNS0_10empty_typeEbEEZZNS1_14partition_implILS5_8ELb0ES3_jPKfPS6_PKS6_NS0_5tupleIJPfS6_EEENSE_IJSB_SB_EEENS0_18inequality_wrapperIN6hipcub16HIPCUB_304000_NS8EqualityEEEPlJS6_EEE10hipError_tPvRmT3_T4_T5_T6_T7_T9_mT8_P12ihipStream_tbDpT10_ENKUlT_T0_E_clISt17integral_constantIbLb0EES17_EEDaS12_S13_EUlS12_E_NS1_11comp_targetILNS1_3genE9ELNS1_11target_archE1100ELNS1_3gpuE3ELNS1_3repE0EEENS1_30default_config_static_selectorELNS0_4arch9wavefront6targetE1EEEvT1_
		.amdhsa_group_segment_fixed_size 0
		.amdhsa_private_segment_fixed_size 0
		.amdhsa_kernarg_size 112
		.amdhsa_user_sgpr_count 6
		.amdhsa_user_sgpr_private_segment_buffer 1
		.amdhsa_user_sgpr_dispatch_ptr 0
		.amdhsa_user_sgpr_queue_ptr 0
		.amdhsa_user_sgpr_kernarg_segment_ptr 1
		.amdhsa_user_sgpr_dispatch_id 0
		.amdhsa_user_sgpr_flat_scratch_init 0
		.amdhsa_user_sgpr_kernarg_preload_length 0
		.amdhsa_user_sgpr_kernarg_preload_offset 0
		.amdhsa_user_sgpr_private_segment_size 0
		.amdhsa_uses_dynamic_stack 0
		.amdhsa_system_sgpr_private_segment_wavefront_offset 0
		.amdhsa_system_sgpr_workgroup_id_x 1
		.amdhsa_system_sgpr_workgroup_id_y 0
		.amdhsa_system_sgpr_workgroup_id_z 0
		.amdhsa_system_sgpr_workgroup_info 0
		.amdhsa_system_vgpr_workitem_id 0
		.amdhsa_next_free_vgpr 1
		.amdhsa_next_free_sgpr 0
		.amdhsa_accum_offset 4
		.amdhsa_reserve_vcc 0
		.amdhsa_reserve_flat_scratch 0
		.amdhsa_float_round_mode_32 0
		.amdhsa_float_round_mode_16_64 0
		.amdhsa_float_denorm_mode_32 3
		.amdhsa_float_denorm_mode_16_64 3
		.amdhsa_dx10_clamp 1
		.amdhsa_ieee_mode 1
		.amdhsa_fp16_overflow 0
		.amdhsa_tg_split 0
		.amdhsa_exception_fp_ieee_invalid_op 0
		.amdhsa_exception_fp_denorm_src 0
		.amdhsa_exception_fp_ieee_div_zero 0
		.amdhsa_exception_fp_ieee_overflow 0
		.amdhsa_exception_fp_ieee_underflow 0
		.amdhsa_exception_fp_ieee_inexact 0
		.amdhsa_exception_int_div_zero 0
	.end_amdhsa_kernel
	.section	.text._ZN7rocprim17ROCPRIM_400000_NS6detail17trampoline_kernelINS0_14default_configENS1_25partition_config_selectorILNS1_17partition_subalgoE8EfNS0_10empty_typeEbEEZZNS1_14partition_implILS5_8ELb0ES3_jPKfPS6_PKS6_NS0_5tupleIJPfS6_EEENSE_IJSB_SB_EEENS0_18inequality_wrapperIN6hipcub16HIPCUB_304000_NS8EqualityEEEPlJS6_EEE10hipError_tPvRmT3_T4_T5_T6_T7_T9_mT8_P12ihipStream_tbDpT10_ENKUlT_T0_E_clISt17integral_constantIbLb0EES17_EEDaS12_S13_EUlS12_E_NS1_11comp_targetILNS1_3genE9ELNS1_11target_archE1100ELNS1_3gpuE3ELNS1_3repE0EEENS1_30default_config_static_selectorELNS0_4arch9wavefront6targetE1EEEvT1_,"axG",@progbits,_ZN7rocprim17ROCPRIM_400000_NS6detail17trampoline_kernelINS0_14default_configENS1_25partition_config_selectorILNS1_17partition_subalgoE8EfNS0_10empty_typeEbEEZZNS1_14partition_implILS5_8ELb0ES3_jPKfPS6_PKS6_NS0_5tupleIJPfS6_EEENSE_IJSB_SB_EEENS0_18inequality_wrapperIN6hipcub16HIPCUB_304000_NS8EqualityEEEPlJS6_EEE10hipError_tPvRmT3_T4_T5_T6_T7_T9_mT8_P12ihipStream_tbDpT10_ENKUlT_T0_E_clISt17integral_constantIbLb0EES17_EEDaS12_S13_EUlS12_E_NS1_11comp_targetILNS1_3genE9ELNS1_11target_archE1100ELNS1_3gpuE3ELNS1_3repE0EEENS1_30default_config_static_selectorELNS0_4arch9wavefront6targetE1EEEvT1_,comdat
.Lfunc_end347:
	.size	_ZN7rocprim17ROCPRIM_400000_NS6detail17trampoline_kernelINS0_14default_configENS1_25partition_config_selectorILNS1_17partition_subalgoE8EfNS0_10empty_typeEbEEZZNS1_14partition_implILS5_8ELb0ES3_jPKfPS6_PKS6_NS0_5tupleIJPfS6_EEENSE_IJSB_SB_EEENS0_18inequality_wrapperIN6hipcub16HIPCUB_304000_NS8EqualityEEEPlJS6_EEE10hipError_tPvRmT3_T4_T5_T6_T7_T9_mT8_P12ihipStream_tbDpT10_ENKUlT_T0_E_clISt17integral_constantIbLb0EES17_EEDaS12_S13_EUlS12_E_NS1_11comp_targetILNS1_3genE9ELNS1_11target_archE1100ELNS1_3gpuE3ELNS1_3repE0EEENS1_30default_config_static_selectorELNS0_4arch9wavefront6targetE1EEEvT1_, .Lfunc_end347-_ZN7rocprim17ROCPRIM_400000_NS6detail17trampoline_kernelINS0_14default_configENS1_25partition_config_selectorILNS1_17partition_subalgoE8EfNS0_10empty_typeEbEEZZNS1_14partition_implILS5_8ELb0ES3_jPKfPS6_PKS6_NS0_5tupleIJPfS6_EEENSE_IJSB_SB_EEENS0_18inequality_wrapperIN6hipcub16HIPCUB_304000_NS8EqualityEEEPlJS6_EEE10hipError_tPvRmT3_T4_T5_T6_T7_T9_mT8_P12ihipStream_tbDpT10_ENKUlT_T0_E_clISt17integral_constantIbLb0EES17_EEDaS12_S13_EUlS12_E_NS1_11comp_targetILNS1_3genE9ELNS1_11target_archE1100ELNS1_3gpuE3ELNS1_3repE0EEENS1_30default_config_static_selectorELNS0_4arch9wavefront6targetE1EEEvT1_
                                        ; -- End function
	.section	.AMDGPU.csdata,"",@progbits
; Kernel info:
; codeLenInByte = 0
; NumSgprs: 4
; NumVgprs: 0
; NumAgprs: 0
; TotalNumVgprs: 0
; ScratchSize: 0
; MemoryBound: 0
; FloatMode: 240
; IeeeMode: 1
; LDSByteSize: 0 bytes/workgroup (compile time only)
; SGPRBlocks: 0
; VGPRBlocks: 0
; NumSGPRsForWavesPerEU: 4
; NumVGPRsForWavesPerEU: 1
; AccumOffset: 4
; Occupancy: 8
; WaveLimiterHint : 0
; COMPUTE_PGM_RSRC2:SCRATCH_EN: 0
; COMPUTE_PGM_RSRC2:USER_SGPR: 6
; COMPUTE_PGM_RSRC2:TRAP_HANDLER: 0
; COMPUTE_PGM_RSRC2:TGID_X_EN: 1
; COMPUTE_PGM_RSRC2:TGID_Y_EN: 0
; COMPUTE_PGM_RSRC2:TGID_Z_EN: 0
; COMPUTE_PGM_RSRC2:TIDIG_COMP_CNT: 0
; COMPUTE_PGM_RSRC3_GFX90A:ACCUM_OFFSET: 0
; COMPUTE_PGM_RSRC3_GFX90A:TG_SPLIT: 0
	.section	.text._ZN7rocprim17ROCPRIM_400000_NS6detail17trampoline_kernelINS0_14default_configENS1_25partition_config_selectorILNS1_17partition_subalgoE8EfNS0_10empty_typeEbEEZZNS1_14partition_implILS5_8ELb0ES3_jPKfPS6_PKS6_NS0_5tupleIJPfS6_EEENSE_IJSB_SB_EEENS0_18inequality_wrapperIN6hipcub16HIPCUB_304000_NS8EqualityEEEPlJS6_EEE10hipError_tPvRmT3_T4_T5_T6_T7_T9_mT8_P12ihipStream_tbDpT10_ENKUlT_T0_E_clISt17integral_constantIbLb0EES17_EEDaS12_S13_EUlS12_E_NS1_11comp_targetILNS1_3genE8ELNS1_11target_archE1030ELNS1_3gpuE2ELNS1_3repE0EEENS1_30default_config_static_selectorELNS0_4arch9wavefront6targetE1EEEvT1_,"axG",@progbits,_ZN7rocprim17ROCPRIM_400000_NS6detail17trampoline_kernelINS0_14default_configENS1_25partition_config_selectorILNS1_17partition_subalgoE8EfNS0_10empty_typeEbEEZZNS1_14partition_implILS5_8ELb0ES3_jPKfPS6_PKS6_NS0_5tupleIJPfS6_EEENSE_IJSB_SB_EEENS0_18inequality_wrapperIN6hipcub16HIPCUB_304000_NS8EqualityEEEPlJS6_EEE10hipError_tPvRmT3_T4_T5_T6_T7_T9_mT8_P12ihipStream_tbDpT10_ENKUlT_T0_E_clISt17integral_constantIbLb0EES17_EEDaS12_S13_EUlS12_E_NS1_11comp_targetILNS1_3genE8ELNS1_11target_archE1030ELNS1_3gpuE2ELNS1_3repE0EEENS1_30default_config_static_selectorELNS0_4arch9wavefront6targetE1EEEvT1_,comdat
	.protected	_ZN7rocprim17ROCPRIM_400000_NS6detail17trampoline_kernelINS0_14default_configENS1_25partition_config_selectorILNS1_17partition_subalgoE8EfNS0_10empty_typeEbEEZZNS1_14partition_implILS5_8ELb0ES3_jPKfPS6_PKS6_NS0_5tupleIJPfS6_EEENSE_IJSB_SB_EEENS0_18inequality_wrapperIN6hipcub16HIPCUB_304000_NS8EqualityEEEPlJS6_EEE10hipError_tPvRmT3_T4_T5_T6_T7_T9_mT8_P12ihipStream_tbDpT10_ENKUlT_T0_E_clISt17integral_constantIbLb0EES17_EEDaS12_S13_EUlS12_E_NS1_11comp_targetILNS1_3genE8ELNS1_11target_archE1030ELNS1_3gpuE2ELNS1_3repE0EEENS1_30default_config_static_selectorELNS0_4arch9wavefront6targetE1EEEvT1_ ; -- Begin function _ZN7rocprim17ROCPRIM_400000_NS6detail17trampoline_kernelINS0_14default_configENS1_25partition_config_selectorILNS1_17partition_subalgoE8EfNS0_10empty_typeEbEEZZNS1_14partition_implILS5_8ELb0ES3_jPKfPS6_PKS6_NS0_5tupleIJPfS6_EEENSE_IJSB_SB_EEENS0_18inequality_wrapperIN6hipcub16HIPCUB_304000_NS8EqualityEEEPlJS6_EEE10hipError_tPvRmT3_T4_T5_T6_T7_T9_mT8_P12ihipStream_tbDpT10_ENKUlT_T0_E_clISt17integral_constantIbLb0EES17_EEDaS12_S13_EUlS12_E_NS1_11comp_targetILNS1_3genE8ELNS1_11target_archE1030ELNS1_3gpuE2ELNS1_3repE0EEENS1_30default_config_static_selectorELNS0_4arch9wavefront6targetE1EEEvT1_
	.globl	_ZN7rocprim17ROCPRIM_400000_NS6detail17trampoline_kernelINS0_14default_configENS1_25partition_config_selectorILNS1_17partition_subalgoE8EfNS0_10empty_typeEbEEZZNS1_14partition_implILS5_8ELb0ES3_jPKfPS6_PKS6_NS0_5tupleIJPfS6_EEENSE_IJSB_SB_EEENS0_18inequality_wrapperIN6hipcub16HIPCUB_304000_NS8EqualityEEEPlJS6_EEE10hipError_tPvRmT3_T4_T5_T6_T7_T9_mT8_P12ihipStream_tbDpT10_ENKUlT_T0_E_clISt17integral_constantIbLb0EES17_EEDaS12_S13_EUlS12_E_NS1_11comp_targetILNS1_3genE8ELNS1_11target_archE1030ELNS1_3gpuE2ELNS1_3repE0EEENS1_30default_config_static_selectorELNS0_4arch9wavefront6targetE1EEEvT1_
	.p2align	8
	.type	_ZN7rocprim17ROCPRIM_400000_NS6detail17trampoline_kernelINS0_14default_configENS1_25partition_config_selectorILNS1_17partition_subalgoE8EfNS0_10empty_typeEbEEZZNS1_14partition_implILS5_8ELb0ES3_jPKfPS6_PKS6_NS0_5tupleIJPfS6_EEENSE_IJSB_SB_EEENS0_18inequality_wrapperIN6hipcub16HIPCUB_304000_NS8EqualityEEEPlJS6_EEE10hipError_tPvRmT3_T4_T5_T6_T7_T9_mT8_P12ihipStream_tbDpT10_ENKUlT_T0_E_clISt17integral_constantIbLb0EES17_EEDaS12_S13_EUlS12_E_NS1_11comp_targetILNS1_3genE8ELNS1_11target_archE1030ELNS1_3gpuE2ELNS1_3repE0EEENS1_30default_config_static_selectorELNS0_4arch9wavefront6targetE1EEEvT1_,@function
_ZN7rocprim17ROCPRIM_400000_NS6detail17trampoline_kernelINS0_14default_configENS1_25partition_config_selectorILNS1_17partition_subalgoE8EfNS0_10empty_typeEbEEZZNS1_14partition_implILS5_8ELb0ES3_jPKfPS6_PKS6_NS0_5tupleIJPfS6_EEENSE_IJSB_SB_EEENS0_18inequality_wrapperIN6hipcub16HIPCUB_304000_NS8EqualityEEEPlJS6_EEE10hipError_tPvRmT3_T4_T5_T6_T7_T9_mT8_P12ihipStream_tbDpT10_ENKUlT_T0_E_clISt17integral_constantIbLb0EES17_EEDaS12_S13_EUlS12_E_NS1_11comp_targetILNS1_3genE8ELNS1_11target_archE1030ELNS1_3gpuE2ELNS1_3repE0EEENS1_30default_config_static_selectorELNS0_4arch9wavefront6targetE1EEEvT1_: ; @_ZN7rocprim17ROCPRIM_400000_NS6detail17trampoline_kernelINS0_14default_configENS1_25partition_config_selectorILNS1_17partition_subalgoE8EfNS0_10empty_typeEbEEZZNS1_14partition_implILS5_8ELb0ES3_jPKfPS6_PKS6_NS0_5tupleIJPfS6_EEENSE_IJSB_SB_EEENS0_18inequality_wrapperIN6hipcub16HIPCUB_304000_NS8EqualityEEEPlJS6_EEE10hipError_tPvRmT3_T4_T5_T6_T7_T9_mT8_P12ihipStream_tbDpT10_ENKUlT_T0_E_clISt17integral_constantIbLb0EES17_EEDaS12_S13_EUlS12_E_NS1_11comp_targetILNS1_3genE8ELNS1_11target_archE1030ELNS1_3gpuE2ELNS1_3repE0EEENS1_30default_config_static_selectorELNS0_4arch9wavefront6targetE1EEEvT1_
; %bb.0:
	.section	.rodata,"a",@progbits
	.p2align	6, 0x0
	.amdhsa_kernel _ZN7rocprim17ROCPRIM_400000_NS6detail17trampoline_kernelINS0_14default_configENS1_25partition_config_selectorILNS1_17partition_subalgoE8EfNS0_10empty_typeEbEEZZNS1_14partition_implILS5_8ELb0ES3_jPKfPS6_PKS6_NS0_5tupleIJPfS6_EEENSE_IJSB_SB_EEENS0_18inequality_wrapperIN6hipcub16HIPCUB_304000_NS8EqualityEEEPlJS6_EEE10hipError_tPvRmT3_T4_T5_T6_T7_T9_mT8_P12ihipStream_tbDpT10_ENKUlT_T0_E_clISt17integral_constantIbLb0EES17_EEDaS12_S13_EUlS12_E_NS1_11comp_targetILNS1_3genE8ELNS1_11target_archE1030ELNS1_3gpuE2ELNS1_3repE0EEENS1_30default_config_static_selectorELNS0_4arch9wavefront6targetE1EEEvT1_
		.amdhsa_group_segment_fixed_size 0
		.amdhsa_private_segment_fixed_size 0
		.amdhsa_kernarg_size 112
		.amdhsa_user_sgpr_count 6
		.amdhsa_user_sgpr_private_segment_buffer 1
		.amdhsa_user_sgpr_dispatch_ptr 0
		.amdhsa_user_sgpr_queue_ptr 0
		.amdhsa_user_sgpr_kernarg_segment_ptr 1
		.amdhsa_user_sgpr_dispatch_id 0
		.amdhsa_user_sgpr_flat_scratch_init 0
		.amdhsa_user_sgpr_kernarg_preload_length 0
		.amdhsa_user_sgpr_kernarg_preload_offset 0
		.amdhsa_user_sgpr_private_segment_size 0
		.amdhsa_uses_dynamic_stack 0
		.amdhsa_system_sgpr_private_segment_wavefront_offset 0
		.amdhsa_system_sgpr_workgroup_id_x 1
		.amdhsa_system_sgpr_workgroup_id_y 0
		.amdhsa_system_sgpr_workgroup_id_z 0
		.amdhsa_system_sgpr_workgroup_info 0
		.amdhsa_system_vgpr_workitem_id 0
		.amdhsa_next_free_vgpr 1
		.amdhsa_next_free_sgpr 0
		.amdhsa_accum_offset 4
		.amdhsa_reserve_vcc 0
		.amdhsa_reserve_flat_scratch 0
		.amdhsa_float_round_mode_32 0
		.amdhsa_float_round_mode_16_64 0
		.amdhsa_float_denorm_mode_32 3
		.amdhsa_float_denorm_mode_16_64 3
		.amdhsa_dx10_clamp 1
		.amdhsa_ieee_mode 1
		.amdhsa_fp16_overflow 0
		.amdhsa_tg_split 0
		.amdhsa_exception_fp_ieee_invalid_op 0
		.amdhsa_exception_fp_denorm_src 0
		.amdhsa_exception_fp_ieee_div_zero 0
		.amdhsa_exception_fp_ieee_overflow 0
		.amdhsa_exception_fp_ieee_underflow 0
		.amdhsa_exception_fp_ieee_inexact 0
		.amdhsa_exception_int_div_zero 0
	.end_amdhsa_kernel
	.section	.text._ZN7rocprim17ROCPRIM_400000_NS6detail17trampoline_kernelINS0_14default_configENS1_25partition_config_selectorILNS1_17partition_subalgoE8EfNS0_10empty_typeEbEEZZNS1_14partition_implILS5_8ELb0ES3_jPKfPS6_PKS6_NS0_5tupleIJPfS6_EEENSE_IJSB_SB_EEENS0_18inequality_wrapperIN6hipcub16HIPCUB_304000_NS8EqualityEEEPlJS6_EEE10hipError_tPvRmT3_T4_T5_T6_T7_T9_mT8_P12ihipStream_tbDpT10_ENKUlT_T0_E_clISt17integral_constantIbLb0EES17_EEDaS12_S13_EUlS12_E_NS1_11comp_targetILNS1_3genE8ELNS1_11target_archE1030ELNS1_3gpuE2ELNS1_3repE0EEENS1_30default_config_static_selectorELNS0_4arch9wavefront6targetE1EEEvT1_,"axG",@progbits,_ZN7rocprim17ROCPRIM_400000_NS6detail17trampoline_kernelINS0_14default_configENS1_25partition_config_selectorILNS1_17partition_subalgoE8EfNS0_10empty_typeEbEEZZNS1_14partition_implILS5_8ELb0ES3_jPKfPS6_PKS6_NS0_5tupleIJPfS6_EEENSE_IJSB_SB_EEENS0_18inequality_wrapperIN6hipcub16HIPCUB_304000_NS8EqualityEEEPlJS6_EEE10hipError_tPvRmT3_T4_T5_T6_T7_T9_mT8_P12ihipStream_tbDpT10_ENKUlT_T0_E_clISt17integral_constantIbLb0EES17_EEDaS12_S13_EUlS12_E_NS1_11comp_targetILNS1_3genE8ELNS1_11target_archE1030ELNS1_3gpuE2ELNS1_3repE0EEENS1_30default_config_static_selectorELNS0_4arch9wavefront6targetE1EEEvT1_,comdat
.Lfunc_end348:
	.size	_ZN7rocprim17ROCPRIM_400000_NS6detail17trampoline_kernelINS0_14default_configENS1_25partition_config_selectorILNS1_17partition_subalgoE8EfNS0_10empty_typeEbEEZZNS1_14partition_implILS5_8ELb0ES3_jPKfPS6_PKS6_NS0_5tupleIJPfS6_EEENSE_IJSB_SB_EEENS0_18inequality_wrapperIN6hipcub16HIPCUB_304000_NS8EqualityEEEPlJS6_EEE10hipError_tPvRmT3_T4_T5_T6_T7_T9_mT8_P12ihipStream_tbDpT10_ENKUlT_T0_E_clISt17integral_constantIbLb0EES17_EEDaS12_S13_EUlS12_E_NS1_11comp_targetILNS1_3genE8ELNS1_11target_archE1030ELNS1_3gpuE2ELNS1_3repE0EEENS1_30default_config_static_selectorELNS0_4arch9wavefront6targetE1EEEvT1_, .Lfunc_end348-_ZN7rocprim17ROCPRIM_400000_NS6detail17trampoline_kernelINS0_14default_configENS1_25partition_config_selectorILNS1_17partition_subalgoE8EfNS0_10empty_typeEbEEZZNS1_14partition_implILS5_8ELb0ES3_jPKfPS6_PKS6_NS0_5tupleIJPfS6_EEENSE_IJSB_SB_EEENS0_18inequality_wrapperIN6hipcub16HIPCUB_304000_NS8EqualityEEEPlJS6_EEE10hipError_tPvRmT3_T4_T5_T6_T7_T9_mT8_P12ihipStream_tbDpT10_ENKUlT_T0_E_clISt17integral_constantIbLb0EES17_EEDaS12_S13_EUlS12_E_NS1_11comp_targetILNS1_3genE8ELNS1_11target_archE1030ELNS1_3gpuE2ELNS1_3repE0EEENS1_30default_config_static_selectorELNS0_4arch9wavefront6targetE1EEEvT1_
                                        ; -- End function
	.section	.AMDGPU.csdata,"",@progbits
; Kernel info:
; codeLenInByte = 0
; NumSgprs: 4
; NumVgprs: 0
; NumAgprs: 0
; TotalNumVgprs: 0
; ScratchSize: 0
; MemoryBound: 0
; FloatMode: 240
; IeeeMode: 1
; LDSByteSize: 0 bytes/workgroup (compile time only)
; SGPRBlocks: 0
; VGPRBlocks: 0
; NumSGPRsForWavesPerEU: 4
; NumVGPRsForWavesPerEU: 1
; AccumOffset: 4
; Occupancy: 8
; WaveLimiterHint : 0
; COMPUTE_PGM_RSRC2:SCRATCH_EN: 0
; COMPUTE_PGM_RSRC2:USER_SGPR: 6
; COMPUTE_PGM_RSRC2:TRAP_HANDLER: 0
; COMPUTE_PGM_RSRC2:TGID_X_EN: 1
; COMPUTE_PGM_RSRC2:TGID_Y_EN: 0
; COMPUTE_PGM_RSRC2:TGID_Z_EN: 0
; COMPUTE_PGM_RSRC2:TIDIG_COMP_CNT: 0
; COMPUTE_PGM_RSRC3_GFX90A:ACCUM_OFFSET: 0
; COMPUTE_PGM_RSRC3_GFX90A:TG_SPLIT: 0
	.section	.text._ZN7rocprim17ROCPRIM_400000_NS6detail17trampoline_kernelINS0_14default_configENS1_25partition_config_selectorILNS1_17partition_subalgoE8EfNS0_10empty_typeEbEEZZNS1_14partition_implILS5_8ELb0ES3_jPKfPS6_PKS6_NS0_5tupleIJPfS6_EEENSE_IJSB_SB_EEENS0_18inequality_wrapperIN6hipcub16HIPCUB_304000_NS8EqualityEEEPlJS6_EEE10hipError_tPvRmT3_T4_T5_T6_T7_T9_mT8_P12ihipStream_tbDpT10_ENKUlT_T0_E_clISt17integral_constantIbLb1EES17_EEDaS12_S13_EUlS12_E_NS1_11comp_targetILNS1_3genE0ELNS1_11target_archE4294967295ELNS1_3gpuE0ELNS1_3repE0EEENS1_30default_config_static_selectorELNS0_4arch9wavefront6targetE1EEEvT1_,"axG",@progbits,_ZN7rocprim17ROCPRIM_400000_NS6detail17trampoline_kernelINS0_14default_configENS1_25partition_config_selectorILNS1_17partition_subalgoE8EfNS0_10empty_typeEbEEZZNS1_14partition_implILS5_8ELb0ES3_jPKfPS6_PKS6_NS0_5tupleIJPfS6_EEENSE_IJSB_SB_EEENS0_18inequality_wrapperIN6hipcub16HIPCUB_304000_NS8EqualityEEEPlJS6_EEE10hipError_tPvRmT3_T4_T5_T6_T7_T9_mT8_P12ihipStream_tbDpT10_ENKUlT_T0_E_clISt17integral_constantIbLb1EES17_EEDaS12_S13_EUlS12_E_NS1_11comp_targetILNS1_3genE0ELNS1_11target_archE4294967295ELNS1_3gpuE0ELNS1_3repE0EEENS1_30default_config_static_selectorELNS0_4arch9wavefront6targetE1EEEvT1_,comdat
	.protected	_ZN7rocprim17ROCPRIM_400000_NS6detail17trampoline_kernelINS0_14default_configENS1_25partition_config_selectorILNS1_17partition_subalgoE8EfNS0_10empty_typeEbEEZZNS1_14partition_implILS5_8ELb0ES3_jPKfPS6_PKS6_NS0_5tupleIJPfS6_EEENSE_IJSB_SB_EEENS0_18inequality_wrapperIN6hipcub16HIPCUB_304000_NS8EqualityEEEPlJS6_EEE10hipError_tPvRmT3_T4_T5_T6_T7_T9_mT8_P12ihipStream_tbDpT10_ENKUlT_T0_E_clISt17integral_constantIbLb1EES17_EEDaS12_S13_EUlS12_E_NS1_11comp_targetILNS1_3genE0ELNS1_11target_archE4294967295ELNS1_3gpuE0ELNS1_3repE0EEENS1_30default_config_static_selectorELNS0_4arch9wavefront6targetE1EEEvT1_ ; -- Begin function _ZN7rocprim17ROCPRIM_400000_NS6detail17trampoline_kernelINS0_14default_configENS1_25partition_config_selectorILNS1_17partition_subalgoE8EfNS0_10empty_typeEbEEZZNS1_14partition_implILS5_8ELb0ES3_jPKfPS6_PKS6_NS0_5tupleIJPfS6_EEENSE_IJSB_SB_EEENS0_18inequality_wrapperIN6hipcub16HIPCUB_304000_NS8EqualityEEEPlJS6_EEE10hipError_tPvRmT3_T4_T5_T6_T7_T9_mT8_P12ihipStream_tbDpT10_ENKUlT_T0_E_clISt17integral_constantIbLb1EES17_EEDaS12_S13_EUlS12_E_NS1_11comp_targetILNS1_3genE0ELNS1_11target_archE4294967295ELNS1_3gpuE0ELNS1_3repE0EEENS1_30default_config_static_selectorELNS0_4arch9wavefront6targetE1EEEvT1_
	.globl	_ZN7rocprim17ROCPRIM_400000_NS6detail17trampoline_kernelINS0_14default_configENS1_25partition_config_selectorILNS1_17partition_subalgoE8EfNS0_10empty_typeEbEEZZNS1_14partition_implILS5_8ELb0ES3_jPKfPS6_PKS6_NS0_5tupleIJPfS6_EEENSE_IJSB_SB_EEENS0_18inequality_wrapperIN6hipcub16HIPCUB_304000_NS8EqualityEEEPlJS6_EEE10hipError_tPvRmT3_T4_T5_T6_T7_T9_mT8_P12ihipStream_tbDpT10_ENKUlT_T0_E_clISt17integral_constantIbLb1EES17_EEDaS12_S13_EUlS12_E_NS1_11comp_targetILNS1_3genE0ELNS1_11target_archE4294967295ELNS1_3gpuE0ELNS1_3repE0EEENS1_30default_config_static_selectorELNS0_4arch9wavefront6targetE1EEEvT1_
	.p2align	8
	.type	_ZN7rocprim17ROCPRIM_400000_NS6detail17trampoline_kernelINS0_14default_configENS1_25partition_config_selectorILNS1_17partition_subalgoE8EfNS0_10empty_typeEbEEZZNS1_14partition_implILS5_8ELb0ES3_jPKfPS6_PKS6_NS0_5tupleIJPfS6_EEENSE_IJSB_SB_EEENS0_18inequality_wrapperIN6hipcub16HIPCUB_304000_NS8EqualityEEEPlJS6_EEE10hipError_tPvRmT3_T4_T5_T6_T7_T9_mT8_P12ihipStream_tbDpT10_ENKUlT_T0_E_clISt17integral_constantIbLb1EES17_EEDaS12_S13_EUlS12_E_NS1_11comp_targetILNS1_3genE0ELNS1_11target_archE4294967295ELNS1_3gpuE0ELNS1_3repE0EEENS1_30default_config_static_selectorELNS0_4arch9wavefront6targetE1EEEvT1_,@function
_ZN7rocprim17ROCPRIM_400000_NS6detail17trampoline_kernelINS0_14default_configENS1_25partition_config_selectorILNS1_17partition_subalgoE8EfNS0_10empty_typeEbEEZZNS1_14partition_implILS5_8ELb0ES3_jPKfPS6_PKS6_NS0_5tupleIJPfS6_EEENSE_IJSB_SB_EEENS0_18inequality_wrapperIN6hipcub16HIPCUB_304000_NS8EqualityEEEPlJS6_EEE10hipError_tPvRmT3_T4_T5_T6_T7_T9_mT8_P12ihipStream_tbDpT10_ENKUlT_T0_E_clISt17integral_constantIbLb1EES17_EEDaS12_S13_EUlS12_E_NS1_11comp_targetILNS1_3genE0ELNS1_11target_archE4294967295ELNS1_3gpuE0ELNS1_3repE0EEENS1_30default_config_static_selectorELNS0_4arch9wavefront6targetE1EEEvT1_: ; @_ZN7rocprim17ROCPRIM_400000_NS6detail17trampoline_kernelINS0_14default_configENS1_25partition_config_selectorILNS1_17partition_subalgoE8EfNS0_10empty_typeEbEEZZNS1_14partition_implILS5_8ELb0ES3_jPKfPS6_PKS6_NS0_5tupleIJPfS6_EEENSE_IJSB_SB_EEENS0_18inequality_wrapperIN6hipcub16HIPCUB_304000_NS8EqualityEEEPlJS6_EEE10hipError_tPvRmT3_T4_T5_T6_T7_T9_mT8_P12ihipStream_tbDpT10_ENKUlT_T0_E_clISt17integral_constantIbLb1EES17_EEDaS12_S13_EUlS12_E_NS1_11comp_targetILNS1_3genE0ELNS1_11target_archE4294967295ELNS1_3gpuE0ELNS1_3repE0EEENS1_30default_config_static_selectorELNS0_4arch9wavefront6targetE1EEEvT1_
; %bb.0:
	.section	.rodata,"a",@progbits
	.p2align	6, 0x0
	.amdhsa_kernel _ZN7rocprim17ROCPRIM_400000_NS6detail17trampoline_kernelINS0_14default_configENS1_25partition_config_selectorILNS1_17partition_subalgoE8EfNS0_10empty_typeEbEEZZNS1_14partition_implILS5_8ELb0ES3_jPKfPS6_PKS6_NS0_5tupleIJPfS6_EEENSE_IJSB_SB_EEENS0_18inequality_wrapperIN6hipcub16HIPCUB_304000_NS8EqualityEEEPlJS6_EEE10hipError_tPvRmT3_T4_T5_T6_T7_T9_mT8_P12ihipStream_tbDpT10_ENKUlT_T0_E_clISt17integral_constantIbLb1EES17_EEDaS12_S13_EUlS12_E_NS1_11comp_targetILNS1_3genE0ELNS1_11target_archE4294967295ELNS1_3gpuE0ELNS1_3repE0EEENS1_30default_config_static_selectorELNS0_4arch9wavefront6targetE1EEEvT1_
		.amdhsa_group_segment_fixed_size 0
		.amdhsa_private_segment_fixed_size 0
		.amdhsa_kernarg_size 128
		.amdhsa_user_sgpr_count 6
		.amdhsa_user_sgpr_private_segment_buffer 1
		.amdhsa_user_sgpr_dispatch_ptr 0
		.amdhsa_user_sgpr_queue_ptr 0
		.amdhsa_user_sgpr_kernarg_segment_ptr 1
		.amdhsa_user_sgpr_dispatch_id 0
		.amdhsa_user_sgpr_flat_scratch_init 0
		.amdhsa_user_sgpr_kernarg_preload_length 0
		.amdhsa_user_sgpr_kernarg_preload_offset 0
		.amdhsa_user_sgpr_private_segment_size 0
		.amdhsa_uses_dynamic_stack 0
		.amdhsa_system_sgpr_private_segment_wavefront_offset 0
		.amdhsa_system_sgpr_workgroup_id_x 1
		.amdhsa_system_sgpr_workgroup_id_y 0
		.amdhsa_system_sgpr_workgroup_id_z 0
		.amdhsa_system_sgpr_workgroup_info 0
		.amdhsa_system_vgpr_workitem_id 0
		.amdhsa_next_free_vgpr 1
		.amdhsa_next_free_sgpr 0
		.amdhsa_accum_offset 4
		.amdhsa_reserve_vcc 0
		.amdhsa_reserve_flat_scratch 0
		.amdhsa_float_round_mode_32 0
		.amdhsa_float_round_mode_16_64 0
		.amdhsa_float_denorm_mode_32 3
		.amdhsa_float_denorm_mode_16_64 3
		.amdhsa_dx10_clamp 1
		.amdhsa_ieee_mode 1
		.amdhsa_fp16_overflow 0
		.amdhsa_tg_split 0
		.amdhsa_exception_fp_ieee_invalid_op 0
		.amdhsa_exception_fp_denorm_src 0
		.amdhsa_exception_fp_ieee_div_zero 0
		.amdhsa_exception_fp_ieee_overflow 0
		.amdhsa_exception_fp_ieee_underflow 0
		.amdhsa_exception_fp_ieee_inexact 0
		.amdhsa_exception_int_div_zero 0
	.end_amdhsa_kernel
	.section	.text._ZN7rocprim17ROCPRIM_400000_NS6detail17trampoline_kernelINS0_14default_configENS1_25partition_config_selectorILNS1_17partition_subalgoE8EfNS0_10empty_typeEbEEZZNS1_14partition_implILS5_8ELb0ES3_jPKfPS6_PKS6_NS0_5tupleIJPfS6_EEENSE_IJSB_SB_EEENS0_18inequality_wrapperIN6hipcub16HIPCUB_304000_NS8EqualityEEEPlJS6_EEE10hipError_tPvRmT3_T4_T5_T6_T7_T9_mT8_P12ihipStream_tbDpT10_ENKUlT_T0_E_clISt17integral_constantIbLb1EES17_EEDaS12_S13_EUlS12_E_NS1_11comp_targetILNS1_3genE0ELNS1_11target_archE4294967295ELNS1_3gpuE0ELNS1_3repE0EEENS1_30default_config_static_selectorELNS0_4arch9wavefront6targetE1EEEvT1_,"axG",@progbits,_ZN7rocprim17ROCPRIM_400000_NS6detail17trampoline_kernelINS0_14default_configENS1_25partition_config_selectorILNS1_17partition_subalgoE8EfNS0_10empty_typeEbEEZZNS1_14partition_implILS5_8ELb0ES3_jPKfPS6_PKS6_NS0_5tupleIJPfS6_EEENSE_IJSB_SB_EEENS0_18inequality_wrapperIN6hipcub16HIPCUB_304000_NS8EqualityEEEPlJS6_EEE10hipError_tPvRmT3_T4_T5_T6_T7_T9_mT8_P12ihipStream_tbDpT10_ENKUlT_T0_E_clISt17integral_constantIbLb1EES17_EEDaS12_S13_EUlS12_E_NS1_11comp_targetILNS1_3genE0ELNS1_11target_archE4294967295ELNS1_3gpuE0ELNS1_3repE0EEENS1_30default_config_static_selectorELNS0_4arch9wavefront6targetE1EEEvT1_,comdat
.Lfunc_end349:
	.size	_ZN7rocprim17ROCPRIM_400000_NS6detail17trampoline_kernelINS0_14default_configENS1_25partition_config_selectorILNS1_17partition_subalgoE8EfNS0_10empty_typeEbEEZZNS1_14partition_implILS5_8ELb0ES3_jPKfPS6_PKS6_NS0_5tupleIJPfS6_EEENSE_IJSB_SB_EEENS0_18inequality_wrapperIN6hipcub16HIPCUB_304000_NS8EqualityEEEPlJS6_EEE10hipError_tPvRmT3_T4_T5_T6_T7_T9_mT8_P12ihipStream_tbDpT10_ENKUlT_T0_E_clISt17integral_constantIbLb1EES17_EEDaS12_S13_EUlS12_E_NS1_11comp_targetILNS1_3genE0ELNS1_11target_archE4294967295ELNS1_3gpuE0ELNS1_3repE0EEENS1_30default_config_static_selectorELNS0_4arch9wavefront6targetE1EEEvT1_, .Lfunc_end349-_ZN7rocprim17ROCPRIM_400000_NS6detail17trampoline_kernelINS0_14default_configENS1_25partition_config_selectorILNS1_17partition_subalgoE8EfNS0_10empty_typeEbEEZZNS1_14partition_implILS5_8ELb0ES3_jPKfPS6_PKS6_NS0_5tupleIJPfS6_EEENSE_IJSB_SB_EEENS0_18inequality_wrapperIN6hipcub16HIPCUB_304000_NS8EqualityEEEPlJS6_EEE10hipError_tPvRmT3_T4_T5_T6_T7_T9_mT8_P12ihipStream_tbDpT10_ENKUlT_T0_E_clISt17integral_constantIbLb1EES17_EEDaS12_S13_EUlS12_E_NS1_11comp_targetILNS1_3genE0ELNS1_11target_archE4294967295ELNS1_3gpuE0ELNS1_3repE0EEENS1_30default_config_static_selectorELNS0_4arch9wavefront6targetE1EEEvT1_
                                        ; -- End function
	.section	.AMDGPU.csdata,"",@progbits
; Kernel info:
; codeLenInByte = 0
; NumSgprs: 4
; NumVgprs: 0
; NumAgprs: 0
; TotalNumVgprs: 0
; ScratchSize: 0
; MemoryBound: 0
; FloatMode: 240
; IeeeMode: 1
; LDSByteSize: 0 bytes/workgroup (compile time only)
; SGPRBlocks: 0
; VGPRBlocks: 0
; NumSGPRsForWavesPerEU: 4
; NumVGPRsForWavesPerEU: 1
; AccumOffset: 4
; Occupancy: 8
; WaveLimiterHint : 0
; COMPUTE_PGM_RSRC2:SCRATCH_EN: 0
; COMPUTE_PGM_RSRC2:USER_SGPR: 6
; COMPUTE_PGM_RSRC2:TRAP_HANDLER: 0
; COMPUTE_PGM_RSRC2:TGID_X_EN: 1
; COMPUTE_PGM_RSRC2:TGID_Y_EN: 0
; COMPUTE_PGM_RSRC2:TGID_Z_EN: 0
; COMPUTE_PGM_RSRC2:TIDIG_COMP_CNT: 0
; COMPUTE_PGM_RSRC3_GFX90A:ACCUM_OFFSET: 0
; COMPUTE_PGM_RSRC3_GFX90A:TG_SPLIT: 0
	.section	.text._ZN7rocprim17ROCPRIM_400000_NS6detail17trampoline_kernelINS0_14default_configENS1_25partition_config_selectorILNS1_17partition_subalgoE8EfNS0_10empty_typeEbEEZZNS1_14partition_implILS5_8ELb0ES3_jPKfPS6_PKS6_NS0_5tupleIJPfS6_EEENSE_IJSB_SB_EEENS0_18inequality_wrapperIN6hipcub16HIPCUB_304000_NS8EqualityEEEPlJS6_EEE10hipError_tPvRmT3_T4_T5_T6_T7_T9_mT8_P12ihipStream_tbDpT10_ENKUlT_T0_E_clISt17integral_constantIbLb1EES17_EEDaS12_S13_EUlS12_E_NS1_11comp_targetILNS1_3genE5ELNS1_11target_archE942ELNS1_3gpuE9ELNS1_3repE0EEENS1_30default_config_static_selectorELNS0_4arch9wavefront6targetE1EEEvT1_,"axG",@progbits,_ZN7rocprim17ROCPRIM_400000_NS6detail17trampoline_kernelINS0_14default_configENS1_25partition_config_selectorILNS1_17partition_subalgoE8EfNS0_10empty_typeEbEEZZNS1_14partition_implILS5_8ELb0ES3_jPKfPS6_PKS6_NS0_5tupleIJPfS6_EEENSE_IJSB_SB_EEENS0_18inequality_wrapperIN6hipcub16HIPCUB_304000_NS8EqualityEEEPlJS6_EEE10hipError_tPvRmT3_T4_T5_T6_T7_T9_mT8_P12ihipStream_tbDpT10_ENKUlT_T0_E_clISt17integral_constantIbLb1EES17_EEDaS12_S13_EUlS12_E_NS1_11comp_targetILNS1_3genE5ELNS1_11target_archE942ELNS1_3gpuE9ELNS1_3repE0EEENS1_30default_config_static_selectorELNS0_4arch9wavefront6targetE1EEEvT1_,comdat
	.protected	_ZN7rocprim17ROCPRIM_400000_NS6detail17trampoline_kernelINS0_14default_configENS1_25partition_config_selectorILNS1_17partition_subalgoE8EfNS0_10empty_typeEbEEZZNS1_14partition_implILS5_8ELb0ES3_jPKfPS6_PKS6_NS0_5tupleIJPfS6_EEENSE_IJSB_SB_EEENS0_18inequality_wrapperIN6hipcub16HIPCUB_304000_NS8EqualityEEEPlJS6_EEE10hipError_tPvRmT3_T4_T5_T6_T7_T9_mT8_P12ihipStream_tbDpT10_ENKUlT_T0_E_clISt17integral_constantIbLb1EES17_EEDaS12_S13_EUlS12_E_NS1_11comp_targetILNS1_3genE5ELNS1_11target_archE942ELNS1_3gpuE9ELNS1_3repE0EEENS1_30default_config_static_selectorELNS0_4arch9wavefront6targetE1EEEvT1_ ; -- Begin function _ZN7rocprim17ROCPRIM_400000_NS6detail17trampoline_kernelINS0_14default_configENS1_25partition_config_selectorILNS1_17partition_subalgoE8EfNS0_10empty_typeEbEEZZNS1_14partition_implILS5_8ELb0ES3_jPKfPS6_PKS6_NS0_5tupleIJPfS6_EEENSE_IJSB_SB_EEENS0_18inequality_wrapperIN6hipcub16HIPCUB_304000_NS8EqualityEEEPlJS6_EEE10hipError_tPvRmT3_T4_T5_T6_T7_T9_mT8_P12ihipStream_tbDpT10_ENKUlT_T0_E_clISt17integral_constantIbLb1EES17_EEDaS12_S13_EUlS12_E_NS1_11comp_targetILNS1_3genE5ELNS1_11target_archE942ELNS1_3gpuE9ELNS1_3repE0EEENS1_30default_config_static_selectorELNS0_4arch9wavefront6targetE1EEEvT1_
	.globl	_ZN7rocprim17ROCPRIM_400000_NS6detail17trampoline_kernelINS0_14default_configENS1_25partition_config_selectorILNS1_17partition_subalgoE8EfNS0_10empty_typeEbEEZZNS1_14partition_implILS5_8ELb0ES3_jPKfPS6_PKS6_NS0_5tupleIJPfS6_EEENSE_IJSB_SB_EEENS0_18inequality_wrapperIN6hipcub16HIPCUB_304000_NS8EqualityEEEPlJS6_EEE10hipError_tPvRmT3_T4_T5_T6_T7_T9_mT8_P12ihipStream_tbDpT10_ENKUlT_T0_E_clISt17integral_constantIbLb1EES17_EEDaS12_S13_EUlS12_E_NS1_11comp_targetILNS1_3genE5ELNS1_11target_archE942ELNS1_3gpuE9ELNS1_3repE0EEENS1_30default_config_static_selectorELNS0_4arch9wavefront6targetE1EEEvT1_
	.p2align	8
	.type	_ZN7rocprim17ROCPRIM_400000_NS6detail17trampoline_kernelINS0_14default_configENS1_25partition_config_selectorILNS1_17partition_subalgoE8EfNS0_10empty_typeEbEEZZNS1_14partition_implILS5_8ELb0ES3_jPKfPS6_PKS6_NS0_5tupleIJPfS6_EEENSE_IJSB_SB_EEENS0_18inequality_wrapperIN6hipcub16HIPCUB_304000_NS8EqualityEEEPlJS6_EEE10hipError_tPvRmT3_T4_T5_T6_T7_T9_mT8_P12ihipStream_tbDpT10_ENKUlT_T0_E_clISt17integral_constantIbLb1EES17_EEDaS12_S13_EUlS12_E_NS1_11comp_targetILNS1_3genE5ELNS1_11target_archE942ELNS1_3gpuE9ELNS1_3repE0EEENS1_30default_config_static_selectorELNS0_4arch9wavefront6targetE1EEEvT1_,@function
_ZN7rocprim17ROCPRIM_400000_NS6detail17trampoline_kernelINS0_14default_configENS1_25partition_config_selectorILNS1_17partition_subalgoE8EfNS0_10empty_typeEbEEZZNS1_14partition_implILS5_8ELb0ES3_jPKfPS6_PKS6_NS0_5tupleIJPfS6_EEENSE_IJSB_SB_EEENS0_18inequality_wrapperIN6hipcub16HIPCUB_304000_NS8EqualityEEEPlJS6_EEE10hipError_tPvRmT3_T4_T5_T6_T7_T9_mT8_P12ihipStream_tbDpT10_ENKUlT_T0_E_clISt17integral_constantIbLb1EES17_EEDaS12_S13_EUlS12_E_NS1_11comp_targetILNS1_3genE5ELNS1_11target_archE942ELNS1_3gpuE9ELNS1_3repE0EEENS1_30default_config_static_selectorELNS0_4arch9wavefront6targetE1EEEvT1_: ; @_ZN7rocprim17ROCPRIM_400000_NS6detail17trampoline_kernelINS0_14default_configENS1_25partition_config_selectorILNS1_17partition_subalgoE8EfNS0_10empty_typeEbEEZZNS1_14partition_implILS5_8ELb0ES3_jPKfPS6_PKS6_NS0_5tupleIJPfS6_EEENSE_IJSB_SB_EEENS0_18inequality_wrapperIN6hipcub16HIPCUB_304000_NS8EqualityEEEPlJS6_EEE10hipError_tPvRmT3_T4_T5_T6_T7_T9_mT8_P12ihipStream_tbDpT10_ENKUlT_T0_E_clISt17integral_constantIbLb1EES17_EEDaS12_S13_EUlS12_E_NS1_11comp_targetILNS1_3genE5ELNS1_11target_archE942ELNS1_3gpuE9ELNS1_3repE0EEENS1_30default_config_static_selectorELNS0_4arch9wavefront6targetE1EEEvT1_
; %bb.0:
	.section	.rodata,"a",@progbits
	.p2align	6, 0x0
	.amdhsa_kernel _ZN7rocprim17ROCPRIM_400000_NS6detail17trampoline_kernelINS0_14default_configENS1_25partition_config_selectorILNS1_17partition_subalgoE8EfNS0_10empty_typeEbEEZZNS1_14partition_implILS5_8ELb0ES3_jPKfPS6_PKS6_NS0_5tupleIJPfS6_EEENSE_IJSB_SB_EEENS0_18inequality_wrapperIN6hipcub16HIPCUB_304000_NS8EqualityEEEPlJS6_EEE10hipError_tPvRmT3_T4_T5_T6_T7_T9_mT8_P12ihipStream_tbDpT10_ENKUlT_T0_E_clISt17integral_constantIbLb1EES17_EEDaS12_S13_EUlS12_E_NS1_11comp_targetILNS1_3genE5ELNS1_11target_archE942ELNS1_3gpuE9ELNS1_3repE0EEENS1_30default_config_static_selectorELNS0_4arch9wavefront6targetE1EEEvT1_
		.amdhsa_group_segment_fixed_size 0
		.amdhsa_private_segment_fixed_size 0
		.amdhsa_kernarg_size 128
		.amdhsa_user_sgpr_count 6
		.amdhsa_user_sgpr_private_segment_buffer 1
		.amdhsa_user_sgpr_dispatch_ptr 0
		.amdhsa_user_sgpr_queue_ptr 0
		.amdhsa_user_sgpr_kernarg_segment_ptr 1
		.amdhsa_user_sgpr_dispatch_id 0
		.amdhsa_user_sgpr_flat_scratch_init 0
		.amdhsa_user_sgpr_kernarg_preload_length 0
		.amdhsa_user_sgpr_kernarg_preload_offset 0
		.amdhsa_user_sgpr_private_segment_size 0
		.amdhsa_uses_dynamic_stack 0
		.amdhsa_system_sgpr_private_segment_wavefront_offset 0
		.amdhsa_system_sgpr_workgroup_id_x 1
		.amdhsa_system_sgpr_workgroup_id_y 0
		.amdhsa_system_sgpr_workgroup_id_z 0
		.amdhsa_system_sgpr_workgroup_info 0
		.amdhsa_system_vgpr_workitem_id 0
		.amdhsa_next_free_vgpr 1
		.amdhsa_next_free_sgpr 0
		.amdhsa_accum_offset 4
		.amdhsa_reserve_vcc 0
		.amdhsa_reserve_flat_scratch 0
		.amdhsa_float_round_mode_32 0
		.amdhsa_float_round_mode_16_64 0
		.amdhsa_float_denorm_mode_32 3
		.amdhsa_float_denorm_mode_16_64 3
		.amdhsa_dx10_clamp 1
		.amdhsa_ieee_mode 1
		.amdhsa_fp16_overflow 0
		.amdhsa_tg_split 0
		.amdhsa_exception_fp_ieee_invalid_op 0
		.amdhsa_exception_fp_denorm_src 0
		.amdhsa_exception_fp_ieee_div_zero 0
		.amdhsa_exception_fp_ieee_overflow 0
		.amdhsa_exception_fp_ieee_underflow 0
		.amdhsa_exception_fp_ieee_inexact 0
		.amdhsa_exception_int_div_zero 0
	.end_amdhsa_kernel
	.section	.text._ZN7rocprim17ROCPRIM_400000_NS6detail17trampoline_kernelINS0_14default_configENS1_25partition_config_selectorILNS1_17partition_subalgoE8EfNS0_10empty_typeEbEEZZNS1_14partition_implILS5_8ELb0ES3_jPKfPS6_PKS6_NS0_5tupleIJPfS6_EEENSE_IJSB_SB_EEENS0_18inequality_wrapperIN6hipcub16HIPCUB_304000_NS8EqualityEEEPlJS6_EEE10hipError_tPvRmT3_T4_T5_T6_T7_T9_mT8_P12ihipStream_tbDpT10_ENKUlT_T0_E_clISt17integral_constantIbLb1EES17_EEDaS12_S13_EUlS12_E_NS1_11comp_targetILNS1_3genE5ELNS1_11target_archE942ELNS1_3gpuE9ELNS1_3repE0EEENS1_30default_config_static_selectorELNS0_4arch9wavefront6targetE1EEEvT1_,"axG",@progbits,_ZN7rocprim17ROCPRIM_400000_NS6detail17trampoline_kernelINS0_14default_configENS1_25partition_config_selectorILNS1_17partition_subalgoE8EfNS0_10empty_typeEbEEZZNS1_14partition_implILS5_8ELb0ES3_jPKfPS6_PKS6_NS0_5tupleIJPfS6_EEENSE_IJSB_SB_EEENS0_18inequality_wrapperIN6hipcub16HIPCUB_304000_NS8EqualityEEEPlJS6_EEE10hipError_tPvRmT3_T4_T5_T6_T7_T9_mT8_P12ihipStream_tbDpT10_ENKUlT_T0_E_clISt17integral_constantIbLb1EES17_EEDaS12_S13_EUlS12_E_NS1_11comp_targetILNS1_3genE5ELNS1_11target_archE942ELNS1_3gpuE9ELNS1_3repE0EEENS1_30default_config_static_selectorELNS0_4arch9wavefront6targetE1EEEvT1_,comdat
.Lfunc_end350:
	.size	_ZN7rocprim17ROCPRIM_400000_NS6detail17trampoline_kernelINS0_14default_configENS1_25partition_config_selectorILNS1_17partition_subalgoE8EfNS0_10empty_typeEbEEZZNS1_14partition_implILS5_8ELb0ES3_jPKfPS6_PKS6_NS0_5tupleIJPfS6_EEENSE_IJSB_SB_EEENS0_18inequality_wrapperIN6hipcub16HIPCUB_304000_NS8EqualityEEEPlJS6_EEE10hipError_tPvRmT3_T4_T5_T6_T7_T9_mT8_P12ihipStream_tbDpT10_ENKUlT_T0_E_clISt17integral_constantIbLb1EES17_EEDaS12_S13_EUlS12_E_NS1_11comp_targetILNS1_3genE5ELNS1_11target_archE942ELNS1_3gpuE9ELNS1_3repE0EEENS1_30default_config_static_selectorELNS0_4arch9wavefront6targetE1EEEvT1_, .Lfunc_end350-_ZN7rocprim17ROCPRIM_400000_NS6detail17trampoline_kernelINS0_14default_configENS1_25partition_config_selectorILNS1_17partition_subalgoE8EfNS0_10empty_typeEbEEZZNS1_14partition_implILS5_8ELb0ES3_jPKfPS6_PKS6_NS0_5tupleIJPfS6_EEENSE_IJSB_SB_EEENS0_18inequality_wrapperIN6hipcub16HIPCUB_304000_NS8EqualityEEEPlJS6_EEE10hipError_tPvRmT3_T4_T5_T6_T7_T9_mT8_P12ihipStream_tbDpT10_ENKUlT_T0_E_clISt17integral_constantIbLb1EES17_EEDaS12_S13_EUlS12_E_NS1_11comp_targetILNS1_3genE5ELNS1_11target_archE942ELNS1_3gpuE9ELNS1_3repE0EEENS1_30default_config_static_selectorELNS0_4arch9wavefront6targetE1EEEvT1_
                                        ; -- End function
	.section	.AMDGPU.csdata,"",@progbits
; Kernel info:
; codeLenInByte = 0
; NumSgprs: 4
; NumVgprs: 0
; NumAgprs: 0
; TotalNumVgprs: 0
; ScratchSize: 0
; MemoryBound: 0
; FloatMode: 240
; IeeeMode: 1
; LDSByteSize: 0 bytes/workgroup (compile time only)
; SGPRBlocks: 0
; VGPRBlocks: 0
; NumSGPRsForWavesPerEU: 4
; NumVGPRsForWavesPerEU: 1
; AccumOffset: 4
; Occupancy: 8
; WaveLimiterHint : 0
; COMPUTE_PGM_RSRC2:SCRATCH_EN: 0
; COMPUTE_PGM_RSRC2:USER_SGPR: 6
; COMPUTE_PGM_RSRC2:TRAP_HANDLER: 0
; COMPUTE_PGM_RSRC2:TGID_X_EN: 1
; COMPUTE_PGM_RSRC2:TGID_Y_EN: 0
; COMPUTE_PGM_RSRC2:TGID_Z_EN: 0
; COMPUTE_PGM_RSRC2:TIDIG_COMP_CNT: 0
; COMPUTE_PGM_RSRC3_GFX90A:ACCUM_OFFSET: 0
; COMPUTE_PGM_RSRC3_GFX90A:TG_SPLIT: 0
	.section	.text._ZN7rocprim17ROCPRIM_400000_NS6detail17trampoline_kernelINS0_14default_configENS1_25partition_config_selectorILNS1_17partition_subalgoE8EfNS0_10empty_typeEbEEZZNS1_14partition_implILS5_8ELb0ES3_jPKfPS6_PKS6_NS0_5tupleIJPfS6_EEENSE_IJSB_SB_EEENS0_18inequality_wrapperIN6hipcub16HIPCUB_304000_NS8EqualityEEEPlJS6_EEE10hipError_tPvRmT3_T4_T5_T6_T7_T9_mT8_P12ihipStream_tbDpT10_ENKUlT_T0_E_clISt17integral_constantIbLb1EES17_EEDaS12_S13_EUlS12_E_NS1_11comp_targetILNS1_3genE4ELNS1_11target_archE910ELNS1_3gpuE8ELNS1_3repE0EEENS1_30default_config_static_selectorELNS0_4arch9wavefront6targetE1EEEvT1_,"axG",@progbits,_ZN7rocprim17ROCPRIM_400000_NS6detail17trampoline_kernelINS0_14default_configENS1_25partition_config_selectorILNS1_17partition_subalgoE8EfNS0_10empty_typeEbEEZZNS1_14partition_implILS5_8ELb0ES3_jPKfPS6_PKS6_NS0_5tupleIJPfS6_EEENSE_IJSB_SB_EEENS0_18inequality_wrapperIN6hipcub16HIPCUB_304000_NS8EqualityEEEPlJS6_EEE10hipError_tPvRmT3_T4_T5_T6_T7_T9_mT8_P12ihipStream_tbDpT10_ENKUlT_T0_E_clISt17integral_constantIbLb1EES17_EEDaS12_S13_EUlS12_E_NS1_11comp_targetILNS1_3genE4ELNS1_11target_archE910ELNS1_3gpuE8ELNS1_3repE0EEENS1_30default_config_static_selectorELNS0_4arch9wavefront6targetE1EEEvT1_,comdat
	.protected	_ZN7rocprim17ROCPRIM_400000_NS6detail17trampoline_kernelINS0_14default_configENS1_25partition_config_selectorILNS1_17partition_subalgoE8EfNS0_10empty_typeEbEEZZNS1_14partition_implILS5_8ELb0ES3_jPKfPS6_PKS6_NS0_5tupleIJPfS6_EEENSE_IJSB_SB_EEENS0_18inequality_wrapperIN6hipcub16HIPCUB_304000_NS8EqualityEEEPlJS6_EEE10hipError_tPvRmT3_T4_T5_T6_T7_T9_mT8_P12ihipStream_tbDpT10_ENKUlT_T0_E_clISt17integral_constantIbLb1EES17_EEDaS12_S13_EUlS12_E_NS1_11comp_targetILNS1_3genE4ELNS1_11target_archE910ELNS1_3gpuE8ELNS1_3repE0EEENS1_30default_config_static_selectorELNS0_4arch9wavefront6targetE1EEEvT1_ ; -- Begin function _ZN7rocprim17ROCPRIM_400000_NS6detail17trampoline_kernelINS0_14default_configENS1_25partition_config_selectorILNS1_17partition_subalgoE8EfNS0_10empty_typeEbEEZZNS1_14partition_implILS5_8ELb0ES3_jPKfPS6_PKS6_NS0_5tupleIJPfS6_EEENSE_IJSB_SB_EEENS0_18inequality_wrapperIN6hipcub16HIPCUB_304000_NS8EqualityEEEPlJS6_EEE10hipError_tPvRmT3_T4_T5_T6_T7_T9_mT8_P12ihipStream_tbDpT10_ENKUlT_T0_E_clISt17integral_constantIbLb1EES17_EEDaS12_S13_EUlS12_E_NS1_11comp_targetILNS1_3genE4ELNS1_11target_archE910ELNS1_3gpuE8ELNS1_3repE0EEENS1_30default_config_static_selectorELNS0_4arch9wavefront6targetE1EEEvT1_
	.globl	_ZN7rocprim17ROCPRIM_400000_NS6detail17trampoline_kernelINS0_14default_configENS1_25partition_config_selectorILNS1_17partition_subalgoE8EfNS0_10empty_typeEbEEZZNS1_14partition_implILS5_8ELb0ES3_jPKfPS6_PKS6_NS0_5tupleIJPfS6_EEENSE_IJSB_SB_EEENS0_18inequality_wrapperIN6hipcub16HIPCUB_304000_NS8EqualityEEEPlJS6_EEE10hipError_tPvRmT3_T4_T5_T6_T7_T9_mT8_P12ihipStream_tbDpT10_ENKUlT_T0_E_clISt17integral_constantIbLb1EES17_EEDaS12_S13_EUlS12_E_NS1_11comp_targetILNS1_3genE4ELNS1_11target_archE910ELNS1_3gpuE8ELNS1_3repE0EEENS1_30default_config_static_selectorELNS0_4arch9wavefront6targetE1EEEvT1_
	.p2align	8
	.type	_ZN7rocprim17ROCPRIM_400000_NS6detail17trampoline_kernelINS0_14default_configENS1_25partition_config_selectorILNS1_17partition_subalgoE8EfNS0_10empty_typeEbEEZZNS1_14partition_implILS5_8ELb0ES3_jPKfPS6_PKS6_NS0_5tupleIJPfS6_EEENSE_IJSB_SB_EEENS0_18inequality_wrapperIN6hipcub16HIPCUB_304000_NS8EqualityEEEPlJS6_EEE10hipError_tPvRmT3_T4_T5_T6_T7_T9_mT8_P12ihipStream_tbDpT10_ENKUlT_T0_E_clISt17integral_constantIbLb1EES17_EEDaS12_S13_EUlS12_E_NS1_11comp_targetILNS1_3genE4ELNS1_11target_archE910ELNS1_3gpuE8ELNS1_3repE0EEENS1_30default_config_static_selectorELNS0_4arch9wavefront6targetE1EEEvT1_,@function
_ZN7rocprim17ROCPRIM_400000_NS6detail17trampoline_kernelINS0_14default_configENS1_25partition_config_selectorILNS1_17partition_subalgoE8EfNS0_10empty_typeEbEEZZNS1_14partition_implILS5_8ELb0ES3_jPKfPS6_PKS6_NS0_5tupleIJPfS6_EEENSE_IJSB_SB_EEENS0_18inequality_wrapperIN6hipcub16HIPCUB_304000_NS8EqualityEEEPlJS6_EEE10hipError_tPvRmT3_T4_T5_T6_T7_T9_mT8_P12ihipStream_tbDpT10_ENKUlT_T0_E_clISt17integral_constantIbLb1EES17_EEDaS12_S13_EUlS12_E_NS1_11comp_targetILNS1_3genE4ELNS1_11target_archE910ELNS1_3gpuE8ELNS1_3repE0EEENS1_30default_config_static_selectorELNS0_4arch9wavefront6targetE1EEEvT1_: ; @_ZN7rocprim17ROCPRIM_400000_NS6detail17trampoline_kernelINS0_14default_configENS1_25partition_config_selectorILNS1_17partition_subalgoE8EfNS0_10empty_typeEbEEZZNS1_14partition_implILS5_8ELb0ES3_jPKfPS6_PKS6_NS0_5tupleIJPfS6_EEENSE_IJSB_SB_EEENS0_18inequality_wrapperIN6hipcub16HIPCUB_304000_NS8EqualityEEEPlJS6_EEE10hipError_tPvRmT3_T4_T5_T6_T7_T9_mT8_P12ihipStream_tbDpT10_ENKUlT_T0_E_clISt17integral_constantIbLb1EES17_EEDaS12_S13_EUlS12_E_NS1_11comp_targetILNS1_3genE4ELNS1_11target_archE910ELNS1_3gpuE8ELNS1_3repE0EEENS1_30default_config_static_selectorELNS0_4arch9wavefront6targetE1EEEvT1_
; %bb.0:
	s_load_dwordx2 s[28:29], s[4:5], 0x28
	s_load_dwordx4 s[24:27], s[4:5], 0x40
	s_load_dwordx2 s[6:7], s[4:5], 0x50
	s_load_dwordx2 s[30:31], s[4:5], 0x60
	v_cmp_ne_u32_e64 s[2:3], 0, v0
	v_cmp_eq_u32_e64 s[0:1], 0, v0
	s_and_saveexec_b64 s[8:9], s[0:1]
	s_cbranch_execz .LBB351_4
; %bb.1:
	s_mov_b64 s[12:13], exec
	v_mbcnt_lo_u32_b32 v1, s12, 0
	v_mbcnt_hi_u32_b32 v1, s13, v1
	v_cmp_eq_u32_e32 vcc, 0, v1
                                        ; implicit-def: $vgpr2
	s_and_saveexec_b64 s[10:11], vcc
	s_cbranch_execz .LBB351_3
; %bb.2:
	s_load_dwordx2 s[14:15], s[4:5], 0x70
	s_bcnt1_i32_b64 s12, s[12:13]
	v_mov_b32_e32 v2, 0
	v_mov_b32_e32 v3, s12
	s_waitcnt lgkmcnt(0)
	global_atomic_add v2, v2, v3, s[14:15] glc
.LBB351_3:
	s_or_b64 exec, exec, s[10:11]
	s_waitcnt vmcnt(0)
	v_readfirstlane_b32 s10, v2
	v_add_u32_e32 v1, s10, v1
	v_mov_b32_e32 v2, 0
	ds_write_b32 v2, v1
.LBB351_4:
	s_or_b64 exec, exec, s[8:9]
	v_mov_b32_e32 v3, 0
	s_load_dwordx4 s[8:11], s[4:5], 0x8
	s_load_dword s12, s[4:5], 0x68
	s_waitcnt lgkmcnt(0)
	s_barrier
	ds_read_b32 v1, v3
	s_waitcnt lgkmcnt(0)
	s_barrier
	global_load_dwordx2 v[14:15], v3, s[26:27]
	s_lshl_b64 s[4:5], s[10:11], 2
	v_mov_b32_e32 v5, s7
	s_add_u32 s7, s8, s4
	s_movk_i32 s4, 0xa00
	v_mul_lo_u32 v2, v1, s4
	s_mul_i32 s4, s12, 0xa00
	s_addc_u32 s8, s9, s5
	s_add_i32 s5, s4, s10
	s_add_i32 s9, s12, -1
	s_sub_i32 s40, s6, s5
	s_add_u32 s4, s10, s4
	v_readfirstlane_b32 s33, v1
	s_addc_u32 s5, s11, 0
	v_mov_b32_e32 v4, s6
	s_cmp_eq_u32 s33, s9
	v_cmp_ge_u64_e32 vcc, s[4:5], v[4:5]
	s_cselect_b64 s[22:23], -1, 0
	v_lshlrev_b64 v[2:3], 2, v[2:3]
	s_and_b64 s[34:35], vcc, s[22:23]
	v_mov_b32_e32 v1, s8
	v_add_co_u32_e32 v12, vcc, s7, v2
	s_xor_b64 s[26:27], s[34:35], -1
	v_addc_co_u32_e32 v13, vcc, v1, v3, vcc
	s_mov_b64 s[4:5], -1
	s_and_b64 vcc, exec, s[26:27]
	s_cbranch_vccz .LBB351_6
; %bb.5:
	v_lshlrev_b32_e32 v1, 2, v0
	v_add_co_u32_e32 v4, vcc, v12, v1
	v_addc_co_u32_e32 v5, vcc, 0, v13, vcc
	v_add_co_u32_e32 v2, vcc, 0x1000, v4
	v_readfirstlane_b32 s4, v12
	v_readfirstlane_b32 s5, v13
	v_addc_co_u32_e32 v3, vcc, 0, v5, vcc
	s_nop 3
	global_load_dword v6, v1, s[4:5]
	global_load_dword v7, v1, s[4:5] offset:1024
	global_load_dword v8, v1, s[4:5] offset:2048
	;; [unrolled: 1-line block ×3, first 2 shown]
	global_load_dword v10, v[2:3], off
	global_load_dword v11, v[2:3], off offset:1024
	global_load_dword v16, v[2:3], off offset:2048
	;; [unrolled: 1-line block ×3, first 2 shown]
	v_add_co_u32_e32 v2, vcc, 0x2000, v4
	v_addc_co_u32_e32 v3, vcc, 0, v5, vcc
	global_load_dword v4, v[2:3], off
	global_load_dword v5, v[2:3], off offset:1024
	s_mov_b64 s[4:5], 0
	s_waitcnt vmcnt(8)
	ds_write2st64_b32 v1, v6, v7 offset1:4
	s_waitcnt vmcnt(6)
	ds_write2st64_b32 v1, v8, v9 offset0:8 offset1:12
	s_waitcnt vmcnt(4)
	ds_write2st64_b32 v1, v10, v11 offset0:16 offset1:20
	;; [unrolled: 2-line block ×4, first 2 shown]
	s_waitcnt lgkmcnt(0)
	s_barrier
.LBB351_6:
	s_andn2_b64 vcc, exec, s[4:5]
	s_addk_i32 s40, 0xa00
	s_cbranch_vccnz .LBB351_28
; %bb.7:
	v_cmp_gt_u32_e32 vcc, s40, v0
                                        ; implicit-def: $vgpr2_vgpr3_vgpr4_vgpr5_vgpr6_vgpr7_vgpr8_vgpr9_vgpr10_vgpr11
	s_and_saveexec_b64 s[4:5], vcc
	s_cbranch_execz .LBB351_9
; %bb.8:
	v_lshlrev_b32_e32 v1, 2, v0
	v_readfirstlane_b32 s6, v12
	v_readfirstlane_b32 s7, v13
	s_nop 4
	global_load_dword v2, v1, s[6:7]
.LBB351_9:
	s_or_b64 exec, exec, s[4:5]
	v_or_b32_e32 v1, 0x100, v0
	v_cmp_gt_u32_e32 vcc, s40, v1
	s_and_saveexec_b64 s[4:5], vcc
	s_cbranch_execz .LBB351_11
; %bb.10:
	v_lshlrev_b32_e32 v1, 2, v0
	v_readfirstlane_b32 s6, v12
	v_readfirstlane_b32 s7, v13
	s_nop 4
	global_load_dword v3, v1, s[6:7] offset:1024
.LBB351_11:
	s_or_b64 exec, exec, s[4:5]
	v_or_b32_e32 v1, 0x200, v0
	v_cmp_gt_u32_e32 vcc, s40, v1
	s_and_saveexec_b64 s[4:5], vcc
	s_cbranch_execz .LBB351_13
; %bb.12:
	v_lshlrev_b32_e32 v1, 2, v0
	v_readfirstlane_b32 s6, v12
	v_readfirstlane_b32 s7, v13
	s_nop 4
	global_load_dword v4, v1, s[6:7] offset:2048
.LBB351_13:
	;; [unrolled: 12-line block ×3, first 2 shown]
	s_or_b64 exec, exec, s[4:5]
	v_or_b32_e32 v1, 0x400, v0
	v_cmp_gt_u32_e32 vcc, s40, v1
	s_and_saveexec_b64 s[4:5], vcc
	s_cbranch_execz .LBB351_17
; %bb.16:
	v_lshlrev_b32_e32 v1, 2, v1
	v_readfirstlane_b32 s6, v12
	v_readfirstlane_b32 s7, v13
	s_nop 4
	global_load_dword v6, v1, s[6:7]
.LBB351_17:
	s_or_b64 exec, exec, s[4:5]
	v_or_b32_e32 v1, 0x500, v0
	v_cmp_gt_u32_e32 vcc, s40, v1
	s_and_saveexec_b64 s[4:5], vcc
	s_cbranch_execz .LBB351_19
; %bb.18:
	v_lshlrev_b32_e32 v1, 2, v1
	v_readfirstlane_b32 s6, v12
	v_readfirstlane_b32 s7, v13
	s_nop 4
	global_load_dword v7, v1, s[6:7]
.LBB351_19:
	;; [unrolled: 12-line block ×6, first 2 shown]
	s_or_b64 exec, exec, s[4:5]
	v_lshlrev_b32_e32 v1, 2, v0
	s_waitcnt vmcnt(0)
	ds_write2st64_b32 v1, v2, v3 offset1:4
	ds_write2st64_b32 v1, v4, v5 offset0:8 offset1:12
	ds_write2st64_b32 v1, v6, v7 offset0:16 offset1:20
	;; [unrolled: 1-line block ×4, first 2 shown]
	s_waitcnt lgkmcnt(0)
	s_barrier
.LBB351_28:
	v_mul_u32_u24_e32 v28, 10, v0
	v_lshlrev_b32_e32 v1, 2, v28
	ds_read2_b64 v[6:9], v1 offset1:1
	ds_read2_b64 v[2:5], v1 offset0:2 offset1:3
	ds_read_b64 v[16:17], v1 offset:32
	s_cmp_lg_u32 s33, 0
	s_cselect_b64 s[36:37], -1, 0
	s_cmp_lg_u64 s[10:11], 0
	s_cselect_b64 s[4:5], -1, 0
	s_or_b64 s[4:5], s[4:5], s[36:37]
	v_or_b32_e32 v29, 1, v28
	v_mad_u32_u24 v27, v0, 10, 2
	v_mad_u32_u24 v26, v0, 10, 3
	;; [unrolled: 1-line block ×8, first 2 shown]
	s_mov_b64 s[38:39], 0
	s_and_b64 vcc, exec, s[4:5]
	s_waitcnt lgkmcnt(0)
	s_barrier
	s_cbranch_vccz .LBB351_33
; %bb.29:
	global_load_dword v10, v[12:13], off offset:-4
	v_lshlrev_b32_e32 v11, 2, v0
	s_and_b64 vcc, exec, s[26:27]
	ds_write_b32 v11, v17
	s_cbranch_vccz .LBB351_35
; %bb.30:
	s_waitcnt vmcnt(0)
	v_mov_b32_e32 v12, v10
	s_waitcnt lgkmcnt(0)
	s_barrier
	s_and_saveexec_b64 s[4:5], s[2:3]
	s_cbranch_execz .LBB351_32
; %bb.31:
	v_add_u32_e32 v12, -4, v11
	ds_read_b32 v12, v12
.LBB351_32:
	s_or_b64 exec, exec, s[4:5]
	v_cmp_neq_f32_e32 vcc, v16, v17
	v_cndmask_b32_e64 v13, 0, 1, vcc
	v_cmp_neq_f32_e32 vcc, v5, v16
	v_cndmask_b32_e64 v30, 0, 1, vcc
	;; [unrolled: 2-line block ×9, first 2 shown]
	s_waitcnt lgkmcnt(0)
	v_cmp_neq_f32_e64 s[4:5], v12, v6
	v_lshlrev_b16_e32 v12, 8, v18
	v_or_b32_sdwa v12, v34, v12 dst_sel:WORD_1 dst_unused:UNUSED_PAD src0_sel:DWORD src1_sel:DWORD
	v_lshlrev_b16_e32 v18, 8, v35
	v_or_b32_e32 v18, v18, v12
	v_lshlrev_b16_e32 v12, 8, v32
	v_lshlrev_b16_e32 v19, 8, v19
	v_or_b32_e32 v12, v33, v12
	v_or_b32_sdwa v19, v31, v19 dst_sel:WORD_1 dst_unused:UNUSED_PAD src0_sel:DWORD src1_sel:DWORD
	v_or_b32_sdwa v19, v12, v19 dst_sel:DWORD dst_unused:UNUSED_PAD src0_sel:WORD_0 src1_sel:DWORD
	s_branch .LBB351_39
.LBB351_33:
                                        ; implicit-def: $sgpr4_sgpr5
                                        ; implicit-def: $vgpr13
                                        ; implicit-def: $vgpr30
                                        ; implicit-def: $vgpr19
	s_branch .LBB351_40
.LBB351_34:
                                        ; implicit-def: $vgpr10_vgpr11_vgpr12
	s_and_saveexec_b64 s[2:3], s[38:39]
	s_cbranch_execnz .LBB351_48
	s_branch .LBB351_49
.LBB351_35:
                                        ; implicit-def: $sgpr4_sgpr5
                                        ; implicit-def: $vgpr13
                                        ; implicit-def: $vgpr30
                                        ; implicit-def: $vgpr19
	s_cbranch_execz .LBB351_39
; %bb.36:
	s_waitcnt lgkmcnt(0)
	s_barrier
	s_and_saveexec_b64 s[4:5], s[2:3]
	s_cbranch_execz .LBB351_38
; %bb.37:
	s_waitcnt vmcnt(0)
	v_add_u32_e32 v10, -4, v11
	ds_read_b32 v10, v10
.LBB351_38:
	s_or_b64 exec, exec, s[4:5]
	v_cmp_gt_u32_e32 vcc, s40, v20
	v_cmp_neq_f32_e64 s[4:5], v16, v17
	s_and_b64 s[4:5], vcc, s[4:5]
	v_cndmask_b32_e64 v13, 0, 1, s[4:5]
	v_cmp_gt_u32_e32 vcc, s40, v21
	v_cmp_neq_f32_e64 s[4:5], v5, v16
	s_and_b64 s[4:5], vcc, s[4:5]
	v_cndmask_b32_e64 v30, 0, 1, s[4:5]
	;; [unrolled: 4-line block ×9, first 2 shown]
	s_waitcnt vmcnt(0) lgkmcnt(0)
	v_cmp_neq_f32_e64 s[4:5], v10, v6
	v_lshlrev_b16_e32 v10, 8, v18
	v_or_b32_sdwa v10, v32, v10 dst_sel:WORD_1 dst_unused:UNUSED_PAD src0_sel:DWORD src1_sel:DWORD
	v_lshlrev_b16_e32 v18, 8, v33
	v_or_b32_e32 v18, v18, v10
	v_lshlrev_b16_e32 v10, 8, v19
	v_lshlrev_b16_e32 v11, 8, v11
	v_cmp_gt_u32_e32 vcc, s40, v28
	v_or_b32_e32 v10, v31, v10
	v_or_b32_sdwa v11, v12, v11 dst_sel:WORD_1 dst_unused:UNUSED_PAD src0_sel:DWORD src1_sel:DWORD
	s_and_b64 s[4:5], vcc, s[4:5]
	v_or_b32_sdwa v19, v10, v11 dst_sel:DWORD dst_unused:UNUSED_PAD src0_sel:WORD_0 src1_sel:DWORD
.LBB351_39:
	s_mov_b64 s[38:39], -1
	s_cbranch_execnz .LBB351_34
.LBB351_40:
	s_movk_i32 s4, 0xffdc
	v_mad_i32_i24 v31, v0, s4, v1
	s_and_b64 vcc, exec, s[26:27]
	v_cmp_neq_f32_e64 s[4:5], v16, v17
	v_cmp_neq_f32_e64 s[6:7], v5, v16
	v_cmp_neq_f32_e64 s[8:9], v4, v5
	v_cmp_neq_f32_e64 s[10:11], v3, v4
	v_cmp_neq_f32_e64 s[12:13], v2, v3
	v_cmp_neq_f32_e64 s[14:15], v9, v2
	v_cmp_neq_f32_e64 s[16:17], v8, v9
	v_cmp_neq_f32_e64 s[18:19], v7, v8
	v_cmp_neq_f32_e64 s[20:21], v6, v7
	ds_write_b32 v31, v17
	s_cbranch_vccz .LBB351_44
; %bb.41:
	s_waitcnt vmcnt(0)
	v_cndmask_b32_e64 v10, 0, 1, s[8:9]
	v_cndmask_b32_e64 v12, 0, 1, s[12:13]
	;; [unrolled: 1-line block ×4, first 2 shown]
	v_lshlrev_b16_e32 v12, 8, v12
	v_lshlrev_b16_e32 v10, 8, v10
	v_cndmask_b32_e64 v13, 0, 1, s[4:5]
	v_or_b32_e32 v12, v18, v12
	v_or_b32_sdwa v10, v11, v10 dst_sel:WORD_1 dst_unused:UNUSED_PAD src0_sel:DWORD src1_sel:DWORD
	v_cndmask_b32_e64 v30, 0, 1, s[6:7]
	v_or_b32_sdwa v19, v12, v10 dst_sel:DWORD dst_unused:UNUSED_PAD src0_sel:WORD_0 src1_sel:DWORD
	v_lshlrev_b16_e32 v10, 8, v13
	v_cndmask_b32_e64 v32, 0, 1, s[16:17]
	v_cndmask_b32_e64 v34, 0, 1, s[20:21]
	v_or_b32_e32 v10, v30, v10
	v_cndmask_b32_e64 v33, 0, 1, s[18:19]
	v_and_b32_e32 v12, 0xffff, v10
	v_lshlrev_b16_e32 v10, 8, v32
	v_lshlrev_b16_e32 v11, 8, v34
	v_or_b32_sdwa v10, v33, v10 dst_sel:WORD_1 dst_unused:UNUSED_PAD src0_sel:DWORD src1_sel:DWORD
	v_or_b32_e32 v11, 1, v11
	v_or_b32_sdwa v18, v11, v10 dst_sel:DWORD dst_unused:UNUSED_PAD src0_sel:WORD_0 src1_sel:DWORD
	s_waitcnt lgkmcnt(0)
	s_barrier
	s_waitcnt lgkmcnt(0)
                                        ; implicit-def: $sgpr4_sgpr5
	s_and_saveexec_b64 s[6:7], s[2:3]
	s_xor_b64 s[6:7], exec, s[6:7]
	s_cbranch_execz .LBB351_43
; %bb.42:
	v_add_u32_e32 v10, -4, v31
	ds_read_b32 v10, v10
	s_or_b64 s[38:39], s[38:39], exec
	s_waitcnt lgkmcnt(0)
	v_cmp_neq_f32_e32 vcc, v10, v6
	s_and_b64 s[4:5], vcc, exec
                                        ; implicit-def: $vgpr10_vgpr11_vgpr12
.LBB351_43:
	s_or_b64 exec, exec, s[6:7]
	s_branch .LBB351_47
.LBB351_44:
                                        ; implicit-def: $sgpr4_sgpr5
                                        ; implicit-def: $vgpr13
                                        ; implicit-def: $vgpr30
                                        ; implicit-def: $vgpr19
                                        ; implicit-def: $vgpr10_vgpr11_vgpr12
	s_cbranch_execz .LBB351_47
; %bb.45:
	v_cmp_gt_u32_e32 vcc, s40, v20
	v_cmp_neq_f32_e64 s[4:5], v16, v17
	s_and_b64 s[4:5], vcc, s[4:5]
	v_cndmask_b32_e64 v13, 0, 1, s[4:5]
	v_cmp_gt_u32_e32 vcc, s40, v21
	v_cmp_neq_f32_e64 s[4:5], v5, v16
	s_and_b64 s[4:5], vcc, s[4:5]
	v_cndmask_b32_e64 v30, 0, 1, s[4:5]
	v_cmp_gt_u32_e32 vcc, s40, v22
	v_cmp_neq_f32_e64 s[4:5], v4, v5
	s_and_b64 s[4:5], vcc, s[4:5]
	s_waitcnt vmcnt(0)
	v_cndmask_b32_e64 v10, 0, 1, s[4:5]
	v_cmp_gt_u32_e32 vcc, s40, v23
	v_cmp_neq_f32_e64 s[4:5], v3, v4
	s_and_b64 s[4:5], vcc, s[4:5]
	v_cndmask_b32_e64 v11, 0, 1, s[4:5]
	v_cmp_gt_u32_e32 vcc, s40, v24
	v_cmp_neq_f32_e64 s[4:5], v2, v3
	s_and_b64 s[4:5], vcc, s[4:5]
	v_cndmask_b32_e64 v12, 0, 1, s[4:5]
	v_cmp_gt_u32_e32 vcc, s40, v25
	v_cmp_neq_f32_e64 s[4:5], v9, v2
	s_and_b64 s[4:5], vcc, s[4:5]
	v_cndmask_b32_e64 v18, 0, 1, s[4:5]
	v_cmp_gt_u32_e32 vcc, s40, v26
	v_cmp_neq_f32_e64 s[4:5], v8, v9
	s_and_b64 s[4:5], vcc, s[4:5]
	v_cndmask_b32_e64 v32, 0, 1, s[4:5]
	v_cmp_gt_u32_e32 vcc, s40, v27
	v_cmp_neq_f32_e64 s[4:5], v7, v8
	s_and_b64 s[4:5], vcc, s[4:5]
	v_lshlrev_b16_e32 v12, 8, v12
	v_lshlrev_b16_e32 v10, 8, v10
	v_cndmask_b32_e64 v33, 0, 1, s[4:5]
	v_cmp_gt_u32_e32 vcc, s40, v29
	v_cmp_neq_f32_e64 s[4:5], v6, v7
	v_or_b32_e32 v12, v18, v12
	v_or_b32_sdwa v10, v11, v10 dst_sel:WORD_1 dst_unused:UNUSED_PAD src0_sel:DWORD src1_sel:DWORD
	s_and_b64 s[4:5], vcc, s[4:5]
	v_or_b32_sdwa v19, v12, v10 dst_sel:DWORD dst_unused:UNUSED_PAD src0_sel:WORD_0 src1_sel:DWORD
	v_lshlrev_b16_e32 v10, 8, v13
	v_cndmask_b32_e64 v34, 0, 1, s[4:5]
	v_or_b32_e32 v10, v30, v10
	v_and_b32_e32 v12, 0xffff, v10
	v_lshlrev_b16_e32 v10, 8, v32
	v_lshlrev_b16_e32 v11, 8, v34
	v_or_b32_sdwa v10, v33, v10 dst_sel:WORD_1 dst_unused:UNUSED_PAD src0_sel:DWORD src1_sel:DWORD
	v_or_b32_e32 v11, 1, v11
	v_or_b32_sdwa v18, v11, v10 dst_sel:DWORD dst_unused:UNUSED_PAD src0_sel:WORD_0 src1_sel:DWORD
	s_waitcnt lgkmcnt(0)
	s_barrier
	s_waitcnt lgkmcnt(0)
                                        ; implicit-def: $sgpr4_sgpr5
	s_and_saveexec_b64 s[6:7], s[2:3]
	s_cbranch_execz .LBB351_164
; %bb.46:
	v_add_u32_e32 v10, -4, v31
	ds_read_b32 v10, v10
	v_cmp_gt_u32_e32 vcc, s40, v28
	s_or_b64 s[38:39], s[38:39], exec
	s_waitcnt lgkmcnt(0)
	v_cmp_neq_f32_e64 s[2:3], v10, v6
	s_and_b64 s[2:3], vcc, s[2:3]
	s_and_b64 s[4:5], s[2:3], exec
                                        ; implicit-def: $vgpr10_vgpr11_vgpr12
	s_or_b64 exec, exec, s[6:7]
.LBB351_47:
	s_and_saveexec_b64 s[2:3], s[38:39]
	s_cbranch_execz .LBB351_49
.LBB351_48:
	v_lshlrev_b16_e32 v11, 8, v13
	v_or_b32_sdwa v11, v30, v11 dst_sel:DWORD dst_unused:UNUSED_PAD src0_sel:BYTE_0 src1_sel:DWORD
	s_waitcnt vmcnt(0)
	v_cndmask_b32_e64 v10, 0, 1, s[4:5]
	s_movk_i32 s4, 0xff
	v_and_b32_e32 v12, 0xffff, v11
	v_lshrrev_b32_e32 v11, 24, v18
	v_lshlrev_b16_e32 v11, 8, v11
	v_and_b32_sdwa v13, v18, s4 dst_sel:DWORD dst_unused:UNUSED_PAD src0_sel:WORD_1 src1_sel:DWORD
	v_or_b32_sdwa v11, v13, v11 dst_sel:WORD_1 dst_unused:UNUSED_PAD src0_sel:DWORD src1_sel:DWORD
	v_mov_b32_e32 v13, 8
	v_lshrrev_b32_sdwa v13, v13, v18 dst_sel:BYTE_1 dst_unused:UNUSED_PAD src0_sel:DWORD src1_sel:DWORD
	v_or_b32_e32 v10, v10, v13
	v_or_b32_sdwa v18, v10, v11 dst_sel:DWORD dst_unused:UNUSED_PAD src0_sel:WORD_0 src1_sel:DWORD
.LBB351_49:
	s_or_b64 exec, exec, s[2:3]
	s_andn2_b64 vcc, exec, s[34:35]
	s_cbranch_vccnz .LBB351_51
; %bb.50:
	v_and_b32_e32 v11, 0xffff0000, v18
	v_cmp_gt_u32_e32 vcc, s40, v28
	v_cndmask_b32_e32 v11, v11, v18, vcc
	v_and_b32_e32 v11, 0xffff00ff, v11
	v_cmp_gt_u32_e32 vcc, s40, v29
	v_cndmask_b32_e32 v11, v11, v18, vcc
	v_lshrrev_b32_e32 v13, 24, v11
	s_mov_b32 s2, 0x40c0100
	v_perm_b32 v11, v13, v11, s2
	v_cmp_gt_u32_e32 vcc, s40, v27
	v_cndmask_b32_e32 v11, v11, v18, vcc
	v_and_b32_e32 v11, 0xffffff, v11
	v_cmp_gt_u32_e32 vcc, s40, v26
	v_cndmask_b32_e32 v11, v11, v18, vcc
	v_and_b32_e32 v13, 0xffffff00, v19
	;; [unrolled: 3-line block ×3, first 2 shown]
	v_cndmask_b32_e32 v11, v11, v18, vcc
	v_cmp_gt_u32_e32 vcc, s40, v24
	v_cndmask_b32_e32 v13, v13, v19, vcc
	v_lshrrev_b32_e32 v24, 24, v13
	s_waitcnt vmcnt(0)
	v_and_b32_e32 v10, 0xffff0000, v12
	v_cndmask_b32_e32 v11, v11, v18, vcc
	v_perm_b32 v13, v24, v13, s2
	v_cmp_gt_u32_e32 vcc, s40, v23
	v_cmp_gt_u32_e64 s[2:3], s40, v21
	v_cmp_gt_u32_e64 s[4:5], s40, v20
	v_cndmask_b32_e32 v13, v13, v19, vcc
	v_cndmask_b32_e32 v11, v11, v18, vcc
	v_cmp_gt_u32_e32 vcc, s40, v22
	v_cndmask_b32_e64 v10, v10, v12, s[2:3]
	s_or_b64 s[2:3], s[4:5], s[2:3]
	s_or_b64 vcc, s[2:3], vcc
	v_and_b32_e32 v10, 0xffff00ff, v10
	v_cndmask_b32_e32 v11, v11, v18, vcc
	s_mov_b32 s2, 0x3020104
	v_cndmask_b32_e64 v10, v10, v12, s[4:5]
	v_perm_b32 v18, v11, v11, s2
	v_mov_b32_e32 v11, 8
	v_lshrrev_b32_sdwa v11, v11, v10 dst_sel:BYTE_1 dst_unused:UNUSED_PAD src0_sel:DWORD src1_sel:DWORD
	v_and_b32_e32 v13, 0xffffff, v13
	v_or_b32_sdwa v10, v10, v11 dst_sel:DWORD dst_unused:UNUSED_PAD src0_sel:BYTE_0 src1_sel:DWORD
	v_cndmask_b32_e32 v19, v13, v19, vcc
	v_and_b32_e32 v12, 0xffff, v10
.LBB351_51:
	s_waitcnt vmcnt(0)
	v_alignbit_b32 v10, v19, v18, 24
	v_bfe_u32 v29, v18, 16, 8
	v_and_b32_e32 v31, 0xff, v10
	v_add_u32_sdwa v11, v18, v18 dst_sel:DWORD dst_unused:UNUSED_PAD src0_sel:BYTE_1 src1_sel:BYTE_0
	v_and_b32_e32 v33, 0xff, v19
	v_bfe_u32 v35, v19, 8, 8
	v_add3_u32 v11, v11, v29, v31
	v_bfe_u32 v37, v19, 16, 8
	v_lshrrev_b32_e32 v13, 24, v19
	v_add3_u32 v11, v11, v33, v35
	v_and_b32_e32 v39, 0xff, v12
	v_bfe_u32 v10, v12, 8, 8
	v_add3_u32 v11, v11, v37, v13
	v_add3_u32 v44, v11, v39, v10
	v_mbcnt_lo_u32_b32 v10, -1, 0
	v_mbcnt_hi_u32_b32 v41, -1, v10
	v_and_b32_e32 v10, 15, v41
	v_cmp_eq_u32_e64 s[14:15], 0, v10
	v_cmp_lt_u32_e64 s[12:13], 1, v10
	v_cmp_lt_u32_e64 s[10:11], 3, v10
	;; [unrolled: 1-line block ×3, first 2 shown]
	v_and_b32_e32 v10, 16, v41
	v_cmp_eq_u32_e64 s[6:7], 0, v10
	v_or_b32_e32 v10, 63, v0
	v_cmp_lt_u32_e64 s[2:3], 31, v41
	v_lshrrev_b32_e32 v43, 6, v0
	v_cmp_eq_u32_e64 s[4:5], v10, v0
	s_and_b64 vcc, exec, s[36:37]
	s_waitcnt lgkmcnt(0)
	s_barrier
	s_cbranch_vccz .LBB351_82
; %bb.52:
	v_mov_b32_dpp v10, v44 row_shr:1 row_mask:0xf bank_mask:0xf
	v_cndmask_b32_e64 v10, v10, 0, s[14:15]
	v_add_u32_e32 v10, v10, v44
	s_nop 1
	v_mov_b32_dpp v11, v10 row_shr:2 row_mask:0xf bank_mask:0xf
	v_cndmask_b32_e64 v11, 0, v11, s[12:13]
	v_add_u32_e32 v10, v10, v11
	s_nop 1
	;; [unrolled: 4-line block ×4, first 2 shown]
	v_mov_b32_dpp v11, v10 row_bcast:15 row_mask:0xf bank_mask:0xf
	v_cndmask_b32_e64 v11, v11, 0, s[6:7]
	v_add_u32_e32 v10, v10, v11
	s_nop 1
	v_mov_b32_dpp v11, v10 row_bcast:31 row_mask:0xf bank_mask:0xf
	v_cndmask_b32_e64 v11, 0, v11, s[2:3]
	v_add_u32_e32 v10, v10, v11
	s_and_saveexec_b64 s[16:17], s[4:5]
	s_cbranch_execz .LBB351_54
; %bb.53:
	v_lshlrev_b32_e32 v11, 2, v43
	ds_write_b32 v11, v10
.LBB351_54:
	s_or_b64 exec, exec, s[16:17]
	v_cmp_gt_u32_e32 vcc, 4, v0
	s_waitcnt lgkmcnt(0)
	s_barrier
	s_and_saveexec_b64 s[16:17], vcc
	s_cbranch_execz .LBB351_56
; %bb.55:
	v_lshlrev_b32_e32 v11, 2, v0
	ds_read_b32 v20, v11
	v_and_b32_e32 v21, 3, v41
	v_cmp_ne_u32_e32 vcc, 0, v21
	s_waitcnt lgkmcnt(0)
	v_mov_b32_dpp v22, v20 row_shr:1 row_mask:0xf bank_mask:0xf
	v_cndmask_b32_e32 v22, 0, v22, vcc
	v_add_u32_e32 v20, v22, v20
	v_cmp_lt_u32_e32 vcc, 1, v21
	s_nop 0
	v_mov_b32_dpp v22, v20 row_shr:2 row_mask:0xf bank_mask:0xf
	v_cndmask_b32_e32 v21, 0, v22, vcc
	v_add_u32_e32 v20, v20, v21
	ds_write_b32 v11, v20
.LBB351_56:
	s_or_b64 exec, exec, s[16:17]
	v_cmp_gt_u32_e32 vcc, 64, v0
	v_cmp_lt_u32_e64 s[16:17], 63, v0
	s_waitcnt lgkmcnt(0)
	s_barrier
	s_waitcnt lgkmcnt(0)
                                        ; implicit-def: $vgpr28
	s_and_saveexec_b64 s[18:19], s[16:17]
	s_cbranch_execz .LBB351_58
; %bb.57:
	v_lshl_add_u32 v11, v43, 2, -4
	ds_read_b32 v28, v11
	s_waitcnt lgkmcnt(0)
	v_add_u32_e32 v10, v28, v10
.LBB351_58:
	s_or_b64 exec, exec, s[18:19]
	v_add_u32_e32 v11, -1, v41
	v_and_b32_e32 v20, 64, v41
	v_cmp_lt_i32_e64 s[16:17], v11, v20
	v_cndmask_b32_e64 v11, v11, v41, s[16:17]
	v_lshlrev_b32_e32 v11, 2, v11
	ds_bpermute_b32 v30, v11, v10
	v_cmp_eq_u32_e64 s[16:17], 0, v41
	s_and_saveexec_b64 s[18:19], vcc
	s_cbranch_execz .LBB351_81
; %bb.59:
	v_mov_b32_e32 v27, 0
	ds_read_b32 v10, v27 offset:12
	s_and_saveexec_b64 s[20:21], s[16:17]
	s_cbranch_execz .LBB351_61
; %bb.60:
	s_add_i32 s34, s33, 64
	s_mov_b32 s35, 0
	s_lshl_b64 s[34:35], s[34:35], 3
	s_add_u32 s34, s30, s34
	v_mov_b32_e32 v11, 1
	s_addc_u32 s35, s31, s35
	s_waitcnt lgkmcnt(0)
	global_store_dwordx2 v27, v[10:11], s[34:35]
.LBB351_61:
	s_or_b64 exec, exec, s[20:21]
	v_xad_u32 v20, v41, -1, s33
	v_add_u32_e32 v26, 64, v20
	v_lshlrev_b64 v[22:23], 3, v[26:27]
	v_mov_b32_e32 v11, s31
	v_add_co_u32_e32 v22, vcc, s30, v22
	v_addc_co_u32_e32 v23, vcc, v11, v23, vcc
	global_load_dwordx2 v[24:25], v[22:23], off glc
	s_waitcnt vmcnt(0)
	v_cmp_eq_u16_sdwa s[34:35], v25, v27 src0_sel:BYTE_0 src1_sel:DWORD
	s_and_saveexec_b64 s[20:21], s[34:35]
	s_cbranch_execz .LBB351_67
; %bb.62:
	s_mov_b32 s36, 1
	s_mov_b64 s[34:35], 0
	v_mov_b32_e32 v11, 0
.LBB351_63:                             ; =>This Loop Header: Depth=1
                                        ;     Child Loop BB351_64 Depth 2
	s_max_u32 s37, s36, 1
.LBB351_64:                             ;   Parent Loop BB351_63 Depth=1
                                        ; =>  This Inner Loop Header: Depth=2
	s_add_i32 s37, s37, -1
	s_cmp_eq_u32 s37, 0
	s_sleep 1
	s_cbranch_scc0 .LBB351_64
; %bb.65:                               ;   in Loop: Header=BB351_63 Depth=1
	global_load_dwordx2 v[24:25], v[22:23], off glc
	s_cmp_lt_u32 s36, 32
	s_cselect_b64 s[38:39], -1, 0
	s_cmp_lg_u64 s[38:39], 0
	s_addc_u32 s36, s36, 0
	s_waitcnt vmcnt(0)
	v_cmp_ne_u16_sdwa s[38:39], v25, v11 src0_sel:BYTE_0 src1_sel:DWORD
	s_or_b64 s[34:35], s[38:39], s[34:35]
	s_andn2_b64 exec, exec, s[34:35]
	s_cbranch_execnz .LBB351_63
; %bb.66:
	s_or_b64 exec, exec, s[34:35]
.LBB351_67:
	s_or_b64 exec, exec, s[20:21]
	v_and_b32_e32 v34, 63, v41
	v_mov_b32_e32 v32, 2
	v_cmp_ne_u32_e32 vcc, 63, v34
	v_cmp_eq_u16_sdwa s[20:21], v25, v32 src0_sel:BYTE_0 src1_sel:DWORD
	v_lshlrev_b64 v[22:23], v41, -1
	v_addc_co_u32_e32 v26, vcc, 0, v41, vcc
	v_and_b32_e32 v11, s21, v23
	v_lshlrev_b32_e32 v36, 2, v26
	v_or_b32_e32 v11, 0x80000000, v11
	ds_bpermute_b32 v26, v36, v24
	v_and_b32_e32 v21, s20, v22
	v_ffbl_b32_e32 v11, v11
	v_add_u32_e32 v11, 32, v11
	v_ffbl_b32_e32 v21, v21
	v_min_u32_e32 v11, v21, v11
	v_cmp_lt_u32_e32 vcc, v34, v11
	s_waitcnt lgkmcnt(0)
	v_cndmask_b32_e32 v21, 0, v26, vcc
	v_cmp_gt_u32_e32 vcc, 62, v34
	v_add_u32_e32 v21, v21, v24
	v_cndmask_b32_e64 v24, 0, 1, vcc
	v_lshlrev_b32_e32 v24, 1, v24
	v_add_lshl_u32 v38, v24, v41, 2
	ds_bpermute_b32 v24, v38, v21
	v_add_u32_e32 v40, 2, v34
	v_cmp_le_u32_e32 vcc, v40, v11
	v_add_u32_e32 v45, 4, v34
	v_add_u32_e32 v47, 8, v34
	s_waitcnt lgkmcnt(0)
	v_cndmask_b32_e32 v24, 0, v24, vcc
	v_cmp_gt_u32_e32 vcc, 60, v34
	v_add_u32_e32 v21, v21, v24
	v_cndmask_b32_e64 v24, 0, 1, vcc
	v_lshlrev_b32_e32 v24, 2, v24
	v_add_lshl_u32 v42, v24, v41, 2
	ds_bpermute_b32 v24, v42, v21
	v_cmp_le_u32_e32 vcc, v45, v11
	v_add_u32_e32 v49, 16, v34
	v_add_u32_e32 v51, 32, v34
	s_waitcnt lgkmcnt(0)
	v_cndmask_b32_e32 v24, 0, v24, vcc
	v_cmp_gt_u32_e32 vcc, 56, v34
	v_add_u32_e32 v21, v21, v24
	v_cndmask_b32_e64 v24, 0, 1, vcc
	v_lshlrev_b32_e32 v24, 3, v24
	v_add_lshl_u32 v46, v24, v41, 2
	ds_bpermute_b32 v24, v46, v21
	v_cmp_le_u32_e32 vcc, v47, v11
	s_waitcnt lgkmcnt(0)
	v_cndmask_b32_e32 v24, 0, v24, vcc
	v_cmp_gt_u32_e32 vcc, 48, v34
	v_add_u32_e32 v21, v21, v24
	v_cndmask_b32_e64 v24, 0, 1, vcc
	v_lshlrev_b32_e32 v24, 4, v24
	v_add_lshl_u32 v48, v24, v41, 2
	ds_bpermute_b32 v24, v48, v21
	v_cmp_le_u32_e32 vcc, v49, v11
	;; [unrolled: 9-line block ×3, first 2 shown]
	s_waitcnt lgkmcnt(0)
	v_cndmask_b32_e32 v11, 0, v24, vcc
	v_add_u32_e32 v24, v21, v11
	v_mov_b32_e32 v21, 0
	s_branch .LBB351_69
.LBB351_68:                             ;   in Loop: Header=BB351_69 Depth=1
	s_or_b64 exec, exec, s[20:21]
	v_cmp_eq_u16_sdwa s[20:21], v25, v32 src0_sel:BYTE_0 src1_sel:DWORD
	v_and_b32_e32 v26, s21, v23
	v_or_b32_e32 v26, 0x80000000, v26
	ds_bpermute_b32 v52, v36, v24
	v_and_b32_e32 v27, s20, v22
	v_ffbl_b32_e32 v26, v26
	v_add_u32_e32 v26, 32, v26
	v_ffbl_b32_e32 v27, v27
	v_min_u32_e32 v26, v27, v26
	v_cmp_lt_u32_e32 vcc, v34, v26
	s_waitcnt lgkmcnt(0)
	v_cndmask_b32_e32 v27, 0, v52, vcc
	v_add_u32_e32 v24, v27, v24
	ds_bpermute_b32 v27, v38, v24
	v_cmp_le_u32_e32 vcc, v40, v26
	v_subrev_u32_e32 v20, 64, v20
	s_waitcnt lgkmcnt(0)
	v_cndmask_b32_e32 v27, 0, v27, vcc
	v_add_u32_e32 v24, v24, v27
	ds_bpermute_b32 v27, v42, v24
	v_cmp_le_u32_e32 vcc, v45, v26
	s_waitcnt lgkmcnt(0)
	v_cndmask_b32_e32 v27, 0, v27, vcc
	v_add_u32_e32 v24, v24, v27
	ds_bpermute_b32 v27, v46, v24
	v_cmp_le_u32_e32 vcc, v47, v26
	;; [unrolled: 5-line block ×4, first 2 shown]
	s_waitcnt lgkmcnt(0)
	v_cndmask_b32_e32 v26, 0, v27, vcc
	v_add3_u32 v24, v26, v11, v24
.LBB351_69:                             ; =>This Loop Header: Depth=1
                                        ;     Child Loop BB351_72 Depth 2
                                        ;       Child Loop BB351_73 Depth 3
	v_cmp_ne_u16_sdwa s[20:21], v25, v32 src0_sel:BYTE_0 src1_sel:DWORD
	v_cndmask_b32_e64 v11, 0, 1, s[20:21]
	;;#ASMSTART
	;;#ASMEND
	v_cmp_ne_u32_e32 vcc, 0, v11
	s_cmp_lg_u64 vcc, exec
	v_mov_b32_e32 v11, v24
	s_cbranch_scc1 .LBB351_76
; %bb.70:                               ;   in Loop: Header=BB351_69 Depth=1
	v_lshlrev_b64 v[24:25], 3, v[20:21]
	v_mov_b32_e32 v27, s31
	v_add_co_u32_e32 v26, vcc, s30, v24
	v_addc_co_u32_e32 v27, vcc, v27, v25, vcc
	global_load_dwordx2 v[24:25], v[26:27], off glc
	s_waitcnt vmcnt(0)
	v_cmp_eq_u16_sdwa s[34:35], v25, v21 src0_sel:BYTE_0 src1_sel:DWORD
	s_and_saveexec_b64 s[20:21], s[34:35]
	s_cbranch_execz .LBB351_68
; %bb.71:                               ;   in Loop: Header=BB351_69 Depth=1
	s_mov_b32 s36, 1
	s_mov_b64 s[34:35], 0
.LBB351_72:                             ;   Parent Loop BB351_69 Depth=1
                                        ; =>  This Loop Header: Depth=2
                                        ;       Child Loop BB351_73 Depth 3
	s_max_u32 s37, s36, 1
.LBB351_73:                             ;   Parent Loop BB351_69 Depth=1
                                        ;     Parent Loop BB351_72 Depth=2
                                        ; =>    This Inner Loop Header: Depth=3
	s_add_i32 s37, s37, -1
	s_cmp_eq_u32 s37, 0
	s_sleep 1
	s_cbranch_scc0 .LBB351_73
; %bb.74:                               ;   in Loop: Header=BB351_72 Depth=2
	global_load_dwordx2 v[24:25], v[26:27], off glc
	s_cmp_lt_u32 s36, 32
	s_cselect_b64 s[38:39], -1, 0
	s_cmp_lg_u64 s[38:39], 0
	s_addc_u32 s36, s36, 0
	s_waitcnt vmcnt(0)
	v_cmp_ne_u16_sdwa s[38:39], v25, v21 src0_sel:BYTE_0 src1_sel:DWORD
	s_or_b64 s[34:35], s[38:39], s[34:35]
	s_andn2_b64 exec, exec, s[34:35]
	s_cbranch_execnz .LBB351_72
; %bb.75:                               ;   in Loop: Header=BB351_69 Depth=1
	s_or_b64 exec, exec, s[34:35]
	s_branch .LBB351_68
.LBB351_76:                             ;   in Loop: Header=BB351_69 Depth=1
                                        ; implicit-def: $vgpr24
                                        ; implicit-def: $vgpr25
	s_cbranch_execz .LBB351_69
; %bb.77:
	s_and_saveexec_b64 s[20:21], s[16:17]
	s_cbranch_execz .LBB351_79
; %bb.78:
	s_add_i32 s34, s33, 64
	s_mov_b32 s35, 0
	s_lshl_b64 s[34:35], s[34:35], 3
	s_add_u32 s34, s30, s34
	v_add_u32_e32 v20, v11, v10
	v_mov_b32_e32 v21, 2
	s_addc_u32 s35, s31, s35
	v_mov_b32_e32 v22, 0
	global_store_dwordx2 v22, v[20:21], s[34:35]
	ds_write_b64 v22, v[10:11] offset:10240
.LBB351_79:
	s_or_b64 exec, exec, s[20:21]
	s_and_b64 exec, exec, s[0:1]
	s_cbranch_execz .LBB351_81
; %bb.80:
	v_mov_b32_e32 v10, 0
	ds_write_b32 v10, v11 offset:12
.LBB351_81:
	s_or_b64 exec, exec, s[18:19]
	v_mov_b32_e32 v10, 0
	s_waitcnt lgkmcnt(0)
	s_barrier
	ds_read_b32 v11, v10 offset:12
	v_cndmask_b32_e64 v20, v30, v28, s[16:17]
	v_cndmask_b32_e64 v20, v20, 0, s[0:1]
	s_waitcnt lgkmcnt(0)
	s_barrier
	v_add_u32_e32 v42, v11, v20
	v_add_u32_sdwa v40, v42, v18 dst_sel:DWORD dst_unused:UNUSED_PAD src0_sel:DWORD src1_sel:BYTE_0
	v_add_u32_sdwa v38, v40, v18 dst_sel:DWORD dst_unused:UNUSED_PAD src0_sel:DWORD src1_sel:BYTE_1
	v_add_u32_e32 v36, v38, v29
	v_add_u32_e32 v34, v36, v31
	ds_read_b64 v[10:11], v10 offset:10240
	v_add_u32_e32 v32, v34, v33
	v_add_u32_e32 v30, v32, v35
	;; [unrolled: 1-line block ×5, first 2 shown]
	s_waitcnt lgkmcnt(0)
	v_mov_b32_e32 v20, v11
	v_lshrrev_b64 v[26:27], 24, v[18:19]
	s_branch .LBB351_92
.LBB351_82:
                                        ; implicit-def: $vgpr20
                                        ; implicit-def: $vgpr10
                                        ; implicit-def: $vgpr22
                                        ; implicit-def: $vgpr24
                                        ; implicit-def: $vgpr28
                                        ; implicit-def: $vgpr30
                                        ; implicit-def: $vgpr32
                                        ; implicit-def: $vgpr34
                                        ; implicit-def: $vgpr36
                                        ; implicit-def: $vgpr38
                                        ; implicit-def: $vgpr40
                                        ; implicit-def: $vgpr42
	v_lshrrev_b64 v[26:27], 24, v[18:19]
	s_cbranch_execz .LBB351_92
; %bb.83:
	v_mov_b32_dpp v10, v44 row_shr:1 row_mask:0xf bank_mask:0xf
	v_cndmask_b32_e64 v10, v10, 0, s[14:15]
	v_add_u32_e32 v10, v10, v44
	s_nop 1
	v_mov_b32_dpp v11, v10 row_shr:2 row_mask:0xf bank_mask:0xf
	v_cndmask_b32_e64 v11, 0, v11, s[12:13]
	v_add_u32_e32 v10, v10, v11
	s_nop 1
	;; [unrolled: 4-line block ×4, first 2 shown]
	v_mov_b32_dpp v11, v10 row_bcast:15 row_mask:0xf bank_mask:0xf
	v_cndmask_b32_e64 v11, v11, 0, s[6:7]
	v_add_u32_e32 v10, v10, v11
	s_nop 1
	v_mov_b32_dpp v11, v10 row_bcast:31 row_mask:0xf bank_mask:0xf
	v_cndmask_b32_e64 v11, 0, v11, s[2:3]
	v_add_u32_e32 v10, v10, v11
	s_and_saveexec_b64 s[2:3], s[4:5]
	s_cbranch_execz .LBB351_85
; %bb.84:
	v_lshlrev_b32_e32 v11, 2, v43
	ds_write_b32 v11, v10
.LBB351_85:
	s_or_b64 exec, exec, s[2:3]
	v_cmp_gt_u32_e32 vcc, 4, v0
	s_waitcnt lgkmcnt(0)
	s_barrier
	s_and_saveexec_b64 s[2:3], vcc
	s_cbranch_execz .LBB351_87
; %bb.86:
	s_movk_i32 s4, 0xffdc
	v_mad_i32_i24 v1, v0, s4, v1
	ds_read_b32 v11, v1
	v_and_b32_e32 v20, 3, v41
	v_cmp_ne_u32_e32 vcc, 0, v20
	s_waitcnt lgkmcnt(0)
	v_mov_b32_dpp v21, v11 row_shr:1 row_mask:0xf bank_mask:0xf
	v_cndmask_b32_e32 v21, 0, v21, vcc
	v_add_u32_e32 v11, v21, v11
	v_cmp_lt_u32_e32 vcc, 1, v20
	s_nop 0
	v_mov_b32_dpp v21, v11 row_shr:2 row_mask:0xf bank_mask:0xf
	v_cndmask_b32_e32 v20, 0, v21, vcc
	v_add_u32_e32 v11, v11, v20
	ds_write_b32 v1, v11
.LBB351_87:
	s_or_b64 exec, exec, s[2:3]
	v_cmp_lt_u32_e32 vcc, 63, v0
	v_mov_b32_e32 v11, 0
	v_mov_b32_e32 v1, 0
	s_waitcnt lgkmcnt(0)
	s_barrier
	s_and_saveexec_b64 s[2:3], vcc
	s_cbranch_execz .LBB351_89
; %bb.88:
	v_lshl_add_u32 v1, v43, 2, -4
	ds_read_b32 v1, v1
.LBB351_89:
	s_or_b64 exec, exec, s[2:3]
	v_add_u32_e32 v20, -1, v41
	v_and_b32_e32 v21, 64, v41
	v_cmp_lt_i32_e32 vcc, v20, v21
	v_cndmask_b32_e32 v20, v20, v41, vcc
	s_waitcnt lgkmcnt(0)
	v_add_u32_e32 v10, v1, v10
	v_lshlrev_b32_e32 v20, 2, v20
	ds_bpermute_b32 v20, v20, v10
	ds_read_b32 v10, v11 offset:12
	s_and_saveexec_b64 s[2:3], s[0:1]
	s_cbranch_execz .LBB351_91
; %bb.90:
	v_mov_b32_e32 v21, 0
	v_mov_b32_e32 v11, 2
	s_waitcnt lgkmcnt(0)
	global_store_dwordx2 v21, v[10:11], s[30:31] offset:512
.LBB351_91:
	s_or_b64 exec, exec, s[2:3]
	v_cmp_eq_u32_e32 vcc, 0, v41
	s_waitcnt lgkmcnt(1)
	v_cndmask_b32_e32 v1, v20, v1, vcc
	v_cndmask_b32_e64 v42, v1, 0, s[0:1]
	v_add_u32_sdwa v40, v42, v18 dst_sel:DWORD dst_unused:UNUSED_PAD src0_sel:DWORD src1_sel:BYTE_0
	v_add_u32_sdwa v38, v40, v18 dst_sel:DWORD dst_unused:UNUSED_PAD src0_sel:DWORD src1_sel:BYTE_1
	v_add_u32_e32 v36, v38, v29
	v_add_u32_e32 v34, v36, v31
	;; [unrolled: 1-line block ×6, first 2 shown]
	v_mov_b32_e32 v20, 0
	v_add_u32_e32 v22, v24, v39
	s_waitcnt lgkmcnt(0)
	s_barrier
.LBB351_92:
	s_movk_i32 s2, 0x101
	v_cmp_gt_u32_e32 vcc, s2, v10
	v_lshrrev_b32_e32 v21, 8, v18
	v_lshrrev_b32_e32 v11, 8, v19
	v_lshrrev_b32_e32 v1, 8, v12
	s_mov_b64 s[2:3], -1
	s_cbranch_vccnz .LBB351_96
; %bb.93:
	s_and_b64 vcc, exec, s[2:3]
	s_cbranch_vccnz .LBB351_127
.LBB351_94:
	s_and_b64 s[0:1], s[0:1], s[22:23]
	s_and_saveexec_b64 s[2:3], s[0:1]
	s_cbranch_execnz .LBB351_163
.LBB351_95:
	s_endpgm
.LBB351_96:
	v_lshlrev_b64 v[44:45], 2, v[14:15]
	v_mov_b32_e32 v25, s29
	v_add_co_u32_e32 v27, vcc, s28, v44
	v_add_u32_e32 v23, v20, v10
	v_addc_co_u32_e32 v44, vcc, v25, v45, vcc
	v_cmp_lt_u32_e32 vcc, v42, v23
	s_or_b64 s[4:5], s[26:27], vcc
	s_and_saveexec_b64 s[2:3], s[4:5]
	s_cbranch_execz .LBB351_99
; %bb.97:
	v_and_b32_e32 v25, 1, v18
	v_cmp_eq_u32_e32 vcc, 1, v25
	s_and_b64 exec, exec, vcc
	s_cbranch_execz .LBB351_99
; %bb.98:
	v_mov_b32_e32 v43, 0
	v_lshlrev_b64 v[46:47], 2, v[42:43]
	v_add_co_u32_e32 v46, vcc, v27, v46
	v_addc_co_u32_e32 v47, vcc, v44, v47, vcc
	global_store_dword v[46:47], v6, off
.LBB351_99:
	s_or_b64 exec, exec, s[2:3]
	v_cmp_lt_u32_e32 vcc, v40, v23
	s_or_b64 s[4:5], s[26:27], vcc
	s_and_saveexec_b64 s[2:3], s[4:5]
	s_cbranch_execz .LBB351_102
; %bb.100:
	v_and_b32_e32 v25, 1, v21
	v_cmp_eq_u32_e32 vcc, 1, v25
	s_and_b64 exec, exec, vcc
	s_cbranch_execz .LBB351_102
; %bb.101:
	v_mov_b32_e32 v41, 0
	v_lshlrev_b64 v[46:47], 2, v[40:41]
	v_add_co_u32_e32 v46, vcc, v27, v46
	v_addc_co_u32_e32 v47, vcc, v44, v47, vcc
	global_store_dword v[46:47], v7, off
.LBB351_102:
	s_or_b64 exec, exec, s[2:3]
	v_cmp_lt_u32_e32 vcc, v38, v23
	s_or_b64 s[4:5], s[26:27], vcc
	s_and_saveexec_b64 s[2:3], s[4:5]
	s_cbranch_execz .LBB351_105
; %bb.103:
	v_mov_b32_e32 v25, 1
	v_and_b32_sdwa v25, v25, v18 dst_sel:DWORD dst_unused:UNUSED_PAD src0_sel:DWORD src1_sel:WORD_1
	v_cmp_eq_u32_e32 vcc, 1, v25
	s_and_b64 exec, exec, vcc
	s_cbranch_execz .LBB351_105
; %bb.104:
	v_mov_b32_e32 v39, 0
	v_lshlrev_b64 v[46:47], 2, v[38:39]
	v_add_co_u32_e32 v46, vcc, v27, v46
	v_addc_co_u32_e32 v47, vcc, v44, v47, vcc
	global_store_dword v[46:47], v8, off
.LBB351_105:
	s_or_b64 exec, exec, s[2:3]
	v_cmp_lt_u32_e32 vcc, v36, v23
	s_or_b64 s[4:5], s[26:27], vcc
	s_and_saveexec_b64 s[2:3], s[4:5]
	s_cbranch_execz .LBB351_108
; %bb.106:
	v_and_b32_e32 v25, 1, v26
	v_cmp_eq_u32_e32 vcc, 1, v25
	s_and_b64 exec, exec, vcc
	s_cbranch_execz .LBB351_108
; %bb.107:
	v_mov_b32_e32 v37, 0
	v_lshlrev_b64 v[46:47], 2, v[36:37]
	v_add_co_u32_e32 v46, vcc, v27, v46
	v_addc_co_u32_e32 v47, vcc, v44, v47, vcc
	global_store_dword v[46:47], v9, off
.LBB351_108:
	s_or_b64 exec, exec, s[2:3]
	v_cmp_lt_u32_e32 vcc, v34, v23
	s_or_b64 s[4:5], s[26:27], vcc
	s_and_saveexec_b64 s[2:3], s[4:5]
	s_cbranch_execz .LBB351_111
; %bb.109:
	v_and_b32_e32 v25, 1, v19
	v_cmp_eq_u32_e32 vcc, 1, v25
	s_and_b64 exec, exec, vcc
	s_cbranch_execz .LBB351_111
; %bb.110:
	v_mov_b32_e32 v35, 0
	v_lshlrev_b64 v[46:47], 2, v[34:35]
	v_add_co_u32_e32 v46, vcc, v27, v46
	v_addc_co_u32_e32 v47, vcc, v44, v47, vcc
	global_store_dword v[46:47], v2, off
.LBB351_111:
	;; [unrolled: 17-line block ×3, first 2 shown]
	s_or_b64 exec, exec, s[2:3]
	v_cmp_lt_u32_e32 vcc, v30, v23
	s_or_b64 s[4:5], s[26:27], vcc
	s_and_saveexec_b64 s[2:3], s[4:5]
	s_cbranch_execz .LBB351_117
; %bb.115:
	v_mov_b32_e32 v25, 1
	v_and_b32_sdwa v25, v25, v19 dst_sel:DWORD dst_unused:UNUSED_PAD src0_sel:DWORD src1_sel:WORD_1
	v_cmp_eq_u32_e32 vcc, 1, v25
	s_and_b64 exec, exec, vcc
	s_cbranch_execz .LBB351_117
; %bb.116:
	v_mov_b32_e32 v31, 0
	v_lshlrev_b64 v[46:47], 2, v[30:31]
	v_add_co_u32_e32 v46, vcc, v27, v46
	v_addc_co_u32_e32 v47, vcc, v44, v47, vcc
	global_store_dword v[46:47], v4, off
.LBB351_117:
	s_or_b64 exec, exec, s[2:3]
	v_cmp_lt_u32_e32 vcc, v28, v23
	s_or_b64 s[4:5], s[26:27], vcc
	s_and_saveexec_b64 s[2:3], s[4:5]
	s_cbranch_execz .LBB351_120
; %bb.118:
	v_and_b32_e32 v25, 1, v13
	v_cmp_eq_u32_e32 vcc, 1, v25
	s_and_b64 exec, exec, vcc
	s_cbranch_execz .LBB351_120
; %bb.119:
	v_mov_b32_e32 v29, 0
	v_lshlrev_b64 v[46:47], 2, v[28:29]
	v_add_co_u32_e32 v46, vcc, v27, v46
	v_addc_co_u32_e32 v47, vcc, v44, v47, vcc
	global_store_dword v[46:47], v5, off
.LBB351_120:
	s_or_b64 exec, exec, s[2:3]
	v_cmp_lt_u32_e32 vcc, v24, v23
	s_or_b64 s[4:5], s[26:27], vcc
	s_and_saveexec_b64 s[2:3], s[4:5]
	s_cbranch_execz .LBB351_123
; %bb.121:
	v_and_b32_e32 v25, 1, v12
	v_cmp_eq_u32_e32 vcc, 1, v25
	s_and_b64 exec, exec, vcc
	s_cbranch_execz .LBB351_123
; %bb.122:
	v_mov_b32_e32 v25, 0
	v_lshlrev_b64 v[46:47], 2, v[24:25]
	v_add_co_u32_e32 v46, vcc, v27, v46
	v_addc_co_u32_e32 v47, vcc, v44, v47, vcc
	global_store_dword v[46:47], v16, off
.LBB351_123:
	;; [unrolled: 17-line block ×3, first 2 shown]
	s_or_b64 exec, exec, s[2:3]
	s_branch .LBB351_94
.LBB351_127:
	v_and_b32_e32 v23, 1, v18
	v_cmp_eq_u32_e32 vcc, 1, v23
	s_and_saveexec_b64 s[2:3], vcc
	s_cbranch_execz .LBB351_129
; %bb.128:
	v_sub_u32_e32 v23, v42, v20
	v_lshlrev_b32_e32 v23, 2, v23
	ds_write_b32 v23, v6
.LBB351_129:
	s_or_b64 exec, exec, s[2:3]
	v_and_b32_e32 v6, 1, v21
	v_cmp_eq_u32_e32 vcc, 1, v6
	s_and_saveexec_b64 s[2:3], vcc
	s_cbranch_execz .LBB351_131
; %bb.130:
	v_sub_u32_e32 v6, v40, v20
	v_lshlrev_b32_e32 v6, 2, v6
	ds_write_b32 v6, v7
.LBB351_131:
	s_or_b64 exec, exec, s[2:3]
	v_mov_b32_e32 v6, 1
	v_and_b32_sdwa v6, v6, v18 dst_sel:DWORD dst_unused:UNUSED_PAD src0_sel:DWORD src1_sel:WORD_1
	v_cmp_eq_u32_e32 vcc, 1, v6
	s_and_saveexec_b64 s[2:3], vcc
	s_cbranch_execz .LBB351_133
; %bb.132:
	v_sub_u32_e32 v6, v38, v20
	v_lshlrev_b32_e32 v6, 2, v6
	ds_write_b32 v6, v8
.LBB351_133:
	s_or_b64 exec, exec, s[2:3]
	v_and_b32_e32 v6, 1, v26
	v_cmp_eq_u32_e32 vcc, 1, v6
	s_and_saveexec_b64 s[2:3], vcc
	s_cbranch_execz .LBB351_135
; %bb.134:
	v_sub_u32_e32 v6, v36, v20
	v_lshlrev_b32_e32 v6, 2, v6
	ds_write_b32 v6, v9
.LBB351_135:
	s_or_b64 exec, exec, s[2:3]
	v_and_b32_e32 v6, 1, v19
	;; [unrolled: 10-line block ×3, first 2 shown]
	v_cmp_eq_u32_e32 vcc, 1, v2
	s_and_saveexec_b64 s[2:3], vcc
	s_cbranch_execz .LBB351_139
; %bb.138:
	v_sub_u32_e32 v2, v32, v20
	v_lshlrev_b32_e32 v2, 2, v2
	ds_write_b32 v2, v3
.LBB351_139:
	s_or_b64 exec, exec, s[2:3]
	v_mov_b32_e32 v2, 1
	v_and_b32_sdwa v2, v2, v19 dst_sel:DWORD dst_unused:UNUSED_PAD src0_sel:DWORD src1_sel:WORD_1
	v_cmp_eq_u32_e32 vcc, 1, v2
	s_and_saveexec_b64 s[2:3], vcc
	s_cbranch_execz .LBB351_141
; %bb.140:
	v_sub_u32_e32 v2, v30, v20
	v_lshlrev_b32_e32 v2, 2, v2
	ds_write_b32 v2, v4
.LBB351_141:
	s_or_b64 exec, exec, s[2:3]
	v_and_b32_e32 v2, 1, v13
	v_cmp_eq_u32_e32 vcc, 1, v2
	s_and_saveexec_b64 s[2:3], vcc
	s_cbranch_execz .LBB351_143
; %bb.142:
	v_sub_u32_e32 v2, v28, v20
	v_lshlrev_b32_e32 v2, 2, v2
	ds_write_b32 v2, v5
.LBB351_143:
	s_or_b64 exec, exec, s[2:3]
	v_and_b32_e32 v2, 1, v12
	;; [unrolled: 10-line block ×3, first 2 shown]
	v_cmp_eq_u32_e32 vcc, 1, v1
	s_and_saveexec_b64 s[2:3], vcc
	s_cbranch_execz .LBB351_147
; %bb.146:
	v_sub_u32_e32 v1, v22, v20
	v_lshlrev_b32_e32 v1, 2, v1
	ds_write_b32 v1, v17
.LBB351_147:
	s_or_b64 exec, exec, s[2:3]
	v_cmp_lt_u32_e32 vcc, v0, v10
	s_waitcnt lgkmcnt(0)
	s_barrier
	s_and_saveexec_b64 s[6:7], vcc
	s_cbranch_execz .LBB351_162
; %bb.148:
	v_lshlrev_b64 v[2:3], 2, v[14:15]
	v_mov_b32_e32 v21, 0
	v_mov_b32_e32 v1, s29
	v_add_co_u32_e32 v4, vcc, s28, v2
	v_addc_co_u32_e32 v1, vcc, v1, v3, vcc
	v_lshlrev_b64 v[2:3], 2, v[20:21]
	v_add_co_u32_e32 v6, vcc, v4, v2
	v_addc_co_u32_e32 v7, vcc, v1, v3, vcc
	v_xad_u32 v1, v0, -1, v10
	s_movk_i32 s2, 0x1700
	v_cmp_gt_u32_e32 vcc, s2, v1
	s_movk_i32 s2, 0x16ff
	v_cmp_lt_u32_e64 s[2:3], s2, v1
	s_and_saveexec_b64 s[8:9], s[2:3]
	s_cbranch_execz .LBB351_159
; %bb.149:
	v_sub_u32_e32 v2, v0, v10
	v_or_b32_e32 v2, 0xff, v2
	v_cmp_ge_u32_e64 s[2:3], v2, v0
	s_mov_b64 s[4:5], -1
	s_and_saveexec_b64 s[10:11], s[2:3]
	s_cbranch_execz .LBB351_158
; %bb.150:
	v_lshrrev_b32_e32 v8, 8, v1
	v_add_u32_e32 v2, -1, v8
	v_or_b32_e32 v1, 0x100, v0
	v_lshrrev_b32_e32 v3, 1, v2
	v_add_u32_e32 v11, 1, v3
	v_cmp_lt_u32_e64 s[2:3], 13, v2
	v_mov_b32_e32 v16, 0
	v_lshlrev_b32_e32 v9, 2, v0
	v_pk_mov_b32 v[2:3], v[0:1], v[0:1] op_sel:[0,1]
	s_and_saveexec_b64 s[12:13], s[2:3]
	s_cbranch_execz .LBB351_154
; %bb.151:
	v_and_b32_e32 v12, -8, v11
	s_mov_b32 s16, 0
	s_mov_b64 s[14:15], 0
	v_mov_b32_e32 v5, 0
	v_mov_b32_e32 v13, v9
	v_pk_mov_b32 v[2:3], v[0:1], v[0:1] op_sel:[0,1]
.LBB351_152:                            ; =>This Inner Loop Header: Depth=1
	v_mov_b32_e32 v4, v2
	v_add_u32_e32 v12, -8, v12
	v_lshlrev_b64 v[48:49], 2, v[4:5]
	v_mov_b32_e32 v4, v3
	ds_read2st64_b32 v[18:19], v13 offset1:4
	s_add_i32 s16, s16, 16
	v_cmp_eq_u32_e64 s[2:3], 0, v12
	v_lshlrev_b64 v[52:53], 2, v[4:5]
	v_add_u32_e32 v4, 0x200, v2
	s_or_b64 s[14:15], s[2:3], s[14:15]
	v_add_co_u32_e64 v52, s[2:3], v6, v52
	v_add_u32_e32 v16, 0x200, v3
	ds_read2st64_b32 v[22:23], v13 offset0:8 offset1:12
	v_mov_b32_e32 v17, v5
	ds_read2st64_b32 v[26:27], v13 offset0:16 offset1:20
	v_add_co_u32_e64 v48, s[4:5], v6, v48
	v_addc_co_u32_e64 v53, s[2:3], v7, v53, s[2:3]
	v_lshlrev_b64 v[54:55], 2, v[4:5]
	v_lshlrev_b64 v[50:51], 2, v[16:17]
	v_addc_co_u32_e64 v49, s[4:5], v7, v49, s[4:5]
	v_add_u32_e32 v4, 0x400, v2
	v_add_co_u32_e64 v54, s[2:3], v6, v54
	v_add_u32_e32 v24, 0x400, v3
	v_mov_b32_e32 v25, v5
	ds_read2st64_b32 v[30:31], v13 offset0:24 offset1:28
	v_add_co_u32_e64 v50, s[4:5], v6, v50
	v_addc_co_u32_e64 v55, s[2:3], v7, v55, s[2:3]
	v_lshlrev_b64 v[56:57], 2, v[4:5]
	ds_read2st64_b32 v[34:35], v13 offset0:32 offset1:36
	ds_read2st64_b32 v[38:39], v13 offset0:40 offset1:44
	;; [unrolled: 1-line block ×4, first 2 shown]
	v_lshlrev_b64 v[24:25], 2, v[24:25]
	v_addc_co_u32_e64 v51, s[4:5], v7, v51, s[4:5]
	v_add_u32_e32 v4, 0x600, v2
	s_waitcnt lgkmcnt(7)
	global_store_dword v[48:49], v18, off
	global_store_dword v[52:53], v19, off
	s_waitcnt lgkmcnt(6)
	global_store_dword v[54:55], v22, off
	global_store_dword v[50:51], v23, off
	v_add_co_u32_e64 v18, s[2:3], v6, v56
	v_add_u32_e32 v28, 0x600, v3
	v_mov_b32_e32 v29, v5
	v_add_co_u32_e64 v24, s[4:5], v6, v24
	v_addc_co_u32_e64 v19, s[2:3], v7, v57, s[2:3]
	v_lshlrev_b64 v[22:23], 2, v[4:5]
	v_lshlrev_b64 v[28:29], 2, v[28:29]
	v_addc_co_u32_e64 v25, s[4:5], v7, v25, s[4:5]
	v_add_u32_e32 v4, 0x800, v2
	s_waitcnt lgkmcnt(5)
	global_store_dword v[18:19], v26, off
	global_store_dword v[24:25], v27, off
	v_add_co_u32_e64 v18, s[2:3], v6, v22
	v_add_u32_e32 v32, 0x800, v3
	v_mov_b32_e32 v33, v5
	v_add_co_u32_e64 v28, s[4:5], v6, v28
	v_addc_co_u32_e64 v19, s[2:3], v7, v23, s[2:3]
	v_lshlrev_b64 v[22:23], 2, v[4:5]
	v_lshlrev_b64 v[32:33], 2, v[32:33]
	v_addc_co_u32_e64 v29, s[4:5], v7, v29, s[4:5]
	v_add_u32_e32 v4, 0xa00, v2
	;; [unrolled: 12-line block ×4, first 2 shown]
	s_waitcnt lgkmcnt(2)
	global_store_dword v[18:19], v38, off
	global_store_dword v[36:37], v39, off
	v_add_co_u32_e64 v18, s[2:3], v6, v22
	v_add_u32_e32 v44, 0xe00, v3
	v_mov_b32_e32 v45, v5
	v_add_co_u32_e64 v40, s[4:5], v6, v40
	v_addc_co_u32_e64 v19, s[2:3], v7, v23, s[2:3]
	v_lshlrev_b64 v[22:23], 2, v[4:5]
	v_lshlrev_b64 v[44:45], 2, v[44:45]
	v_addc_co_u32_e64 v41, s[4:5], v7, v41, s[4:5]
	s_waitcnt lgkmcnt(1)
	global_store_dword v[18:19], v42, off
	global_store_dword v[40:41], v43, off
	v_add_co_u32_e64 v18, s[2:3], v6, v22
	v_add_u32_e32 v13, 0x4000, v13
	v_add_u32_e32 v3, 0x1000, v3
	v_mov_b32_e32 v16, s16
	v_add_co_u32_e64 v44, s[4:5], v6, v44
	v_add_u32_e32 v2, 0x1000, v2
	v_addc_co_u32_e64 v19, s[2:3], v7, v23, s[2:3]
	v_addc_co_u32_e64 v45, s[4:5], v7, v45, s[4:5]
	s_waitcnt lgkmcnt(0)
	global_store_dword v[18:19], v46, off
	global_store_dword v[44:45], v47, off
	s_andn2_b64 exec, exec, s[14:15]
	s_cbranch_execnz .LBB351_152
; %bb.153:
	s_or_b64 exec, exec, s[14:15]
.LBB351_154:
	s_or_b64 exec, exec, s[12:13]
	v_and_b32_e32 v1, 7, v11
	v_cmp_ne_u32_e64 s[2:3], 0, v1
	s_and_saveexec_b64 s[12:13], s[2:3]
	s_cbranch_execz .LBB351_157
; %bb.155:
	v_lshl_or_b32 v9, v16, 10, v9
	s_mov_b64 s[14:15], 0
	v_mov_b32_e32 v5, 0
.LBB351_156:                            ; =>This Inner Loop Header: Depth=1
	ds_read2st64_b32 v[12:13], v9 offset1:4
	v_mov_b32_e32 v4, v2
	v_add_u32_e32 v1, -1, v1
	v_lshlrev_b64 v[16:17], 2, v[4:5]
	v_mov_b32_e32 v4, v3
	v_cmp_eq_u32_e64 s[2:3], 0, v1
	v_add_co_u32_e64 v16, s[4:5], v6, v16
	v_lshlrev_b64 v[18:19], 2, v[4:5]
	v_add_u32_e32 v2, 0x200, v2
	v_add_u32_e32 v9, 0x800, v9
	;; [unrolled: 1-line block ×3, first 2 shown]
	v_addc_co_u32_e64 v17, s[4:5], v7, v17, s[4:5]
	s_or_b64 s[14:15], s[2:3], s[14:15]
	v_add_co_u32_e64 v18, s[2:3], v6, v18
	v_addc_co_u32_e64 v19, s[2:3], v7, v19, s[2:3]
	s_waitcnt lgkmcnt(0)
	global_store_dword v[16:17], v12, off
	global_store_dword v[18:19], v13, off
	s_andn2_b64 exec, exec, s[14:15]
	s_cbranch_execnz .LBB351_156
.LBB351_157:
	s_or_b64 exec, exec, s[12:13]
	v_add_u32_e32 v1, 1, v8
	v_and_b32_e32 v2, 0x1fffffe, v1
	v_cmp_ne_u32_e64 s[2:3], v1, v2
	v_lshl_or_b32 v0, v2, 8, v0
	s_orn2_b64 s[4:5], s[2:3], exec
.LBB351_158:
	s_or_b64 exec, exec, s[10:11]
	s_andn2_b64 s[2:3], vcc, exec
	s_and_b64 s[4:5], s[4:5], exec
	s_or_b64 vcc, s[2:3], s[4:5]
.LBB351_159:
	s_or_b64 exec, exec, s[8:9]
	s_and_b64 exec, exec, vcc
	s_cbranch_execz .LBB351_162
; %bb.160:
	v_lshlrev_b32_e32 v2, 2, v0
	s_mov_b64 s[2:3], 0
	v_mov_b32_e32 v1, 0
.LBB351_161:                            ; =>This Inner Loop Header: Depth=1
	ds_read_b32 v3, v2
	v_lshlrev_b64 v[4:5], 2, v[0:1]
	v_add_co_u32_e32 v4, vcc, v6, v4
	v_add_u32_e32 v0, 0x100, v0
	v_addc_co_u32_e32 v5, vcc, v7, v5, vcc
	v_cmp_ge_u32_e32 vcc, v0, v10
	v_add_u32_e32 v2, 0x400, v2
	s_or_b64 s[2:3], vcc, s[2:3]
	s_waitcnt lgkmcnt(0)
	global_store_dword v[4:5], v3, off
	s_andn2_b64 exec, exec, s[2:3]
	s_cbranch_execnz .LBB351_161
.LBB351_162:
	s_or_b64 exec, exec, s[6:7]
	s_and_b64 s[0:1], s[0:1], s[22:23]
	s_and_saveexec_b64 s[2:3], s[0:1]
	s_cbranch_execz .LBB351_95
.LBB351_163:
	v_add_co_u32_e32 v0, vcc, v14, v10
	v_addc_co_u32_e32 v1, vcc, 0, v15, vcc
	v_add_co_u32_e32 v0, vcc, v0, v20
	v_mov_b32_e32 v2, 0
	v_addc_co_u32_e32 v1, vcc, 0, v1, vcc
	global_store_dwordx2 v2, v[0:1], s[24:25]
	s_endpgm
.LBB351_164:
	s_or_b64 exec, exec, s[6:7]
	s_and_saveexec_b64 s[2:3], s[38:39]
	s_cbranch_execnz .LBB351_48
	s_branch .LBB351_49
	.section	.rodata,"a",@progbits
	.p2align	6, 0x0
	.amdhsa_kernel _ZN7rocprim17ROCPRIM_400000_NS6detail17trampoline_kernelINS0_14default_configENS1_25partition_config_selectorILNS1_17partition_subalgoE8EfNS0_10empty_typeEbEEZZNS1_14partition_implILS5_8ELb0ES3_jPKfPS6_PKS6_NS0_5tupleIJPfS6_EEENSE_IJSB_SB_EEENS0_18inequality_wrapperIN6hipcub16HIPCUB_304000_NS8EqualityEEEPlJS6_EEE10hipError_tPvRmT3_T4_T5_T6_T7_T9_mT8_P12ihipStream_tbDpT10_ENKUlT_T0_E_clISt17integral_constantIbLb1EES17_EEDaS12_S13_EUlS12_E_NS1_11comp_targetILNS1_3genE4ELNS1_11target_archE910ELNS1_3gpuE8ELNS1_3repE0EEENS1_30default_config_static_selectorELNS0_4arch9wavefront6targetE1EEEvT1_
		.amdhsa_group_segment_fixed_size 10248
		.amdhsa_private_segment_fixed_size 0
		.amdhsa_kernarg_size 128
		.amdhsa_user_sgpr_count 6
		.amdhsa_user_sgpr_private_segment_buffer 1
		.amdhsa_user_sgpr_dispatch_ptr 0
		.amdhsa_user_sgpr_queue_ptr 0
		.amdhsa_user_sgpr_kernarg_segment_ptr 1
		.amdhsa_user_sgpr_dispatch_id 0
		.amdhsa_user_sgpr_flat_scratch_init 0
		.amdhsa_user_sgpr_kernarg_preload_length 0
		.amdhsa_user_sgpr_kernarg_preload_offset 0
		.amdhsa_user_sgpr_private_segment_size 0
		.amdhsa_uses_dynamic_stack 0
		.amdhsa_system_sgpr_private_segment_wavefront_offset 0
		.amdhsa_system_sgpr_workgroup_id_x 1
		.amdhsa_system_sgpr_workgroup_id_y 0
		.amdhsa_system_sgpr_workgroup_id_z 0
		.amdhsa_system_sgpr_workgroup_info 0
		.amdhsa_system_vgpr_workitem_id 0
		.amdhsa_next_free_vgpr 58
		.amdhsa_next_free_sgpr 41
		.amdhsa_accum_offset 60
		.amdhsa_reserve_vcc 1
		.amdhsa_reserve_flat_scratch 0
		.amdhsa_float_round_mode_32 0
		.amdhsa_float_round_mode_16_64 0
		.amdhsa_float_denorm_mode_32 3
		.amdhsa_float_denorm_mode_16_64 3
		.amdhsa_dx10_clamp 1
		.amdhsa_ieee_mode 1
		.amdhsa_fp16_overflow 0
		.amdhsa_tg_split 0
		.amdhsa_exception_fp_ieee_invalid_op 0
		.amdhsa_exception_fp_denorm_src 0
		.amdhsa_exception_fp_ieee_div_zero 0
		.amdhsa_exception_fp_ieee_overflow 0
		.amdhsa_exception_fp_ieee_underflow 0
		.amdhsa_exception_fp_ieee_inexact 0
		.amdhsa_exception_int_div_zero 0
	.end_amdhsa_kernel
	.section	.text._ZN7rocprim17ROCPRIM_400000_NS6detail17trampoline_kernelINS0_14default_configENS1_25partition_config_selectorILNS1_17partition_subalgoE8EfNS0_10empty_typeEbEEZZNS1_14partition_implILS5_8ELb0ES3_jPKfPS6_PKS6_NS0_5tupleIJPfS6_EEENSE_IJSB_SB_EEENS0_18inequality_wrapperIN6hipcub16HIPCUB_304000_NS8EqualityEEEPlJS6_EEE10hipError_tPvRmT3_T4_T5_T6_T7_T9_mT8_P12ihipStream_tbDpT10_ENKUlT_T0_E_clISt17integral_constantIbLb1EES17_EEDaS12_S13_EUlS12_E_NS1_11comp_targetILNS1_3genE4ELNS1_11target_archE910ELNS1_3gpuE8ELNS1_3repE0EEENS1_30default_config_static_selectorELNS0_4arch9wavefront6targetE1EEEvT1_,"axG",@progbits,_ZN7rocprim17ROCPRIM_400000_NS6detail17trampoline_kernelINS0_14default_configENS1_25partition_config_selectorILNS1_17partition_subalgoE8EfNS0_10empty_typeEbEEZZNS1_14partition_implILS5_8ELb0ES3_jPKfPS6_PKS6_NS0_5tupleIJPfS6_EEENSE_IJSB_SB_EEENS0_18inequality_wrapperIN6hipcub16HIPCUB_304000_NS8EqualityEEEPlJS6_EEE10hipError_tPvRmT3_T4_T5_T6_T7_T9_mT8_P12ihipStream_tbDpT10_ENKUlT_T0_E_clISt17integral_constantIbLb1EES17_EEDaS12_S13_EUlS12_E_NS1_11comp_targetILNS1_3genE4ELNS1_11target_archE910ELNS1_3gpuE8ELNS1_3repE0EEENS1_30default_config_static_selectorELNS0_4arch9wavefront6targetE1EEEvT1_,comdat
.Lfunc_end351:
	.size	_ZN7rocprim17ROCPRIM_400000_NS6detail17trampoline_kernelINS0_14default_configENS1_25partition_config_selectorILNS1_17partition_subalgoE8EfNS0_10empty_typeEbEEZZNS1_14partition_implILS5_8ELb0ES3_jPKfPS6_PKS6_NS0_5tupleIJPfS6_EEENSE_IJSB_SB_EEENS0_18inequality_wrapperIN6hipcub16HIPCUB_304000_NS8EqualityEEEPlJS6_EEE10hipError_tPvRmT3_T4_T5_T6_T7_T9_mT8_P12ihipStream_tbDpT10_ENKUlT_T0_E_clISt17integral_constantIbLb1EES17_EEDaS12_S13_EUlS12_E_NS1_11comp_targetILNS1_3genE4ELNS1_11target_archE910ELNS1_3gpuE8ELNS1_3repE0EEENS1_30default_config_static_selectorELNS0_4arch9wavefront6targetE1EEEvT1_, .Lfunc_end351-_ZN7rocprim17ROCPRIM_400000_NS6detail17trampoline_kernelINS0_14default_configENS1_25partition_config_selectorILNS1_17partition_subalgoE8EfNS0_10empty_typeEbEEZZNS1_14partition_implILS5_8ELb0ES3_jPKfPS6_PKS6_NS0_5tupleIJPfS6_EEENSE_IJSB_SB_EEENS0_18inequality_wrapperIN6hipcub16HIPCUB_304000_NS8EqualityEEEPlJS6_EEE10hipError_tPvRmT3_T4_T5_T6_T7_T9_mT8_P12ihipStream_tbDpT10_ENKUlT_T0_E_clISt17integral_constantIbLb1EES17_EEDaS12_S13_EUlS12_E_NS1_11comp_targetILNS1_3genE4ELNS1_11target_archE910ELNS1_3gpuE8ELNS1_3repE0EEENS1_30default_config_static_selectorELNS0_4arch9wavefront6targetE1EEEvT1_
                                        ; -- End function
	.section	.AMDGPU.csdata,"",@progbits
; Kernel info:
; codeLenInByte = 7548
; NumSgprs: 45
; NumVgprs: 58
; NumAgprs: 0
; TotalNumVgprs: 58
; ScratchSize: 0
; MemoryBound: 0
; FloatMode: 240
; IeeeMode: 1
; LDSByteSize: 10248 bytes/workgroup (compile time only)
; SGPRBlocks: 5
; VGPRBlocks: 7
; NumSGPRsForWavesPerEU: 45
; NumVGPRsForWavesPerEU: 58
; AccumOffset: 60
; Occupancy: 6
; WaveLimiterHint : 1
; COMPUTE_PGM_RSRC2:SCRATCH_EN: 0
; COMPUTE_PGM_RSRC2:USER_SGPR: 6
; COMPUTE_PGM_RSRC2:TRAP_HANDLER: 0
; COMPUTE_PGM_RSRC2:TGID_X_EN: 1
; COMPUTE_PGM_RSRC2:TGID_Y_EN: 0
; COMPUTE_PGM_RSRC2:TGID_Z_EN: 0
; COMPUTE_PGM_RSRC2:TIDIG_COMP_CNT: 0
; COMPUTE_PGM_RSRC3_GFX90A:ACCUM_OFFSET: 14
; COMPUTE_PGM_RSRC3_GFX90A:TG_SPLIT: 0
	.section	.text._ZN7rocprim17ROCPRIM_400000_NS6detail17trampoline_kernelINS0_14default_configENS1_25partition_config_selectorILNS1_17partition_subalgoE8EfNS0_10empty_typeEbEEZZNS1_14partition_implILS5_8ELb0ES3_jPKfPS6_PKS6_NS0_5tupleIJPfS6_EEENSE_IJSB_SB_EEENS0_18inequality_wrapperIN6hipcub16HIPCUB_304000_NS8EqualityEEEPlJS6_EEE10hipError_tPvRmT3_T4_T5_T6_T7_T9_mT8_P12ihipStream_tbDpT10_ENKUlT_T0_E_clISt17integral_constantIbLb1EES17_EEDaS12_S13_EUlS12_E_NS1_11comp_targetILNS1_3genE3ELNS1_11target_archE908ELNS1_3gpuE7ELNS1_3repE0EEENS1_30default_config_static_selectorELNS0_4arch9wavefront6targetE1EEEvT1_,"axG",@progbits,_ZN7rocprim17ROCPRIM_400000_NS6detail17trampoline_kernelINS0_14default_configENS1_25partition_config_selectorILNS1_17partition_subalgoE8EfNS0_10empty_typeEbEEZZNS1_14partition_implILS5_8ELb0ES3_jPKfPS6_PKS6_NS0_5tupleIJPfS6_EEENSE_IJSB_SB_EEENS0_18inequality_wrapperIN6hipcub16HIPCUB_304000_NS8EqualityEEEPlJS6_EEE10hipError_tPvRmT3_T4_T5_T6_T7_T9_mT8_P12ihipStream_tbDpT10_ENKUlT_T0_E_clISt17integral_constantIbLb1EES17_EEDaS12_S13_EUlS12_E_NS1_11comp_targetILNS1_3genE3ELNS1_11target_archE908ELNS1_3gpuE7ELNS1_3repE0EEENS1_30default_config_static_selectorELNS0_4arch9wavefront6targetE1EEEvT1_,comdat
	.protected	_ZN7rocprim17ROCPRIM_400000_NS6detail17trampoline_kernelINS0_14default_configENS1_25partition_config_selectorILNS1_17partition_subalgoE8EfNS0_10empty_typeEbEEZZNS1_14partition_implILS5_8ELb0ES3_jPKfPS6_PKS6_NS0_5tupleIJPfS6_EEENSE_IJSB_SB_EEENS0_18inequality_wrapperIN6hipcub16HIPCUB_304000_NS8EqualityEEEPlJS6_EEE10hipError_tPvRmT3_T4_T5_T6_T7_T9_mT8_P12ihipStream_tbDpT10_ENKUlT_T0_E_clISt17integral_constantIbLb1EES17_EEDaS12_S13_EUlS12_E_NS1_11comp_targetILNS1_3genE3ELNS1_11target_archE908ELNS1_3gpuE7ELNS1_3repE0EEENS1_30default_config_static_selectorELNS0_4arch9wavefront6targetE1EEEvT1_ ; -- Begin function _ZN7rocprim17ROCPRIM_400000_NS6detail17trampoline_kernelINS0_14default_configENS1_25partition_config_selectorILNS1_17partition_subalgoE8EfNS0_10empty_typeEbEEZZNS1_14partition_implILS5_8ELb0ES3_jPKfPS6_PKS6_NS0_5tupleIJPfS6_EEENSE_IJSB_SB_EEENS0_18inequality_wrapperIN6hipcub16HIPCUB_304000_NS8EqualityEEEPlJS6_EEE10hipError_tPvRmT3_T4_T5_T6_T7_T9_mT8_P12ihipStream_tbDpT10_ENKUlT_T0_E_clISt17integral_constantIbLb1EES17_EEDaS12_S13_EUlS12_E_NS1_11comp_targetILNS1_3genE3ELNS1_11target_archE908ELNS1_3gpuE7ELNS1_3repE0EEENS1_30default_config_static_selectorELNS0_4arch9wavefront6targetE1EEEvT1_
	.globl	_ZN7rocprim17ROCPRIM_400000_NS6detail17trampoline_kernelINS0_14default_configENS1_25partition_config_selectorILNS1_17partition_subalgoE8EfNS0_10empty_typeEbEEZZNS1_14partition_implILS5_8ELb0ES3_jPKfPS6_PKS6_NS0_5tupleIJPfS6_EEENSE_IJSB_SB_EEENS0_18inequality_wrapperIN6hipcub16HIPCUB_304000_NS8EqualityEEEPlJS6_EEE10hipError_tPvRmT3_T4_T5_T6_T7_T9_mT8_P12ihipStream_tbDpT10_ENKUlT_T0_E_clISt17integral_constantIbLb1EES17_EEDaS12_S13_EUlS12_E_NS1_11comp_targetILNS1_3genE3ELNS1_11target_archE908ELNS1_3gpuE7ELNS1_3repE0EEENS1_30default_config_static_selectorELNS0_4arch9wavefront6targetE1EEEvT1_
	.p2align	8
	.type	_ZN7rocprim17ROCPRIM_400000_NS6detail17trampoline_kernelINS0_14default_configENS1_25partition_config_selectorILNS1_17partition_subalgoE8EfNS0_10empty_typeEbEEZZNS1_14partition_implILS5_8ELb0ES3_jPKfPS6_PKS6_NS0_5tupleIJPfS6_EEENSE_IJSB_SB_EEENS0_18inequality_wrapperIN6hipcub16HIPCUB_304000_NS8EqualityEEEPlJS6_EEE10hipError_tPvRmT3_T4_T5_T6_T7_T9_mT8_P12ihipStream_tbDpT10_ENKUlT_T0_E_clISt17integral_constantIbLb1EES17_EEDaS12_S13_EUlS12_E_NS1_11comp_targetILNS1_3genE3ELNS1_11target_archE908ELNS1_3gpuE7ELNS1_3repE0EEENS1_30default_config_static_selectorELNS0_4arch9wavefront6targetE1EEEvT1_,@function
_ZN7rocprim17ROCPRIM_400000_NS6detail17trampoline_kernelINS0_14default_configENS1_25partition_config_selectorILNS1_17partition_subalgoE8EfNS0_10empty_typeEbEEZZNS1_14partition_implILS5_8ELb0ES3_jPKfPS6_PKS6_NS0_5tupleIJPfS6_EEENSE_IJSB_SB_EEENS0_18inequality_wrapperIN6hipcub16HIPCUB_304000_NS8EqualityEEEPlJS6_EEE10hipError_tPvRmT3_T4_T5_T6_T7_T9_mT8_P12ihipStream_tbDpT10_ENKUlT_T0_E_clISt17integral_constantIbLb1EES17_EEDaS12_S13_EUlS12_E_NS1_11comp_targetILNS1_3genE3ELNS1_11target_archE908ELNS1_3gpuE7ELNS1_3repE0EEENS1_30default_config_static_selectorELNS0_4arch9wavefront6targetE1EEEvT1_: ; @_ZN7rocprim17ROCPRIM_400000_NS6detail17trampoline_kernelINS0_14default_configENS1_25partition_config_selectorILNS1_17partition_subalgoE8EfNS0_10empty_typeEbEEZZNS1_14partition_implILS5_8ELb0ES3_jPKfPS6_PKS6_NS0_5tupleIJPfS6_EEENSE_IJSB_SB_EEENS0_18inequality_wrapperIN6hipcub16HIPCUB_304000_NS8EqualityEEEPlJS6_EEE10hipError_tPvRmT3_T4_T5_T6_T7_T9_mT8_P12ihipStream_tbDpT10_ENKUlT_T0_E_clISt17integral_constantIbLb1EES17_EEDaS12_S13_EUlS12_E_NS1_11comp_targetILNS1_3genE3ELNS1_11target_archE908ELNS1_3gpuE7ELNS1_3repE0EEENS1_30default_config_static_selectorELNS0_4arch9wavefront6targetE1EEEvT1_
; %bb.0:
	.section	.rodata,"a",@progbits
	.p2align	6, 0x0
	.amdhsa_kernel _ZN7rocprim17ROCPRIM_400000_NS6detail17trampoline_kernelINS0_14default_configENS1_25partition_config_selectorILNS1_17partition_subalgoE8EfNS0_10empty_typeEbEEZZNS1_14partition_implILS5_8ELb0ES3_jPKfPS6_PKS6_NS0_5tupleIJPfS6_EEENSE_IJSB_SB_EEENS0_18inequality_wrapperIN6hipcub16HIPCUB_304000_NS8EqualityEEEPlJS6_EEE10hipError_tPvRmT3_T4_T5_T6_T7_T9_mT8_P12ihipStream_tbDpT10_ENKUlT_T0_E_clISt17integral_constantIbLb1EES17_EEDaS12_S13_EUlS12_E_NS1_11comp_targetILNS1_3genE3ELNS1_11target_archE908ELNS1_3gpuE7ELNS1_3repE0EEENS1_30default_config_static_selectorELNS0_4arch9wavefront6targetE1EEEvT1_
		.amdhsa_group_segment_fixed_size 0
		.amdhsa_private_segment_fixed_size 0
		.amdhsa_kernarg_size 128
		.amdhsa_user_sgpr_count 6
		.amdhsa_user_sgpr_private_segment_buffer 1
		.amdhsa_user_sgpr_dispatch_ptr 0
		.amdhsa_user_sgpr_queue_ptr 0
		.amdhsa_user_sgpr_kernarg_segment_ptr 1
		.amdhsa_user_sgpr_dispatch_id 0
		.amdhsa_user_sgpr_flat_scratch_init 0
		.amdhsa_user_sgpr_kernarg_preload_length 0
		.amdhsa_user_sgpr_kernarg_preload_offset 0
		.amdhsa_user_sgpr_private_segment_size 0
		.amdhsa_uses_dynamic_stack 0
		.amdhsa_system_sgpr_private_segment_wavefront_offset 0
		.amdhsa_system_sgpr_workgroup_id_x 1
		.amdhsa_system_sgpr_workgroup_id_y 0
		.amdhsa_system_sgpr_workgroup_id_z 0
		.amdhsa_system_sgpr_workgroup_info 0
		.amdhsa_system_vgpr_workitem_id 0
		.amdhsa_next_free_vgpr 1
		.amdhsa_next_free_sgpr 0
		.amdhsa_accum_offset 4
		.amdhsa_reserve_vcc 0
		.amdhsa_reserve_flat_scratch 0
		.amdhsa_float_round_mode_32 0
		.amdhsa_float_round_mode_16_64 0
		.amdhsa_float_denorm_mode_32 3
		.amdhsa_float_denorm_mode_16_64 3
		.amdhsa_dx10_clamp 1
		.amdhsa_ieee_mode 1
		.amdhsa_fp16_overflow 0
		.amdhsa_tg_split 0
		.amdhsa_exception_fp_ieee_invalid_op 0
		.amdhsa_exception_fp_denorm_src 0
		.amdhsa_exception_fp_ieee_div_zero 0
		.amdhsa_exception_fp_ieee_overflow 0
		.amdhsa_exception_fp_ieee_underflow 0
		.amdhsa_exception_fp_ieee_inexact 0
		.amdhsa_exception_int_div_zero 0
	.end_amdhsa_kernel
	.section	.text._ZN7rocprim17ROCPRIM_400000_NS6detail17trampoline_kernelINS0_14default_configENS1_25partition_config_selectorILNS1_17partition_subalgoE8EfNS0_10empty_typeEbEEZZNS1_14partition_implILS5_8ELb0ES3_jPKfPS6_PKS6_NS0_5tupleIJPfS6_EEENSE_IJSB_SB_EEENS0_18inequality_wrapperIN6hipcub16HIPCUB_304000_NS8EqualityEEEPlJS6_EEE10hipError_tPvRmT3_T4_T5_T6_T7_T9_mT8_P12ihipStream_tbDpT10_ENKUlT_T0_E_clISt17integral_constantIbLb1EES17_EEDaS12_S13_EUlS12_E_NS1_11comp_targetILNS1_3genE3ELNS1_11target_archE908ELNS1_3gpuE7ELNS1_3repE0EEENS1_30default_config_static_selectorELNS0_4arch9wavefront6targetE1EEEvT1_,"axG",@progbits,_ZN7rocprim17ROCPRIM_400000_NS6detail17trampoline_kernelINS0_14default_configENS1_25partition_config_selectorILNS1_17partition_subalgoE8EfNS0_10empty_typeEbEEZZNS1_14partition_implILS5_8ELb0ES3_jPKfPS6_PKS6_NS0_5tupleIJPfS6_EEENSE_IJSB_SB_EEENS0_18inequality_wrapperIN6hipcub16HIPCUB_304000_NS8EqualityEEEPlJS6_EEE10hipError_tPvRmT3_T4_T5_T6_T7_T9_mT8_P12ihipStream_tbDpT10_ENKUlT_T0_E_clISt17integral_constantIbLb1EES17_EEDaS12_S13_EUlS12_E_NS1_11comp_targetILNS1_3genE3ELNS1_11target_archE908ELNS1_3gpuE7ELNS1_3repE0EEENS1_30default_config_static_selectorELNS0_4arch9wavefront6targetE1EEEvT1_,comdat
.Lfunc_end352:
	.size	_ZN7rocprim17ROCPRIM_400000_NS6detail17trampoline_kernelINS0_14default_configENS1_25partition_config_selectorILNS1_17partition_subalgoE8EfNS0_10empty_typeEbEEZZNS1_14partition_implILS5_8ELb0ES3_jPKfPS6_PKS6_NS0_5tupleIJPfS6_EEENSE_IJSB_SB_EEENS0_18inequality_wrapperIN6hipcub16HIPCUB_304000_NS8EqualityEEEPlJS6_EEE10hipError_tPvRmT3_T4_T5_T6_T7_T9_mT8_P12ihipStream_tbDpT10_ENKUlT_T0_E_clISt17integral_constantIbLb1EES17_EEDaS12_S13_EUlS12_E_NS1_11comp_targetILNS1_3genE3ELNS1_11target_archE908ELNS1_3gpuE7ELNS1_3repE0EEENS1_30default_config_static_selectorELNS0_4arch9wavefront6targetE1EEEvT1_, .Lfunc_end352-_ZN7rocprim17ROCPRIM_400000_NS6detail17trampoline_kernelINS0_14default_configENS1_25partition_config_selectorILNS1_17partition_subalgoE8EfNS0_10empty_typeEbEEZZNS1_14partition_implILS5_8ELb0ES3_jPKfPS6_PKS6_NS0_5tupleIJPfS6_EEENSE_IJSB_SB_EEENS0_18inequality_wrapperIN6hipcub16HIPCUB_304000_NS8EqualityEEEPlJS6_EEE10hipError_tPvRmT3_T4_T5_T6_T7_T9_mT8_P12ihipStream_tbDpT10_ENKUlT_T0_E_clISt17integral_constantIbLb1EES17_EEDaS12_S13_EUlS12_E_NS1_11comp_targetILNS1_3genE3ELNS1_11target_archE908ELNS1_3gpuE7ELNS1_3repE0EEENS1_30default_config_static_selectorELNS0_4arch9wavefront6targetE1EEEvT1_
                                        ; -- End function
	.section	.AMDGPU.csdata,"",@progbits
; Kernel info:
; codeLenInByte = 0
; NumSgprs: 4
; NumVgprs: 0
; NumAgprs: 0
; TotalNumVgprs: 0
; ScratchSize: 0
; MemoryBound: 0
; FloatMode: 240
; IeeeMode: 1
; LDSByteSize: 0 bytes/workgroup (compile time only)
; SGPRBlocks: 0
; VGPRBlocks: 0
; NumSGPRsForWavesPerEU: 4
; NumVGPRsForWavesPerEU: 1
; AccumOffset: 4
; Occupancy: 8
; WaveLimiterHint : 0
; COMPUTE_PGM_RSRC2:SCRATCH_EN: 0
; COMPUTE_PGM_RSRC2:USER_SGPR: 6
; COMPUTE_PGM_RSRC2:TRAP_HANDLER: 0
; COMPUTE_PGM_RSRC2:TGID_X_EN: 1
; COMPUTE_PGM_RSRC2:TGID_Y_EN: 0
; COMPUTE_PGM_RSRC2:TGID_Z_EN: 0
; COMPUTE_PGM_RSRC2:TIDIG_COMP_CNT: 0
; COMPUTE_PGM_RSRC3_GFX90A:ACCUM_OFFSET: 0
; COMPUTE_PGM_RSRC3_GFX90A:TG_SPLIT: 0
	.section	.text._ZN7rocprim17ROCPRIM_400000_NS6detail17trampoline_kernelINS0_14default_configENS1_25partition_config_selectorILNS1_17partition_subalgoE8EfNS0_10empty_typeEbEEZZNS1_14partition_implILS5_8ELb0ES3_jPKfPS6_PKS6_NS0_5tupleIJPfS6_EEENSE_IJSB_SB_EEENS0_18inequality_wrapperIN6hipcub16HIPCUB_304000_NS8EqualityEEEPlJS6_EEE10hipError_tPvRmT3_T4_T5_T6_T7_T9_mT8_P12ihipStream_tbDpT10_ENKUlT_T0_E_clISt17integral_constantIbLb1EES17_EEDaS12_S13_EUlS12_E_NS1_11comp_targetILNS1_3genE2ELNS1_11target_archE906ELNS1_3gpuE6ELNS1_3repE0EEENS1_30default_config_static_selectorELNS0_4arch9wavefront6targetE1EEEvT1_,"axG",@progbits,_ZN7rocprim17ROCPRIM_400000_NS6detail17trampoline_kernelINS0_14default_configENS1_25partition_config_selectorILNS1_17partition_subalgoE8EfNS0_10empty_typeEbEEZZNS1_14partition_implILS5_8ELb0ES3_jPKfPS6_PKS6_NS0_5tupleIJPfS6_EEENSE_IJSB_SB_EEENS0_18inequality_wrapperIN6hipcub16HIPCUB_304000_NS8EqualityEEEPlJS6_EEE10hipError_tPvRmT3_T4_T5_T6_T7_T9_mT8_P12ihipStream_tbDpT10_ENKUlT_T0_E_clISt17integral_constantIbLb1EES17_EEDaS12_S13_EUlS12_E_NS1_11comp_targetILNS1_3genE2ELNS1_11target_archE906ELNS1_3gpuE6ELNS1_3repE0EEENS1_30default_config_static_selectorELNS0_4arch9wavefront6targetE1EEEvT1_,comdat
	.protected	_ZN7rocprim17ROCPRIM_400000_NS6detail17trampoline_kernelINS0_14default_configENS1_25partition_config_selectorILNS1_17partition_subalgoE8EfNS0_10empty_typeEbEEZZNS1_14partition_implILS5_8ELb0ES3_jPKfPS6_PKS6_NS0_5tupleIJPfS6_EEENSE_IJSB_SB_EEENS0_18inequality_wrapperIN6hipcub16HIPCUB_304000_NS8EqualityEEEPlJS6_EEE10hipError_tPvRmT3_T4_T5_T6_T7_T9_mT8_P12ihipStream_tbDpT10_ENKUlT_T0_E_clISt17integral_constantIbLb1EES17_EEDaS12_S13_EUlS12_E_NS1_11comp_targetILNS1_3genE2ELNS1_11target_archE906ELNS1_3gpuE6ELNS1_3repE0EEENS1_30default_config_static_selectorELNS0_4arch9wavefront6targetE1EEEvT1_ ; -- Begin function _ZN7rocprim17ROCPRIM_400000_NS6detail17trampoline_kernelINS0_14default_configENS1_25partition_config_selectorILNS1_17partition_subalgoE8EfNS0_10empty_typeEbEEZZNS1_14partition_implILS5_8ELb0ES3_jPKfPS6_PKS6_NS0_5tupleIJPfS6_EEENSE_IJSB_SB_EEENS0_18inequality_wrapperIN6hipcub16HIPCUB_304000_NS8EqualityEEEPlJS6_EEE10hipError_tPvRmT3_T4_T5_T6_T7_T9_mT8_P12ihipStream_tbDpT10_ENKUlT_T0_E_clISt17integral_constantIbLb1EES17_EEDaS12_S13_EUlS12_E_NS1_11comp_targetILNS1_3genE2ELNS1_11target_archE906ELNS1_3gpuE6ELNS1_3repE0EEENS1_30default_config_static_selectorELNS0_4arch9wavefront6targetE1EEEvT1_
	.globl	_ZN7rocprim17ROCPRIM_400000_NS6detail17trampoline_kernelINS0_14default_configENS1_25partition_config_selectorILNS1_17partition_subalgoE8EfNS0_10empty_typeEbEEZZNS1_14partition_implILS5_8ELb0ES3_jPKfPS6_PKS6_NS0_5tupleIJPfS6_EEENSE_IJSB_SB_EEENS0_18inequality_wrapperIN6hipcub16HIPCUB_304000_NS8EqualityEEEPlJS6_EEE10hipError_tPvRmT3_T4_T5_T6_T7_T9_mT8_P12ihipStream_tbDpT10_ENKUlT_T0_E_clISt17integral_constantIbLb1EES17_EEDaS12_S13_EUlS12_E_NS1_11comp_targetILNS1_3genE2ELNS1_11target_archE906ELNS1_3gpuE6ELNS1_3repE0EEENS1_30default_config_static_selectorELNS0_4arch9wavefront6targetE1EEEvT1_
	.p2align	8
	.type	_ZN7rocprim17ROCPRIM_400000_NS6detail17trampoline_kernelINS0_14default_configENS1_25partition_config_selectorILNS1_17partition_subalgoE8EfNS0_10empty_typeEbEEZZNS1_14partition_implILS5_8ELb0ES3_jPKfPS6_PKS6_NS0_5tupleIJPfS6_EEENSE_IJSB_SB_EEENS0_18inequality_wrapperIN6hipcub16HIPCUB_304000_NS8EqualityEEEPlJS6_EEE10hipError_tPvRmT3_T4_T5_T6_T7_T9_mT8_P12ihipStream_tbDpT10_ENKUlT_T0_E_clISt17integral_constantIbLb1EES17_EEDaS12_S13_EUlS12_E_NS1_11comp_targetILNS1_3genE2ELNS1_11target_archE906ELNS1_3gpuE6ELNS1_3repE0EEENS1_30default_config_static_selectorELNS0_4arch9wavefront6targetE1EEEvT1_,@function
_ZN7rocprim17ROCPRIM_400000_NS6detail17trampoline_kernelINS0_14default_configENS1_25partition_config_selectorILNS1_17partition_subalgoE8EfNS0_10empty_typeEbEEZZNS1_14partition_implILS5_8ELb0ES3_jPKfPS6_PKS6_NS0_5tupleIJPfS6_EEENSE_IJSB_SB_EEENS0_18inequality_wrapperIN6hipcub16HIPCUB_304000_NS8EqualityEEEPlJS6_EEE10hipError_tPvRmT3_T4_T5_T6_T7_T9_mT8_P12ihipStream_tbDpT10_ENKUlT_T0_E_clISt17integral_constantIbLb1EES17_EEDaS12_S13_EUlS12_E_NS1_11comp_targetILNS1_3genE2ELNS1_11target_archE906ELNS1_3gpuE6ELNS1_3repE0EEENS1_30default_config_static_selectorELNS0_4arch9wavefront6targetE1EEEvT1_: ; @_ZN7rocprim17ROCPRIM_400000_NS6detail17trampoline_kernelINS0_14default_configENS1_25partition_config_selectorILNS1_17partition_subalgoE8EfNS0_10empty_typeEbEEZZNS1_14partition_implILS5_8ELb0ES3_jPKfPS6_PKS6_NS0_5tupleIJPfS6_EEENSE_IJSB_SB_EEENS0_18inequality_wrapperIN6hipcub16HIPCUB_304000_NS8EqualityEEEPlJS6_EEE10hipError_tPvRmT3_T4_T5_T6_T7_T9_mT8_P12ihipStream_tbDpT10_ENKUlT_T0_E_clISt17integral_constantIbLb1EES17_EEDaS12_S13_EUlS12_E_NS1_11comp_targetILNS1_3genE2ELNS1_11target_archE906ELNS1_3gpuE6ELNS1_3repE0EEENS1_30default_config_static_selectorELNS0_4arch9wavefront6targetE1EEEvT1_
; %bb.0:
	.section	.rodata,"a",@progbits
	.p2align	6, 0x0
	.amdhsa_kernel _ZN7rocprim17ROCPRIM_400000_NS6detail17trampoline_kernelINS0_14default_configENS1_25partition_config_selectorILNS1_17partition_subalgoE8EfNS0_10empty_typeEbEEZZNS1_14partition_implILS5_8ELb0ES3_jPKfPS6_PKS6_NS0_5tupleIJPfS6_EEENSE_IJSB_SB_EEENS0_18inequality_wrapperIN6hipcub16HIPCUB_304000_NS8EqualityEEEPlJS6_EEE10hipError_tPvRmT3_T4_T5_T6_T7_T9_mT8_P12ihipStream_tbDpT10_ENKUlT_T0_E_clISt17integral_constantIbLb1EES17_EEDaS12_S13_EUlS12_E_NS1_11comp_targetILNS1_3genE2ELNS1_11target_archE906ELNS1_3gpuE6ELNS1_3repE0EEENS1_30default_config_static_selectorELNS0_4arch9wavefront6targetE1EEEvT1_
		.amdhsa_group_segment_fixed_size 0
		.amdhsa_private_segment_fixed_size 0
		.amdhsa_kernarg_size 128
		.amdhsa_user_sgpr_count 6
		.amdhsa_user_sgpr_private_segment_buffer 1
		.amdhsa_user_sgpr_dispatch_ptr 0
		.amdhsa_user_sgpr_queue_ptr 0
		.amdhsa_user_sgpr_kernarg_segment_ptr 1
		.amdhsa_user_sgpr_dispatch_id 0
		.amdhsa_user_sgpr_flat_scratch_init 0
		.amdhsa_user_sgpr_kernarg_preload_length 0
		.amdhsa_user_sgpr_kernarg_preload_offset 0
		.amdhsa_user_sgpr_private_segment_size 0
		.amdhsa_uses_dynamic_stack 0
		.amdhsa_system_sgpr_private_segment_wavefront_offset 0
		.amdhsa_system_sgpr_workgroup_id_x 1
		.amdhsa_system_sgpr_workgroup_id_y 0
		.amdhsa_system_sgpr_workgroup_id_z 0
		.amdhsa_system_sgpr_workgroup_info 0
		.amdhsa_system_vgpr_workitem_id 0
		.amdhsa_next_free_vgpr 1
		.amdhsa_next_free_sgpr 0
		.amdhsa_accum_offset 4
		.amdhsa_reserve_vcc 0
		.amdhsa_reserve_flat_scratch 0
		.amdhsa_float_round_mode_32 0
		.amdhsa_float_round_mode_16_64 0
		.amdhsa_float_denorm_mode_32 3
		.amdhsa_float_denorm_mode_16_64 3
		.amdhsa_dx10_clamp 1
		.amdhsa_ieee_mode 1
		.amdhsa_fp16_overflow 0
		.amdhsa_tg_split 0
		.amdhsa_exception_fp_ieee_invalid_op 0
		.amdhsa_exception_fp_denorm_src 0
		.amdhsa_exception_fp_ieee_div_zero 0
		.amdhsa_exception_fp_ieee_overflow 0
		.amdhsa_exception_fp_ieee_underflow 0
		.amdhsa_exception_fp_ieee_inexact 0
		.amdhsa_exception_int_div_zero 0
	.end_amdhsa_kernel
	.section	.text._ZN7rocprim17ROCPRIM_400000_NS6detail17trampoline_kernelINS0_14default_configENS1_25partition_config_selectorILNS1_17partition_subalgoE8EfNS0_10empty_typeEbEEZZNS1_14partition_implILS5_8ELb0ES3_jPKfPS6_PKS6_NS0_5tupleIJPfS6_EEENSE_IJSB_SB_EEENS0_18inequality_wrapperIN6hipcub16HIPCUB_304000_NS8EqualityEEEPlJS6_EEE10hipError_tPvRmT3_T4_T5_T6_T7_T9_mT8_P12ihipStream_tbDpT10_ENKUlT_T0_E_clISt17integral_constantIbLb1EES17_EEDaS12_S13_EUlS12_E_NS1_11comp_targetILNS1_3genE2ELNS1_11target_archE906ELNS1_3gpuE6ELNS1_3repE0EEENS1_30default_config_static_selectorELNS0_4arch9wavefront6targetE1EEEvT1_,"axG",@progbits,_ZN7rocprim17ROCPRIM_400000_NS6detail17trampoline_kernelINS0_14default_configENS1_25partition_config_selectorILNS1_17partition_subalgoE8EfNS0_10empty_typeEbEEZZNS1_14partition_implILS5_8ELb0ES3_jPKfPS6_PKS6_NS0_5tupleIJPfS6_EEENSE_IJSB_SB_EEENS0_18inequality_wrapperIN6hipcub16HIPCUB_304000_NS8EqualityEEEPlJS6_EEE10hipError_tPvRmT3_T4_T5_T6_T7_T9_mT8_P12ihipStream_tbDpT10_ENKUlT_T0_E_clISt17integral_constantIbLb1EES17_EEDaS12_S13_EUlS12_E_NS1_11comp_targetILNS1_3genE2ELNS1_11target_archE906ELNS1_3gpuE6ELNS1_3repE0EEENS1_30default_config_static_selectorELNS0_4arch9wavefront6targetE1EEEvT1_,comdat
.Lfunc_end353:
	.size	_ZN7rocprim17ROCPRIM_400000_NS6detail17trampoline_kernelINS0_14default_configENS1_25partition_config_selectorILNS1_17partition_subalgoE8EfNS0_10empty_typeEbEEZZNS1_14partition_implILS5_8ELb0ES3_jPKfPS6_PKS6_NS0_5tupleIJPfS6_EEENSE_IJSB_SB_EEENS0_18inequality_wrapperIN6hipcub16HIPCUB_304000_NS8EqualityEEEPlJS6_EEE10hipError_tPvRmT3_T4_T5_T6_T7_T9_mT8_P12ihipStream_tbDpT10_ENKUlT_T0_E_clISt17integral_constantIbLb1EES17_EEDaS12_S13_EUlS12_E_NS1_11comp_targetILNS1_3genE2ELNS1_11target_archE906ELNS1_3gpuE6ELNS1_3repE0EEENS1_30default_config_static_selectorELNS0_4arch9wavefront6targetE1EEEvT1_, .Lfunc_end353-_ZN7rocprim17ROCPRIM_400000_NS6detail17trampoline_kernelINS0_14default_configENS1_25partition_config_selectorILNS1_17partition_subalgoE8EfNS0_10empty_typeEbEEZZNS1_14partition_implILS5_8ELb0ES3_jPKfPS6_PKS6_NS0_5tupleIJPfS6_EEENSE_IJSB_SB_EEENS0_18inequality_wrapperIN6hipcub16HIPCUB_304000_NS8EqualityEEEPlJS6_EEE10hipError_tPvRmT3_T4_T5_T6_T7_T9_mT8_P12ihipStream_tbDpT10_ENKUlT_T0_E_clISt17integral_constantIbLb1EES17_EEDaS12_S13_EUlS12_E_NS1_11comp_targetILNS1_3genE2ELNS1_11target_archE906ELNS1_3gpuE6ELNS1_3repE0EEENS1_30default_config_static_selectorELNS0_4arch9wavefront6targetE1EEEvT1_
                                        ; -- End function
	.section	.AMDGPU.csdata,"",@progbits
; Kernel info:
; codeLenInByte = 0
; NumSgprs: 4
; NumVgprs: 0
; NumAgprs: 0
; TotalNumVgprs: 0
; ScratchSize: 0
; MemoryBound: 0
; FloatMode: 240
; IeeeMode: 1
; LDSByteSize: 0 bytes/workgroup (compile time only)
; SGPRBlocks: 0
; VGPRBlocks: 0
; NumSGPRsForWavesPerEU: 4
; NumVGPRsForWavesPerEU: 1
; AccumOffset: 4
; Occupancy: 8
; WaveLimiterHint : 0
; COMPUTE_PGM_RSRC2:SCRATCH_EN: 0
; COMPUTE_PGM_RSRC2:USER_SGPR: 6
; COMPUTE_PGM_RSRC2:TRAP_HANDLER: 0
; COMPUTE_PGM_RSRC2:TGID_X_EN: 1
; COMPUTE_PGM_RSRC2:TGID_Y_EN: 0
; COMPUTE_PGM_RSRC2:TGID_Z_EN: 0
; COMPUTE_PGM_RSRC2:TIDIG_COMP_CNT: 0
; COMPUTE_PGM_RSRC3_GFX90A:ACCUM_OFFSET: 0
; COMPUTE_PGM_RSRC3_GFX90A:TG_SPLIT: 0
	.section	.text._ZN7rocprim17ROCPRIM_400000_NS6detail17trampoline_kernelINS0_14default_configENS1_25partition_config_selectorILNS1_17partition_subalgoE8EfNS0_10empty_typeEbEEZZNS1_14partition_implILS5_8ELb0ES3_jPKfPS6_PKS6_NS0_5tupleIJPfS6_EEENSE_IJSB_SB_EEENS0_18inequality_wrapperIN6hipcub16HIPCUB_304000_NS8EqualityEEEPlJS6_EEE10hipError_tPvRmT3_T4_T5_T6_T7_T9_mT8_P12ihipStream_tbDpT10_ENKUlT_T0_E_clISt17integral_constantIbLb1EES17_EEDaS12_S13_EUlS12_E_NS1_11comp_targetILNS1_3genE10ELNS1_11target_archE1200ELNS1_3gpuE4ELNS1_3repE0EEENS1_30default_config_static_selectorELNS0_4arch9wavefront6targetE1EEEvT1_,"axG",@progbits,_ZN7rocprim17ROCPRIM_400000_NS6detail17trampoline_kernelINS0_14default_configENS1_25partition_config_selectorILNS1_17partition_subalgoE8EfNS0_10empty_typeEbEEZZNS1_14partition_implILS5_8ELb0ES3_jPKfPS6_PKS6_NS0_5tupleIJPfS6_EEENSE_IJSB_SB_EEENS0_18inequality_wrapperIN6hipcub16HIPCUB_304000_NS8EqualityEEEPlJS6_EEE10hipError_tPvRmT3_T4_T5_T6_T7_T9_mT8_P12ihipStream_tbDpT10_ENKUlT_T0_E_clISt17integral_constantIbLb1EES17_EEDaS12_S13_EUlS12_E_NS1_11comp_targetILNS1_3genE10ELNS1_11target_archE1200ELNS1_3gpuE4ELNS1_3repE0EEENS1_30default_config_static_selectorELNS0_4arch9wavefront6targetE1EEEvT1_,comdat
	.protected	_ZN7rocprim17ROCPRIM_400000_NS6detail17trampoline_kernelINS0_14default_configENS1_25partition_config_selectorILNS1_17partition_subalgoE8EfNS0_10empty_typeEbEEZZNS1_14partition_implILS5_8ELb0ES3_jPKfPS6_PKS6_NS0_5tupleIJPfS6_EEENSE_IJSB_SB_EEENS0_18inequality_wrapperIN6hipcub16HIPCUB_304000_NS8EqualityEEEPlJS6_EEE10hipError_tPvRmT3_T4_T5_T6_T7_T9_mT8_P12ihipStream_tbDpT10_ENKUlT_T0_E_clISt17integral_constantIbLb1EES17_EEDaS12_S13_EUlS12_E_NS1_11comp_targetILNS1_3genE10ELNS1_11target_archE1200ELNS1_3gpuE4ELNS1_3repE0EEENS1_30default_config_static_selectorELNS0_4arch9wavefront6targetE1EEEvT1_ ; -- Begin function _ZN7rocprim17ROCPRIM_400000_NS6detail17trampoline_kernelINS0_14default_configENS1_25partition_config_selectorILNS1_17partition_subalgoE8EfNS0_10empty_typeEbEEZZNS1_14partition_implILS5_8ELb0ES3_jPKfPS6_PKS6_NS0_5tupleIJPfS6_EEENSE_IJSB_SB_EEENS0_18inequality_wrapperIN6hipcub16HIPCUB_304000_NS8EqualityEEEPlJS6_EEE10hipError_tPvRmT3_T4_T5_T6_T7_T9_mT8_P12ihipStream_tbDpT10_ENKUlT_T0_E_clISt17integral_constantIbLb1EES17_EEDaS12_S13_EUlS12_E_NS1_11comp_targetILNS1_3genE10ELNS1_11target_archE1200ELNS1_3gpuE4ELNS1_3repE0EEENS1_30default_config_static_selectorELNS0_4arch9wavefront6targetE1EEEvT1_
	.globl	_ZN7rocprim17ROCPRIM_400000_NS6detail17trampoline_kernelINS0_14default_configENS1_25partition_config_selectorILNS1_17partition_subalgoE8EfNS0_10empty_typeEbEEZZNS1_14partition_implILS5_8ELb0ES3_jPKfPS6_PKS6_NS0_5tupleIJPfS6_EEENSE_IJSB_SB_EEENS0_18inequality_wrapperIN6hipcub16HIPCUB_304000_NS8EqualityEEEPlJS6_EEE10hipError_tPvRmT3_T4_T5_T6_T7_T9_mT8_P12ihipStream_tbDpT10_ENKUlT_T0_E_clISt17integral_constantIbLb1EES17_EEDaS12_S13_EUlS12_E_NS1_11comp_targetILNS1_3genE10ELNS1_11target_archE1200ELNS1_3gpuE4ELNS1_3repE0EEENS1_30default_config_static_selectorELNS0_4arch9wavefront6targetE1EEEvT1_
	.p2align	8
	.type	_ZN7rocprim17ROCPRIM_400000_NS6detail17trampoline_kernelINS0_14default_configENS1_25partition_config_selectorILNS1_17partition_subalgoE8EfNS0_10empty_typeEbEEZZNS1_14partition_implILS5_8ELb0ES3_jPKfPS6_PKS6_NS0_5tupleIJPfS6_EEENSE_IJSB_SB_EEENS0_18inequality_wrapperIN6hipcub16HIPCUB_304000_NS8EqualityEEEPlJS6_EEE10hipError_tPvRmT3_T4_T5_T6_T7_T9_mT8_P12ihipStream_tbDpT10_ENKUlT_T0_E_clISt17integral_constantIbLb1EES17_EEDaS12_S13_EUlS12_E_NS1_11comp_targetILNS1_3genE10ELNS1_11target_archE1200ELNS1_3gpuE4ELNS1_3repE0EEENS1_30default_config_static_selectorELNS0_4arch9wavefront6targetE1EEEvT1_,@function
_ZN7rocprim17ROCPRIM_400000_NS6detail17trampoline_kernelINS0_14default_configENS1_25partition_config_selectorILNS1_17partition_subalgoE8EfNS0_10empty_typeEbEEZZNS1_14partition_implILS5_8ELb0ES3_jPKfPS6_PKS6_NS0_5tupleIJPfS6_EEENSE_IJSB_SB_EEENS0_18inequality_wrapperIN6hipcub16HIPCUB_304000_NS8EqualityEEEPlJS6_EEE10hipError_tPvRmT3_T4_T5_T6_T7_T9_mT8_P12ihipStream_tbDpT10_ENKUlT_T0_E_clISt17integral_constantIbLb1EES17_EEDaS12_S13_EUlS12_E_NS1_11comp_targetILNS1_3genE10ELNS1_11target_archE1200ELNS1_3gpuE4ELNS1_3repE0EEENS1_30default_config_static_selectorELNS0_4arch9wavefront6targetE1EEEvT1_: ; @_ZN7rocprim17ROCPRIM_400000_NS6detail17trampoline_kernelINS0_14default_configENS1_25partition_config_selectorILNS1_17partition_subalgoE8EfNS0_10empty_typeEbEEZZNS1_14partition_implILS5_8ELb0ES3_jPKfPS6_PKS6_NS0_5tupleIJPfS6_EEENSE_IJSB_SB_EEENS0_18inequality_wrapperIN6hipcub16HIPCUB_304000_NS8EqualityEEEPlJS6_EEE10hipError_tPvRmT3_T4_T5_T6_T7_T9_mT8_P12ihipStream_tbDpT10_ENKUlT_T0_E_clISt17integral_constantIbLb1EES17_EEDaS12_S13_EUlS12_E_NS1_11comp_targetILNS1_3genE10ELNS1_11target_archE1200ELNS1_3gpuE4ELNS1_3repE0EEENS1_30default_config_static_selectorELNS0_4arch9wavefront6targetE1EEEvT1_
; %bb.0:
	.section	.rodata,"a",@progbits
	.p2align	6, 0x0
	.amdhsa_kernel _ZN7rocprim17ROCPRIM_400000_NS6detail17trampoline_kernelINS0_14default_configENS1_25partition_config_selectorILNS1_17partition_subalgoE8EfNS0_10empty_typeEbEEZZNS1_14partition_implILS5_8ELb0ES3_jPKfPS6_PKS6_NS0_5tupleIJPfS6_EEENSE_IJSB_SB_EEENS0_18inequality_wrapperIN6hipcub16HIPCUB_304000_NS8EqualityEEEPlJS6_EEE10hipError_tPvRmT3_T4_T5_T6_T7_T9_mT8_P12ihipStream_tbDpT10_ENKUlT_T0_E_clISt17integral_constantIbLb1EES17_EEDaS12_S13_EUlS12_E_NS1_11comp_targetILNS1_3genE10ELNS1_11target_archE1200ELNS1_3gpuE4ELNS1_3repE0EEENS1_30default_config_static_selectorELNS0_4arch9wavefront6targetE1EEEvT1_
		.amdhsa_group_segment_fixed_size 0
		.amdhsa_private_segment_fixed_size 0
		.amdhsa_kernarg_size 128
		.amdhsa_user_sgpr_count 6
		.amdhsa_user_sgpr_private_segment_buffer 1
		.amdhsa_user_sgpr_dispatch_ptr 0
		.amdhsa_user_sgpr_queue_ptr 0
		.amdhsa_user_sgpr_kernarg_segment_ptr 1
		.amdhsa_user_sgpr_dispatch_id 0
		.amdhsa_user_sgpr_flat_scratch_init 0
		.amdhsa_user_sgpr_kernarg_preload_length 0
		.amdhsa_user_sgpr_kernarg_preload_offset 0
		.amdhsa_user_sgpr_private_segment_size 0
		.amdhsa_uses_dynamic_stack 0
		.amdhsa_system_sgpr_private_segment_wavefront_offset 0
		.amdhsa_system_sgpr_workgroup_id_x 1
		.amdhsa_system_sgpr_workgroup_id_y 0
		.amdhsa_system_sgpr_workgroup_id_z 0
		.amdhsa_system_sgpr_workgroup_info 0
		.amdhsa_system_vgpr_workitem_id 0
		.amdhsa_next_free_vgpr 1
		.amdhsa_next_free_sgpr 0
		.amdhsa_accum_offset 4
		.amdhsa_reserve_vcc 0
		.amdhsa_reserve_flat_scratch 0
		.amdhsa_float_round_mode_32 0
		.amdhsa_float_round_mode_16_64 0
		.amdhsa_float_denorm_mode_32 3
		.amdhsa_float_denorm_mode_16_64 3
		.amdhsa_dx10_clamp 1
		.amdhsa_ieee_mode 1
		.amdhsa_fp16_overflow 0
		.amdhsa_tg_split 0
		.amdhsa_exception_fp_ieee_invalid_op 0
		.amdhsa_exception_fp_denorm_src 0
		.amdhsa_exception_fp_ieee_div_zero 0
		.amdhsa_exception_fp_ieee_overflow 0
		.amdhsa_exception_fp_ieee_underflow 0
		.amdhsa_exception_fp_ieee_inexact 0
		.amdhsa_exception_int_div_zero 0
	.end_amdhsa_kernel
	.section	.text._ZN7rocprim17ROCPRIM_400000_NS6detail17trampoline_kernelINS0_14default_configENS1_25partition_config_selectorILNS1_17partition_subalgoE8EfNS0_10empty_typeEbEEZZNS1_14partition_implILS5_8ELb0ES3_jPKfPS6_PKS6_NS0_5tupleIJPfS6_EEENSE_IJSB_SB_EEENS0_18inequality_wrapperIN6hipcub16HIPCUB_304000_NS8EqualityEEEPlJS6_EEE10hipError_tPvRmT3_T4_T5_T6_T7_T9_mT8_P12ihipStream_tbDpT10_ENKUlT_T0_E_clISt17integral_constantIbLb1EES17_EEDaS12_S13_EUlS12_E_NS1_11comp_targetILNS1_3genE10ELNS1_11target_archE1200ELNS1_3gpuE4ELNS1_3repE0EEENS1_30default_config_static_selectorELNS0_4arch9wavefront6targetE1EEEvT1_,"axG",@progbits,_ZN7rocprim17ROCPRIM_400000_NS6detail17trampoline_kernelINS0_14default_configENS1_25partition_config_selectorILNS1_17partition_subalgoE8EfNS0_10empty_typeEbEEZZNS1_14partition_implILS5_8ELb0ES3_jPKfPS6_PKS6_NS0_5tupleIJPfS6_EEENSE_IJSB_SB_EEENS0_18inequality_wrapperIN6hipcub16HIPCUB_304000_NS8EqualityEEEPlJS6_EEE10hipError_tPvRmT3_T4_T5_T6_T7_T9_mT8_P12ihipStream_tbDpT10_ENKUlT_T0_E_clISt17integral_constantIbLb1EES17_EEDaS12_S13_EUlS12_E_NS1_11comp_targetILNS1_3genE10ELNS1_11target_archE1200ELNS1_3gpuE4ELNS1_3repE0EEENS1_30default_config_static_selectorELNS0_4arch9wavefront6targetE1EEEvT1_,comdat
.Lfunc_end354:
	.size	_ZN7rocprim17ROCPRIM_400000_NS6detail17trampoline_kernelINS0_14default_configENS1_25partition_config_selectorILNS1_17partition_subalgoE8EfNS0_10empty_typeEbEEZZNS1_14partition_implILS5_8ELb0ES3_jPKfPS6_PKS6_NS0_5tupleIJPfS6_EEENSE_IJSB_SB_EEENS0_18inequality_wrapperIN6hipcub16HIPCUB_304000_NS8EqualityEEEPlJS6_EEE10hipError_tPvRmT3_T4_T5_T6_T7_T9_mT8_P12ihipStream_tbDpT10_ENKUlT_T0_E_clISt17integral_constantIbLb1EES17_EEDaS12_S13_EUlS12_E_NS1_11comp_targetILNS1_3genE10ELNS1_11target_archE1200ELNS1_3gpuE4ELNS1_3repE0EEENS1_30default_config_static_selectorELNS0_4arch9wavefront6targetE1EEEvT1_, .Lfunc_end354-_ZN7rocprim17ROCPRIM_400000_NS6detail17trampoline_kernelINS0_14default_configENS1_25partition_config_selectorILNS1_17partition_subalgoE8EfNS0_10empty_typeEbEEZZNS1_14partition_implILS5_8ELb0ES3_jPKfPS6_PKS6_NS0_5tupleIJPfS6_EEENSE_IJSB_SB_EEENS0_18inequality_wrapperIN6hipcub16HIPCUB_304000_NS8EqualityEEEPlJS6_EEE10hipError_tPvRmT3_T4_T5_T6_T7_T9_mT8_P12ihipStream_tbDpT10_ENKUlT_T0_E_clISt17integral_constantIbLb1EES17_EEDaS12_S13_EUlS12_E_NS1_11comp_targetILNS1_3genE10ELNS1_11target_archE1200ELNS1_3gpuE4ELNS1_3repE0EEENS1_30default_config_static_selectorELNS0_4arch9wavefront6targetE1EEEvT1_
                                        ; -- End function
	.section	.AMDGPU.csdata,"",@progbits
; Kernel info:
; codeLenInByte = 0
; NumSgprs: 4
; NumVgprs: 0
; NumAgprs: 0
; TotalNumVgprs: 0
; ScratchSize: 0
; MemoryBound: 0
; FloatMode: 240
; IeeeMode: 1
; LDSByteSize: 0 bytes/workgroup (compile time only)
; SGPRBlocks: 0
; VGPRBlocks: 0
; NumSGPRsForWavesPerEU: 4
; NumVGPRsForWavesPerEU: 1
; AccumOffset: 4
; Occupancy: 8
; WaveLimiterHint : 0
; COMPUTE_PGM_RSRC2:SCRATCH_EN: 0
; COMPUTE_PGM_RSRC2:USER_SGPR: 6
; COMPUTE_PGM_RSRC2:TRAP_HANDLER: 0
; COMPUTE_PGM_RSRC2:TGID_X_EN: 1
; COMPUTE_PGM_RSRC2:TGID_Y_EN: 0
; COMPUTE_PGM_RSRC2:TGID_Z_EN: 0
; COMPUTE_PGM_RSRC2:TIDIG_COMP_CNT: 0
; COMPUTE_PGM_RSRC3_GFX90A:ACCUM_OFFSET: 0
; COMPUTE_PGM_RSRC3_GFX90A:TG_SPLIT: 0
	.section	.text._ZN7rocprim17ROCPRIM_400000_NS6detail17trampoline_kernelINS0_14default_configENS1_25partition_config_selectorILNS1_17partition_subalgoE8EfNS0_10empty_typeEbEEZZNS1_14partition_implILS5_8ELb0ES3_jPKfPS6_PKS6_NS0_5tupleIJPfS6_EEENSE_IJSB_SB_EEENS0_18inequality_wrapperIN6hipcub16HIPCUB_304000_NS8EqualityEEEPlJS6_EEE10hipError_tPvRmT3_T4_T5_T6_T7_T9_mT8_P12ihipStream_tbDpT10_ENKUlT_T0_E_clISt17integral_constantIbLb1EES17_EEDaS12_S13_EUlS12_E_NS1_11comp_targetILNS1_3genE9ELNS1_11target_archE1100ELNS1_3gpuE3ELNS1_3repE0EEENS1_30default_config_static_selectorELNS0_4arch9wavefront6targetE1EEEvT1_,"axG",@progbits,_ZN7rocprim17ROCPRIM_400000_NS6detail17trampoline_kernelINS0_14default_configENS1_25partition_config_selectorILNS1_17partition_subalgoE8EfNS0_10empty_typeEbEEZZNS1_14partition_implILS5_8ELb0ES3_jPKfPS6_PKS6_NS0_5tupleIJPfS6_EEENSE_IJSB_SB_EEENS0_18inequality_wrapperIN6hipcub16HIPCUB_304000_NS8EqualityEEEPlJS6_EEE10hipError_tPvRmT3_T4_T5_T6_T7_T9_mT8_P12ihipStream_tbDpT10_ENKUlT_T0_E_clISt17integral_constantIbLb1EES17_EEDaS12_S13_EUlS12_E_NS1_11comp_targetILNS1_3genE9ELNS1_11target_archE1100ELNS1_3gpuE3ELNS1_3repE0EEENS1_30default_config_static_selectorELNS0_4arch9wavefront6targetE1EEEvT1_,comdat
	.protected	_ZN7rocprim17ROCPRIM_400000_NS6detail17trampoline_kernelINS0_14default_configENS1_25partition_config_selectorILNS1_17partition_subalgoE8EfNS0_10empty_typeEbEEZZNS1_14partition_implILS5_8ELb0ES3_jPKfPS6_PKS6_NS0_5tupleIJPfS6_EEENSE_IJSB_SB_EEENS0_18inequality_wrapperIN6hipcub16HIPCUB_304000_NS8EqualityEEEPlJS6_EEE10hipError_tPvRmT3_T4_T5_T6_T7_T9_mT8_P12ihipStream_tbDpT10_ENKUlT_T0_E_clISt17integral_constantIbLb1EES17_EEDaS12_S13_EUlS12_E_NS1_11comp_targetILNS1_3genE9ELNS1_11target_archE1100ELNS1_3gpuE3ELNS1_3repE0EEENS1_30default_config_static_selectorELNS0_4arch9wavefront6targetE1EEEvT1_ ; -- Begin function _ZN7rocprim17ROCPRIM_400000_NS6detail17trampoline_kernelINS0_14default_configENS1_25partition_config_selectorILNS1_17partition_subalgoE8EfNS0_10empty_typeEbEEZZNS1_14partition_implILS5_8ELb0ES3_jPKfPS6_PKS6_NS0_5tupleIJPfS6_EEENSE_IJSB_SB_EEENS0_18inequality_wrapperIN6hipcub16HIPCUB_304000_NS8EqualityEEEPlJS6_EEE10hipError_tPvRmT3_T4_T5_T6_T7_T9_mT8_P12ihipStream_tbDpT10_ENKUlT_T0_E_clISt17integral_constantIbLb1EES17_EEDaS12_S13_EUlS12_E_NS1_11comp_targetILNS1_3genE9ELNS1_11target_archE1100ELNS1_3gpuE3ELNS1_3repE0EEENS1_30default_config_static_selectorELNS0_4arch9wavefront6targetE1EEEvT1_
	.globl	_ZN7rocprim17ROCPRIM_400000_NS6detail17trampoline_kernelINS0_14default_configENS1_25partition_config_selectorILNS1_17partition_subalgoE8EfNS0_10empty_typeEbEEZZNS1_14partition_implILS5_8ELb0ES3_jPKfPS6_PKS6_NS0_5tupleIJPfS6_EEENSE_IJSB_SB_EEENS0_18inequality_wrapperIN6hipcub16HIPCUB_304000_NS8EqualityEEEPlJS6_EEE10hipError_tPvRmT3_T4_T5_T6_T7_T9_mT8_P12ihipStream_tbDpT10_ENKUlT_T0_E_clISt17integral_constantIbLb1EES17_EEDaS12_S13_EUlS12_E_NS1_11comp_targetILNS1_3genE9ELNS1_11target_archE1100ELNS1_3gpuE3ELNS1_3repE0EEENS1_30default_config_static_selectorELNS0_4arch9wavefront6targetE1EEEvT1_
	.p2align	8
	.type	_ZN7rocprim17ROCPRIM_400000_NS6detail17trampoline_kernelINS0_14default_configENS1_25partition_config_selectorILNS1_17partition_subalgoE8EfNS0_10empty_typeEbEEZZNS1_14partition_implILS5_8ELb0ES3_jPKfPS6_PKS6_NS0_5tupleIJPfS6_EEENSE_IJSB_SB_EEENS0_18inequality_wrapperIN6hipcub16HIPCUB_304000_NS8EqualityEEEPlJS6_EEE10hipError_tPvRmT3_T4_T5_T6_T7_T9_mT8_P12ihipStream_tbDpT10_ENKUlT_T0_E_clISt17integral_constantIbLb1EES17_EEDaS12_S13_EUlS12_E_NS1_11comp_targetILNS1_3genE9ELNS1_11target_archE1100ELNS1_3gpuE3ELNS1_3repE0EEENS1_30default_config_static_selectorELNS0_4arch9wavefront6targetE1EEEvT1_,@function
_ZN7rocprim17ROCPRIM_400000_NS6detail17trampoline_kernelINS0_14default_configENS1_25partition_config_selectorILNS1_17partition_subalgoE8EfNS0_10empty_typeEbEEZZNS1_14partition_implILS5_8ELb0ES3_jPKfPS6_PKS6_NS0_5tupleIJPfS6_EEENSE_IJSB_SB_EEENS0_18inequality_wrapperIN6hipcub16HIPCUB_304000_NS8EqualityEEEPlJS6_EEE10hipError_tPvRmT3_T4_T5_T6_T7_T9_mT8_P12ihipStream_tbDpT10_ENKUlT_T0_E_clISt17integral_constantIbLb1EES17_EEDaS12_S13_EUlS12_E_NS1_11comp_targetILNS1_3genE9ELNS1_11target_archE1100ELNS1_3gpuE3ELNS1_3repE0EEENS1_30default_config_static_selectorELNS0_4arch9wavefront6targetE1EEEvT1_: ; @_ZN7rocprim17ROCPRIM_400000_NS6detail17trampoline_kernelINS0_14default_configENS1_25partition_config_selectorILNS1_17partition_subalgoE8EfNS0_10empty_typeEbEEZZNS1_14partition_implILS5_8ELb0ES3_jPKfPS6_PKS6_NS0_5tupleIJPfS6_EEENSE_IJSB_SB_EEENS0_18inequality_wrapperIN6hipcub16HIPCUB_304000_NS8EqualityEEEPlJS6_EEE10hipError_tPvRmT3_T4_T5_T6_T7_T9_mT8_P12ihipStream_tbDpT10_ENKUlT_T0_E_clISt17integral_constantIbLb1EES17_EEDaS12_S13_EUlS12_E_NS1_11comp_targetILNS1_3genE9ELNS1_11target_archE1100ELNS1_3gpuE3ELNS1_3repE0EEENS1_30default_config_static_selectorELNS0_4arch9wavefront6targetE1EEEvT1_
; %bb.0:
	.section	.rodata,"a",@progbits
	.p2align	6, 0x0
	.amdhsa_kernel _ZN7rocprim17ROCPRIM_400000_NS6detail17trampoline_kernelINS0_14default_configENS1_25partition_config_selectorILNS1_17partition_subalgoE8EfNS0_10empty_typeEbEEZZNS1_14partition_implILS5_8ELb0ES3_jPKfPS6_PKS6_NS0_5tupleIJPfS6_EEENSE_IJSB_SB_EEENS0_18inequality_wrapperIN6hipcub16HIPCUB_304000_NS8EqualityEEEPlJS6_EEE10hipError_tPvRmT3_T4_T5_T6_T7_T9_mT8_P12ihipStream_tbDpT10_ENKUlT_T0_E_clISt17integral_constantIbLb1EES17_EEDaS12_S13_EUlS12_E_NS1_11comp_targetILNS1_3genE9ELNS1_11target_archE1100ELNS1_3gpuE3ELNS1_3repE0EEENS1_30default_config_static_selectorELNS0_4arch9wavefront6targetE1EEEvT1_
		.amdhsa_group_segment_fixed_size 0
		.amdhsa_private_segment_fixed_size 0
		.amdhsa_kernarg_size 128
		.amdhsa_user_sgpr_count 6
		.amdhsa_user_sgpr_private_segment_buffer 1
		.amdhsa_user_sgpr_dispatch_ptr 0
		.amdhsa_user_sgpr_queue_ptr 0
		.amdhsa_user_sgpr_kernarg_segment_ptr 1
		.amdhsa_user_sgpr_dispatch_id 0
		.amdhsa_user_sgpr_flat_scratch_init 0
		.amdhsa_user_sgpr_kernarg_preload_length 0
		.amdhsa_user_sgpr_kernarg_preload_offset 0
		.amdhsa_user_sgpr_private_segment_size 0
		.amdhsa_uses_dynamic_stack 0
		.amdhsa_system_sgpr_private_segment_wavefront_offset 0
		.amdhsa_system_sgpr_workgroup_id_x 1
		.amdhsa_system_sgpr_workgroup_id_y 0
		.amdhsa_system_sgpr_workgroup_id_z 0
		.amdhsa_system_sgpr_workgroup_info 0
		.amdhsa_system_vgpr_workitem_id 0
		.amdhsa_next_free_vgpr 1
		.amdhsa_next_free_sgpr 0
		.amdhsa_accum_offset 4
		.amdhsa_reserve_vcc 0
		.amdhsa_reserve_flat_scratch 0
		.amdhsa_float_round_mode_32 0
		.amdhsa_float_round_mode_16_64 0
		.amdhsa_float_denorm_mode_32 3
		.amdhsa_float_denorm_mode_16_64 3
		.amdhsa_dx10_clamp 1
		.amdhsa_ieee_mode 1
		.amdhsa_fp16_overflow 0
		.amdhsa_tg_split 0
		.amdhsa_exception_fp_ieee_invalid_op 0
		.amdhsa_exception_fp_denorm_src 0
		.amdhsa_exception_fp_ieee_div_zero 0
		.amdhsa_exception_fp_ieee_overflow 0
		.amdhsa_exception_fp_ieee_underflow 0
		.amdhsa_exception_fp_ieee_inexact 0
		.amdhsa_exception_int_div_zero 0
	.end_amdhsa_kernel
	.section	.text._ZN7rocprim17ROCPRIM_400000_NS6detail17trampoline_kernelINS0_14default_configENS1_25partition_config_selectorILNS1_17partition_subalgoE8EfNS0_10empty_typeEbEEZZNS1_14partition_implILS5_8ELb0ES3_jPKfPS6_PKS6_NS0_5tupleIJPfS6_EEENSE_IJSB_SB_EEENS0_18inequality_wrapperIN6hipcub16HIPCUB_304000_NS8EqualityEEEPlJS6_EEE10hipError_tPvRmT3_T4_T5_T6_T7_T9_mT8_P12ihipStream_tbDpT10_ENKUlT_T0_E_clISt17integral_constantIbLb1EES17_EEDaS12_S13_EUlS12_E_NS1_11comp_targetILNS1_3genE9ELNS1_11target_archE1100ELNS1_3gpuE3ELNS1_3repE0EEENS1_30default_config_static_selectorELNS0_4arch9wavefront6targetE1EEEvT1_,"axG",@progbits,_ZN7rocprim17ROCPRIM_400000_NS6detail17trampoline_kernelINS0_14default_configENS1_25partition_config_selectorILNS1_17partition_subalgoE8EfNS0_10empty_typeEbEEZZNS1_14partition_implILS5_8ELb0ES3_jPKfPS6_PKS6_NS0_5tupleIJPfS6_EEENSE_IJSB_SB_EEENS0_18inequality_wrapperIN6hipcub16HIPCUB_304000_NS8EqualityEEEPlJS6_EEE10hipError_tPvRmT3_T4_T5_T6_T7_T9_mT8_P12ihipStream_tbDpT10_ENKUlT_T0_E_clISt17integral_constantIbLb1EES17_EEDaS12_S13_EUlS12_E_NS1_11comp_targetILNS1_3genE9ELNS1_11target_archE1100ELNS1_3gpuE3ELNS1_3repE0EEENS1_30default_config_static_selectorELNS0_4arch9wavefront6targetE1EEEvT1_,comdat
.Lfunc_end355:
	.size	_ZN7rocprim17ROCPRIM_400000_NS6detail17trampoline_kernelINS0_14default_configENS1_25partition_config_selectorILNS1_17partition_subalgoE8EfNS0_10empty_typeEbEEZZNS1_14partition_implILS5_8ELb0ES3_jPKfPS6_PKS6_NS0_5tupleIJPfS6_EEENSE_IJSB_SB_EEENS0_18inequality_wrapperIN6hipcub16HIPCUB_304000_NS8EqualityEEEPlJS6_EEE10hipError_tPvRmT3_T4_T5_T6_T7_T9_mT8_P12ihipStream_tbDpT10_ENKUlT_T0_E_clISt17integral_constantIbLb1EES17_EEDaS12_S13_EUlS12_E_NS1_11comp_targetILNS1_3genE9ELNS1_11target_archE1100ELNS1_3gpuE3ELNS1_3repE0EEENS1_30default_config_static_selectorELNS0_4arch9wavefront6targetE1EEEvT1_, .Lfunc_end355-_ZN7rocprim17ROCPRIM_400000_NS6detail17trampoline_kernelINS0_14default_configENS1_25partition_config_selectorILNS1_17partition_subalgoE8EfNS0_10empty_typeEbEEZZNS1_14partition_implILS5_8ELb0ES3_jPKfPS6_PKS6_NS0_5tupleIJPfS6_EEENSE_IJSB_SB_EEENS0_18inequality_wrapperIN6hipcub16HIPCUB_304000_NS8EqualityEEEPlJS6_EEE10hipError_tPvRmT3_T4_T5_T6_T7_T9_mT8_P12ihipStream_tbDpT10_ENKUlT_T0_E_clISt17integral_constantIbLb1EES17_EEDaS12_S13_EUlS12_E_NS1_11comp_targetILNS1_3genE9ELNS1_11target_archE1100ELNS1_3gpuE3ELNS1_3repE0EEENS1_30default_config_static_selectorELNS0_4arch9wavefront6targetE1EEEvT1_
                                        ; -- End function
	.section	.AMDGPU.csdata,"",@progbits
; Kernel info:
; codeLenInByte = 0
; NumSgprs: 4
; NumVgprs: 0
; NumAgprs: 0
; TotalNumVgprs: 0
; ScratchSize: 0
; MemoryBound: 0
; FloatMode: 240
; IeeeMode: 1
; LDSByteSize: 0 bytes/workgroup (compile time only)
; SGPRBlocks: 0
; VGPRBlocks: 0
; NumSGPRsForWavesPerEU: 4
; NumVGPRsForWavesPerEU: 1
; AccumOffset: 4
; Occupancy: 8
; WaveLimiterHint : 0
; COMPUTE_PGM_RSRC2:SCRATCH_EN: 0
; COMPUTE_PGM_RSRC2:USER_SGPR: 6
; COMPUTE_PGM_RSRC2:TRAP_HANDLER: 0
; COMPUTE_PGM_RSRC2:TGID_X_EN: 1
; COMPUTE_PGM_RSRC2:TGID_Y_EN: 0
; COMPUTE_PGM_RSRC2:TGID_Z_EN: 0
; COMPUTE_PGM_RSRC2:TIDIG_COMP_CNT: 0
; COMPUTE_PGM_RSRC3_GFX90A:ACCUM_OFFSET: 0
; COMPUTE_PGM_RSRC3_GFX90A:TG_SPLIT: 0
	.section	.text._ZN7rocprim17ROCPRIM_400000_NS6detail17trampoline_kernelINS0_14default_configENS1_25partition_config_selectorILNS1_17partition_subalgoE8EfNS0_10empty_typeEbEEZZNS1_14partition_implILS5_8ELb0ES3_jPKfPS6_PKS6_NS0_5tupleIJPfS6_EEENSE_IJSB_SB_EEENS0_18inequality_wrapperIN6hipcub16HIPCUB_304000_NS8EqualityEEEPlJS6_EEE10hipError_tPvRmT3_T4_T5_T6_T7_T9_mT8_P12ihipStream_tbDpT10_ENKUlT_T0_E_clISt17integral_constantIbLb1EES17_EEDaS12_S13_EUlS12_E_NS1_11comp_targetILNS1_3genE8ELNS1_11target_archE1030ELNS1_3gpuE2ELNS1_3repE0EEENS1_30default_config_static_selectorELNS0_4arch9wavefront6targetE1EEEvT1_,"axG",@progbits,_ZN7rocprim17ROCPRIM_400000_NS6detail17trampoline_kernelINS0_14default_configENS1_25partition_config_selectorILNS1_17partition_subalgoE8EfNS0_10empty_typeEbEEZZNS1_14partition_implILS5_8ELb0ES3_jPKfPS6_PKS6_NS0_5tupleIJPfS6_EEENSE_IJSB_SB_EEENS0_18inequality_wrapperIN6hipcub16HIPCUB_304000_NS8EqualityEEEPlJS6_EEE10hipError_tPvRmT3_T4_T5_T6_T7_T9_mT8_P12ihipStream_tbDpT10_ENKUlT_T0_E_clISt17integral_constantIbLb1EES17_EEDaS12_S13_EUlS12_E_NS1_11comp_targetILNS1_3genE8ELNS1_11target_archE1030ELNS1_3gpuE2ELNS1_3repE0EEENS1_30default_config_static_selectorELNS0_4arch9wavefront6targetE1EEEvT1_,comdat
	.protected	_ZN7rocprim17ROCPRIM_400000_NS6detail17trampoline_kernelINS0_14default_configENS1_25partition_config_selectorILNS1_17partition_subalgoE8EfNS0_10empty_typeEbEEZZNS1_14partition_implILS5_8ELb0ES3_jPKfPS6_PKS6_NS0_5tupleIJPfS6_EEENSE_IJSB_SB_EEENS0_18inequality_wrapperIN6hipcub16HIPCUB_304000_NS8EqualityEEEPlJS6_EEE10hipError_tPvRmT3_T4_T5_T6_T7_T9_mT8_P12ihipStream_tbDpT10_ENKUlT_T0_E_clISt17integral_constantIbLb1EES17_EEDaS12_S13_EUlS12_E_NS1_11comp_targetILNS1_3genE8ELNS1_11target_archE1030ELNS1_3gpuE2ELNS1_3repE0EEENS1_30default_config_static_selectorELNS0_4arch9wavefront6targetE1EEEvT1_ ; -- Begin function _ZN7rocprim17ROCPRIM_400000_NS6detail17trampoline_kernelINS0_14default_configENS1_25partition_config_selectorILNS1_17partition_subalgoE8EfNS0_10empty_typeEbEEZZNS1_14partition_implILS5_8ELb0ES3_jPKfPS6_PKS6_NS0_5tupleIJPfS6_EEENSE_IJSB_SB_EEENS0_18inequality_wrapperIN6hipcub16HIPCUB_304000_NS8EqualityEEEPlJS6_EEE10hipError_tPvRmT3_T4_T5_T6_T7_T9_mT8_P12ihipStream_tbDpT10_ENKUlT_T0_E_clISt17integral_constantIbLb1EES17_EEDaS12_S13_EUlS12_E_NS1_11comp_targetILNS1_3genE8ELNS1_11target_archE1030ELNS1_3gpuE2ELNS1_3repE0EEENS1_30default_config_static_selectorELNS0_4arch9wavefront6targetE1EEEvT1_
	.globl	_ZN7rocprim17ROCPRIM_400000_NS6detail17trampoline_kernelINS0_14default_configENS1_25partition_config_selectorILNS1_17partition_subalgoE8EfNS0_10empty_typeEbEEZZNS1_14partition_implILS5_8ELb0ES3_jPKfPS6_PKS6_NS0_5tupleIJPfS6_EEENSE_IJSB_SB_EEENS0_18inequality_wrapperIN6hipcub16HIPCUB_304000_NS8EqualityEEEPlJS6_EEE10hipError_tPvRmT3_T4_T5_T6_T7_T9_mT8_P12ihipStream_tbDpT10_ENKUlT_T0_E_clISt17integral_constantIbLb1EES17_EEDaS12_S13_EUlS12_E_NS1_11comp_targetILNS1_3genE8ELNS1_11target_archE1030ELNS1_3gpuE2ELNS1_3repE0EEENS1_30default_config_static_selectorELNS0_4arch9wavefront6targetE1EEEvT1_
	.p2align	8
	.type	_ZN7rocprim17ROCPRIM_400000_NS6detail17trampoline_kernelINS0_14default_configENS1_25partition_config_selectorILNS1_17partition_subalgoE8EfNS0_10empty_typeEbEEZZNS1_14partition_implILS5_8ELb0ES3_jPKfPS6_PKS6_NS0_5tupleIJPfS6_EEENSE_IJSB_SB_EEENS0_18inequality_wrapperIN6hipcub16HIPCUB_304000_NS8EqualityEEEPlJS6_EEE10hipError_tPvRmT3_T4_T5_T6_T7_T9_mT8_P12ihipStream_tbDpT10_ENKUlT_T0_E_clISt17integral_constantIbLb1EES17_EEDaS12_S13_EUlS12_E_NS1_11comp_targetILNS1_3genE8ELNS1_11target_archE1030ELNS1_3gpuE2ELNS1_3repE0EEENS1_30default_config_static_selectorELNS0_4arch9wavefront6targetE1EEEvT1_,@function
_ZN7rocprim17ROCPRIM_400000_NS6detail17trampoline_kernelINS0_14default_configENS1_25partition_config_selectorILNS1_17partition_subalgoE8EfNS0_10empty_typeEbEEZZNS1_14partition_implILS5_8ELb0ES3_jPKfPS6_PKS6_NS0_5tupleIJPfS6_EEENSE_IJSB_SB_EEENS0_18inequality_wrapperIN6hipcub16HIPCUB_304000_NS8EqualityEEEPlJS6_EEE10hipError_tPvRmT3_T4_T5_T6_T7_T9_mT8_P12ihipStream_tbDpT10_ENKUlT_T0_E_clISt17integral_constantIbLb1EES17_EEDaS12_S13_EUlS12_E_NS1_11comp_targetILNS1_3genE8ELNS1_11target_archE1030ELNS1_3gpuE2ELNS1_3repE0EEENS1_30default_config_static_selectorELNS0_4arch9wavefront6targetE1EEEvT1_: ; @_ZN7rocprim17ROCPRIM_400000_NS6detail17trampoline_kernelINS0_14default_configENS1_25partition_config_selectorILNS1_17partition_subalgoE8EfNS0_10empty_typeEbEEZZNS1_14partition_implILS5_8ELb0ES3_jPKfPS6_PKS6_NS0_5tupleIJPfS6_EEENSE_IJSB_SB_EEENS0_18inequality_wrapperIN6hipcub16HIPCUB_304000_NS8EqualityEEEPlJS6_EEE10hipError_tPvRmT3_T4_T5_T6_T7_T9_mT8_P12ihipStream_tbDpT10_ENKUlT_T0_E_clISt17integral_constantIbLb1EES17_EEDaS12_S13_EUlS12_E_NS1_11comp_targetILNS1_3genE8ELNS1_11target_archE1030ELNS1_3gpuE2ELNS1_3repE0EEENS1_30default_config_static_selectorELNS0_4arch9wavefront6targetE1EEEvT1_
; %bb.0:
	.section	.rodata,"a",@progbits
	.p2align	6, 0x0
	.amdhsa_kernel _ZN7rocprim17ROCPRIM_400000_NS6detail17trampoline_kernelINS0_14default_configENS1_25partition_config_selectorILNS1_17partition_subalgoE8EfNS0_10empty_typeEbEEZZNS1_14partition_implILS5_8ELb0ES3_jPKfPS6_PKS6_NS0_5tupleIJPfS6_EEENSE_IJSB_SB_EEENS0_18inequality_wrapperIN6hipcub16HIPCUB_304000_NS8EqualityEEEPlJS6_EEE10hipError_tPvRmT3_T4_T5_T6_T7_T9_mT8_P12ihipStream_tbDpT10_ENKUlT_T0_E_clISt17integral_constantIbLb1EES17_EEDaS12_S13_EUlS12_E_NS1_11comp_targetILNS1_3genE8ELNS1_11target_archE1030ELNS1_3gpuE2ELNS1_3repE0EEENS1_30default_config_static_selectorELNS0_4arch9wavefront6targetE1EEEvT1_
		.amdhsa_group_segment_fixed_size 0
		.amdhsa_private_segment_fixed_size 0
		.amdhsa_kernarg_size 128
		.amdhsa_user_sgpr_count 6
		.amdhsa_user_sgpr_private_segment_buffer 1
		.amdhsa_user_sgpr_dispatch_ptr 0
		.amdhsa_user_sgpr_queue_ptr 0
		.amdhsa_user_sgpr_kernarg_segment_ptr 1
		.amdhsa_user_sgpr_dispatch_id 0
		.amdhsa_user_sgpr_flat_scratch_init 0
		.amdhsa_user_sgpr_kernarg_preload_length 0
		.amdhsa_user_sgpr_kernarg_preload_offset 0
		.amdhsa_user_sgpr_private_segment_size 0
		.amdhsa_uses_dynamic_stack 0
		.amdhsa_system_sgpr_private_segment_wavefront_offset 0
		.amdhsa_system_sgpr_workgroup_id_x 1
		.amdhsa_system_sgpr_workgroup_id_y 0
		.amdhsa_system_sgpr_workgroup_id_z 0
		.amdhsa_system_sgpr_workgroup_info 0
		.amdhsa_system_vgpr_workitem_id 0
		.amdhsa_next_free_vgpr 1
		.amdhsa_next_free_sgpr 0
		.amdhsa_accum_offset 4
		.amdhsa_reserve_vcc 0
		.amdhsa_reserve_flat_scratch 0
		.amdhsa_float_round_mode_32 0
		.amdhsa_float_round_mode_16_64 0
		.amdhsa_float_denorm_mode_32 3
		.amdhsa_float_denorm_mode_16_64 3
		.amdhsa_dx10_clamp 1
		.amdhsa_ieee_mode 1
		.amdhsa_fp16_overflow 0
		.amdhsa_tg_split 0
		.amdhsa_exception_fp_ieee_invalid_op 0
		.amdhsa_exception_fp_denorm_src 0
		.amdhsa_exception_fp_ieee_div_zero 0
		.amdhsa_exception_fp_ieee_overflow 0
		.amdhsa_exception_fp_ieee_underflow 0
		.amdhsa_exception_fp_ieee_inexact 0
		.amdhsa_exception_int_div_zero 0
	.end_amdhsa_kernel
	.section	.text._ZN7rocprim17ROCPRIM_400000_NS6detail17trampoline_kernelINS0_14default_configENS1_25partition_config_selectorILNS1_17partition_subalgoE8EfNS0_10empty_typeEbEEZZNS1_14partition_implILS5_8ELb0ES3_jPKfPS6_PKS6_NS0_5tupleIJPfS6_EEENSE_IJSB_SB_EEENS0_18inequality_wrapperIN6hipcub16HIPCUB_304000_NS8EqualityEEEPlJS6_EEE10hipError_tPvRmT3_T4_T5_T6_T7_T9_mT8_P12ihipStream_tbDpT10_ENKUlT_T0_E_clISt17integral_constantIbLb1EES17_EEDaS12_S13_EUlS12_E_NS1_11comp_targetILNS1_3genE8ELNS1_11target_archE1030ELNS1_3gpuE2ELNS1_3repE0EEENS1_30default_config_static_selectorELNS0_4arch9wavefront6targetE1EEEvT1_,"axG",@progbits,_ZN7rocprim17ROCPRIM_400000_NS6detail17trampoline_kernelINS0_14default_configENS1_25partition_config_selectorILNS1_17partition_subalgoE8EfNS0_10empty_typeEbEEZZNS1_14partition_implILS5_8ELb0ES3_jPKfPS6_PKS6_NS0_5tupleIJPfS6_EEENSE_IJSB_SB_EEENS0_18inequality_wrapperIN6hipcub16HIPCUB_304000_NS8EqualityEEEPlJS6_EEE10hipError_tPvRmT3_T4_T5_T6_T7_T9_mT8_P12ihipStream_tbDpT10_ENKUlT_T0_E_clISt17integral_constantIbLb1EES17_EEDaS12_S13_EUlS12_E_NS1_11comp_targetILNS1_3genE8ELNS1_11target_archE1030ELNS1_3gpuE2ELNS1_3repE0EEENS1_30default_config_static_selectorELNS0_4arch9wavefront6targetE1EEEvT1_,comdat
.Lfunc_end356:
	.size	_ZN7rocprim17ROCPRIM_400000_NS6detail17trampoline_kernelINS0_14default_configENS1_25partition_config_selectorILNS1_17partition_subalgoE8EfNS0_10empty_typeEbEEZZNS1_14partition_implILS5_8ELb0ES3_jPKfPS6_PKS6_NS0_5tupleIJPfS6_EEENSE_IJSB_SB_EEENS0_18inequality_wrapperIN6hipcub16HIPCUB_304000_NS8EqualityEEEPlJS6_EEE10hipError_tPvRmT3_T4_T5_T6_T7_T9_mT8_P12ihipStream_tbDpT10_ENKUlT_T0_E_clISt17integral_constantIbLb1EES17_EEDaS12_S13_EUlS12_E_NS1_11comp_targetILNS1_3genE8ELNS1_11target_archE1030ELNS1_3gpuE2ELNS1_3repE0EEENS1_30default_config_static_selectorELNS0_4arch9wavefront6targetE1EEEvT1_, .Lfunc_end356-_ZN7rocprim17ROCPRIM_400000_NS6detail17trampoline_kernelINS0_14default_configENS1_25partition_config_selectorILNS1_17partition_subalgoE8EfNS0_10empty_typeEbEEZZNS1_14partition_implILS5_8ELb0ES3_jPKfPS6_PKS6_NS0_5tupleIJPfS6_EEENSE_IJSB_SB_EEENS0_18inequality_wrapperIN6hipcub16HIPCUB_304000_NS8EqualityEEEPlJS6_EEE10hipError_tPvRmT3_T4_T5_T6_T7_T9_mT8_P12ihipStream_tbDpT10_ENKUlT_T0_E_clISt17integral_constantIbLb1EES17_EEDaS12_S13_EUlS12_E_NS1_11comp_targetILNS1_3genE8ELNS1_11target_archE1030ELNS1_3gpuE2ELNS1_3repE0EEENS1_30default_config_static_selectorELNS0_4arch9wavefront6targetE1EEEvT1_
                                        ; -- End function
	.section	.AMDGPU.csdata,"",@progbits
; Kernel info:
; codeLenInByte = 0
; NumSgprs: 4
; NumVgprs: 0
; NumAgprs: 0
; TotalNumVgprs: 0
; ScratchSize: 0
; MemoryBound: 0
; FloatMode: 240
; IeeeMode: 1
; LDSByteSize: 0 bytes/workgroup (compile time only)
; SGPRBlocks: 0
; VGPRBlocks: 0
; NumSGPRsForWavesPerEU: 4
; NumVGPRsForWavesPerEU: 1
; AccumOffset: 4
; Occupancy: 8
; WaveLimiterHint : 0
; COMPUTE_PGM_RSRC2:SCRATCH_EN: 0
; COMPUTE_PGM_RSRC2:USER_SGPR: 6
; COMPUTE_PGM_RSRC2:TRAP_HANDLER: 0
; COMPUTE_PGM_RSRC2:TGID_X_EN: 1
; COMPUTE_PGM_RSRC2:TGID_Y_EN: 0
; COMPUTE_PGM_RSRC2:TGID_Z_EN: 0
; COMPUTE_PGM_RSRC2:TIDIG_COMP_CNT: 0
; COMPUTE_PGM_RSRC3_GFX90A:ACCUM_OFFSET: 0
; COMPUTE_PGM_RSRC3_GFX90A:TG_SPLIT: 0
	.section	.text._ZN7rocprim17ROCPRIM_400000_NS6detail17trampoline_kernelINS0_14default_configENS1_25partition_config_selectorILNS1_17partition_subalgoE8EfNS0_10empty_typeEbEEZZNS1_14partition_implILS5_8ELb0ES3_jPKfPS6_PKS6_NS0_5tupleIJPfS6_EEENSE_IJSB_SB_EEENS0_18inequality_wrapperIN6hipcub16HIPCUB_304000_NS8EqualityEEEPlJS6_EEE10hipError_tPvRmT3_T4_T5_T6_T7_T9_mT8_P12ihipStream_tbDpT10_ENKUlT_T0_E_clISt17integral_constantIbLb1EES16_IbLb0EEEEDaS12_S13_EUlS12_E_NS1_11comp_targetILNS1_3genE0ELNS1_11target_archE4294967295ELNS1_3gpuE0ELNS1_3repE0EEENS1_30default_config_static_selectorELNS0_4arch9wavefront6targetE1EEEvT1_,"axG",@progbits,_ZN7rocprim17ROCPRIM_400000_NS6detail17trampoline_kernelINS0_14default_configENS1_25partition_config_selectorILNS1_17partition_subalgoE8EfNS0_10empty_typeEbEEZZNS1_14partition_implILS5_8ELb0ES3_jPKfPS6_PKS6_NS0_5tupleIJPfS6_EEENSE_IJSB_SB_EEENS0_18inequality_wrapperIN6hipcub16HIPCUB_304000_NS8EqualityEEEPlJS6_EEE10hipError_tPvRmT3_T4_T5_T6_T7_T9_mT8_P12ihipStream_tbDpT10_ENKUlT_T0_E_clISt17integral_constantIbLb1EES16_IbLb0EEEEDaS12_S13_EUlS12_E_NS1_11comp_targetILNS1_3genE0ELNS1_11target_archE4294967295ELNS1_3gpuE0ELNS1_3repE0EEENS1_30default_config_static_selectorELNS0_4arch9wavefront6targetE1EEEvT1_,comdat
	.protected	_ZN7rocprim17ROCPRIM_400000_NS6detail17trampoline_kernelINS0_14default_configENS1_25partition_config_selectorILNS1_17partition_subalgoE8EfNS0_10empty_typeEbEEZZNS1_14partition_implILS5_8ELb0ES3_jPKfPS6_PKS6_NS0_5tupleIJPfS6_EEENSE_IJSB_SB_EEENS0_18inequality_wrapperIN6hipcub16HIPCUB_304000_NS8EqualityEEEPlJS6_EEE10hipError_tPvRmT3_T4_T5_T6_T7_T9_mT8_P12ihipStream_tbDpT10_ENKUlT_T0_E_clISt17integral_constantIbLb1EES16_IbLb0EEEEDaS12_S13_EUlS12_E_NS1_11comp_targetILNS1_3genE0ELNS1_11target_archE4294967295ELNS1_3gpuE0ELNS1_3repE0EEENS1_30default_config_static_selectorELNS0_4arch9wavefront6targetE1EEEvT1_ ; -- Begin function _ZN7rocprim17ROCPRIM_400000_NS6detail17trampoline_kernelINS0_14default_configENS1_25partition_config_selectorILNS1_17partition_subalgoE8EfNS0_10empty_typeEbEEZZNS1_14partition_implILS5_8ELb0ES3_jPKfPS6_PKS6_NS0_5tupleIJPfS6_EEENSE_IJSB_SB_EEENS0_18inequality_wrapperIN6hipcub16HIPCUB_304000_NS8EqualityEEEPlJS6_EEE10hipError_tPvRmT3_T4_T5_T6_T7_T9_mT8_P12ihipStream_tbDpT10_ENKUlT_T0_E_clISt17integral_constantIbLb1EES16_IbLb0EEEEDaS12_S13_EUlS12_E_NS1_11comp_targetILNS1_3genE0ELNS1_11target_archE4294967295ELNS1_3gpuE0ELNS1_3repE0EEENS1_30default_config_static_selectorELNS0_4arch9wavefront6targetE1EEEvT1_
	.globl	_ZN7rocprim17ROCPRIM_400000_NS6detail17trampoline_kernelINS0_14default_configENS1_25partition_config_selectorILNS1_17partition_subalgoE8EfNS0_10empty_typeEbEEZZNS1_14partition_implILS5_8ELb0ES3_jPKfPS6_PKS6_NS0_5tupleIJPfS6_EEENSE_IJSB_SB_EEENS0_18inequality_wrapperIN6hipcub16HIPCUB_304000_NS8EqualityEEEPlJS6_EEE10hipError_tPvRmT3_T4_T5_T6_T7_T9_mT8_P12ihipStream_tbDpT10_ENKUlT_T0_E_clISt17integral_constantIbLb1EES16_IbLb0EEEEDaS12_S13_EUlS12_E_NS1_11comp_targetILNS1_3genE0ELNS1_11target_archE4294967295ELNS1_3gpuE0ELNS1_3repE0EEENS1_30default_config_static_selectorELNS0_4arch9wavefront6targetE1EEEvT1_
	.p2align	8
	.type	_ZN7rocprim17ROCPRIM_400000_NS6detail17trampoline_kernelINS0_14default_configENS1_25partition_config_selectorILNS1_17partition_subalgoE8EfNS0_10empty_typeEbEEZZNS1_14partition_implILS5_8ELb0ES3_jPKfPS6_PKS6_NS0_5tupleIJPfS6_EEENSE_IJSB_SB_EEENS0_18inequality_wrapperIN6hipcub16HIPCUB_304000_NS8EqualityEEEPlJS6_EEE10hipError_tPvRmT3_T4_T5_T6_T7_T9_mT8_P12ihipStream_tbDpT10_ENKUlT_T0_E_clISt17integral_constantIbLb1EES16_IbLb0EEEEDaS12_S13_EUlS12_E_NS1_11comp_targetILNS1_3genE0ELNS1_11target_archE4294967295ELNS1_3gpuE0ELNS1_3repE0EEENS1_30default_config_static_selectorELNS0_4arch9wavefront6targetE1EEEvT1_,@function
_ZN7rocprim17ROCPRIM_400000_NS6detail17trampoline_kernelINS0_14default_configENS1_25partition_config_selectorILNS1_17partition_subalgoE8EfNS0_10empty_typeEbEEZZNS1_14partition_implILS5_8ELb0ES3_jPKfPS6_PKS6_NS0_5tupleIJPfS6_EEENSE_IJSB_SB_EEENS0_18inequality_wrapperIN6hipcub16HIPCUB_304000_NS8EqualityEEEPlJS6_EEE10hipError_tPvRmT3_T4_T5_T6_T7_T9_mT8_P12ihipStream_tbDpT10_ENKUlT_T0_E_clISt17integral_constantIbLb1EES16_IbLb0EEEEDaS12_S13_EUlS12_E_NS1_11comp_targetILNS1_3genE0ELNS1_11target_archE4294967295ELNS1_3gpuE0ELNS1_3repE0EEENS1_30default_config_static_selectorELNS0_4arch9wavefront6targetE1EEEvT1_: ; @_ZN7rocprim17ROCPRIM_400000_NS6detail17trampoline_kernelINS0_14default_configENS1_25partition_config_selectorILNS1_17partition_subalgoE8EfNS0_10empty_typeEbEEZZNS1_14partition_implILS5_8ELb0ES3_jPKfPS6_PKS6_NS0_5tupleIJPfS6_EEENSE_IJSB_SB_EEENS0_18inequality_wrapperIN6hipcub16HIPCUB_304000_NS8EqualityEEEPlJS6_EEE10hipError_tPvRmT3_T4_T5_T6_T7_T9_mT8_P12ihipStream_tbDpT10_ENKUlT_T0_E_clISt17integral_constantIbLb1EES16_IbLb0EEEEDaS12_S13_EUlS12_E_NS1_11comp_targetILNS1_3genE0ELNS1_11target_archE4294967295ELNS1_3gpuE0ELNS1_3repE0EEENS1_30default_config_static_selectorELNS0_4arch9wavefront6targetE1EEEvT1_
; %bb.0:
	.section	.rodata,"a",@progbits
	.p2align	6, 0x0
	.amdhsa_kernel _ZN7rocprim17ROCPRIM_400000_NS6detail17trampoline_kernelINS0_14default_configENS1_25partition_config_selectorILNS1_17partition_subalgoE8EfNS0_10empty_typeEbEEZZNS1_14partition_implILS5_8ELb0ES3_jPKfPS6_PKS6_NS0_5tupleIJPfS6_EEENSE_IJSB_SB_EEENS0_18inequality_wrapperIN6hipcub16HIPCUB_304000_NS8EqualityEEEPlJS6_EEE10hipError_tPvRmT3_T4_T5_T6_T7_T9_mT8_P12ihipStream_tbDpT10_ENKUlT_T0_E_clISt17integral_constantIbLb1EES16_IbLb0EEEEDaS12_S13_EUlS12_E_NS1_11comp_targetILNS1_3genE0ELNS1_11target_archE4294967295ELNS1_3gpuE0ELNS1_3repE0EEENS1_30default_config_static_selectorELNS0_4arch9wavefront6targetE1EEEvT1_
		.amdhsa_group_segment_fixed_size 0
		.amdhsa_private_segment_fixed_size 0
		.amdhsa_kernarg_size 112
		.amdhsa_user_sgpr_count 6
		.amdhsa_user_sgpr_private_segment_buffer 1
		.amdhsa_user_sgpr_dispatch_ptr 0
		.amdhsa_user_sgpr_queue_ptr 0
		.amdhsa_user_sgpr_kernarg_segment_ptr 1
		.amdhsa_user_sgpr_dispatch_id 0
		.amdhsa_user_sgpr_flat_scratch_init 0
		.amdhsa_user_sgpr_kernarg_preload_length 0
		.amdhsa_user_sgpr_kernarg_preload_offset 0
		.amdhsa_user_sgpr_private_segment_size 0
		.amdhsa_uses_dynamic_stack 0
		.amdhsa_system_sgpr_private_segment_wavefront_offset 0
		.amdhsa_system_sgpr_workgroup_id_x 1
		.amdhsa_system_sgpr_workgroup_id_y 0
		.amdhsa_system_sgpr_workgroup_id_z 0
		.amdhsa_system_sgpr_workgroup_info 0
		.amdhsa_system_vgpr_workitem_id 0
		.amdhsa_next_free_vgpr 1
		.amdhsa_next_free_sgpr 0
		.amdhsa_accum_offset 4
		.amdhsa_reserve_vcc 0
		.amdhsa_reserve_flat_scratch 0
		.amdhsa_float_round_mode_32 0
		.amdhsa_float_round_mode_16_64 0
		.amdhsa_float_denorm_mode_32 3
		.amdhsa_float_denorm_mode_16_64 3
		.amdhsa_dx10_clamp 1
		.amdhsa_ieee_mode 1
		.amdhsa_fp16_overflow 0
		.amdhsa_tg_split 0
		.amdhsa_exception_fp_ieee_invalid_op 0
		.amdhsa_exception_fp_denorm_src 0
		.amdhsa_exception_fp_ieee_div_zero 0
		.amdhsa_exception_fp_ieee_overflow 0
		.amdhsa_exception_fp_ieee_underflow 0
		.amdhsa_exception_fp_ieee_inexact 0
		.amdhsa_exception_int_div_zero 0
	.end_amdhsa_kernel
	.section	.text._ZN7rocprim17ROCPRIM_400000_NS6detail17trampoline_kernelINS0_14default_configENS1_25partition_config_selectorILNS1_17partition_subalgoE8EfNS0_10empty_typeEbEEZZNS1_14partition_implILS5_8ELb0ES3_jPKfPS6_PKS6_NS0_5tupleIJPfS6_EEENSE_IJSB_SB_EEENS0_18inequality_wrapperIN6hipcub16HIPCUB_304000_NS8EqualityEEEPlJS6_EEE10hipError_tPvRmT3_T4_T5_T6_T7_T9_mT8_P12ihipStream_tbDpT10_ENKUlT_T0_E_clISt17integral_constantIbLb1EES16_IbLb0EEEEDaS12_S13_EUlS12_E_NS1_11comp_targetILNS1_3genE0ELNS1_11target_archE4294967295ELNS1_3gpuE0ELNS1_3repE0EEENS1_30default_config_static_selectorELNS0_4arch9wavefront6targetE1EEEvT1_,"axG",@progbits,_ZN7rocprim17ROCPRIM_400000_NS6detail17trampoline_kernelINS0_14default_configENS1_25partition_config_selectorILNS1_17partition_subalgoE8EfNS0_10empty_typeEbEEZZNS1_14partition_implILS5_8ELb0ES3_jPKfPS6_PKS6_NS0_5tupleIJPfS6_EEENSE_IJSB_SB_EEENS0_18inequality_wrapperIN6hipcub16HIPCUB_304000_NS8EqualityEEEPlJS6_EEE10hipError_tPvRmT3_T4_T5_T6_T7_T9_mT8_P12ihipStream_tbDpT10_ENKUlT_T0_E_clISt17integral_constantIbLb1EES16_IbLb0EEEEDaS12_S13_EUlS12_E_NS1_11comp_targetILNS1_3genE0ELNS1_11target_archE4294967295ELNS1_3gpuE0ELNS1_3repE0EEENS1_30default_config_static_selectorELNS0_4arch9wavefront6targetE1EEEvT1_,comdat
.Lfunc_end357:
	.size	_ZN7rocprim17ROCPRIM_400000_NS6detail17trampoline_kernelINS0_14default_configENS1_25partition_config_selectorILNS1_17partition_subalgoE8EfNS0_10empty_typeEbEEZZNS1_14partition_implILS5_8ELb0ES3_jPKfPS6_PKS6_NS0_5tupleIJPfS6_EEENSE_IJSB_SB_EEENS0_18inequality_wrapperIN6hipcub16HIPCUB_304000_NS8EqualityEEEPlJS6_EEE10hipError_tPvRmT3_T4_T5_T6_T7_T9_mT8_P12ihipStream_tbDpT10_ENKUlT_T0_E_clISt17integral_constantIbLb1EES16_IbLb0EEEEDaS12_S13_EUlS12_E_NS1_11comp_targetILNS1_3genE0ELNS1_11target_archE4294967295ELNS1_3gpuE0ELNS1_3repE0EEENS1_30default_config_static_selectorELNS0_4arch9wavefront6targetE1EEEvT1_, .Lfunc_end357-_ZN7rocprim17ROCPRIM_400000_NS6detail17trampoline_kernelINS0_14default_configENS1_25partition_config_selectorILNS1_17partition_subalgoE8EfNS0_10empty_typeEbEEZZNS1_14partition_implILS5_8ELb0ES3_jPKfPS6_PKS6_NS0_5tupleIJPfS6_EEENSE_IJSB_SB_EEENS0_18inequality_wrapperIN6hipcub16HIPCUB_304000_NS8EqualityEEEPlJS6_EEE10hipError_tPvRmT3_T4_T5_T6_T7_T9_mT8_P12ihipStream_tbDpT10_ENKUlT_T0_E_clISt17integral_constantIbLb1EES16_IbLb0EEEEDaS12_S13_EUlS12_E_NS1_11comp_targetILNS1_3genE0ELNS1_11target_archE4294967295ELNS1_3gpuE0ELNS1_3repE0EEENS1_30default_config_static_selectorELNS0_4arch9wavefront6targetE1EEEvT1_
                                        ; -- End function
	.section	.AMDGPU.csdata,"",@progbits
; Kernel info:
; codeLenInByte = 0
; NumSgprs: 4
; NumVgprs: 0
; NumAgprs: 0
; TotalNumVgprs: 0
; ScratchSize: 0
; MemoryBound: 0
; FloatMode: 240
; IeeeMode: 1
; LDSByteSize: 0 bytes/workgroup (compile time only)
; SGPRBlocks: 0
; VGPRBlocks: 0
; NumSGPRsForWavesPerEU: 4
; NumVGPRsForWavesPerEU: 1
; AccumOffset: 4
; Occupancy: 8
; WaveLimiterHint : 0
; COMPUTE_PGM_RSRC2:SCRATCH_EN: 0
; COMPUTE_PGM_RSRC2:USER_SGPR: 6
; COMPUTE_PGM_RSRC2:TRAP_HANDLER: 0
; COMPUTE_PGM_RSRC2:TGID_X_EN: 1
; COMPUTE_PGM_RSRC2:TGID_Y_EN: 0
; COMPUTE_PGM_RSRC2:TGID_Z_EN: 0
; COMPUTE_PGM_RSRC2:TIDIG_COMP_CNT: 0
; COMPUTE_PGM_RSRC3_GFX90A:ACCUM_OFFSET: 0
; COMPUTE_PGM_RSRC3_GFX90A:TG_SPLIT: 0
	.section	.text._ZN7rocprim17ROCPRIM_400000_NS6detail17trampoline_kernelINS0_14default_configENS1_25partition_config_selectorILNS1_17partition_subalgoE8EfNS0_10empty_typeEbEEZZNS1_14partition_implILS5_8ELb0ES3_jPKfPS6_PKS6_NS0_5tupleIJPfS6_EEENSE_IJSB_SB_EEENS0_18inequality_wrapperIN6hipcub16HIPCUB_304000_NS8EqualityEEEPlJS6_EEE10hipError_tPvRmT3_T4_T5_T6_T7_T9_mT8_P12ihipStream_tbDpT10_ENKUlT_T0_E_clISt17integral_constantIbLb1EES16_IbLb0EEEEDaS12_S13_EUlS12_E_NS1_11comp_targetILNS1_3genE5ELNS1_11target_archE942ELNS1_3gpuE9ELNS1_3repE0EEENS1_30default_config_static_selectorELNS0_4arch9wavefront6targetE1EEEvT1_,"axG",@progbits,_ZN7rocprim17ROCPRIM_400000_NS6detail17trampoline_kernelINS0_14default_configENS1_25partition_config_selectorILNS1_17partition_subalgoE8EfNS0_10empty_typeEbEEZZNS1_14partition_implILS5_8ELb0ES3_jPKfPS6_PKS6_NS0_5tupleIJPfS6_EEENSE_IJSB_SB_EEENS0_18inequality_wrapperIN6hipcub16HIPCUB_304000_NS8EqualityEEEPlJS6_EEE10hipError_tPvRmT3_T4_T5_T6_T7_T9_mT8_P12ihipStream_tbDpT10_ENKUlT_T0_E_clISt17integral_constantIbLb1EES16_IbLb0EEEEDaS12_S13_EUlS12_E_NS1_11comp_targetILNS1_3genE5ELNS1_11target_archE942ELNS1_3gpuE9ELNS1_3repE0EEENS1_30default_config_static_selectorELNS0_4arch9wavefront6targetE1EEEvT1_,comdat
	.protected	_ZN7rocprim17ROCPRIM_400000_NS6detail17trampoline_kernelINS0_14default_configENS1_25partition_config_selectorILNS1_17partition_subalgoE8EfNS0_10empty_typeEbEEZZNS1_14partition_implILS5_8ELb0ES3_jPKfPS6_PKS6_NS0_5tupleIJPfS6_EEENSE_IJSB_SB_EEENS0_18inequality_wrapperIN6hipcub16HIPCUB_304000_NS8EqualityEEEPlJS6_EEE10hipError_tPvRmT3_T4_T5_T6_T7_T9_mT8_P12ihipStream_tbDpT10_ENKUlT_T0_E_clISt17integral_constantIbLb1EES16_IbLb0EEEEDaS12_S13_EUlS12_E_NS1_11comp_targetILNS1_3genE5ELNS1_11target_archE942ELNS1_3gpuE9ELNS1_3repE0EEENS1_30default_config_static_selectorELNS0_4arch9wavefront6targetE1EEEvT1_ ; -- Begin function _ZN7rocprim17ROCPRIM_400000_NS6detail17trampoline_kernelINS0_14default_configENS1_25partition_config_selectorILNS1_17partition_subalgoE8EfNS0_10empty_typeEbEEZZNS1_14partition_implILS5_8ELb0ES3_jPKfPS6_PKS6_NS0_5tupleIJPfS6_EEENSE_IJSB_SB_EEENS0_18inequality_wrapperIN6hipcub16HIPCUB_304000_NS8EqualityEEEPlJS6_EEE10hipError_tPvRmT3_T4_T5_T6_T7_T9_mT8_P12ihipStream_tbDpT10_ENKUlT_T0_E_clISt17integral_constantIbLb1EES16_IbLb0EEEEDaS12_S13_EUlS12_E_NS1_11comp_targetILNS1_3genE5ELNS1_11target_archE942ELNS1_3gpuE9ELNS1_3repE0EEENS1_30default_config_static_selectorELNS0_4arch9wavefront6targetE1EEEvT1_
	.globl	_ZN7rocprim17ROCPRIM_400000_NS6detail17trampoline_kernelINS0_14default_configENS1_25partition_config_selectorILNS1_17partition_subalgoE8EfNS0_10empty_typeEbEEZZNS1_14partition_implILS5_8ELb0ES3_jPKfPS6_PKS6_NS0_5tupleIJPfS6_EEENSE_IJSB_SB_EEENS0_18inequality_wrapperIN6hipcub16HIPCUB_304000_NS8EqualityEEEPlJS6_EEE10hipError_tPvRmT3_T4_T5_T6_T7_T9_mT8_P12ihipStream_tbDpT10_ENKUlT_T0_E_clISt17integral_constantIbLb1EES16_IbLb0EEEEDaS12_S13_EUlS12_E_NS1_11comp_targetILNS1_3genE5ELNS1_11target_archE942ELNS1_3gpuE9ELNS1_3repE0EEENS1_30default_config_static_selectorELNS0_4arch9wavefront6targetE1EEEvT1_
	.p2align	8
	.type	_ZN7rocprim17ROCPRIM_400000_NS6detail17trampoline_kernelINS0_14default_configENS1_25partition_config_selectorILNS1_17partition_subalgoE8EfNS0_10empty_typeEbEEZZNS1_14partition_implILS5_8ELb0ES3_jPKfPS6_PKS6_NS0_5tupleIJPfS6_EEENSE_IJSB_SB_EEENS0_18inequality_wrapperIN6hipcub16HIPCUB_304000_NS8EqualityEEEPlJS6_EEE10hipError_tPvRmT3_T4_T5_T6_T7_T9_mT8_P12ihipStream_tbDpT10_ENKUlT_T0_E_clISt17integral_constantIbLb1EES16_IbLb0EEEEDaS12_S13_EUlS12_E_NS1_11comp_targetILNS1_3genE5ELNS1_11target_archE942ELNS1_3gpuE9ELNS1_3repE0EEENS1_30default_config_static_selectorELNS0_4arch9wavefront6targetE1EEEvT1_,@function
_ZN7rocprim17ROCPRIM_400000_NS6detail17trampoline_kernelINS0_14default_configENS1_25partition_config_selectorILNS1_17partition_subalgoE8EfNS0_10empty_typeEbEEZZNS1_14partition_implILS5_8ELb0ES3_jPKfPS6_PKS6_NS0_5tupleIJPfS6_EEENSE_IJSB_SB_EEENS0_18inequality_wrapperIN6hipcub16HIPCUB_304000_NS8EqualityEEEPlJS6_EEE10hipError_tPvRmT3_T4_T5_T6_T7_T9_mT8_P12ihipStream_tbDpT10_ENKUlT_T0_E_clISt17integral_constantIbLb1EES16_IbLb0EEEEDaS12_S13_EUlS12_E_NS1_11comp_targetILNS1_3genE5ELNS1_11target_archE942ELNS1_3gpuE9ELNS1_3repE0EEENS1_30default_config_static_selectorELNS0_4arch9wavefront6targetE1EEEvT1_: ; @_ZN7rocprim17ROCPRIM_400000_NS6detail17trampoline_kernelINS0_14default_configENS1_25partition_config_selectorILNS1_17partition_subalgoE8EfNS0_10empty_typeEbEEZZNS1_14partition_implILS5_8ELb0ES3_jPKfPS6_PKS6_NS0_5tupleIJPfS6_EEENSE_IJSB_SB_EEENS0_18inequality_wrapperIN6hipcub16HIPCUB_304000_NS8EqualityEEEPlJS6_EEE10hipError_tPvRmT3_T4_T5_T6_T7_T9_mT8_P12ihipStream_tbDpT10_ENKUlT_T0_E_clISt17integral_constantIbLb1EES16_IbLb0EEEEDaS12_S13_EUlS12_E_NS1_11comp_targetILNS1_3genE5ELNS1_11target_archE942ELNS1_3gpuE9ELNS1_3repE0EEENS1_30default_config_static_selectorELNS0_4arch9wavefront6targetE1EEEvT1_
; %bb.0:
	.section	.rodata,"a",@progbits
	.p2align	6, 0x0
	.amdhsa_kernel _ZN7rocprim17ROCPRIM_400000_NS6detail17trampoline_kernelINS0_14default_configENS1_25partition_config_selectorILNS1_17partition_subalgoE8EfNS0_10empty_typeEbEEZZNS1_14partition_implILS5_8ELb0ES3_jPKfPS6_PKS6_NS0_5tupleIJPfS6_EEENSE_IJSB_SB_EEENS0_18inequality_wrapperIN6hipcub16HIPCUB_304000_NS8EqualityEEEPlJS6_EEE10hipError_tPvRmT3_T4_T5_T6_T7_T9_mT8_P12ihipStream_tbDpT10_ENKUlT_T0_E_clISt17integral_constantIbLb1EES16_IbLb0EEEEDaS12_S13_EUlS12_E_NS1_11comp_targetILNS1_3genE5ELNS1_11target_archE942ELNS1_3gpuE9ELNS1_3repE0EEENS1_30default_config_static_selectorELNS0_4arch9wavefront6targetE1EEEvT1_
		.amdhsa_group_segment_fixed_size 0
		.amdhsa_private_segment_fixed_size 0
		.amdhsa_kernarg_size 112
		.amdhsa_user_sgpr_count 6
		.amdhsa_user_sgpr_private_segment_buffer 1
		.amdhsa_user_sgpr_dispatch_ptr 0
		.amdhsa_user_sgpr_queue_ptr 0
		.amdhsa_user_sgpr_kernarg_segment_ptr 1
		.amdhsa_user_sgpr_dispatch_id 0
		.amdhsa_user_sgpr_flat_scratch_init 0
		.amdhsa_user_sgpr_kernarg_preload_length 0
		.amdhsa_user_sgpr_kernarg_preload_offset 0
		.amdhsa_user_sgpr_private_segment_size 0
		.amdhsa_uses_dynamic_stack 0
		.amdhsa_system_sgpr_private_segment_wavefront_offset 0
		.amdhsa_system_sgpr_workgroup_id_x 1
		.amdhsa_system_sgpr_workgroup_id_y 0
		.amdhsa_system_sgpr_workgroup_id_z 0
		.amdhsa_system_sgpr_workgroup_info 0
		.amdhsa_system_vgpr_workitem_id 0
		.amdhsa_next_free_vgpr 1
		.amdhsa_next_free_sgpr 0
		.amdhsa_accum_offset 4
		.amdhsa_reserve_vcc 0
		.amdhsa_reserve_flat_scratch 0
		.amdhsa_float_round_mode_32 0
		.amdhsa_float_round_mode_16_64 0
		.amdhsa_float_denorm_mode_32 3
		.amdhsa_float_denorm_mode_16_64 3
		.amdhsa_dx10_clamp 1
		.amdhsa_ieee_mode 1
		.amdhsa_fp16_overflow 0
		.amdhsa_tg_split 0
		.amdhsa_exception_fp_ieee_invalid_op 0
		.amdhsa_exception_fp_denorm_src 0
		.amdhsa_exception_fp_ieee_div_zero 0
		.amdhsa_exception_fp_ieee_overflow 0
		.amdhsa_exception_fp_ieee_underflow 0
		.amdhsa_exception_fp_ieee_inexact 0
		.amdhsa_exception_int_div_zero 0
	.end_amdhsa_kernel
	.section	.text._ZN7rocprim17ROCPRIM_400000_NS6detail17trampoline_kernelINS0_14default_configENS1_25partition_config_selectorILNS1_17partition_subalgoE8EfNS0_10empty_typeEbEEZZNS1_14partition_implILS5_8ELb0ES3_jPKfPS6_PKS6_NS0_5tupleIJPfS6_EEENSE_IJSB_SB_EEENS0_18inequality_wrapperIN6hipcub16HIPCUB_304000_NS8EqualityEEEPlJS6_EEE10hipError_tPvRmT3_T4_T5_T6_T7_T9_mT8_P12ihipStream_tbDpT10_ENKUlT_T0_E_clISt17integral_constantIbLb1EES16_IbLb0EEEEDaS12_S13_EUlS12_E_NS1_11comp_targetILNS1_3genE5ELNS1_11target_archE942ELNS1_3gpuE9ELNS1_3repE0EEENS1_30default_config_static_selectorELNS0_4arch9wavefront6targetE1EEEvT1_,"axG",@progbits,_ZN7rocprim17ROCPRIM_400000_NS6detail17trampoline_kernelINS0_14default_configENS1_25partition_config_selectorILNS1_17partition_subalgoE8EfNS0_10empty_typeEbEEZZNS1_14partition_implILS5_8ELb0ES3_jPKfPS6_PKS6_NS0_5tupleIJPfS6_EEENSE_IJSB_SB_EEENS0_18inequality_wrapperIN6hipcub16HIPCUB_304000_NS8EqualityEEEPlJS6_EEE10hipError_tPvRmT3_T4_T5_T6_T7_T9_mT8_P12ihipStream_tbDpT10_ENKUlT_T0_E_clISt17integral_constantIbLb1EES16_IbLb0EEEEDaS12_S13_EUlS12_E_NS1_11comp_targetILNS1_3genE5ELNS1_11target_archE942ELNS1_3gpuE9ELNS1_3repE0EEENS1_30default_config_static_selectorELNS0_4arch9wavefront6targetE1EEEvT1_,comdat
.Lfunc_end358:
	.size	_ZN7rocprim17ROCPRIM_400000_NS6detail17trampoline_kernelINS0_14default_configENS1_25partition_config_selectorILNS1_17partition_subalgoE8EfNS0_10empty_typeEbEEZZNS1_14partition_implILS5_8ELb0ES3_jPKfPS6_PKS6_NS0_5tupleIJPfS6_EEENSE_IJSB_SB_EEENS0_18inequality_wrapperIN6hipcub16HIPCUB_304000_NS8EqualityEEEPlJS6_EEE10hipError_tPvRmT3_T4_T5_T6_T7_T9_mT8_P12ihipStream_tbDpT10_ENKUlT_T0_E_clISt17integral_constantIbLb1EES16_IbLb0EEEEDaS12_S13_EUlS12_E_NS1_11comp_targetILNS1_3genE5ELNS1_11target_archE942ELNS1_3gpuE9ELNS1_3repE0EEENS1_30default_config_static_selectorELNS0_4arch9wavefront6targetE1EEEvT1_, .Lfunc_end358-_ZN7rocprim17ROCPRIM_400000_NS6detail17trampoline_kernelINS0_14default_configENS1_25partition_config_selectorILNS1_17partition_subalgoE8EfNS0_10empty_typeEbEEZZNS1_14partition_implILS5_8ELb0ES3_jPKfPS6_PKS6_NS0_5tupleIJPfS6_EEENSE_IJSB_SB_EEENS0_18inequality_wrapperIN6hipcub16HIPCUB_304000_NS8EqualityEEEPlJS6_EEE10hipError_tPvRmT3_T4_T5_T6_T7_T9_mT8_P12ihipStream_tbDpT10_ENKUlT_T0_E_clISt17integral_constantIbLb1EES16_IbLb0EEEEDaS12_S13_EUlS12_E_NS1_11comp_targetILNS1_3genE5ELNS1_11target_archE942ELNS1_3gpuE9ELNS1_3repE0EEENS1_30default_config_static_selectorELNS0_4arch9wavefront6targetE1EEEvT1_
                                        ; -- End function
	.section	.AMDGPU.csdata,"",@progbits
; Kernel info:
; codeLenInByte = 0
; NumSgprs: 4
; NumVgprs: 0
; NumAgprs: 0
; TotalNumVgprs: 0
; ScratchSize: 0
; MemoryBound: 0
; FloatMode: 240
; IeeeMode: 1
; LDSByteSize: 0 bytes/workgroup (compile time only)
; SGPRBlocks: 0
; VGPRBlocks: 0
; NumSGPRsForWavesPerEU: 4
; NumVGPRsForWavesPerEU: 1
; AccumOffset: 4
; Occupancy: 8
; WaveLimiterHint : 0
; COMPUTE_PGM_RSRC2:SCRATCH_EN: 0
; COMPUTE_PGM_RSRC2:USER_SGPR: 6
; COMPUTE_PGM_RSRC2:TRAP_HANDLER: 0
; COMPUTE_PGM_RSRC2:TGID_X_EN: 1
; COMPUTE_PGM_RSRC2:TGID_Y_EN: 0
; COMPUTE_PGM_RSRC2:TGID_Z_EN: 0
; COMPUTE_PGM_RSRC2:TIDIG_COMP_CNT: 0
; COMPUTE_PGM_RSRC3_GFX90A:ACCUM_OFFSET: 0
; COMPUTE_PGM_RSRC3_GFX90A:TG_SPLIT: 0
	.section	.text._ZN7rocprim17ROCPRIM_400000_NS6detail17trampoline_kernelINS0_14default_configENS1_25partition_config_selectorILNS1_17partition_subalgoE8EfNS0_10empty_typeEbEEZZNS1_14partition_implILS5_8ELb0ES3_jPKfPS6_PKS6_NS0_5tupleIJPfS6_EEENSE_IJSB_SB_EEENS0_18inequality_wrapperIN6hipcub16HIPCUB_304000_NS8EqualityEEEPlJS6_EEE10hipError_tPvRmT3_T4_T5_T6_T7_T9_mT8_P12ihipStream_tbDpT10_ENKUlT_T0_E_clISt17integral_constantIbLb1EES16_IbLb0EEEEDaS12_S13_EUlS12_E_NS1_11comp_targetILNS1_3genE4ELNS1_11target_archE910ELNS1_3gpuE8ELNS1_3repE0EEENS1_30default_config_static_selectorELNS0_4arch9wavefront6targetE1EEEvT1_,"axG",@progbits,_ZN7rocprim17ROCPRIM_400000_NS6detail17trampoline_kernelINS0_14default_configENS1_25partition_config_selectorILNS1_17partition_subalgoE8EfNS0_10empty_typeEbEEZZNS1_14partition_implILS5_8ELb0ES3_jPKfPS6_PKS6_NS0_5tupleIJPfS6_EEENSE_IJSB_SB_EEENS0_18inequality_wrapperIN6hipcub16HIPCUB_304000_NS8EqualityEEEPlJS6_EEE10hipError_tPvRmT3_T4_T5_T6_T7_T9_mT8_P12ihipStream_tbDpT10_ENKUlT_T0_E_clISt17integral_constantIbLb1EES16_IbLb0EEEEDaS12_S13_EUlS12_E_NS1_11comp_targetILNS1_3genE4ELNS1_11target_archE910ELNS1_3gpuE8ELNS1_3repE0EEENS1_30default_config_static_selectorELNS0_4arch9wavefront6targetE1EEEvT1_,comdat
	.protected	_ZN7rocprim17ROCPRIM_400000_NS6detail17trampoline_kernelINS0_14default_configENS1_25partition_config_selectorILNS1_17partition_subalgoE8EfNS0_10empty_typeEbEEZZNS1_14partition_implILS5_8ELb0ES3_jPKfPS6_PKS6_NS0_5tupleIJPfS6_EEENSE_IJSB_SB_EEENS0_18inequality_wrapperIN6hipcub16HIPCUB_304000_NS8EqualityEEEPlJS6_EEE10hipError_tPvRmT3_T4_T5_T6_T7_T9_mT8_P12ihipStream_tbDpT10_ENKUlT_T0_E_clISt17integral_constantIbLb1EES16_IbLb0EEEEDaS12_S13_EUlS12_E_NS1_11comp_targetILNS1_3genE4ELNS1_11target_archE910ELNS1_3gpuE8ELNS1_3repE0EEENS1_30default_config_static_selectorELNS0_4arch9wavefront6targetE1EEEvT1_ ; -- Begin function _ZN7rocprim17ROCPRIM_400000_NS6detail17trampoline_kernelINS0_14default_configENS1_25partition_config_selectorILNS1_17partition_subalgoE8EfNS0_10empty_typeEbEEZZNS1_14partition_implILS5_8ELb0ES3_jPKfPS6_PKS6_NS0_5tupleIJPfS6_EEENSE_IJSB_SB_EEENS0_18inequality_wrapperIN6hipcub16HIPCUB_304000_NS8EqualityEEEPlJS6_EEE10hipError_tPvRmT3_T4_T5_T6_T7_T9_mT8_P12ihipStream_tbDpT10_ENKUlT_T0_E_clISt17integral_constantIbLb1EES16_IbLb0EEEEDaS12_S13_EUlS12_E_NS1_11comp_targetILNS1_3genE4ELNS1_11target_archE910ELNS1_3gpuE8ELNS1_3repE0EEENS1_30default_config_static_selectorELNS0_4arch9wavefront6targetE1EEEvT1_
	.globl	_ZN7rocprim17ROCPRIM_400000_NS6detail17trampoline_kernelINS0_14default_configENS1_25partition_config_selectorILNS1_17partition_subalgoE8EfNS0_10empty_typeEbEEZZNS1_14partition_implILS5_8ELb0ES3_jPKfPS6_PKS6_NS0_5tupleIJPfS6_EEENSE_IJSB_SB_EEENS0_18inequality_wrapperIN6hipcub16HIPCUB_304000_NS8EqualityEEEPlJS6_EEE10hipError_tPvRmT3_T4_T5_T6_T7_T9_mT8_P12ihipStream_tbDpT10_ENKUlT_T0_E_clISt17integral_constantIbLb1EES16_IbLb0EEEEDaS12_S13_EUlS12_E_NS1_11comp_targetILNS1_3genE4ELNS1_11target_archE910ELNS1_3gpuE8ELNS1_3repE0EEENS1_30default_config_static_selectorELNS0_4arch9wavefront6targetE1EEEvT1_
	.p2align	8
	.type	_ZN7rocprim17ROCPRIM_400000_NS6detail17trampoline_kernelINS0_14default_configENS1_25partition_config_selectorILNS1_17partition_subalgoE8EfNS0_10empty_typeEbEEZZNS1_14partition_implILS5_8ELb0ES3_jPKfPS6_PKS6_NS0_5tupleIJPfS6_EEENSE_IJSB_SB_EEENS0_18inequality_wrapperIN6hipcub16HIPCUB_304000_NS8EqualityEEEPlJS6_EEE10hipError_tPvRmT3_T4_T5_T6_T7_T9_mT8_P12ihipStream_tbDpT10_ENKUlT_T0_E_clISt17integral_constantIbLb1EES16_IbLb0EEEEDaS12_S13_EUlS12_E_NS1_11comp_targetILNS1_3genE4ELNS1_11target_archE910ELNS1_3gpuE8ELNS1_3repE0EEENS1_30default_config_static_selectorELNS0_4arch9wavefront6targetE1EEEvT1_,@function
_ZN7rocprim17ROCPRIM_400000_NS6detail17trampoline_kernelINS0_14default_configENS1_25partition_config_selectorILNS1_17partition_subalgoE8EfNS0_10empty_typeEbEEZZNS1_14partition_implILS5_8ELb0ES3_jPKfPS6_PKS6_NS0_5tupleIJPfS6_EEENSE_IJSB_SB_EEENS0_18inequality_wrapperIN6hipcub16HIPCUB_304000_NS8EqualityEEEPlJS6_EEE10hipError_tPvRmT3_T4_T5_T6_T7_T9_mT8_P12ihipStream_tbDpT10_ENKUlT_T0_E_clISt17integral_constantIbLb1EES16_IbLb0EEEEDaS12_S13_EUlS12_E_NS1_11comp_targetILNS1_3genE4ELNS1_11target_archE910ELNS1_3gpuE8ELNS1_3repE0EEENS1_30default_config_static_selectorELNS0_4arch9wavefront6targetE1EEEvT1_: ; @_ZN7rocprim17ROCPRIM_400000_NS6detail17trampoline_kernelINS0_14default_configENS1_25partition_config_selectorILNS1_17partition_subalgoE8EfNS0_10empty_typeEbEEZZNS1_14partition_implILS5_8ELb0ES3_jPKfPS6_PKS6_NS0_5tupleIJPfS6_EEENSE_IJSB_SB_EEENS0_18inequality_wrapperIN6hipcub16HIPCUB_304000_NS8EqualityEEEPlJS6_EEE10hipError_tPvRmT3_T4_T5_T6_T7_T9_mT8_P12ihipStream_tbDpT10_ENKUlT_T0_E_clISt17integral_constantIbLb1EES16_IbLb0EEEEDaS12_S13_EUlS12_E_NS1_11comp_targetILNS1_3genE4ELNS1_11target_archE910ELNS1_3gpuE8ELNS1_3repE0EEENS1_30default_config_static_selectorELNS0_4arch9wavefront6targetE1EEEvT1_
; %bb.0:
	s_load_dwordx2 s[8:9], s[4:5], 0x50
	s_load_dwordx4 s[0:3], s[4:5], 0x8
	s_load_dwordx4 s[24:27], s[4:5], 0x40
	s_load_dword s7, s[4:5], 0x68
	s_waitcnt lgkmcnt(0)
	v_mov_b32_e32 v3, s9
	s_lshl_b64 s[10:11], s[2:3], 2
	s_add_u32 s10, s0, s10
	s_mul_i32 s9, s7, 0xa00
	s_addc_u32 s11, s1, s11
	s_add_i32 s1, s9, s2
	s_add_i32 s12, s7, -1
	s_sub_i32 s7, s8, s1
	v_mov_b32_e32 v2, s8
	s_add_u32 s8, s2, s9
	s_addc_u32 s9, s3, 0
	s_cmp_eq_u32 s6, s12
	s_load_dwordx2 s[22:23], s[26:27], 0x0
	v_cmp_ge_u64_e32 vcc, s[8:9], v[2:3]
	s_cselect_b64 s[26:27], -1, 0
	s_mul_i32 s0, s6, 0xa00
	s_mov_b32 s1, 0
	s_and_b64 s[30:31], s[26:27], vcc
	s_xor_b64 s[28:29], s[30:31], -1
	s_lshl_b64 s[0:1], s[0:1], 2
	s_add_u32 s0, s10, s0
	s_mov_b64 s[8:9], -1
	s_addc_u32 s1, s11, s1
	s_and_b64 vcc, exec, s[28:29]
	s_cbranch_vccz .LBB359_2
; %bb.1:
	v_lshlrev_b32_e32 v1, 2, v0
	v_mov_b32_e32 v2, s1
	v_add_co_u32_e32 v4, vcc, s0, v1
	v_addc_co_u32_e32 v5, vcc, 0, v2, vcc
	v_add_co_u32_e32 v2, vcc, 0x1000, v4
	v_addc_co_u32_e32 v3, vcc, 0, v5, vcc
	global_load_dword v6, v1, s[0:1]
	global_load_dword v7, v1, s[0:1] offset:1024
	global_load_dword v8, v1, s[0:1] offset:2048
	;; [unrolled: 1-line block ×3, first 2 shown]
	global_load_dword v10, v[2:3], off
	global_load_dword v11, v[2:3], off offset:1024
	global_load_dword v12, v[2:3], off offset:2048
	;; [unrolled: 1-line block ×3, first 2 shown]
	v_add_co_u32_e32 v2, vcc, 0x2000, v4
	v_addc_co_u32_e32 v3, vcc, 0, v5, vcc
	global_load_dword v4, v[2:3], off
	global_load_dword v5, v[2:3], off offset:1024
	s_mov_b64 s[8:9], 0
	s_waitcnt vmcnt(8)
	ds_write2st64_b32 v1, v6, v7 offset1:4
	s_waitcnt vmcnt(6)
	ds_write2st64_b32 v1, v8, v9 offset0:8 offset1:12
	s_waitcnt vmcnt(4)
	ds_write2st64_b32 v1, v10, v11 offset0:16 offset1:20
	;; [unrolled: 2-line block ×4, first 2 shown]
	s_waitcnt lgkmcnt(0)
	s_barrier
.LBB359_2:
	s_andn2_b64 vcc, exec, s[8:9]
	s_addk_i32 s7, 0xa00
	s_cbranch_vccnz .LBB359_24
; %bb.3:
	v_cmp_gt_u32_e32 vcc, s7, v0
                                        ; implicit-def: $vgpr2_vgpr3_vgpr4_vgpr5_vgpr6_vgpr7_vgpr8_vgpr9_vgpr10_vgpr11
	s_and_saveexec_b64 s[8:9], vcc
	s_cbranch_execz .LBB359_5
; %bb.4:
	v_lshlrev_b32_e32 v1, 2, v0
	global_load_dword v2, v1, s[0:1]
.LBB359_5:
	s_or_b64 exec, exec, s[8:9]
	v_or_b32_e32 v1, 0x100, v0
	v_cmp_gt_u32_e32 vcc, s7, v1
	s_and_saveexec_b64 s[8:9], vcc
	s_cbranch_execz .LBB359_7
; %bb.6:
	v_lshlrev_b32_e32 v1, 2, v0
	global_load_dword v3, v1, s[0:1] offset:1024
.LBB359_7:
	s_or_b64 exec, exec, s[8:9]
	v_or_b32_e32 v1, 0x200, v0
	v_cmp_gt_u32_e32 vcc, s7, v1
	s_and_saveexec_b64 s[8:9], vcc
	s_cbranch_execz .LBB359_9
; %bb.8:
	v_lshlrev_b32_e32 v1, 2, v0
	global_load_dword v4, v1, s[0:1] offset:2048
.LBB359_9:
	;; [unrolled: 9-line block ×3, first 2 shown]
	s_or_b64 exec, exec, s[8:9]
	v_or_b32_e32 v1, 0x400, v0
	v_cmp_gt_u32_e32 vcc, s7, v1
	s_and_saveexec_b64 s[8:9], vcc
	s_cbranch_execz .LBB359_13
; %bb.12:
	v_lshlrev_b32_e32 v1, 2, v1
	global_load_dword v6, v1, s[0:1]
.LBB359_13:
	s_or_b64 exec, exec, s[8:9]
	v_or_b32_e32 v1, 0x500, v0
	v_cmp_gt_u32_e32 vcc, s7, v1
	s_and_saveexec_b64 s[8:9], vcc
	s_cbranch_execz .LBB359_15
; %bb.14:
	v_lshlrev_b32_e32 v1, 2, v1
	global_load_dword v7, v1, s[0:1]
.LBB359_15:
	;; [unrolled: 9-line block ×6, first 2 shown]
	s_or_b64 exec, exec, s[8:9]
	v_lshlrev_b32_e32 v1, 2, v0
	s_waitcnt vmcnt(0)
	ds_write2st64_b32 v1, v2, v3 offset1:4
	ds_write2st64_b32 v1, v4, v5 offset0:8 offset1:12
	ds_write2st64_b32 v1, v6, v7 offset0:16 offset1:20
	ds_write2st64_b32 v1, v8, v9 offset0:24 offset1:28
	ds_write2st64_b32 v1, v10, v11 offset0:32 offset1:36
	s_waitcnt lgkmcnt(0)
	s_barrier
.LBB359_24:
	v_mul_u32_u24_e32 v25, 10, v0
	v_lshlrev_b32_e32 v1, 2, v25
	s_waitcnt lgkmcnt(0)
	ds_read2_b64 v[6:9], v1 offset1:1
	ds_read2_b64 v[2:5], v1 offset0:2 offset1:3
	ds_read_b64 v[14:15], v1 offset:32
	s_cmp_lg_u32 s6, 0
	s_cselect_b64 s[34:35], -1, 0
	s_cmp_lg_u64 s[2:3], 0
	s_cselect_b64 s[2:3], -1, 0
	s_or_b64 s[2:3], s[34:35], s[2:3]
	v_or_b32_e32 v26, 1, v25
	v_mad_u32_u24 v24, v0, 10, 2
	v_mad_u32_u24 v23, v0, 10, 3
	;; [unrolled: 1-line block ×8, first 2 shown]
	s_mov_b64 s[36:37], 0
	s_and_b64 vcc, exec, s[2:3]
	s_waitcnt lgkmcnt(0)
	s_barrier
	s_cbranch_vccz .LBB359_29
; %bb.25:
	s_add_u32 s0, s0, -4
	s_addc_u32 s1, s1, -1
	s_load_dword s8, s[0:1], 0x0
	v_lshlrev_b32_e32 v10, 2, v0
	s_and_b64 vcc, exec, s[28:29]
	ds_write_b32 v10, v15
	s_cbranch_vccz .LBB359_31
; %bb.26:
	v_cmp_ne_u32_e32 vcc, 0, v0
	s_waitcnt lgkmcnt(0)
	v_mov_b32_e32 v11, s8
	s_barrier
	s_and_saveexec_b64 s[0:1], vcc
	s_cbranch_execz .LBB359_28
; %bb.27:
	v_add_u32_e32 v11, -4, v10
	ds_read_b32 v11, v11
.LBB359_28:
	s_or_b64 exec, exec, s[0:1]
	v_cmp_neq_f32_e32 vcc, v14, v15
	v_cndmask_b32_e64 v27, 0, 1, vcc
	v_cmp_neq_f32_e32 vcc, v5, v14
	v_cndmask_b32_e64 v28, 0, 1, vcc
	;; [unrolled: 2-line block ×9, first 2 shown]
	s_waitcnt lgkmcnt(0)
	v_cmp_neq_f32_e64 s[0:1], v11, v6
	v_lshlrev_b16_e32 v11, 8, v16
	v_or_b32_sdwa v11, v31, v11 dst_sel:WORD_1 dst_unused:UNUSED_PAD src0_sel:DWORD src1_sel:DWORD
	v_lshlrev_b16_e32 v16, 8, v32
	v_or_b32_e32 v16, v16, v11
	v_lshlrev_b16_e32 v11, 8, v29
	v_lshlrev_b16_e32 v12, 8, v12
	v_or_b32_e32 v11, v30, v11
	v_or_b32_sdwa v12, v17, v12 dst_sel:WORD_1 dst_unused:UNUSED_PAD src0_sel:DWORD src1_sel:DWORD
	v_or_b32_sdwa v17, v11, v12 dst_sel:DWORD dst_unused:UNUSED_PAD src0_sel:WORD_0 src1_sel:DWORD
	s_branch .LBB359_35
.LBB359_29:
                                        ; implicit-def: $sgpr0_sgpr1
                                        ; implicit-def: $vgpr27
                                        ; implicit-def: $vgpr28
                                        ; implicit-def: $vgpr17
	s_branch .LBB359_36
.LBB359_30:
                                        ; implicit-def: $vgpr10_vgpr11_vgpr12
	s_and_saveexec_b64 s[2:3], s[36:37]
	s_cbranch_execnz .LBB359_44
	s_branch .LBB359_45
.LBB359_31:
                                        ; implicit-def: $sgpr0_sgpr1
                                        ; implicit-def: $vgpr27
                                        ; implicit-def: $vgpr28
                                        ; implicit-def: $vgpr17
	s_cbranch_execz .LBB359_35
; %bb.32:
	v_cmp_ne_u32_e32 vcc, 0, v0
	s_waitcnt lgkmcnt(0)
	v_mov_b32_e32 v11, s8
	s_barrier
	s_and_saveexec_b64 s[0:1], vcc
	s_cbranch_execz .LBB359_34
; %bb.33:
	v_add_u32_e32 v10, -4, v10
	ds_read_b32 v11, v10
.LBB359_34:
	s_or_b64 exec, exec, s[0:1]
	v_cmp_gt_u32_e32 vcc, s7, v13
	v_cmp_neq_f32_e64 s[0:1], v14, v15
	s_and_b64 s[0:1], vcc, s[0:1]
	v_cndmask_b32_e64 v27, 0, 1, s[0:1]
	v_cmp_gt_u32_e32 vcc, s7, v18
	v_cmp_neq_f32_e64 s[0:1], v5, v14
	s_and_b64 s[0:1], vcc, s[0:1]
	v_cndmask_b32_e64 v28, 0, 1, s[0:1]
	;; [unrolled: 4-line block ×9, first 2 shown]
	s_waitcnt lgkmcnt(0)
	v_cmp_neq_f32_e64 s[0:1], v11, v6
	v_lshlrev_b16_e32 v11, 8, v16
	v_or_b32_sdwa v11, v30, v11 dst_sel:WORD_1 dst_unused:UNUSED_PAD src0_sel:DWORD src1_sel:DWORD
	v_lshlrev_b16_e32 v16, 8, v31
	v_or_b32_e32 v16, v16, v11
	v_lshlrev_b16_e32 v11, 8, v17
	v_lshlrev_b16_e32 v10, 8, v10
	v_cmp_gt_u32_e32 vcc, s7, v25
	v_or_b32_e32 v11, v29, v11
	v_or_b32_sdwa v10, v12, v10 dst_sel:WORD_1 dst_unused:UNUSED_PAD src0_sel:DWORD src1_sel:DWORD
	s_and_b64 s[0:1], vcc, s[0:1]
	v_or_b32_sdwa v17, v11, v10 dst_sel:DWORD dst_unused:UNUSED_PAD src0_sel:WORD_0 src1_sel:DWORD
.LBB359_35:
	s_mov_b64 s[36:37], -1
	s_cbranch_execnz .LBB359_30
.LBB359_36:
	s_movk_i32 s0, 0xffdc
	v_mad_i32_i24 v29, v0, s0, v1
	s_and_b64 vcc, exec, s[28:29]
	v_cmp_neq_f32_e64 s[0:1], v14, v15
	v_cmp_neq_f32_e64 s[2:3], v5, v14
	;; [unrolled: 1-line block ×3, first 2 shown]
	s_waitcnt lgkmcnt(0)
	v_cmp_neq_f32_e64 s[8:9], v3, v4
	v_cmp_neq_f32_e64 s[10:11], v2, v3
	;; [unrolled: 1-line block ×6, first 2 shown]
	ds_write_b32 v29, v15
	s_cbranch_vccz .LBB359_40
; %bb.37:
	v_cndmask_b32_e64 v10, 0, 1, s[20:21]
	v_cndmask_b32_e64 v12, 0, 1, s[10:11]
	;; [unrolled: 1-line block ×4, first 2 shown]
	v_lshlrev_b16_e32 v12, 8, v12
	v_lshlrev_b16_e32 v10, 8, v10
	v_cndmask_b32_e64 v27, 0, 1, s[0:1]
	v_or_b32_e32 v12, v16, v12
	v_or_b32_sdwa v10, v11, v10 dst_sel:WORD_1 dst_unused:UNUSED_PAD src0_sel:DWORD src1_sel:DWORD
	v_cndmask_b32_e64 v28, 0, 1, s[2:3]
	v_or_b32_sdwa v17, v12, v10 dst_sel:DWORD dst_unused:UNUSED_PAD src0_sel:WORD_0 src1_sel:DWORD
	v_lshlrev_b16_e32 v10, 8, v27
	v_cndmask_b32_e64 v30, 0, 1, s[14:15]
	v_cndmask_b32_e64 v32, 0, 1, s[18:19]
	v_or_b32_e32 v10, v28, v10
	v_cndmask_b32_e64 v31, 0, 1, s[16:17]
	v_and_b32_e32 v12, 0xffff, v10
	v_lshlrev_b16_e32 v10, 8, v30
	v_lshlrev_b16_e32 v11, 8, v32
	v_or_b32_sdwa v10, v31, v10 dst_sel:WORD_1 dst_unused:UNUSED_PAD src0_sel:DWORD src1_sel:DWORD
	v_or_b32_e32 v11, 1, v11
	v_or_b32_sdwa v16, v11, v10 dst_sel:DWORD dst_unused:UNUSED_PAD src0_sel:WORD_0 src1_sel:DWORD
	v_cmp_ne_u32_e32 vcc, 0, v0
	s_waitcnt lgkmcnt(0)
	s_barrier
	s_waitcnt lgkmcnt(0)
                                        ; implicit-def: $sgpr0_sgpr1
	s_and_saveexec_b64 s[2:3], vcc
	s_xor_b64 s[2:3], exec, s[2:3]
	s_cbranch_execz .LBB359_39
; %bb.38:
	v_add_u32_e32 v10, -4, v29
	ds_read_b32 v10, v10
	s_or_b64 s[36:37], s[36:37], exec
	s_waitcnt lgkmcnt(0)
	v_cmp_neq_f32_e32 vcc, v10, v6
	s_and_b64 s[0:1], vcc, exec
                                        ; implicit-def: $vgpr10_vgpr11_vgpr12
.LBB359_39:
	s_or_b64 exec, exec, s[2:3]
	s_branch .LBB359_43
.LBB359_40:
                                        ; implicit-def: $sgpr0_sgpr1
                                        ; implicit-def: $vgpr27
                                        ; implicit-def: $vgpr28
                                        ; implicit-def: $vgpr17
                                        ; implicit-def: $vgpr10_vgpr11_vgpr12
	s_cbranch_execz .LBB359_43
; %bb.41:
	v_cmp_gt_u32_e32 vcc, s7, v13
	v_cmp_neq_f32_e64 s[0:1], v14, v15
	s_and_b64 s[0:1], vcc, s[0:1]
	v_cndmask_b32_e64 v27, 0, 1, s[0:1]
	v_cmp_gt_u32_e32 vcc, s7, v18
	v_cmp_neq_f32_e64 s[0:1], v5, v14
	s_and_b64 s[0:1], vcc, s[0:1]
	v_cndmask_b32_e64 v28, 0, 1, s[0:1]
	;; [unrolled: 4-line block ×7, first 2 shown]
	v_cmp_gt_u32_e32 vcc, s7, v24
	v_cmp_neq_f32_e64 s[0:1], v7, v8
	s_and_b64 s[0:1], vcc, s[0:1]
	v_lshlrev_b16_e32 v12, 8, v12
	v_lshlrev_b16_e32 v10, 8, v10
	v_cndmask_b32_e64 v31, 0, 1, s[0:1]
	v_cmp_gt_u32_e32 vcc, s7, v26
	v_cmp_neq_f32_e64 s[0:1], v6, v7
	v_or_b32_e32 v12, v16, v12
	v_or_b32_sdwa v10, v11, v10 dst_sel:WORD_1 dst_unused:UNUSED_PAD src0_sel:DWORD src1_sel:DWORD
	s_and_b64 s[0:1], vcc, s[0:1]
	v_or_b32_sdwa v17, v12, v10 dst_sel:DWORD dst_unused:UNUSED_PAD src0_sel:WORD_0 src1_sel:DWORD
	v_lshlrev_b16_e32 v10, 8, v27
	v_cndmask_b32_e64 v32, 0, 1, s[0:1]
	v_or_b32_e32 v10, v28, v10
	v_and_b32_e32 v12, 0xffff, v10
	v_lshlrev_b16_e32 v10, 8, v30
	v_lshlrev_b16_e32 v11, 8, v32
	v_or_b32_sdwa v10, v31, v10 dst_sel:WORD_1 dst_unused:UNUSED_PAD src0_sel:DWORD src1_sel:DWORD
	v_or_b32_e32 v11, 1, v11
	v_or_b32_sdwa v16, v11, v10 dst_sel:DWORD dst_unused:UNUSED_PAD src0_sel:WORD_0 src1_sel:DWORD
	v_cmp_ne_u32_e32 vcc, 0, v0
	s_waitcnt lgkmcnt(0)
	s_barrier
	s_waitcnt lgkmcnt(0)
                                        ; implicit-def: $sgpr0_sgpr1
	s_and_saveexec_b64 s[2:3], vcc
	s_cbranch_execz .LBB359_160
; %bb.42:
	v_add_u32_e32 v10, -4, v29
	ds_read_b32 v10, v10
	v_cmp_gt_u32_e32 vcc, s7, v25
	s_or_b64 s[36:37], s[36:37], exec
	s_waitcnt lgkmcnt(0)
	v_cmp_neq_f32_e64 s[0:1], v10, v6
	s_and_b64 s[0:1], vcc, s[0:1]
	s_and_b64 s[0:1], s[0:1], exec
                                        ; implicit-def: $vgpr10_vgpr11_vgpr12
	s_or_b64 exec, exec, s[2:3]
.LBB359_43:
	s_and_saveexec_b64 s[2:3], s[36:37]
	s_cbranch_execz .LBB359_45
.LBB359_44:
	v_lshlrev_b16_e32 v11, 8, v27
	v_or_b32_sdwa v11, v28, v11 dst_sel:DWORD dst_unused:UNUSED_PAD src0_sel:BYTE_0 src1_sel:DWORD
	v_cndmask_b32_e64 v10, 0, 1, s[0:1]
	s_movk_i32 s0, 0xff
	v_and_b32_e32 v12, 0xffff, v11
	v_lshrrev_b32_e32 v11, 24, v16
	v_lshlrev_b16_e32 v11, 8, v11
	v_and_b32_sdwa v27, v16, s0 dst_sel:DWORD dst_unused:UNUSED_PAD src0_sel:WORD_1 src1_sel:DWORD
	v_or_b32_sdwa v11, v27, v11 dst_sel:WORD_1 dst_unused:UNUSED_PAD src0_sel:DWORD src1_sel:DWORD
	v_mov_b32_e32 v27, 8
	v_lshrrev_b32_sdwa v16, v27, v16 dst_sel:BYTE_1 dst_unused:UNUSED_PAD src0_sel:DWORD src1_sel:DWORD
	v_or_b32_e32 v10, v10, v16
	v_or_b32_sdwa v16, v10, v11 dst_sel:DWORD dst_unused:UNUSED_PAD src0_sel:WORD_0 src1_sel:DWORD
.LBB359_45:
	s_or_b64 exec, exec, s[2:3]
	s_load_dwordx2 s[20:21], s[4:5], 0x60
	s_andn2_b64 vcc, exec, s[30:31]
	s_cbranch_vccnz .LBB359_47
; %bb.46:
	v_and_b32_e32 v11, 0xffff0000, v16
	v_cmp_gt_u32_e32 vcc, s7, v25
	v_cndmask_b32_e32 v11, v11, v16, vcc
	v_and_b32_e32 v11, 0xffff00ff, v11
	v_cmp_gt_u32_e32 vcc, s7, v26
	v_cndmask_b32_e32 v11, v11, v16, vcc
	v_lshrrev_b32_e32 v25, 24, v11
	s_mov_b32 s0, 0x40c0100
	v_perm_b32 v11, v25, v11, s0
	v_cmp_gt_u32_e32 vcc, s7, v24
	v_cndmask_b32_e32 v11, v11, v16, vcc
	v_and_b32_e32 v11, 0xffffff, v11
	v_cmp_gt_u32_e32 vcc, s7, v23
	v_cndmask_b32_e32 v11, v11, v16, vcc
	v_and_b32_e32 v23, 0xffffff00, v17
	;; [unrolled: 3-line block ×3, first 2 shown]
	v_cndmask_b32_e32 v11, v11, v16, vcc
	v_cmp_gt_u32_e32 vcc, s7, v21
	v_cndmask_b32_e32 v21, v22, v17, vcc
	v_lshrrev_b32_e32 v22, 24, v21
	v_and_b32_e32 v10, 0xffff0000, v12
	v_cndmask_b32_e32 v11, v11, v16, vcc
	v_perm_b32 v21, v22, v21, s0
	v_cmp_gt_u32_e32 vcc, s7, v20
	v_cmp_gt_u32_e64 s[0:1], s7, v18
	v_cmp_gt_u32_e64 s[2:3], s7, v13
	v_cndmask_b32_e32 v20, v21, v17, vcc
	v_cndmask_b32_e32 v11, v11, v16, vcc
	v_cmp_gt_u32_e32 vcc, s7, v19
	v_cndmask_b32_e64 v10, v10, v12, s[0:1]
	s_or_b64 s[0:1], s[2:3], s[0:1]
	s_or_b64 vcc, s[0:1], vcc
	v_and_b32_e32 v10, 0xffff00ff, v10
	v_cndmask_b32_e32 v11, v11, v16, vcc
	s_mov_b32 s0, 0x3020104
	v_cndmask_b32_e64 v10, v10, v12, s[2:3]
	v_perm_b32 v16, v11, v11, s0
	v_mov_b32_e32 v11, 8
	v_lshrrev_b32_sdwa v11, v11, v10 dst_sel:BYTE_1 dst_unused:UNUSED_PAD src0_sel:DWORD src1_sel:DWORD
	v_and_b32_e32 v19, 0xffffff, v20
	v_or_b32_sdwa v10, v10, v11 dst_sel:DWORD dst_unused:UNUSED_PAD src0_sel:BYTE_0 src1_sel:DWORD
	v_cndmask_b32_e32 v17, v19, v17, vcc
	v_and_b32_e32 v12, 0xffff, v10
.LBB359_47:
	v_alignbit_b32 v10, v17, v16, 24
	v_bfe_u32 v27, v16, 16, 8
	v_and_b32_e32 v29, 0xff, v10
	v_add_u32_sdwa v11, v16, v16 dst_sel:DWORD dst_unused:UNUSED_PAD src0_sel:BYTE_1 src1_sel:BYTE_0
	v_and_b32_e32 v31, 0xff, v17
	v_bfe_u32 v33, v17, 8, 8
	v_add3_u32 v11, v11, v27, v29
	v_bfe_u32 v35, v17, 16, 8
	v_lshrrev_b32_e32 v13, 24, v17
	v_add3_u32 v11, v11, v31, v33
	v_and_b32_e32 v37, 0xff, v12
	v_bfe_u32 v10, v12, 8, 8
	v_add3_u32 v11, v11, v35, v13
	v_add3_u32 v42, v11, v37, v10
	v_mbcnt_lo_u32_b32 v10, -1, 0
	v_mbcnt_hi_u32_b32 v39, -1, v10
	v_and_b32_e32 v10, 15, v39
	v_cmp_eq_u32_e64 s[14:15], 0, v10
	v_cmp_lt_u32_e64 s[12:13], 1, v10
	v_cmp_lt_u32_e64 s[10:11], 3, v10
	s_waitcnt lgkmcnt(0)
	v_cmp_lt_u32_e64 s[8:9], 7, v10
	v_and_b32_e32 v10, 16, v39
	v_cmp_eq_u32_e64 s[18:19], 0, v10
	v_or_b32_e32 v10, 63, v0
	v_cmp_lt_u32_e64 s[0:1], 31, v39
	v_lshrrev_b32_e32 v41, 6, v0
	v_cmp_eq_u32_e64 s[2:3], v10, v0
	s_and_b64 vcc, exec, s[34:35]
	s_barrier
	s_cbranch_vccz .LBB359_78
; %bb.48:
	v_mov_b32_dpp v10, v42 row_shr:1 row_mask:0xf bank_mask:0xf
	v_cndmask_b32_e64 v10, v10, 0, s[14:15]
	v_add_u32_e32 v10, v10, v42
	s_nop 1
	v_mov_b32_dpp v11, v10 row_shr:2 row_mask:0xf bank_mask:0xf
	v_cndmask_b32_e64 v11, 0, v11, s[12:13]
	v_add_u32_e32 v10, v10, v11
	s_nop 1
	;; [unrolled: 4-line block ×4, first 2 shown]
	v_mov_b32_dpp v11, v10 row_bcast:15 row_mask:0xf bank_mask:0xf
	v_cndmask_b32_e64 v11, v11, 0, s[18:19]
	v_add_u32_e32 v10, v10, v11
	s_nop 1
	v_mov_b32_dpp v11, v10 row_bcast:31 row_mask:0xf bank_mask:0xf
	v_cndmask_b32_e64 v11, 0, v11, s[0:1]
	v_add_u32_e32 v10, v10, v11
	s_and_saveexec_b64 s[16:17], s[2:3]
	s_cbranch_execz .LBB359_50
; %bb.49:
	v_lshlrev_b32_e32 v11, 2, v41
	ds_write_b32 v11, v10
.LBB359_50:
	s_or_b64 exec, exec, s[16:17]
	v_cmp_gt_u32_e32 vcc, 4, v0
	s_waitcnt lgkmcnt(0)
	s_barrier
	s_and_saveexec_b64 s[16:17], vcc
	s_cbranch_execz .LBB359_52
; %bb.51:
	v_lshlrev_b32_e32 v11, 2, v0
	ds_read_b32 v18, v11
	v_and_b32_e32 v19, 3, v39
	v_cmp_ne_u32_e32 vcc, 0, v19
	s_waitcnt lgkmcnt(0)
	v_mov_b32_dpp v20, v18 row_shr:1 row_mask:0xf bank_mask:0xf
	v_cndmask_b32_e32 v20, 0, v20, vcc
	v_add_u32_e32 v18, v20, v18
	v_cmp_lt_u32_e32 vcc, 1, v19
	s_nop 0
	v_mov_b32_dpp v20, v18 row_shr:2 row_mask:0xf bank_mask:0xf
	v_cndmask_b32_e32 v19, 0, v20, vcc
	v_add_u32_e32 v18, v18, v19
	ds_write_b32 v11, v18
.LBB359_52:
	s_or_b64 exec, exec, s[16:17]
	v_cmp_gt_u32_e32 vcc, 64, v0
	v_cmp_lt_u32_e64 s[16:17], 63, v0
	s_waitcnt lgkmcnt(0)
	s_barrier
	s_waitcnt lgkmcnt(0)
                                        ; implicit-def: $vgpr26
	s_and_saveexec_b64 s[30:31], s[16:17]
	s_cbranch_execz .LBB359_54
; %bb.53:
	v_lshl_add_u32 v11, v41, 2, -4
	ds_read_b32 v26, v11
	s_waitcnt lgkmcnt(0)
	v_add_u32_e32 v10, v26, v10
.LBB359_54:
	s_or_b64 exec, exec, s[30:31]
	v_add_u32_e32 v11, -1, v39
	v_and_b32_e32 v18, 64, v39
	v_cmp_lt_i32_e64 s[16:17], v11, v18
	v_cndmask_b32_e64 v11, v11, v39, s[16:17]
	v_lshlrev_b32_e32 v11, 2, v11
	ds_bpermute_b32 v28, v11, v10
	v_cmp_eq_u32_e64 s[16:17], 0, v39
	s_and_saveexec_b64 s[30:31], vcc
	s_cbranch_execz .LBB359_77
; %bb.55:
	v_mov_b32_e32 v25, 0
	ds_read_b32 v10, v25 offset:12
	s_and_saveexec_b64 s[34:35], s[16:17]
	s_cbranch_execz .LBB359_57
; %bb.56:
	s_add_i32 s36, s6, 64
	s_mov_b32 s37, 0
	s_lshl_b64 s[36:37], s[36:37], 3
	s_add_u32 s36, s20, s36
	v_mov_b32_e32 v11, 1
	s_addc_u32 s37, s21, s37
	s_waitcnt lgkmcnt(0)
	global_store_dwordx2 v25, v[10:11], s[36:37]
.LBB359_57:
	s_or_b64 exec, exec, s[34:35]
	v_xad_u32 v18, v39, -1, s6
	v_add_u32_e32 v24, 64, v18
	v_lshlrev_b64 v[20:21], 3, v[24:25]
	v_mov_b32_e32 v11, s21
	v_add_co_u32_e32 v20, vcc, s20, v20
	v_addc_co_u32_e32 v21, vcc, v11, v21, vcc
	global_load_dwordx2 v[22:23], v[20:21], off glc
	s_waitcnt vmcnt(0)
	v_cmp_eq_u16_sdwa s[36:37], v23, v25 src0_sel:BYTE_0 src1_sel:DWORD
	s_and_saveexec_b64 s[34:35], s[36:37]
	s_cbranch_execz .LBB359_63
; %bb.58:
	s_mov_b32 s7, 1
	s_mov_b64 s[36:37], 0
	v_mov_b32_e32 v11, 0
.LBB359_59:                             ; =>This Loop Header: Depth=1
                                        ;     Child Loop BB359_60 Depth 2
	s_max_u32 s33, s7, 1
.LBB359_60:                             ;   Parent Loop BB359_59 Depth=1
                                        ; =>  This Inner Loop Header: Depth=2
	s_add_i32 s33, s33, -1
	s_cmp_eq_u32 s33, 0
	s_sleep 1
	s_cbranch_scc0 .LBB359_60
; %bb.61:                               ;   in Loop: Header=BB359_59 Depth=1
	global_load_dwordx2 v[22:23], v[20:21], off glc
	s_cmp_lt_u32 s7, 32
	s_cselect_b64 s[38:39], -1, 0
	s_cmp_lg_u64 s[38:39], 0
	s_addc_u32 s7, s7, 0
	s_waitcnt vmcnt(0)
	v_cmp_ne_u16_sdwa s[38:39], v23, v11 src0_sel:BYTE_0 src1_sel:DWORD
	s_or_b64 s[36:37], s[38:39], s[36:37]
	s_andn2_b64 exec, exec, s[36:37]
	s_cbranch_execnz .LBB359_59
; %bb.62:
	s_or_b64 exec, exec, s[36:37]
.LBB359_63:
	s_or_b64 exec, exec, s[34:35]
	v_and_b32_e32 v32, 63, v39
	v_mov_b32_e32 v30, 2
	v_cmp_ne_u32_e32 vcc, 63, v32
	v_cmp_eq_u16_sdwa s[34:35], v23, v30 src0_sel:BYTE_0 src1_sel:DWORD
	v_lshlrev_b64 v[20:21], v39, -1
	v_addc_co_u32_e32 v24, vcc, 0, v39, vcc
	v_and_b32_e32 v11, s35, v21
	v_lshlrev_b32_e32 v34, 2, v24
	v_or_b32_e32 v11, 0x80000000, v11
	ds_bpermute_b32 v24, v34, v22
	v_and_b32_e32 v19, s34, v20
	v_ffbl_b32_e32 v11, v11
	v_add_u32_e32 v11, 32, v11
	v_ffbl_b32_e32 v19, v19
	v_min_u32_e32 v11, v19, v11
	v_cmp_lt_u32_e32 vcc, v32, v11
	s_waitcnt lgkmcnt(0)
	v_cndmask_b32_e32 v19, 0, v24, vcc
	v_cmp_gt_u32_e32 vcc, 62, v32
	v_add_u32_e32 v19, v19, v22
	v_cndmask_b32_e64 v22, 0, 1, vcc
	v_lshlrev_b32_e32 v22, 1, v22
	v_add_lshl_u32 v36, v22, v39, 2
	ds_bpermute_b32 v22, v36, v19
	v_add_u32_e32 v38, 2, v32
	v_cmp_le_u32_e32 vcc, v38, v11
	v_add_u32_e32 v43, 4, v32
	v_add_u32_e32 v45, 8, v32
	s_waitcnt lgkmcnt(0)
	v_cndmask_b32_e32 v22, 0, v22, vcc
	v_cmp_gt_u32_e32 vcc, 60, v32
	v_add_u32_e32 v19, v19, v22
	v_cndmask_b32_e64 v22, 0, 1, vcc
	v_lshlrev_b32_e32 v22, 2, v22
	v_add_lshl_u32 v40, v22, v39, 2
	ds_bpermute_b32 v22, v40, v19
	v_cmp_le_u32_e32 vcc, v43, v11
	v_add_u32_e32 v47, 16, v32
	v_add_u32_e32 v49, 32, v32
	s_waitcnt lgkmcnt(0)
	v_cndmask_b32_e32 v22, 0, v22, vcc
	v_cmp_gt_u32_e32 vcc, 56, v32
	v_add_u32_e32 v19, v19, v22
	v_cndmask_b32_e64 v22, 0, 1, vcc
	v_lshlrev_b32_e32 v22, 3, v22
	v_add_lshl_u32 v44, v22, v39, 2
	ds_bpermute_b32 v22, v44, v19
	v_cmp_le_u32_e32 vcc, v45, v11
	s_waitcnt lgkmcnt(0)
	v_cndmask_b32_e32 v22, 0, v22, vcc
	v_cmp_gt_u32_e32 vcc, 48, v32
	v_add_u32_e32 v19, v19, v22
	v_cndmask_b32_e64 v22, 0, 1, vcc
	v_lshlrev_b32_e32 v22, 4, v22
	v_add_lshl_u32 v46, v22, v39, 2
	ds_bpermute_b32 v22, v46, v19
	v_cmp_le_u32_e32 vcc, v47, v11
	;; [unrolled: 9-line block ×3, first 2 shown]
	s_waitcnt lgkmcnt(0)
	v_cndmask_b32_e32 v11, 0, v22, vcc
	v_add_u32_e32 v22, v19, v11
	v_mov_b32_e32 v19, 0
	s_branch .LBB359_65
.LBB359_64:                             ;   in Loop: Header=BB359_65 Depth=1
	s_or_b64 exec, exec, s[34:35]
	v_cmp_eq_u16_sdwa s[34:35], v23, v30 src0_sel:BYTE_0 src1_sel:DWORD
	v_and_b32_e32 v24, s35, v21
	v_or_b32_e32 v24, 0x80000000, v24
	ds_bpermute_b32 v50, v34, v22
	v_and_b32_e32 v25, s34, v20
	v_ffbl_b32_e32 v24, v24
	v_add_u32_e32 v24, 32, v24
	v_ffbl_b32_e32 v25, v25
	v_min_u32_e32 v24, v25, v24
	v_cmp_lt_u32_e32 vcc, v32, v24
	s_waitcnt lgkmcnt(0)
	v_cndmask_b32_e32 v25, 0, v50, vcc
	v_add_u32_e32 v22, v25, v22
	ds_bpermute_b32 v25, v36, v22
	v_cmp_le_u32_e32 vcc, v38, v24
	v_subrev_u32_e32 v18, 64, v18
	s_waitcnt lgkmcnt(0)
	v_cndmask_b32_e32 v25, 0, v25, vcc
	v_add_u32_e32 v22, v22, v25
	ds_bpermute_b32 v25, v40, v22
	v_cmp_le_u32_e32 vcc, v43, v24
	s_waitcnt lgkmcnt(0)
	v_cndmask_b32_e32 v25, 0, v25, vcc
	v_add_u32_e32 v22, v22, v25
	ds_bpermute_b32 v25, v44, v22
	v_cmp_le_u32_e32 vcc, v45, v24
	;; [unrolled: 5-line block ×4, first 2 shown]
	s_waitcnt lgkmcnt(0)
	v_cndmask_b32_e32 v24, 0, v25, vcc
	v_add3_u32 v22, v24, v11, v22
.LBB359_65:                             ; =>This Loop Header: Depth=1
                                        ;     Child Loop BB359_68 Depth 2
                                        ;       Child Loop BB359_69 Depth 3
	v_cmp_ne_u16_sdwa s[34:35], v23, v30 src0_sel:BYTE_0 src1_sel:DWORD
	v_cndmask_b32_e64 v11, 0, 1, s[34:35]
	;;#ASMSTART
	;;#ASMEND
	v_cmp_ne_u32_e32 vcc, 0, v11
	s_cmp_lg_u64 vcc, exec
	v_mov_b32_e32 v11, v22
	s_cbranch_scc1 .LBB359_72
; %bb.66:                               ;   in Loop: Header=BB359_65 Depth=1
	v_lshlrev_b64 v[22:23], 3, v[18:19]
	v_mov_b32_e32 v25, s21
	v_add_co_u32_e32 v24, vcc, s20, v22
	v_addc_co_u32_e32 v25, vcc, v25, v23, vcc
	global_load_dwordx2 v[22:23], v[24:25], off glc
	s_waitcnt vmcnt(0)
	v_cmp_eq_u16_sdwa s[36:37], v23, v19 src0_sel:BYTE_0 src1_sel:DWORD
	s_and_saveexec_b64 s[34:35], s[36:37]
	s_cbranch_execz .LBB359_64
; %bb.67:                               ;   in Loop: Header=BB359_65 Depth=1
	s_mov_b32 s7, 1
	s_mov_b64 s[36:37], 0
.LBB359_68:                             ;   Parent Loop BB359_65 Depth=1
                                        ; =>  This Loop Header: Depth=2
                                        ;       Child Loop BB359_69 Depth 3
	s_max_u32 s33, s7, 1
.LBB359_69:                             ;   Parent Loop BB359_65 Depth=1
                                        ;     Parent Loop BB359_68 Depth=2
                                        ; =>    This Inner Loop Header: Depth=3
	s_add_i32 s33, s33, -1
	s_cmp_eq_u32 s33, 0
	s_sleep 1
	s_cbranch_scc0 .LBB359_69
; %bb.70:                               ;   in Loop: Header=BB359_68 Depth=2
	global_load_dwordx2 v[22:23], v[24:25], off glc
	s_cmp_lt_u32 s7, 32
	s_cselect_b64 s[38:39], -1, 0
	s_cmp_lg_u64 s[38:39], 0
	s_addc_u32 s7, s7, 0
	s_waitcnt vmcnt(0)
	v_cmp_ne_u16_sdwa s[38:39], v23, v19 src0_sel:BYTE_0 src1_sel:DWORD
	s_or_b64 s[36:37], s[38:39], s[36:37]
	s_andn2_b64 exec, exec, s[36:37]
	s_cbranch_execnz .LBB359_68
; %bb.71:                               ;   in Loop: Header=BB359_65 Depth=1
	s_or_b64 exec, exec, s[36:37]
	s_branch .LBB359_64
.LBB359_72:                             ;   in Loop: Header=BB359_65 Depth=1
                                        ; implicit-def: $vgpr22
                                        ; implicit-def: $vgpr23
	s_cbranch_execz .LBB359_65
; %bb.73:
	s_and_saveexec_b64 s[34:35], s[16:17]
	s_cbranch_execz .LBB359_75
; %bb.74:
	s_add_i32 s6, s6, 64
	s_mov_b32 s7, 0
	s_lshl_b64 s[6:7], s[6:7], 3
	s_add_u32 s6, s20, s6
	v_add_u32_e32 v18, v11, v10
	v_mov_b32_e32 v19, 2
	s_addc_u32 s7, s21, s7
	v_mov_b32_e32 v20, 0
	global_store_dwordx2 v20, v[18:19], s[6:7]
	ds_write_b64 v20, v[10:11] offset:10240
.LBB359_75:
	s_or_b64 exec, exec, s[34:35]
	v_cmp_eq_u32_e32 vcc, 0, v0
	s_and_b64 exec, exec, vcc
	s_cbranch_execz .LBB359_77
; %bb.76:
	v_mov_b32_e32 v10, 0
	ds_write_b32 v10, v11 offset:12
.LBB359_77:
	s_or_b64 exec, exec, s[30:31]
	v_mov_b32_e32 v10, 0
	s_waitcnt lgkmcnt(0)
	s_barrier
	ds_read_b32 v11, v10 offset:12
	v_cndmask_b32_e64 v18, v28, v26, s[16:17]
	v_cmp_ne_u32_e32 vcc, 0, v0
	v_cndmask_b32_e32 v18, 0, v18, vcc
	s_waitcnt lgkmcnt(0)
	v_add_u32_e32 v40, v11, v18
	v_add_u32_sdwa v38, v40, v16 dst_sel:DWORD dst_unused:UNUSED_PAD src0_sel:DWORD src1_sel:BYTE_0
	v_add_u32_sdwa v36, v38, v16 dst_sel:DWORD dst_unused:UNUSED_PAD src0_sel:DWORD src1_sel:BYTE_1
	v_add_u32_e32 v34, v36, v27
	v_add_u32_e32 v32, v34, v29
	s_barrier
	ds_read_b64 v[10:11], v10 offset:10240
	v_add_u32_e32 v30, v32, v31
	v_add_u32_e32 v28, v30, v33
	;; [unrolled: 1-line block ×5, first 2 shown]
	s_waitcnt lgkmcnt(0)
	v_mov_b32_e32 v18, v11
	s_load_dwordx2 s[4:5], s[4:5], 0x28
	v_lshrrev_b64 v[24:25], 24, v[16:17]
	s_branch .LBB359_88
.LBB359_78:
                                        ; implicit-def: $vgpr18
                                        ; implicit-def: $vgpr10
                                        ; implicit-def: $vgpr20
                                        ; implicit-def: $vgpr22
                                        ; implicit-def: $vgpr26
                                        ; implicit-def: $vgpr28
                                        ; implicit-def: $vgpr30
                                        ; implicit-def: $vgpr32
                                        ; implicit-def: $vgpr34
                                        ; implicit-def: $vgpr36
                                        ; implicit-def: $vgpr38
                                        ; implicit-def: $vgpr40
	s_load_dwordx2 s[4:5], s[4:5], 0x28
	v_lshrrev_b64 v[24:25], 24, v[16:17]
	s_cbranch_execz .LBB359_88
; %bb.79:
	v_mov_b32_dpp v10, v42 row_shr:1 row_mask:0xf bank_mask:0xf
	v_cndmask_b32_e64 v10, v10, 0, s[14:15]
	v_add_u32_e32 v10, v10, v42
	s_nop 1
	v_mov_b32_dpp v11, v10 row_shr:2 row_mask:0xf bank_mask:0xf
	v_cndmask_b32_e64 v11, 0, v11, s[12:13]
	v_add_u32_e32 v10, v10, v11
	s_nop 1
	;; [unrolled: 4-line block ×4, first 2 shown]
	v_mov_b32_dpp v11, v10 row_bcast:15 row_mask:0xf bank_mask:0xf
	v_cndmask_b32_e64 v11, v11, 0, s[18:19]
	v_add_u32_e32 v10, v10, v11
	s_nop 1
	v_mov_b32_dpp v11, v10 row_bcast:31 row_mask:0xf bank_mask:0xf
	v_cndmask_b32_e64 v11, 0, v11, s[0:1]
	v_add_u32_e32 v10, v10, v11
	s_and_saveexec_b64 s[0:1], s[2:3]
	s_cbranch_execz .LBB359_81
; %bb.80:
	v_lshlrev_b32_e32 v11, 2, v41
	ds_write_b32 v11, v10
.LBB359_81:
	s_or_b64 exec, exec, s[0:1]
	v_cmp_gt_u32_e32 vcc, 4, v0
	s_waitcnt lgkmcnt(0)
	s_barrier
	s_and_saveexec_b64 s[0:1], vcc
	s_cbranch_execz .LBB359_83
; %bb.82:
	s_movk_i32 s2, 0xffdc
	v_mad_i32_i24 v1, v0, s2, v1
	ds_read_b32 v11, v1
	v_and_b32_e32 v18, 3, v39
	v_cmp_ne_u32_e32 vcc, 0, v18
	s_waitcnt lgkmcnt(0)
	v_mov_b32_dpp v19, v11 row_shr:1 row_mask:0xf bank_mask:0xf
	v_cndmask_b32_e32 v19, 0, v19, vcc
	v_add_u32_e32 v11, v19, v11
	v_cmp_lt_u32_e32 vcc, 1, v18
	s_nop 0
	v_mov_b32_dpp v19, v11 row_shr:2 row_mask:0xf bank_mask:0xf
	v_cndmask_b32_e32 v18, 0, v19, vcc
	v_add_u32_e32 v11, v11, v18
	ds_write_b32 v1, v11
.LBB359_83:
	s_or_b64 exec, exec, s[0:1]
	v_cmp_lt_u32_e32 vcc, 63, v0
	v_mov_b32_e32 v11, 0
	v_mov_b32_e32 v1, 0
	s_waitcnt lgkmcnt(0)
	s_barrier
	s_and_saveexec_b64 s[0:1], vcc
	s_cbranch_execz .LBB359_85
; %bb.84:
	v_lshl_add_u32 v1, v41, 2, -4
	ds_read_b32 v1, v1
.LBB359_85:
	s_or_b64 exec, exec, s[0:1]
	v_add_u32_e32 v18, -1, v39
	v_and_b32_e32 v19, 64, v39
	v_cmp_lt_i32_e32 vcc, v18, v19
	v_cndmask_b32_e32 v18, v18, v39, vcc
	s_waitcnt lgkmcnt(0)
	v_add_u32_e32 v10, v1, v10
	v_lshlrev_b32_e32 v18, 2, v18
	ds_bpermute_b32 v18, v18, v10
	ds_read_b32 v10, v11 offset:12
	v_cmp_eq_u32_e32 vcc, 0, v0
	s_and_saveexec_b64 s[0:1], vcc
	s_cbranch_execz .LBB359_87
; %bb.86:
	v_mov_b32_e32 v19, 0
	v_mov_b32_e32 v11, 2
	s_waitcnt lgkmcnt(0)
	global_store_dwordx2 v19, v[10:11], s[20:21] offset:512
.LBB359_87:
	s_or_b64 exec, exec, s[0:1]
	v_cmp_eq_u32_e64 s[0:1], 0, v39
	s_waitcnt lgkmcnt(1)
	v_cndmask_b32_e64 v1, v18, v1, s[0:1]
	v_cndmask_b32_e64 v40, v1, 0, vcc
	v_add_u32_sdwa v38, v40, v16 dst_sel:DWORD dst_unused:UNUSED_PAD src0_sel:DWORD src1_sel:BYTE_0
	v_add_u32_sdwa v36, v38, v16 dst_sel:DWORD dst_unused:UNUSED_PAD src0_sel:DWORD src1_sel:BYTE_1
	v_add_u32_e32 v34, v36, v27
	v_add_u32_e32 v32, v34, v29
	;; [unrolled: 1-line block ×6, first 2 shown]
	v_mov_b32_e32 v18, 0
	v_add_u32_e32 v20, v22, v37
	s_waitcnt lgkmcnt(0)
	s_barrier
.LBB359_88:
	s_movk_i32 s0, 0x101
	v_cmp_gt_u32_e32 vcc, s0, v10
	v_lshrrev_b32_e32 v19, 8, v16
	v_lshrrev_b32_e32 v11, 8, v17
	;; [unrolled: 1-line block ×3, first 2 shown]
	s_mov_b64 s[0:1], -1
	s_cbranch_vccnz .LBB359_92
; %bb.89:
	s_and_b64 vcc, exec, s[0:1]
	s_cbranch_vccnz .LBB359_123
.LBB359_90:
	v_cmp_eq_u32_e32 vcc, 0, v0
	s_and_b64 s[0:1], vcc, s[26:27]
	s_and_saveexec_b64 s[2:3], s[0:1]
	s_cbranch_execnz .LBB359_159
.LBB359_91:
	s_endpgm
.LBB359_92:
	v_add_u32_e32 v21, v18, v10
	s_lshl_b64 s[0:1], s[22:23], 2
	s_waitcnt lgkmcnt(0)
	s_add_u32 s2, s4, s0
	v_cmp_lt_u32_e32 vcc, v40, v21
	s_addc_u32 s3, s5, s1
	s_or_b64 s[6:7], s[28:29], vcc
	s_and_saveexec_b64 s[0:1], s[6:7]
	s_cbranch_execz .LBB359_95
; %bb.93:
	v_and_b32_e32 v23, 1, v16
	v_cmp_eq_u32_e32 vcc, 1, v23
	s_and_b64 exec, exec, vcc
	s_cbranch_execz .LBB359_95
; %bb.94:
	v_mov_b32_e32 v41, 0
	v_lshlrev_b64 v[42:43], 2, v[40:41]
	v_mov_b32_e32 v23, s3
	v_add_co_u32_e32 v42, vcc, s2, v42
	v_addc_co_u32_e32 v43, vcc, v23, v43, vcc
	global_store_dword v[42:43], v6, off
.LBB359_95:
	s_or_b64 exec, exec, s[0:1]
	v_cmp_lt_u32_e32 vcc, v38, v21
	s_or_b64 s[6:7], s[28:29], vcc
	s_and_saveexec_b64 s[0:1], s[6:7]
	s_cbranch_execz .LBB359_98
; %bb.96:
	v_and_b32_e32 v23, 1, v19
	v_cmp_eq_u32_e32 vcc, 1, v23
	s_and_b64 exec, exec, vcc
	s_cbranch_execz .LBB359_98
; %bb.97:
	v_mov_b32_e32 v39, 0
	v_lshlrev_b64 v[42:43], 2, v[38:39]
	v_mov_b32_e32 v23, s3
	v_add_co_u32_e32 v42, vcc, s2, v42
	v_addc_co_u32_e32 v43, vcc, v23, v43, vcc
	global_store_dword v[42:43], v7, off
.LBB359_98:
	s_or_b64 exec, exec, s[0:1]
	v_cmp_lt_u32_e32 vcc, v36, v21
	s_or_b64 s[6:7], s[28:29], vcc
	s_and_saveexec_b64 s[0:1], s[6:7]
	s_cbranch_execz .LBB359_101
; %bb.99:
	v_mov_b32_e32 v23, 1
	v_and_b32_sdwa v23, v23, v16 dst_sel:DWORD dst_unused:UNUSED_PAD src0_sel:DWORD src1_sel:WORD_1
	v_cmp_eq_u32_e32 vcc, 1, v23
	s_and_b64 exec, exec, vcc
	s_cbranch_execz .LBB359_101
; %bb.100:
	v_mov_b32_e32 v37, 0
	v_lshlrev_b64 v[42:43], 2, v[36:37]
	v_mov_b32_e32 v23, s3
	v_add_co_u32_e32 v42, vcc, s2, v42
	v_addc_co_u32_e32 v43, vcc, v23, v43, vcc
	global_store_dword v[42:43], v8, off
.LBB359_101:
	s_or_b64 exec, exec, s[0:1]
	v_cmp_lt_u32_e32 vcc, v34, v21
	s_or_b64 s[6:7], s[28:29], vcc
	s_and_saveexec_b64 s[0:1], s[6:7]
	s_cbranch_execz .LBB359_104
; %bb.102:
	v_and_b32_e32 v23, 1, v24
	v_cmp_eq_u32_e32 vcc, 1, v23
	s_and_b64 exec, exec, vcc
	s_cbranch_execz .LBB359_104
; %bb.103:
	v_mov_b32_e32 v35, 0
	v_lshlrev_b64 v[42:43], 2, v[34:35]
	v_mov_b32_e32 v23, s3
	v_add_co_u32_e32 v42, vcc, s2, v42
	v_addc_co_u32_e32 v43, vcc, v23, v43, vcc
	global_store_dword v[42:43], v9, off
.LBB359_104:
	s_or_b64 exec, exec, s[0:1]
	v_cmp_lt_u32_e32 vcc, v32, v21
	s_or_b64 s[6:7], s[28:29], vcc
	s_and_saveexec_b64 s[0:1], s[6:7]
	s_cbranch_execz .LBB359_107
; %bb.105:
	v_and_b32_e32 v23, 1, v17
	v_cmp_eq_u32_e32 vcc, 1, v23
	s_and_b64 exec, exec, vcc
	s_cbranch_execz .LBB359_107
; %bb.106:
	v_mov_b32_e32 v33, 0
	v_lshlrev_b64 v[42:43], 2, v[32:33]
	v_mov_b32_e32 v23, s3
	v_add_co_u32_e32 v42, vcc, s2, v42
	v_addc_co_u32_e32 v43, vcc, v23, v43, vcc
	global_store_dword v[42:43], v2, off
.LBB359_107:
	;; [unrolled: 18-line block ×3, first 2 shown]
	s_or_b64 exec, exec, s[0:1]
	v_cmp_lt_u32_e32 vcc, v28, v21
	s_or_b64 s[6:7], s[28:29], vcc
	s_and_saveexec_b64 s[0:1], s[6:7]
	s_cbranch_execz .LBB359_113
; %bb.111:
	v_mov_b32_e32 v23, 1
	v_and_b32_sdwa v23, v23, v17 dst_sel:DWORD dst_unused:UNUSED_PAD src0_sel:DWORD src1_sel:WORD_1
	v_cmp_eq_u32_e32 vcc, 1, v23
	s_and_b64 exec, exec, vcc
	s_cbranch_execz .LBB359_113
; %bb.112:
	v_mov_b32_e32 v29, 0
	v_lshlrev_b64 v[42:43], 2, v[28:29]
	v_mov_b32_e32 v23, s3
	v_add_co_u32_e32 v42, vcc, s2, v42
	v_addc_co_u32_e32 v43, vcc, v23, v43, vcc
	global_store_dword v[42:43], v4, off
.LBB359_113:
	s_or_b64 exec, exec, s[0:1]
	v_cmp_lt_u32_e32 vcc, v26, v21
	s_or_b64 s[6:7], s[28:29], vcc
	s_and_saveexec_b64 s[0:1], s[6:7]
	s_cbranch_execz .LBB359_116
; %bb.114:
	v_and_b32_e32 v23, 1, v13
	v_cmp_eq_u32_e32 vcc, 1, v23
	s_and_b64 exec, exec, vcc
	s_cbranch_execz .LBB359_116
; %bb.115:
	v_mov_b32_e32 v27, 0
	v_lshlrev_b64 v[42:43], 2, v[26:27]
	v_mov_b32_e32 v23, s3
	v_add_co_u32_e32 v42, vcc, s2, v42
	v_addc_co_u32_e32 v43, vcc, v23, v43, vcc
	global_store_dword v[42:43], v5, off
.LBB359_116:
	s_or_b64 exec, exec, s[0:1]
	v_cmp_lt_u32_e32 vcc, v22, v21
	s_or_b64 s[6:7], s[28:29], vcc
	s_and_saveexec_b64 s[0:1], s[6:7]
	s_cbranch_execz .LBB359_119
; %bb.117:
	v_and_b32_e32 v23, 1, v12
	v_cmp_eq_u32_e32 vcc, 1, v23
	s_and_b64 exec, exec, vcc
	s_cbranch_execz .LBB359_119
; %bb.118:
	v_mov_b32_e32 v23, 0
	v_lshlrev_b64 v[42:43], 2, v[22:23]
	v_mov_b32_e32 v23, s3
	v_add_co_u32_e32 v42, vcc, s2, v42
	v_addc_co_u32_e32 v43, vcc, v23, v43, vcc
	global_store_dword v[42:43], v14, off
.LBB359_119:
	;; [unrolled: 18-line block ×3, first 2 shown]
	s_or_b64 exec, exec, s[0:1]
	s_branch .LBB359_90
.LBB359_123:
	v_and_b32_e32 v21, 1, v16
	v_cmp_eq_u32_e32 vcc, 1, v21
	s_and_saveexec_b64 s[0:1], vcc
	s_cbranch_execz .LBB359_125
; %bb.124:
	v_sub_u32_e32 v21, v40, v18
	v_lshlrev_b32_e32 v21, 2, v21
	ds_write_b32 v21, v6
.LBB359_125:
	s_or_b64 exec, exec, s[0:1]
	v_and_b32_e32 v6, 1, v19
	v_cmp_eq_u32_e32 vcc, 1, v6
	s_and_saveexec_b64 s[0:1], vcc
	s_cbranch_execz .LBB359_127
; %bb.126:
	v_sub_u32_e32 v6, v38, v18
	v_lshlrev_b32_e32 v6, 2, v6
	ds_write_b32 v6, v7
.LBB359_127:
	s_or_b64 exec, exec, s[0:1]
	v_mov_b32_e32 v6, 1
	v_and_b32_sdwa v6, v6, v16 dst_sel:DWORD dst_unused:UNUSED_PAD src0_sel:DWORD src1_sel:WORD_1
	v_cmp_eq_u32_e32 vcc, 1, v6
	s_and_saveexec_b64 s[0:1], vcc
	s_cbranch_execz .LBB359_129
; %bb.128:
	v_sub_u32_e32 v6, v36, v18
	v_lshlrev_b32_e32 v6, 2, v6
	ds_write_b32 v6, v8
.LBB359_129:
	s_or_b64 exec, exec, s[0:1]
	v_and_b32_e32 v6, 1, v24
	v_cmp_eq_u32_e32 vcc, 1, v6
	s_and_saveexec_b64 s[0:1], vcc
	s_cbranch_execz .LBB359_131
; %bb.130:
	v_sub_u32_e32 v6, v34, v18
	v_lshlrev_b32_e32 v6, 2, v6
	ds_write_b32 v6, v9
.LBB359_131:
	s_or_b64 exec, exec, s[0:1]
	v_and_b32_e32 v6, 1, v17
	;; [unrolled: 10-line block ×3, first 2 shown]
	v_cmp_eq_u32_e32 vcc, 1, v2
	s_and_saveexec_b64 s[0:1], vcc
	s_cbranch_execz .LBB359_135
; %bb.134:
	v_sub_u32_e32 v2, v30, v18
	v_lshlrev_b32_e32 v2, 2, v2
	ds_write_b32 v2, v3
.LBB359_135:
	s_or_b64 exec, exec, s[0:1]
	v_mov_b32_e32 v2, 1
	v_and_b32_sdwa v2, v2, v17 dst_sel:DWORD dst_unused:UNUSED_PAD src0_sel:DWORD src1_sel:WORD_1
	v_cmp_eq_u32_e32 vcc, 1, v2
	s_and_saveexec_b64 s[0:1], vcc
	s_cbranch_execz .LBB359_137
; %bb.136:
	v_sub_u32_e32 v2, v28, v18
	v_lshlrev_b32_e32 v2, 2, v2
	ds_write_b32 v2, v4
.LBB359_137:
	s_or_b64 exec, exec, s[0:1]
	v_and_b32_e32 v2, 1, v13
	v_cmp_eq_u32_e32 vcc, 1, v2
	s_and_saveexec_b64 s[0:1], vcc
	s_cbranch_execz .LBB359_139
; %bb.138:
	v_sub_u32_e32 v2, v26, v18
	v_lshlrev_b32_e32 v2, 2, v2
	ds_write_b32 v2, v5
.LBB359_139:
	s_or_b64 exec, exec, s[0:1]
	v_and_b32_e32 v2, 1, v12
	;; [unrolled: 10-line block ×3, first 2 shown]
	v_cmp_eq_u32_e32 vcc, 1, v1
	s_and_saveexec_b64 s[0:1], vcc
	s_cbranch_execz .LBB359_143
; %bb.142:
	v_sub_u32_e32 v1, v20, v18
	v_lshlrev_b32_e32 v1, 2, v1
	ds_write_b32 v1, v15
.LBB359_143:
	s_or_b64 exec, exec, s[0:1]
	v_cmp_lt_u32_e32 vcc, v0, v10
	s_waitcnt lgkmcnt(0)
	s_barrier
	s_and_saveexec_b64 s[6:7], vcc
	s_cbranch_execz .LBB359_158
; %bb.144:
	s_lshl_b64 s[0:1], s[22:23], 2
	v_mov_b32_e32 v19, 0
	s_add_u32 s0, s4, s0
	s_addc_u32 s1, s5, s1
	v_lshlrev_b64 v[2:3], 2, v[18:19]
	v_mov_b32_e32 v1, s1
	v_add_co_u32_e32 v6, vcc, s0, v2
	v_addc_co_u32_e32 v7, vcc, v1, v3, vcc
	v_xad_u32 v1, v0, -1, v10
	s_movk_i32 s0, 0x1700
	v_cmp_gt_u32_e32 vcc, s0, v1
	s_movk_i32 s0, 0x16ff
	v_cmp_lt_u32_e64 s[0:1], s0, v1
	v_mov_b32_e32 v2, v0
	s_and_saveexec_b64 s[4:5], s[0:1]
	s_cbranch_execz .LBB359_155
; %bb.145:
	v_sub_u32_e32 v2, v0, v10
	v_or_b32_e32 v2, 0xff, v2
	v_cmp_ge_u32_e64 s[0:1], v2, v0
	s_mov_b64 s[2:3], -1
	v_mov_b32_e32 v2, v0
	s_and_saveexec_b64 s[8:9], s[0:1]
	s_cbranch_execz .LBB359_154
; %bb.146:
	v_lshrrev_b32_e32 v8, 8, v1
	v_add_u32_e32 v2, -1, v8
	v_or_b32_e32 v1, 0x100, v0
	v_lshrrev_b32_e32 v3, 1, v2
	v_add_u32_e32 v11, 1, v3
	v_cmp_lt_u32_e64 s[0:1], 13, v2
	v_mov_b32_e32 v14, 0
	v_lshlrev_b32_e32 v9, 2, v0
	v_pk_mov_b32 v[2:3], v[0:1], v[0:1] op_sel:[0,1]
	s_and_saveexec_b64 s[10:11], s[0:1]
	s_cbranch_execz .LBB359_150
; %bb.147:
	v_and_b32_e32 v12, -8, v11
	s_mov_b32 s14, 0
	s_mov_b64 s[12:13], 0
	v_mov_b32_e32 v5, 0
	v_mov_b32_e32 v13, v9
	v_pk_mov_b32 v[2:3], v[0:1], v[0:1] op_sel:[0,1]
.LBB359_148:                            ; =>This Inner Loop Header: Depth=1
	v_mov_b32_e32 v4, v2
	v_add_u32_e32 v12, -8, v12
	v_lshlrev_b64 v[46:47], 2, v[4:5]
	v_mov_b32_e32 v4, v3
	ds_read2st64_b32 v[16:17], v13 offset1:4
	s_add_i32 s14, s14, 16
	v_cmp_eq_u32_e64 s[0:1], 0, v12
	v_lshlrev_b64 v[50:51], 2, v[4:5]
	v_add_u32_e32 v4, 0x200, v2
	s_or_b64 s[12:13], s[0:1], s[12:13]
	v_add_co_u32_e64 v50, s[0:1], v6, v50
	v_add_u32_e32 v14, 0x200, v3
	ds_read2st64_b32 v[20:21], v13 offset0:8 offset1:12
	v_mov_b32_e32 v15, v5
	ds_read2st64_b32 v[24:25], v13 offset0:16 offset1:20
	v_add_co_u32_e64 v46, s[2:3], v6, v46
	v_addc_co_u32_e64 v51, s[0:1], v7, v51, s[0:1]
	v_lshlrev_b64 v[52:53], 2, v[4:5]
	v_lshlrev_b64 v[48:49], 2, v[14:15]
	v_addc_co_u32_e64 v47, s[2:3], v7, v47, s[2:3]
	v_add_u32_e32 v4, 0x400, v2
	v_add_co_u32_e64 v52, s[0:1], v6, v52
	v_add_u32_e32 v22, 0x400, v3
	v_mov_b32_e32 v23, v5
	ds_read2st64_b32 v[28:29], v13 offset0:24 offset1:28
	v_add_co_u32_e64 v48, s[2:3], v6, v48
	v_addc_co_u32_e64 v53, s[0:1], v7, v53, s[0:1]
	v_lshlrev_b64 v[54:55], 2, v[4:5]
	ds_read2st64_b32 v[32:33], v13 offset0:32 offset1:36
	ds_read2st64_b32 v[36:37], v13 offset0:40 offset1:44
	;; [unrolled: 1-line block ×4, first 2 shown]
	v_lshlrev_b64 v[22:23], 2, v[22:23]
	v_addc_co_u32_e64 v49, s[2:3], v7, v49, s[2:3]
	v_add_u32_e32 v4, 0x600, v2
	s_waitcnt lgkmcnt(7)
	global_store_dword v[46:47], v16, off
	global_store_dword v[50:51], v17, off
	s_waitcnt lgkmcnt(6)
	global_store_dword v[52:53], v20, off
	global_store_dword v[48:49], v21, off
	v_add_co_u32_e64 v16, s[0:1], v6, v54
	v_add_u32_e32 v26, 0x600, v3
	v_mov_b32_e32 v27, v5
	v_add_co_u32_e64 v22, s[2:3], v6, v22
	v_addc_co_u32_e64 v17, s[0:1], v7, v55, s[0:1]
	v_lshlrev_b64 v[20:21], 2, v[4:5]
	v_lshlrev_b64 v[26:27], 2, v[26:27]
	v_addc_co_u32_e64 v23, s[2:3], v7, v23, s[2:3]
	v_add_u32_e32 v4, 0x800, v2
	s_waitcnt lgkmcnt(5)
	global_store_dword v[16:17], v24, off
	global_store_dword v[22:23], v25, off
	v_add_co_u32_e64 v16, s[0:1], v6, v20
	v_add_u32_e32 v30, 0x800, v3
	v_mov_b32_e32 v31, v5
	v_add_co_u32_e64 v26, s[2:3], v6, v26
	v_addc_co_u32_e64 v17, s[0:1], v7, v21, s[0:1]
	v_lshlrev_b64 v[20:21], 2, v[4:5]
	v_lshlrev_b64 v[30:31], 2, v[30:31]
	v_addc_co_u32_e64 v27, s[2:3], v7, v27, s[2:3]
	v_add_u32_e32 v4, 0xa00, v2
	s_waitcnt lgkmcnt(4)
	global_store_dword v[16:17], v28, off
	global_store_dword v[26:27], v29, off
	v_add_co_u32_e64 v16, s[0:1], v6, v20
	v_add_u32_e32 v34, 0xa00, v3
	v_mov_b32_e32 v35, v5
	v_add_co_u32_e64 v30, s[2:3], v6, v30
	v_addc_co_u32_e64 v17, s[0:1], v7, v21, s[0:1]
	v_lshlrev_b64 v[20:21], 2, v[4:5]
	v_lshlrev_b64 v[34:35], 2, v[34:35]
	v_addc_co_u32_e64 v31, s[2:3], v7, v31, s[2:3]
	v_add_u32_e32 v4, 0xc00, v2
	s_waitcnt lgkmcnt(3)
	global_store_dword v[16:17], v32, off
	global_store_dword v[30:31], v33, off
	v_add_co_u32_e64 v16, s[0:1], v6, v20
	v_add_u32_e32 v38, 0xc00, v3
	v_mov_b32_e32 v39, v5
	v_add_co_u32_e64 v34, s[2:3], v6, v34
	v_addc_co_u32_e64 v17, s[0:1], v7, v21, s[0:1]
	v_lshlrev_b64 v[20:21], 2, v[4:5]
	v_lshlrev_b64 v[38:39], 2, v[38:39]
	v_addc_co_u32_e64 v35, s[2:3], v7, v35, s[2:3]
	v_add_u32_e32 v4, 0xe00, v2
	s_waitcnt lgkmcnt(2)
	global_store_dword v[16:17], v36, off
	global_store_dword v[34:35], v37, off
	v_add_co_u32_e64 v16, s[0:1], v6, v20
	v_add_u32_e32 v42, 0xe00, v3
	v_mov_b32_e32 v43, v5
	v_add_co_u32_e64 v38, s[2:3], v6, v38
	v_addc_co_u32_e64 v17, s[0:1], v7, v21, s[0:1]
	v_lshlrev_b64 v[20:21], 2, v[4:5]
	v_lshlrev_b64 v[42:43], 2, v[42:43]
	v_addc_co_u32_e64 v39, s[2:3], v7, v39, s[2:3]
	s_waitcnt lgkmcnt(1)
	global_store_dword v[16:17], v40, off
	global_store_dword v[38:39], v41, off
	v_add_co_u32_e64 v16, s[0:1], v6, v20
	v_add_u32_e32 v13, 0x4000, v13
	v_add_u32_e32 v3, 0x1000, v3
	v_mov_b32_e32 v14, s14
	v_add_co_u32_e64 v42, s[2:3], v6, v42
	v_add_u32_e32 v2, 0x1000, v2
	v_addc_co_u32_e64 v17, s[0:1], v7, v21, s[0:1]
	v_addc_co_u32_e64 v43, s[2:3], v7, v43, s[2:3]
	s_waitcnt lgkmcnt(0)
	global_store_dword v[16:17], v44, off
	global_store_dword v[42:43], v45, off
	s_andn2_b64 exec, exec, s[12:13]
	s_cbranch_execnz .LBB359_148
; %bb.149:
	s_or_b64 exec, exec, s[12:13]
.LBB359_150:
	s_or_b64 exec, exec, s[10:11]
	v_and_b32_e32 v1, 7, v11
	v_cmp_ne_u32_e64 s[0:1], 0, v1
	s_and_saveexec_b64 s[10:11], s[0:1]
	s_cbranch_execz .LBB359_153
; %bb.151:
	v_lshl_or_b32 v9, v14, 10, v9
	s_mov_b64 s[12:13], 0
	v_mov_b32_e32 v5, 0
.LBB359_152:                            ; =>This Inner Loop Header: Depth=1
	ds_read2st64_b32 v[12:13], v9 offset1:4
	v_mov_b32_e32 v4, v2
	v_add_u32_e32 v1, -1, v1
	v_lshlrev_b64 v[14:15], 2, v[4:5]
	v_mov_b32_e32 v4, v3
	v_cmp_eq_u32_e64 s[0:1], 0, v1
	v_add_co_u32_e64 v14, s[2:3], v6, v14
	v_lshlrev_b64 v[16:17], 2, v[4:5]
	v_add_u32_e32 v2, 0x200, v2
	v_add_u32_e32 v9, 0x800, v9
	;; [unrolled: 1-line block ×3, first 2 shown]
	v_addc_co_u32_e64 v15, s[2:3], v7, v15, s[2:3]
	s_or_b64 s[12:13], s[0:1], s[12:13]
	v_add_co_u32_e64 v16, s[0:1], v6, v16
	v_addc_co_u32_e64 v17, s[0:1], v7, v17, s[0:1]
	s_waitcnt lgkmcnt(0)
	global_store_dword v[14:15], v12, off
	global_store_dword v[16:17], v13, off
	s_andn2_b64 exec, exec, s[12:13]
	s_cbranch_execnz .LBB359_152
.LBB359_153:
	s_or_b64 exec, exec, s[10:11]
	v_add_u32_e32 v1, 1, v8
	v_and_b32_e32 v3, 0x1fffffe, v1
	v_cmp_ne_u32_e64 s[0:1], v1, v3
	v_lshl_or_b32 v2, v3, 8, v0
	s_orn2_b64 s[2:3], s[0:1], exec
.LBB359_154:
	s_or_b64 exec, exec, s[8:9]
	s_andn2_b64 s[0:1], vcc, exec
	s_and_b64 s[2:3], s[2:3], exec
	s_or_b64 vcc, s[0:1], s[2:3]
.LBB359_155:
	s_or_b64 exec, exec, s[4:5]
	s_and_b64 exec, exec, vcc
	s_cbranch_execz .LBB359_158
; %bb.156:
	v_lshlrev_b32_e32 v1, 2, v2
	s_mov_b64 s[0:1], 0
	v_mov_b32_e32 v3, 0
.LBB359_157:                            ; =>This Inner Loop Header: Depth=1
	ds_read_b32 v8, v1
	v_lshlrev_b64 v[4:5], 2, v[2:3]
	v_add_co_u32_e32 v4, vcc, v6, v4
	v_add_u32_e32 v2, 0x100, v2
	v_addc_co_u32_e32 v5, vcc, v7, v5, vcc
	v_cmp_ge_u32_e32 vcc, v2, v10
	v_add_u32_e32 v1, 0x400, v1
	s_or_b64 s[0:1], vcc, s[0:1]
	s_waitcnt lgkmcnt(0)
	global_store_dword v[4:5], v8, off
	s_andn2_b64 exec, exec, s[0:1]
	s_cbranch_execnz .LBB359_157
.LBB359_158:
	s_or_b64 exec, exec, s[6:7]
	v_cmp_eq_u32_e32 vcc, 0, v0
	s_and_b64 s[0:1], vcc, s[26:27]
	s_and_saveexec_b64 s[2:3], s[0:1]
	s_cbranch_execz .LBB359_91
.LBB359_159:
	v_mov_b32_e32 v0, s23
	v_add_co_u32_e32 v1, vcc, s22, v10
	v_addc_co_u32_e32 v3, vcc, 0, v0, vcc
	v_add_co_u32_e32 v0, vcc, v1, v18
	v_mov_b32_e32 v2, 0
	v_addc_co_u32_e32 v1, vcc, 0, v3, vcc
	global_store_dwordx2 v2, v[0:1], s[24:25]
	s_endpgm
.LBB359_160:
	s_or_b64 exec, exec, s[2:3]
	s_and_saveexec_b64 s[2:3], s[36:37]
	s_cbranch_execnz .LBB359_44
	s_branch .LBB359_45
	.section	.rodata,"a",@progbits
	.p2align	6, 0x0
	.amdhsa_kernel _ZN7rocprim17ROCPRIM_400000_NS6detail17trampoline_kernelINS0_14default_configENS1_25partition_config_selectorILNS1_17partition_subalgoE8EfNS0_10empty_typeEbEEZZNS1_14partition_implILS5_8ELb0ES3_jPKfPS6_PKS6_NS0_5tupleIJPfS6_EEENSE_IJSB_SB_EEENS0_18inequality_wrapperIN6hipcub16HIPCUB_304000_NS8EqualityEEEPlJS6_EEE10hipError_tPvRmT3_T4_T5_T6_T7_T9_mT8_P12ihipStream_tbDpT10_ENKUlT_T0_E_clISt17integral_constantIbLb1EES16_IbLb0EEEEDaS12_S13_EUlS12_E_NS1_11comp_targetILNS1_3genE4ELNS1_11target_archE910ELNS1_3gpuE8ELNS1_3repE0EEENS1_30default_config_static_selectorELNS0_4arch9wavefront6targetE1EEEvT1_
		.amdhsa_group_segment_fixed_size 10248
		.amdhsa_private_segment_fixed_size 0
		.amdhsa_kernarg_size 112
		.amdhsa_user_sgpr_count 6
		.amdhsa_user_sgpr_private_segment_buffer 1
		.amdhsa_user_sgpr_dispatch_ptr 0
		.amdhsa_user_sgpr_queue_ptr 0
		.amdhsa_user_sgpr_kernarg_segment_ptr 1
		.amdhsa_user_sgpr_dispatch_id 0
		.amdhsa_user_sgpr_flat_scratch_init 0
		.amdhsa_user_sgpr_kernarg_preload_length 0
		.amdhsa_user_sgpr_kernarg_preload_offset 0
		.amdhsa_user_sgpr_private_segment_size 0
		.amdhsa_uses_dynamic_stack 0
		.amdhsa_system_sgpr_private_segment_wavefront_offset 0
		.amdhsa_system_sgpr_workgroup_id_x 1
		.amdhsa_system_sgpr_workgroup_id_y 0
		.amdhsa_system_sgpr_workgroup_id_z 0
		.amdhsa_system_sgpr_workgroup_info 0
		.amdhsa_system_vgpr_workitem_id 0
		.amdhsa_next_free_vgpr 56
		.amdhsa_next_free_sgpr 40
		.amdhsa_accum_offset 56
		.amdhsa_reserve_vcc 1
		.amdhsa_reserve_flat_scratch 0
		.amdhsa_float_round_mode_32 0
		.amdhsa_float_round_mode_16_64 0
		.amdhsa_float_denorm_mode_32 3
		.amdhsa_float_denorm_mode_16_64 3
		.amdhsa_dx10_clamp 1
		.amdhsa_ieee_mode 1
		.amdhsa_fp16_overflow 0
		.amdhsa_tg_split 0
		.amdhsa_exception_fp_ieee_invalid_op 0
		.amdhsa_exception_fp_denorm_src 0
		.amdhsa_exception_fp_ieee_div_zero 0
		.amdhsa_exception_fp_ieee_overflow 0
		.amdhsa_exception_fp_ieee_underflow 0
		.amdhsa_exception_fp_ieee_inexact 0
		.amdhsa_exception_int_div_zero 0
	.end_amdhsa_kernel
	.section	.text._ZN7rocprim17ROCPRIM_400000_NS6detail17trampoline_kernelINS0_14default_configENS1_25partition_config_selectorILNS1_17partition_subalgoE8EfNS0_10empty_typeEbEEZZNS1_14partition_implILS5_8ELb0ES3_jPKfPS6_PKS6_NS0_5tupleIJPfS6_EEENSE_IJSB_SB_EEENS0_18inequality_wrapperIN6hipcub16HIPCUB_304000_NS8EqualityEEEPlJS6_EEE10hipError_tPvRmT3_T4_T5_T6_T7_T9_mT8_P12ihipStream_tbDpT10_ENKUlT_T0_E_clISt17integral_constantIbLb1EES16_IbLb0EEEEDaS12_S13_EUlS12_E_NS1_11comp_targetILNS1_3genE4ELNS1_11target_archE910ELNS1_3gpuE8ELNS1_3repE0EEENS1_30default_config_static_selectorELNS0_4arch9wavefront6targetE1EEEvT1_,"axG",@progbits,_ZN7rocprim17ROCPRIM_400000_NS6detail17trampoline_kernelINS0_14default_configENS1_25partition_config_selectorILNS1_17partition_subalgoE8EfNS0_10empty_typeEbEEZZNS1_14partition_implILS5_8ELb0ES3_jPKfPS6_PKS6_NS0_5tupleIJPfS6_EEENSE_IJSB_SB_EEENS0_18inequality_wrapperIN6hipcub16HIPCUB_304000_NS8EqualityEEEPlJS6_EEE10hipError_tPvRmT3_T4_T5_T6_T7_T9_mT8_P12ihipStream_tbDpT10_ENKUlT_T0_E_clISt17integral_constantIbLb1EES16_IbLb0EEEEDaS12_S13_EUlS12_E_NS1_11comp_targetILNS1_3genE4ELNS1_11target_archE910ELNS1_3gpuE8ELNS1_3repE0EEENS1_30default_config_static_selectorELNS0_4arch9wavefront6targetE1EEEvT1_,comdat
.Lfunc_end359:
	.size	_ZN7rocprim17ROCPRIM_400000_NS6detail17trampoline_kernelINS0_14default_configENS1_25partition_config_selectorILNS1_17partition_subalgoE8EfNS0_10empty_typeEbEEZZNS1_14partition_implILS5_8ELb0ES3_jPKfPS6_PKS6_NS0_5tupleIJPfS6_EEENSE_IJSB_SB_EEENS0_18inequality_wrapperIN6hipcub16HIPCUB_304000_NS8EqualityEEEPlJS6_EEE10hipError_tPvRmT3_T4_T5_T6_T7_T9_mT8_P12ihipStream_tbDpT10_ENKUlT_T0_E_clISt17integral_constantIbLb1EES16_IbLb0EEEEDaS12_S13_EUlS12_E_NS1_11comp_targetILNS1_3genE4ELNS1_11target_archE910ELNS1_3gpuE8ELNS1_3repE0EEENS1_30default_config_static_selectorELNS0_4arch9wavefront6targetE1EEEvT1_, .Lfunc_end359-_ZN7rocprim17ROCPRIM_400000_NS6detail17trampoline_kernelINS0_14default_configENS1_25partition_config_selectorILNS1_17partition_subalgoE8EfNS0_10empty_typeEbEEZZNS1_14partition_implILS5_8ELb0ES3_jPKfPS6_PKS6_NS0_5tupleIJPfS6_EEENSE_IJSB_SB_EEENS0_18inequality_wrapperIN6hipcub16HIPCUB_304000_NS8EqualityEEEPlJS6_EEE10hipError_tPvRmT3_T4_T5_T6_T7_T9_mT8_P12ihipStream_tbDpT10_ENKUlT_T0_E_clISt17integral_constantIbLb1EES16_IbLb0EEEEDaS12_S13_EUlS12_E_NS1_11comp_targetILNS1_3genE4ELNS1_11target_archE910ELNS1_3gpuE8ELNS1_3repE0EEENS1_30default_config_static_selectorELNS0_4arch9wavefront6targetE1EEEvT1_
                                        ; -- End function
	.section	.AMDGPU.csdata,"",@progbits
; Kernel info:
; codeLenInByte = 7348
; NumSgprs: 44
; NumVgprs: 56
; NumAgprs: 0
; TotalNumVgprs: 56
; ScratchSize: 0
; MemoryBound: 0
; FloatMode: 240
; IeeeMode: 1
; LDSByteSize: 10248 bytes/workgroup (compile time only)
; SGPRBlocks: 5
; VGPRBlocks: 6
; NumSGPRsForWavesPerEU: 44
; NumVGPRsForWavesPerEU: 56
; AccumOffset: 56
; Occupancy: 6
; WaveLimiterHint : 1
; COMPUTE_PGM_RSRC2:SCRATCH_EN: 0
; COMPUTE_PGM_RSRC2:USER_SGPR: 6
; COMPUTE_PGM_RSRC2:TRAP_HANDLER: 0
; COMPUTE_PGM_RSRC2:TGID_X_EN: 1
; COMPUTE_PGM_RSRC2:TGID_Y_EN: 0
; COMPUTE_PGM_RSRC2:TGID_Z_EN: 0
; COMPUTE_PGM_RSRC2:TIDIG_COMP_CNT: 0
; COMPUTE_PGM_RSRC3_GFX90A:ACCUM_OFFSET: 13
; COMPUTE_PGM_RSRC3_GFX90A:TG_SPLIT: 0
	.section	.text._ZN7rocprim17ROCPRIM_400000_NS6detail17trampoline_kernelINS0_14default_configENS1_25partition_config_selectorILNS1_17partition_subalgoE8EfNS0_10empty_typeEbEEZZNS1_14partition_implILS5_8ELb0ES3_jPKfPS6_PKS6_NS0_5tupleIJPfS6_EEENSE_IJSB_SB_EEENS0_18inequality_wrapperIN6hipcub16HIPCUB_304000_NS8EqualityEEEPlJS6_EEE10hipError_tPvRmT3_T4_T5_T6_T7_T9_mT8_P12ihipStream_tbDpT10_ENKUlT_T0_E_clISt17integral_constantIbLb1EES16_IbLb0EEEEDaS12_S13_EUlS12_E_NS1_11comp_targetILNS1_3genE3ELNS1_11target_archE908ELNS1_3gpuE7ELNS1_3repE0EEENS1_30default_config_static_selectorELNS0_4arch9wavefront6targetE1EEEvT1_,"axG",@progbits,_ZN7rocprim17ROCPRIM_400000_NS6detail17trampoline_kernelINS0_14default_configENS1_25partition_config_selectorILNS1_17partition_subalgoE8EfNS0_10empty_typeEbEEZZNS1_14partition_implILS5_8ELb0ES3_jPKfPS6_PKS6_NS0_5tupleIJPfS6_EEENSE_IJSB_SB_EEENS0_18inequality_wrapperIN6hipcub16HIPCUB_304000_NS8EqualityEEEPlJS6_EEE10hipError_tPvRmT3_T4_T5_T6_T7_T9_mT8_P12ihipStream_tbDpT10_ENKUlT_T0_E_clISt17integral_constantIbLb1EES16_IbLb0EEEEDaS12_S13_EUlS12_E_NS1_11comp_targetILNS1_3genE3ELNS1_11target_archE908ELNS1_3gpuE7ELNS1_3repE0EEENS1_30default_config_static_selectorELNS0_4arch9wavefront6targetE1EEEvT1_,comdat
	.protected	_ZN7rocprim17ROCPRIM_400000_NS6detail17trampoline_kernelINS0_14default_configENS1_25partition_config_selectorILNS1_17partition_subalgoE8EfNS0_10empty_typeEbEEZZNS1_14partition_implILS5_8ELb0ES3_jPKfPS6_PKS6_NS0_5tupleIJPfS6_EEENSE_IJSB_SB_EEENS0_18inequality_wrapperIN6hipcub16HIPCUB_304000_NS8EqualityEEEPlJS6_EEE10hipError_tPvRmT3_T4_T5_T6_T7_T9_mT8_P12ihipStream_tbDpT10_ENKUlT_T0_E_clISt17integral_constantIbLb1EES16_IbLb0EEEEDaS12_S13_EUlS12_E_NS1_11comp_targetILNS1_3genE3ELNS1_11target_archE908ELNS1_3gpuE7ELNS1_3repE0EEENS1_30default_config_static_selectorELNS0_4arch9wavefront6targetE1EEEvT1_ ; -- Begin function _ZN7rocprim17ROCPRIM_400000_NS6detail17trampoline_kernelINS0_14default_configENS1_25partition_config_selectorILNS1_17partition_subalgoE8EfNS0_10empty_typeEbEEZZNS1_14partition_implILS5_8ELb0ES3_jPKfPS6_PKS6_NS0_5tupleIJPfS6_EEENSE_IJSB_SB_EEENS0_18inequality_wrapperIN6hipcub16HIPCUB_304000_NS8EqualityEEEPlJS6_EEE10hipError_tPvRmT3_T4_T5_T6_T7_T9_mT8_P12ihipStream_tbDpT10_ENKUlT_T0_E_clISt17integral_constantIbLb1EES16_IbLb0EEEEDaS12_S13_EUlS12_E_NS1_11comp_targetILNS1_3genE3ELNS1_11target_archE908ELNS1_3gpuE7ELNS1_3repE0EEENS1_30default_config_static_selectorELNS0_4arch9wavefront6targetE1EEEvT1_
	.globl	_ZN7rocprim17ROCPRIM_400000_NS6detail17trampoline_kernelINS0_14default_configENS1_25partition_config_selectorILNS1_17partition_subalgoE8EfNS0_10empty_typeEbEEZZNS1_14partition_implILS5_8ELb0ES3_jPKfPS6_PKS6_NS0_5tupleIJPfS6_EEENSE_IJSB_SB_EEENS0_18inequality_wrapperIN6hipcub16HIPCUB_304000_NS8EqualityEEEPlJS6_EEE10hipError_tPvRmT3_T4_T5_T6_T7_T9_mT8_P12ihipStream_tbDpT10_ENKUlT_T0_E_clISt17integral_constantIbLb1EES16_IbLb0EEEEDaS12_S13_EUlS12_E_NS1_11comp_targetILNS1_3genE3ELNS1_11target_archE908ELNS1_3gpuE7ELNS1_3repE0EEENS1_30default_config_static_selectorELNS0_4arch9wavefront6targetE1EEEvT1_
	.p2align	8
	.type	_ZN7rocprim17ROCPRIM_400000_NS6detail17trampoline_kernelINS0_14default_configENS1_25partition_config_selectorILNS1_17partition_subalgoE8EfNS0_10empty_typeEbEEZZNS1_14partition_implILS5_8ELb0ES3_jPKfPS6_PKS6_NS0_5tupleIJPfS6_EEENSE_IJSB_SB_EEENS0_18inequality_wrapperIN6hipcub16HIPCUB_304000_NS8EqualityEEEPlJS6_EEE10hipError_tPvRmT3_T4_T5_T6_T7_T9_mT8_P12ihipStream_tbDpT10_ENKUlT_T0_E_clISt17integral_constantIbLb1EES16_IbLb0EEEEDaS12_S13_EUlS12_E_NS1_11comp_targetILNS1_3genE3ELNS1_11target_archE908ELNS1_3gpuE7ELNS1_3repE0EEENS1_30default_config_static_selectorELNS0_4arch9wavefront6targetE1EEEvT1_,@function
_ZN7rocprim17ROCPRIM_400000_NS6detail17trampoline_kernelINS0_14default_configENS1_25partition_config_selectorILNS1_17partition_subalgoE8EfNS0_10empty_typeEbEEZZNS1_14partition_implILS5_8ELb0ES3_jPKfPS6_PKS6_NS0_5tupleIJPfS6_EEENSE_IJSB_SB_EEENS0_18inequality_wrapperIN6hipcub16HIPCUB_304000_NS8EqualityEEEPlJS6_EEE10hipError_tPvRmT3_T4_T5_T6_T7_T9_mT8_P12ihipStream_tbDpT10_ENKUlT_T0_E_clISt17integral_constantIbLb1EES16_IbLb0EEEEDaS12_S13_EUlS12_E_NS1_11comp_targetILNS1_3genE3ELNS1_11target_archE908ELNS1_3gpuE7ELNS1_3repE0EEENS1_30default_config_static_selectorELNS0_4arch9wavefront6targetE1EEEvT1_: ; @_ZN7rocprim17ROCPRIM_400000_NS6detail17trampoline_kernelINS0_14default_configENS1_25partition_config_selectorILNS1_17partition_subalgoE8EfNS0_10empty_typeEbEEZZNS1_14partition_implILS5_8ELb0ES3_jPKfPS6_PKS6_NS0_5tupleIJPfS6_EEENSE_IJSB_SB_EEENS0_18inequality_wrapperIN6hipcub16HIPCUB_304000_NS8EqualityEEEPlJS6_EEE10hipError_tPvRmT3_T4_T5_T6_T7_T9_mT8_P12ihipStream_tbDpT10_ENKUlT_T0_E_clISt17integral_constantIbLb1EES16_IbLb0EEEEDaS12_S13_EUlS12_E_NS1_11comp_targetILNS1_3genE3ELNS1_11target_archE908ELNS1_3gpuE7ELNS1_3repE0EEENS1_30default_config_static_selectorELNS0_4arch9wavefront6targetE1EEEvT1_
; %bb.0:
	.section	.rodata,"a",@progbits
	.p2align	6, 0x0
	.amdhsa_kernel _ZN7rocprim17ROCPRIM_400000_NS6detail17trampoline_kernelINS0_14default_configENS1_25partition_config_selectorILNS1_17partition_subalgoE8EfNS0_10empty_typeEbEEZZNS1_14partition_implILS5_8ELb0ES3_jPKfPS6_PKS6_NS0_5tupleIJPfS6_EEENSE_IJSB_SB_EEENS0_18inequality_wrapperIN6hipcub16HIPCUB_304000_NS8EqualityEEEPlJS6_EEE10hipError_tPvRmT3_T4_T5_T6_T7_T9_mT8_P12ihipStream_tbDpT10_ENKUlT_T0_E_clISt17integral_constantIbLb1EES16_IbLb0EEEEDaS12_S13_EUlS12_E_NS1_11comp_targetILNS1_3genE3ELNS1_11target_archE908ELNS1_3gpuE7ELNS1_3repE0EEENS1_30default_config_static_selectorELNS0_4arch9wavefront6targetE1EEEvT1_
		.amdhsa_group_segment_fixed_size 0
		.amdhsa_private_segment_fixed_size 0
		.amdhsa_kernarg_size 112
		.amdhsa_user_sgpr_count 6
		.amdhsa_user_sgpr_private_segment_buffer 1
		.amdhsa_user_sgpr_dispatch_ptr 0
		.amdhsa_user_sgpr_queue_ptr 0
		.amdhsa_user_sgpr_kernarg_segment_ptr 1
		.amdhsa_user_sgpr_dispatch_id 0
		.amdhsa_user_sgpr_flat_scratch_init 0
		.amdhsa_user_sgpr_kernarg_preload_length 0
		.amdhsa_user_sgpr_kernarg_preload_offset 0
		.amdhsa_user_sgpr_private_segment_size 0
		.amdhsa_uses_dynamic_stack 0
		.amdhsa_system_sgpr_private_segment_wavefront_offset 0
		.amdhsa_system_sgpr_workgroup_id_x 1
		.amdhsa_system_sgpr_workgroup_id_y 0
		.amdhsa_system_sgpr_workgroup_id_z 0
		.amdhsa_system_sgpr_workgroup_info 0
		.amdhsa_system_vgpr_workitem_id 0
		.amdhsa_next_free_vgpr 1
		.amdhsa_next_free_sgpr 0
		.amdhsa_accum_offset 4
		.amdhsa_reserve_vcc 0
		.amdhsa_reserve_flat_scratch 0
		.amdhsa_float_round_mode_32 0
		.amdhsa_float_round_mode_16_64 0
		.amdhsa_float_denorm_mode_32 3
		.amdhsa_float_denorm_mode_16_64 3
		.amdhsa_dx10_clamp 1
		.amdhsa_ieee_mode 1
		.amdhsa_fp16_overflow 0
		.amdhsa_tg_split 0
		.amdhsa_exception_fp_ieee_invalid_op 0
		.amdhsa_exception_fp_denorm_src 0
		.amdhsa_exception_fp_ieee_div_zero 0
		.amdhsa_exception_fp_ieee_overflow 0
		.amdhsa_exception_fp_ieee_underflow 0
		.amdhsa_exception_fp_ieee_inexact 0
		.amdhsa_exception_int_div_zero 0
	.end_amdhsa_kernel
	.section	.text._ZN7rocprim17ROCPRIM_400000_NS6detail17trampoline_kernelINS0_14default_configENS1_25partition_config_selectorILNS1_17partition_subalgoE8EfNS0_10empty_typeEbEEZZNS1_14partition_implILS5_8ELb0ES3_jPKfPS6_PKS6_NS0_5tupleIJPfS6_EEENSE_IJSB_SB_EEENS0_18inequality_wrapperIN6hipcub16HIPCUB_304000_NS8EqualityEEEPlJS6_EEE10hipError_tPvRmT3_T4_T5_T6_T7_T9_mT8_P12ihipStream_tbDpT10_ENKUlT_T0_E_clISt17integral_constantIbLb1EES16_IbLb0EEEEDaS12_S13_EUlS12_E_NS1_11comp_targetILNS1_3genE3ELNS1_11target_archE908ELNS1_3gpuE7ELNS1_3repE0EEENS1_30default_config_static_selectorELNS0_4arch9wavefront6targetE1EEEvT1_,"axG",@progbits,_ZN7rocprim17ROCPRIM_400000_NS6detail17trampoline_kernelINS0_14default_configENS1_25partition_config_selectorILNS1_17partition_subalgoE8EfNS0_10empty_typeEbEEZZNS1_14partition_implILS5_8ELb0ES3_jPKfPS6_PKS6_NS0_5tupleIJPfS6_EEENSE_IJSB_SB_EEENS0_18inequality_wrapperIN6hipcub16HIPCUB_304000_NS8EqualityEEEPlJS6_EEE10hipError_tPvRmT3_T4_T5_T6_T7_T9_mT8_P12ihipStream_tbDpT10_ENKUlT_T0_E_clISt17integral_constantIbLb1EES16_IbLb0EEEEDaS12_S13_EUlS12_E_NS1_11comp_targetILNS1_3genE3ELNS1_11target_archE908ELNS1_3gpuE7ELNS1_3repE0EEENS1_30default_config_static_selectorELNS0_4arch9wavefront6targetE1EEEvT1_,comdat
.Lfunc_end360:
	.size	_ZN7rocprim17ROCPRIM_400000_NS6detail17trampoline_kernelINS0_14default_configENS1_25partition_config_selectorILNS1_17partition_subalgoE8EfNS0_10empty_typeEbEEZZNS1_14partition_implILS5_8ELb0ES3_jPKfPS6_PKS6_NS0_5tupleIJPfS6_EEENSE_IJSB_SB_EEENS0_18inequality_wrapperIN6hipcub16HIPCUB_304000_NS8EqualityEEEPlJS6_EEE10hipError_tPvRmT3_T4_T5_T6_T7_T9_mT8_P12ihipStream_tbDpT10_ENKUlT_T0_E_clISt17integral_constantIbLb1EES16_IbLb0EEEEDaS12_S13_EUlS12_E_NS1_11comp_targetILNS1_3genE3ELNS1_11target_archE908ELNS1_3gpuE7ELNS1_3repE0EEENS1_30default_config_static_selectorELNS0_4arch9wavefront6targetE1EEEvT1_, .Lfunc_end360-_ZN7rocprim17ROCPRIM_400000_NS6detail17trampoline_kernelINS0_14default_configENS1_25partition_config_selectorILNS1_17partition_subalgoE8EfNS0_10empty_typeEbEEZZNS1_14partition_implILS5_8ELb0ES3_jPKfPS6_PKS6_NS0_5tupleIJPfS6_EEENSE_IJSB_SB_EEENS0_18inequality_wrapperIN6hipcub16HIPCUB_304000_NS8EqualityEEEPlJS6_EEE10hipError_tPvRmT3_T4_T5_T6_T7_T9_mT8_P12ihipStream_tbDpT10_ENKUlT_T0_E_clISt17integral_constantIbLb1EES16_IbLb0EEEEDaS12_S13_EUlS12_E_NS1_11comp_targetILNS1_3genE3ELNS1_11target_archE908ELNS1_3gpuE7ELNS1_3repE0EEENS1_30default_config_static_selectorELNS0_4arch9wavefront6targetE1EEEvT1_
                                        ; -- End function
	.section	.AMDGPU.csdata,"",@progbits
; Kernel info:
; codeLenInByte = 0
; NumSgprs: 4
; NumVgprs: 0
; NumAgprs: 0
; TotalNumVgprs: 0
; ScratchSize: 0
; MemoryBound: 0
; FloatMode: 240
; IeeeMode: 1
; LDSByteSize: 0 bytes/workgroup (compile time only)
; SGPRBlocks: 0
; VGPRBlocks: 0
; NumSGPRsForWavesPerEU: 4
; NumVGPRsForWavesPerEU: 1
; AccumOffset: 4
; Occupancy: 8
; WaveLimiterHint : 0
; COMPUTE_PGM_RSRC2:SCRATCH_EN: 0
; COMPUTE_PGM_RSRC2:USER_SGPR: 6
; COMPUTE_PGM_RSRC2:TRAP_HANDLER: 0
; COMPUTE_PGM_RSRC2:TGID_X_EN: 1
; COMPUTE_PGM_RSRC2:TGID_Y_EN: 0
; COMPUTE_PGM_RSRC2:TGID_Z_EN: 0
; COMPUTE_PGM_RSRC2:TIDIG_COMP_CNT: 0
; COMPUTE_PGM_RSRC3_GFX90A:ACCUM_OFFSET: 0
; COMPUTE_PGM_RSRC3_GFX90A:TG_SPLIT: 0
	.section	.text._ZN7rocprim17ROCPRIM_400000_NS6detail17trampoline_kernelINS0_14default_configENS1_25partition_config_selectorILNS1_17partition_subalgoE8EfNS0_10empty_typeEbEEZZNS1_14partition_implILS5_8ELb0ES3_jPKfPS6_PKS6_NS0_5tupleIJPfS6_EEENSE_IJSB_SB_EEENS0_18inequality_wrapperIN6hipcub16HIPCUB_304000_NS8EqualityEEEPlJS6_EEE10hipError_tPvRmT3_T4_T5_T6_T7_T9_mT8_P12ihipStream_tbDpT10_ENKUlT_T0_E_clISt17integral_constantIbLb1EES16_IbLb0EEEEDaS12_S13_EUlS12_E_NS1_11comp_targetILNS1_3genE2ELNS1_11target_archE906ELNS1_3gpuE6ELNS1_3repE0EEENS1_30default_config_static_selectorELNS0_4arch9wavefront6targetE1EEEvT1_,"axG",@progbits,_ZN7rocprim17ROCPRIM_400000_NS6detail17trampoline_kernelINS0_14default_configENS1_25partition_config_selectorILNS1_17partition_subalgoE8EfNS0_10empty_typeEbEEZZNS1_14partition_implILS5_8ELb0ES3_jPKfPS6_PKS6_NS0_5tupleIJPfS6_EEENSE_IJSB_SB_EEENS0_18inequality_wrapperIN6hipcub16HIPCUB_304000_NS8EqualityEEEPlJS6_EEE10hipError_tPvRmT3_T4_T5_T6_T7_T9_mT8_P12ihipStream_tbDpT10_ENKUlT_T0_E_clISt17integral_constantIbLb1EES16_IbLb0EEEEDaS12_S13_EUlS12_E_NS1_11comp_targetILNS1_3genE2ELNS1_11target_archE906ELNS1_3gpuE6ELNS1_3repE0EEENS1_30default_config_static_selectorELNS0_4arch9wavefront6targetE1EEEvT1_,comdat
	.protected	_ZN7rocprim17ROCPRIM_400000_NS6detail17trampoline_kernelINS0_14default_configENS1_25partition_config_selectorILNS1_17partition_subalgoE8EfNS0_10empty_typeEbEEZZNS1_14partition_implILS5_8ELb0ES3_jPKfPS6_PKS6_NS0_5tupleIJPfS6_EEENSE_IJSB_SB_EEENS0_18inequality_wrapperIN6hipcub16HIPCUB_304000_NS8EqualityEEEPlJS6_EEE10hipError_tPvRmT3_T4_T5_T6_T7_T9_mT8_P12ihipStream_tbDpT10_ENKUlT_T0_E_clISt17integral_constantIbLb1EES16_IbLb0EEEEDaS12_S13_EUlS12_E_NS1_11comp_targetILNS1_3genE2ELNS1_11target_archE906ELNS1_3gpuE6ELNS1_3repE0EEENS1_30default_config_static_selectorELNS0_4arch9wavefront6targetE1EEEvT1_ ; -- Begin function _ZN7rocprim17ROCPRIM_400000_NS6detail17trampoline_kernelINS0_14default_configENS1_25partition_config_selectorILNS1_17partition_subalgoE8EfNS0_10empty_typeEbEEZZNS1_14partition_implILS5_8ELb0ES3_jPKfPS6_PKS6_NS0_5tupleIJPfS6_EEENSE_IJSB_SB_EEENS0_18inequality_wrapperIN6hipcub16HIPCUB_304000_NS8EqualityEEEPlJS6_EEE10hipError_tPvRmT3_T4_T5_T6_T7_T9_mT8_P12ihipStream_tbDpT10_ENKUlT_T0_E_clISt17integral_constantIbLb1EES16_IbLb0EEEEDaS12_S13_EUlS12_E_NS1_11comp_targetILNS1_3genE2ELNS1_11target_archE906ELNS1_3gpuE6ELNS1_3repE0EEENS1_30default_config_static_selectorELNS0_4arch9wavefront6targetE1EEEvT1_
	.globl	_ZN7rocprim17ROCPRIM_400000_NS6detail17trampoline_kernelINS0_14default_configENS1_25partition_config_selectorILNS1_17partition_subalgoE8EfNS0_10empty_typeEbEEZZNS1_14partition_implILS5_8ELb0ES3_jPKfPS6_PKS6_NS0_5tupleIJPfS6_EEENSE_IJSB_SB_EEENS0_18inequality_wrapperIN6hipcub16HIPCUB_304000_NS8EqualityEEEPlJS6_EEE10hipError_tPvRmT3_T4_T5_T6_T7_T9_mT8_P12ihipStream_tbDpT10_ENKUlT_T0_E_clISt17integral_constantIbLb1EES16_IbLb0EEEEDaS12_S13_EUlS12_E_NS1_11comp_targetILNS1_3genE2ELNS1_11target_archE906ELNS1_3gpuE6ELNS1_3repE0EEENS1_30default_config_static_selectorELNS0_4arch9wavefront6targetE1EEEvT1_
	.p2align	8
	.type	_ZN7rocprim17ROCPRIM_400000_NS6detail17trampoline_kernelINS0_14default_configENS1_25partition_config_selectorILNS1_17partition_subalgoE8EfNS0_10empty_typeEbEEZZNS1_14partition_implILS5_8ELb0ES3_jPKfPS6_PKS6_NS0_5tupleIJPfS6_EEENSE_IJSB_SB_EEENS0_18inequality_wrapperIN6hipcub16HIPCUB_304000_NS8EqualityEEEPlJS6_EEE10hipError_tPvRmT3_T4_T5_T6_T7_T9_mT8_P12ihipStream_tbDpT10_ENKUlT_T0_E_clISt17integral_constantIbLb1EES16_IbLb0EEEEDaS12_S13_EUlS12_E_NS1_11comp_targetILNS1_3genE2ELNS1_11target_archE906ELNS1_3gpuE6ELNS1_3repE0EEENS1_30default_config_static_selectorELNS0_4arch9wavefront6targetE1EEEvT1_,@function
_ZN7rocprim17ROCPRIM_400000_NS6detail17trampoline_kernelINS0_14default_configENS1_25partition_config_selectorILNS1_17partition_subalgoE8EfNS0_10empty_typeEbEEZZNS1_14partition_implILS5_8ELb0ES3_jPKfPS6_PKS6_NS0_5tupleIJPfS6_EEENSE_IJSB_SB_EEENS0_18inequality_wrapperIN6hipcub16HIPCUB_304000_NS8EqualityEEEPlJS6_EEE10hipError_tPvRmT3_T4_T5_T6_T7_T9_mT8_P12ihipStream_tbDpT10_ENKUlT_T0_E_clISt17integral_constantIbLb1EES16_IbLb0EEEEDaS12_S13_EUlS12_E_NS1_11comp_targetILNS1_3genE2ELNS1_11target_archE906ELNS1_3gpuE6ELNS1_3repE0EEENS1_30default_config_static_selectorELNS0_4arch9wavefront6targetE1EEEvT1_: ; @_ZN7rocprim17ROCPRIM_400000_NS6detail17trampoline_kernelINS0_14default_configENS1_25partition_config_selectorILNS1_17partition_subalgoE8EfNS0_10empty_typeEbEEZZNS1_14partition_implILS5_8ELb0ES3_jPKfPS6_PKS6_NS0_5tupleIJPfS6_EEENSE_IJSB_SB_EEENS0_18inequality_wrapperIN6hipcub16HIPCUB_304000_NS8EqualityEEEPlJS6_EEE10hipError_tPvRmT3_T4_T5_T6_T7_T9_mT8_P12ihipStream_tbDpT10_ENKUlT_T0_E_clISt17integral_constantIbLb1EES16_IbLb0EEEEDaS12_S13_EUlS12_E_NS1_11comp_targetILNS1_3genE2ELNS1_11target_archE906ELNS1_3gpuE6ELNS1_3repE0EEENS1_30default_config_static_selectorELNS0_4arch9wavefront6targetE1EEEvT1_
; %bb.0:
	.section	.rodata,"a",@progbits
	.p2align	6, 0x0
	.amdhsa_kernel _ZN7rocprim17ROCPRIM_400000_NS6detail17trampoline_kernelINS0_14default_configENS1_25partition_config_selectorILNS1_17partition_subalgoE8EfNS0_10empty_typeEbEEZZNS1_14partition_implILS5_8ELb0ES3_jPKfPS6_PKS6_NS0_5tupleIJPfS6_EEENSE_IJSB_SB_EEENS0_18inequality_wrapperIN6hipcub16HIPCUB_304000_NS8EqualityEEEPlJS6_EEE10hipError_tPvRmT3_T4_T5_T6_T7_T9_mT8_P12ihipStream_tbDpT10_ENKUlT_T0_E_clISt17integral_constantIbLb1EES16_IbLb0EEEEDaS12_S13_EUlS12_E_NS1_11comp_targetILNS1_3genE2ELNS1_11target_archE906ELNS1_3gpuE6ELNS1_3repE0EEENS1_30default_config_static_selectorELNS0_4arch9wavefront6targetE1EEEvT1_
		.amdhsa_group_segment_fixed_size 0
		.amdhsa_private_segment_fixed_size 0
		.amdhsa_kernarg_size 112
		.amdhsa_user_sgpr_count 6
		.amdhsa_user_sgpr_private_segment_buffer 1
		.amdhsa_user_sgpr_dispatch_ptr 0
		.amdhsa_user_sgpr_queue_ptr 0
		.amdhsa_user_sgpr_kernarg_segment_ptr 1
		.amdhsa_user_sgpr_dispatch_id 0
		.amdhsa_user_sgpr_flat_scratch_init 0
		.amdhsa_user_sgpr_kernarg_preload_length 0
		.amdhsa_user_sgpr_kernarg_preload_offset 0
		.amdhsa_user_sgpr_private_segment_size 0
		.amdhsa_uses_dynamic_stack 0
		.amdhsa_system_sgpr_private_segment_wavefront_offset 0
		.amdhsa_system_sgpr_workgroup_id_x 1
		.amdhsa_system_sgpr_workgroup_id_y 0
		.amdhsa_system_sgpr_workgroup_id_z 0
		.amdhsa_system_sgpr_workgroup_info 0
		.amdhsa_system_vgpr_workitem_id 0
		.amdhsa_next_free_vgpr 1
		.amdhsa_next_free_sgpr 0
		.amdhsa_accum_offset 4
		.amdhsa_reserve_vcc 0
		.amdhsa_reserve_flat_scratch 0
		.amdhsa_float_round_mode_32 0
		.amdhsa_float_round_mode_16_64 0
		.amdhsa_float_denorm_mode_32 3
		.amdhsa_float_denorm_mode_16_64 3
		.amdhsa_dx10_clamp 1
		.amdhsa_ieee_mode 1
		.amdhsa_fp16_overflow 0
		.amdhsa_tg_split 0
		.amdhsa_exception_fp_ieee_invalid_op 0
		.amdhsa_exception_fp_denorm_src 0
		.amdhsa_exception_fp_ieee_div_zero 0
		.amdhsa_exception_fp_ieee_overflow 0
		.amdhsa_exception_fp_ieee_underflow 0
		.amdhsa_exception_fp_ieee_inexact 0
		.amdhsa_exception_int_div_zero 0
	.end_amdhsa_kernel
	.section	.text._ZN7rocprim17ROCPRIM_400000_NS6detail17trampoline_kernelINS0_14default_configENS1_25partition_config_selectorILNS1_17partition_subalgoE8EfNS0_10empty_typeEbEEZZNS1_14partition_implILS5_8ELb0ES3_jPKfPS6_PKS6_NS0_5tupleIJPfS6_EEENSE_IJSB_SB_EEENS0_18inequality_wrapperIN6hipcub16HIPCUB_304000_NS8EqualityEEEPlJS6_EEE10hipError_tPvRmT3_T4_T5_T6_T7_T9_mT8_P12ihipStream_tbDpT10_ENKUlT_T0_E_clISt17integral_constantIbLb1EES16_IbLb0EEEEDaS12_S13_EUlS12_E_NS1_11comp_targetILNS1_3genE2ELNS1_11target_archE906ELNS1_3gpuE6ELNS1_3repE0EEENS1_30default_config_static_selectorELNS0_4arch9wavefront6targetE1EEEvT1_,"axG",@progbits,_ZN7rocprim17ROCPRIM_400000_NS6detail17trampoline_kernelINS0_14default_configENS1_25partition_config_selectorILNS1_17partition_subalgoE8EfNS0_10empty_typeEbEEZZNS1_14partition_implILS5_8ELb0ES3_jPKfPS6_PKS6_NS0_5tupleIJPfS6_EEENSE_IJSB_SB_EEENS0_18inequality_wrapperIN6hipcub16HIPCUB_304000_NS8EqualityEEEPlJS6_EEE10hipError_tPvRmT3_T4_T5_T6_T7_T9_mT8_P12ihipStream_tbDpT10_ENKUlT_T0_E_clISt17integral_constantIbLb1EES16_IbLb0EEEEDaS12_S13_EUlS12_E_NS1_11comp_targetILNS1_3genE2ELNS1_11target_archE906ELNS1_3gpuE6ELNS1_3repE0EEENS1_30default_config_static_selectorELNS0_4arch9wavefront6targetE1EEEvT1_,comdat
.Lfunc_end361:
	.size	_ZN7rocprim17ROCPRIM_400000_NS6detail17trampoline_kernelINS0_14default_configENS1_25partition_config_selectorILNS1_17partition_subalgoE8EfNS0_10empty_typeEbEEZZNS1_14partition_implILS5_8ELb0ES3_jPKfPS6_PKS6_NS0_5tupleIJPfS6_EEENSE_IJSB_SB_EEENS0_18inequality_wrapperIN6hipcub16HIPCUB_304000_NS8EqualityEEEPlJS6_EEE10hipError_tPvRmT3_T4_T5_T6_T7_T9_mT8_P12ihipStream_tbDpT10_ENKUlT_T0_E_clISt17integral_constantIbLb1EES16_IbLb0EEEEDaS12_S13_EUlS12_E_NS1_11comp_targetILNS1_3genE2ELNS1_11target_archE906ELNS1_3gpuE6ELNS1_3repE0EEENS1_30default_config_static_selectorELNS0_4arch9wavefront6targetE1EEEvT1_, .Lfunc_end361-_ZN7rocprim17ROCPRIM_400000_NS6detail17trampoline_kernelINS0_14default_configENS1_25partition_config_selectorILNS1_17partition_subalgoE8EfNS0_10empty_typeEbEEZZNS1_14partition_implILS5_8ELb0ES3_jPKfPS6_PKS6_NS0_5tupleIJPfS6_EEENSE_IJSB_SB_EEENS0_18inequality_wrapperIN6hipcub16HIPCUB_304000_NS8EqualityEEEPlJS6_EEE10hipError_tPvRmT3_T4_T5_T6_T7_T9_mT8_P12ihipStream_tbDpT10_ENKUlT_T0_E_clISt17integral_constantIbLb1EES16_IbLb0EEEEDaS12_S13_EUlS12_E_NS1_11comp_targetILNS1_3genE2ELNS1_11target_archE906ELNS1_3gpuE6ELNS1_3repE0EEENS1_30default_config_static_selectorELNS0_4arch9wavefront6targetE1EEEvT1_
                                        ; -- End function
	.section	.AMDGPU.csdata,"",@progbits
; Kernel info:
; codeLenInByte = 0
; NumSgprs: 4
; NumVgprs: 0
; NumAgprs: 0
; TotalNumVgprs: 0
; ScratchSize: 0
; MemoryBound: 0
; FloatMode: 240
; IeeeMode: 1
; LDSByteSize: 0 bytes/workgroup (compile time only)
; SGPRBlocks: 0
; VGPRBlocks: 0
; NumSGPRsForWavesPerEU: 4
; NumVGPRsForWavesPerEU: 1
; AccumOffset: 4
; Occupancy: 8
; WaveLimiterHint : 0
; COMPUTE_PGM_RSRC2:SCRATCH_EN: 0
; COMPUTE_PGM_RSRC2:USER_SGPR: 6
; COMPUTE_PGM_RSRC2:TRAP_HANDLER: 0
; COMPUTE_PGM_RSRC2:TGID_X_EN: 1
; COMPUTE_PGM_RSRC2:TGID_Y_EN: 0
; COMPUTE_PGM_RSRC2:TGID_Z_EN: 0
; COMPUTE_PGM_RSRC2:TIDIG_COMP_CNT: 0
; COMPUTE_PGM_RSRC3_GFX90A:ACCUM_OFFSET: 0
; COMPUTE_PGM_RSRC3_GFX90A:TG_SPLIT: 0
	.section	.text._ZN7rocprim17ROCPRIM_400000_NS6detail17trampoline_kernelINS0_14default_configENS1_25partition_config_selectorILNS1_17partition_subalgoE8EfNS0_10empty_typeEbEEZZNS1_14partition_implILS5_8ELb0ES3_jPKfPS6_PKS6_NS0_5tupleIJPfS6_EEENSE_IJSB_SB_EEENS0_18inequality_wrapperIN6hipcub16HIPCUB_304000_NS8EqualityEEEPlJS6_EEE10hipError_tPvRmT3_T4_T5_T6_T7_T9_mT8_P12ihipStream_tbDpT10_ENKUlT_T0_E_clISt17integral_constantIbLb1EES16_IbLb0EEEEDaS12_S13_EUlS12_E_NS1_11comp_targetILNS1_3genE10ELNS1_11target_archE1200ELNS1_3gpuE4ELNS1_3repE0EEENS1_30default_config_static_selectorELNS0_4arch9wavefront6targetE1EEEvT1_,"axG",@progbits,_ZN7rocprim17ROCPRIM_400000_NS6detail17trampoline_kernelINS0_14default_configENS1_25partition_config_selectorILNS1_17partition_subalgoE8EfNS0_10empty_typeEbEEZZNS1_14partition_implILS5_8ELb0ES3_jPKfPS6_PKS6_NS0_5tupleIJPfS6_EEENSE_IJSB_SB_EEENS0_18inequality_wrapperIN6hipcub16HIPCUB_304000_NS8EqualityEEEPlJS6_EEE10hipError_tPvRmT3_T4_T5_T6_T7_T9_mT8_P12ihipStream_tbDpT10_ENKUlT_T0_E_clISt17integral_constantIbLb1EES16_IbLb0EEEEDaS12_S13_EUlS12_E_NS1_11comp_targetILNS1_3genE10ELNS1_11target_archE1200ELNS1_3gpuE4ELNS1_3repE0EEENS1_30default_config_static_selectorELNS0_4arch9wavefront6targetE1EEEvT1_,comdat
	.protected	_ZN7rocprim17ROCPRIM_400000_NS6detail17trampoline_kernelINS0_14default_configENS1_25partition_config_selectorILNS1_17partition_subalgoE8EfNS0_10empty_typeEbEEZZNS1_14partition_implILS5_8ELb0ES3_jPKfPS6_PKS6_NS0_5tupleIJPfS6_EEENSE_IJSB_SB_EEENS0_18inequality_wrapperIN6hipcub16HIPCUB_304000_NS8EqualityEEEPlJS6_EEE10hipError_tPvRmT3_T4_T5_T6_T7_T9_mT8_P12ihipStream_tbDpT10_ENKUlT_T0_E_clISt17integral_constantIbLb1EES16_IbLb0EEEEDaS12_S13_EUlS12_E_NS1_11comp_targetILNS1_3genE10ELNS1_11target_archE1200ELNS1_3gpuE4ELNS1_3repE0EEENS1_30default_config_static_selectorELNS0_4arch9wavefront6targetE1EEEvT1_ ; -- Begin function _ZN7rocprim17ROCPRIM_400000_NS6detail17trampoline_kernelINS0_14default_configENS1_25partition_config_selectorILNS1_17partition_subalgoE8EfNS0_10empty_typeEbEEZZNS1_14partition_implILS5_8ELb0ES3_jPKfPS6_PKS6_NS0_5tupleIJPfS6_EEENSE_IJSB_SB_EEENS0_18inequality_wrapperIN6hipcub16HIPCUB_304000_NS8EqualityEEEPlJS6_EEE10hipError_tPvRmT3_T4_T5_T6_T7_T9_mT8_P12ihipStream_tbDpT10_ENKUlT_T0_E_clISt17integral_constantIbLb1EES16_IbLb0EEEEDaS12_S13_EUlS12_E_NS1_11comp_targetILNS1_3genE10ELNS1_11target_archE1200ELNS1_3gpuE4ELNS1_3repE0EEENS1_30default_config_static_selectorELNS0_4arch9wavefront6targetE1EEEvT1_
	.globl	_ZN7rocprim17ROCPRIM_400000_NS6detail17trampoline_kernelINS0_14default_configENS1_25partition_config_selectorILNS1_17partition_subalgoE8EfNS0_10empty_typeEbEEZZNS1_14partition_implILS5_8ELb0ES3_jPKfPS6_PKS6_NS0_5tupleIJPfS6_EEENSE_IJSB_SB_EEENS0_18inequality_wrapperIN6hipcub16HIPCUB_304000_NS8EqualityEEEPlJS6_EEE10hipError_tPvRmT3_T4_T5_T6_T7_T9_mT8_P12ihipStream_tbDpT10_ENKUlT_T0_E_clISt17integral_constantIbLb1EES16_IbLb0EEEEDaS12_S13_EUlS12_E_NS1_11comp_targetILNS1_3genE10ELNS1_11target_archE1200ELNS1_3gpuE4ELNS1_3repE0EEENS1_30default_config_static_selectorELNS0_4arch9wavefront6targetE1EEEvT1_
	.p2align	8
	.type	_ZN7rocprim17ROCPRIM_400000_NS6detail17trampoline_kernelINS0_14default_configENS1_25partition_config_selectorILNS1_17partition_subalgoE8EfNS0_10empty_typeEbEEZZNS1_14partition_implILS5_8ELb0ES3_jPKfPS6_PKS6_NS0_5tupleIJPfS6_EEENSE_IJSB_SB_EEENS0_18inequality_wrapperIN6hipcub16HIPCUB_304000_NS8EqualityEEEPlJS6_EEE10hipError_tPvRmT3_T4_T5_T6_T7_T9_mT8_P12ihipStream_tbDpT10_ENKUlT_T0_E_clISt17integral_constantIbLb1EES16_IbLb0EEEEDaS12_S13_EUlS12_E_NS1_11comp_targetILNS1_3genE10ELNS1_11target_archE1200ELNS1_3gpuE4ELNS1_3repE0EEENS1_30default_config_static_selectorELNS0_4arch9wavefront6targetE1EEEvT1_,@function
_ZN7rocprim17ROCPRIM_400000_NS6detail17trampoline_kernelINS0_14default_configENS1_25partition_config_selectorILNS1_17partition_subalgoE8EfNS0_10empty_typeEbEEZZNS1_14partition_implILS5_8ELb0ES3_jPKfPS6_PKS6_NS0_5tupleIJPfS6_EEENSE_IJSB_SB_EEENS0_18inequality_wrapperIN6hipcub16HIPCUB_304000_NS8EqualityEEEPlJS6_EEE10hipError_tPvRmT3_T4_T5_T6_T7_T9_mT8_P12ihipStream_tbDpT10_ENKUlT_T0_E_clISt17integral_constantIbLb1EES16_IbLb0EEEEDaS12_S13_EUlS12_E_NS1_11comp_targetILNS1_3genE10ELNS1_11target_archE1200ELNS1_3gpuE4ELNS1_3repE0EEENS1_30default_config_static_selectorELNS0_4arch9wavefront6targetE1EEEvT1_: ; @_ZN7rocprim17ROCPRIM_400000_NS6detail17trampoline_kernelINS0_14default_configENS1_25partition_config_selectorILNS1_17partition_subalgoE8EfNS0_10empty_typeEbEEZZNS1_14partition_implILS5_8ELb0ES3_jPKfPS6_PKS6_NS0_5tupleIJPfS6_EEENSE_IJSB_SB_EEENS0_18inequality_wrapperIN6hipcub16HIPCUB_304000_NS8EqualityEEEPlJS6_EEE10hipError_tPvRmT3_T4_T5_T6_T7_T9_mT8_P12ihipStream_tbDpT10_ENKUlT_T0_E_clISt17integral_constantIbLb1EES16_IbLb0EEEEDaS12_S13_EUlS12_E_NS1_11comp_targetILNS1_3genE10ELNS1_11target_archE1200ELNS1_3gpuE4ELNS1_3repE0EEENS1_30default_config_static_selectorELNS0_4arch9wavefront6targetE1EEEvT1_
; %bb.0:
	.section	.rodata,"a",@progbits
	.p2align	6, 0x0
	.amdhsa_kernel _ZN7rocprim17ROCPRIM_400000_NS6detail17trampoline_kernelINS0_14default_configENS1_25partition_config_selectorILNS1_17partition_subalgoE8EfNS0_10empty_typeEbEEZZNS1_14partition_implILS5_8ELb0ES3_jPKfPS6_PKS6_NS0_5tupleIJPfS6_EEENSE_IJSB_SB_EEENS0_18inequality_wrapperIN6hipcub16HIPCUB_304000_NS8EqualityEEEPlJS6_EEE10hipError_tPvRmT3_T4_T5_T6_T7_T9_mT8_P12ihipStream_tbDpT10_ENKUlT_T0_E_clISt17integral_constantIbLb1EES16_IbLb0EEEEDaS12_S13_EUlS12_E_NS1_11comp_targetILNS1_3genE10ELNS1_11target_archE1200ELNS1_3gpuE4ELNS1_3repE0EEENS1_30default_config_static_selectorELNS0_4arch9wavefront6targetE1EEEvT1_
		.amdhsa_group_segment_fixed_size 0
		.amdhsa_private_segment_fixed_size 0
		.amdhsa_kernarg_size 112
		.amdhsa_user_sgpr_count 6
		.amdhsa_user_sgpr_private_segment_buffer 1
		.amdhsa_user_sgpr_dispatch_ptr 0
		.amdhsa_user_sgpr_queue_ptr 0
		.amdhsa_user_sgpr_kernarg_segment_ptr 1
		.amdhsa_user_sgpr_dispatch_id 0
		.amdhsa_user_sgpr_flat_scratch_init 0
		.amdhsa_user_sgpr_kernarg_preload_length 0
		.amdhsa_user_sgpr_kernarg_preload_offset 0
		.amdhsa_user_sgpr_private_segment_size 0
		.amdhsa_uses_dynamic_stack 0
		.amdhsa_system_sgpr_private_segment_wavefront_offset 0
		.amdhsa_system_sgpr_workgroup_id_x 1
		.amdhsa_system_sgpr_workgroup_id_y 0
		.amdhsa_system_sgpr_workgroup_id_z 0
		.amdhsa_system_sgpr_workgroup_info 0
		.amdhsa_system_vgpr_workitem_id 0
		.amdhsa_next_free_vgpr 1
		.amdhsa_next_free_sgpr 0
		.amdhsa_accum_offset 4
		.amdhsa_reserve_vcc 0
		.amdhsa_reserve_flat_scratch 0
		.amdhsa_float_round_mode_32 0
		.amdhsa_float_round_mode_16_64 0
		.amdhsa_float_denorm_mode_32 3
		.amdhsa_float_denorm_mode_16_64 3
		.amdhsa_dx10_clamp 1
		.amdhsa_ieee_mode 1
		.amdhsa_fp16_overflow 0
		.amdhsa_tg_split 0
		.amdhsa_exception_fp_ieee_invalid_op 0
		.amdhsa_exception_fp_denorm_src 0
		.amdhsa_exception_fp_ieee_div_zero 0
		.amdhsa_exception_fp_ieee_overflow 0
		.amdhsa_exception_fp_ieee_underflow 0
		.amdhsa_exception_fp_ieee_inexact 0
		.amdhsa_exception_int_div_zero 0
	.end_amdhsa_kernel
	.section	.text._ZN7rocprim17ROCPRIM_400000_NS6detail17trampoline_kernelINS0_14default_configENS1_25partition_config_selectorILNS1_17partition_subalgoE8EfNS0_10empty_typeEbEEZZNS1_14partition_implILS5_8ELb0ES3_jPKfPS6_PKS6_NS0_5tupleIJPfS6_EEENSE_IJSB_SB_EEENS0_18inequality_wrapperIN6hipcub16HIPCUB_304000_NS8EqualityEEEPlJS6_EEE10hipError_tPvRmT3_T4_T5_T6_T7_T9_mT8_P12ihipStream_tbDpT10_ENKUlT_T0_E_clISt17integral_constantIbLb1EES16_IbLb0EEEEDaS12_S13_EUlS12_E_NS1_11comp_targetILNS1_3genE10ELNS1_11target_archE1200ELNS1_3gpuE4ELNS1_3repE0EEENS1_30default_config_static_selectorELNS0_4arch9wavefront6targetE1EEEvT1_,"axG",@progbits,_ZN7rocprim17ROCPRIM_400000_NS6detail17trampoline_kernelINS0_14default_configENS1_25partition_config_selectorILNS1_17partition_subalgoE8EfNS0_10empty_typeEbEEZZNS1_14partition_implILS5_8ELb0ES3_jPKfPS6_PKS6_NS0_5tupleIJPfS6_EEENSE_IJSB_SB_EEENS0_18inequality_wrapperIN6hipcub16HIPCUB_304000_NS8EqualityEEEPlJS6_EEE10hipError_tPvRmT3_T4_T5_T6_T7_T9_mT8_P12ihipStream_tbDpT10_ENKUlT_T0_E_clISt17integral_constantIbLb1EES16_IbLb0EEEEDaS12_S13_EUlS12_E_NS1_11comp_targetILNS1_3genE10ELNS1_11target_archE1200ELNS1_3gpuE4ELNS1_3repE0EEENS1_30default_config_static_selectorELNS0_4arch9wavefront6targetE1EEEvT1_,comdat
.Lfunc_end362:
	.size	_ZN7rocprim17ROCPRIM_400000_NS6detail17trampoline_kernelINS0_14default_configENS1_25partition_config_selectorILNS1_17partition_subalgoE8EfNS0_10empty_typeEbEEZZNS1_14partition_implILS5_8ELb0ES3_jPKfPS6_PKS6_NS0_5tupleIJPfS6_EEENSE_IJSB_SB_EEENS0_18inequality_wrapperIN6hipcub16HIPCUB_304000_NS8EqualityEEEPlJS6_EEE10hipError_tPvRmT3_T4_T5_T6_T7_T9_mT8_P12ihipStream_tbDpT10_ENKUlT_T0_E_clISt17integral_constantIbLb1EES16_IbLb0EEEEDaS12_S13_EUlS12_E_NS1_11comp_targetILNS1_3genE10ELNS1_11target_archE1200ELNS1_3gpuE4ELNS1_3repE0EEENS1_30default_config_static_selectorELNS0_4arch9wavefront6targetE1EEEvT1_, .Lfunc_end362-_ZN7rocprim17ROCPRIM_400000_NS6detail17trampoline_kernelINS0_14default_configENS1_25partition_config_selectorILNS1_17partition_subalgoE8EfNS0_10empty_typeEbEEZZNS1_14partition_implILS5_8ELb0ES3_jPKfPS6_PKS6_NS0_5tupleIJPfS6_EEENSE_IJSB_SB_EEENS0_18inequality_wrapperIN6hipcub16HIPCUB_304000_NS8EqualityEEEPlJS6_EEE10hipError_tPvRmT3_T4_T5_T6_T7_T9_mT8_P12ihipStream_tbDpT10_ENKUlT_T0_E_clISt17integral_constantIbLb1EES16_IbLb0EEEEDaS12_S13_EUlS12_E_NS1_11comp_targetILNS1_3genE10ELNS1_11target_archE1200ELNS1_3gpuE4ELNS1_3repE0EEENS1_30default_config_static_selectorELNS0_4arch9wavefront6targetE1EEEvT1_
                                        ; -- End function
	.section	.AMDGPU.csdata,"",@progbits
; Kernel info:
; codeLenInByte = 0
; NumSgprs: 4
; NumVgprs: 0
; NumAgprs: 0
; TotalNumVgprs: 0
; ScratchSize: 0
; MemoryBound: 0
; FloatMode: 240
; IeeeMode: 1
; LDSByteSize: 0 bytes/workgroup (compile time only)
; SGPRBlocks: 0
; VGPRBlocks: 0
; NumSGPRsForWavesPerEU: 4
; NumVGPRsForWavesPerEU: 1
; AccumOffset: 4
; Occupancy: 8
; WaveLimiterHint : 0
; COMPUTE_PGM_RSRC2:SCRATCH_EN: 0
; COMPUTE_PGM_RSRC2:USER_SGPR: 6
; COMPUTE_PGM_RSRC2:TRAP_HANDLER: 0
; COMPUTE_PGM_RSRC2:TGID_X_EN: 1
; COMPUTE_PGM_RSRC2:TGID_Y_EN: 0
; COMPUTE_PGM_RSRC2:TGID_Z_EN: 0
; COMPUTE_PGM_RSRC2:TIDIG_COMP_CNT: 0
; COMPUTE_PGM_RSRC3_GFX90A:ACCUM_OFFSET: 0
; COMPUTE_PGM_RSRC3_GFX90A:TG_SPLIT: 0
	.section	.text._ZN7rocprim17ROCPRIM_400000_NS6detail17trampoline_kernelINS0_14default_configENS1_25partition_config_selectorILNS1_17partition_subalgoE8EfNS0_10empty_typeEbEEZZNS1_14partition_implILS5_8ELb0ES3_jPKfPS6_PKS6_NS0_5tupleIJPfS6_EEENSE_IJSB_SB_EEENS0_18inequality_wrapperIN6hipcub16HIPCUB_304000_NS8EqualityEEEPlJS6_EEE10hipError_tPvRmT3_T4_T5_T6_T7_T9_mT8_P12ihipStream_tbDpT10_ENKUlT_T0_E_clISt17integral_constantIbLb1EES16_IbLb0EEEEDaS12_S13_EUlS12_E_NS1_11comp_targetILNS1_3genE9ELNS1_11target_archE1100ELNS1_3gpuE3ELNS1_3repE0EEENS1_30default_config_static_selectorELNS0_4arch9wavefront6targetE1EEEvT1_,"axG",@progbits,_ZN7rocprim17ROCPRIM_400000_NS6detail17trampoline_kernelINS0_14default_configENS1_25partition_config_selectorILNS1_17partition_subalgoE8EfNS0_10empty_typeEbEEZZNS1_14partition_implILS5_8ELb0ES3_jPKfPS6_PKS6_NS0_5tupleIJPfS6_EEENSE_IJSB_SB_EEENS0_18inequality_wrapperIN6hipcub16HIPCUB_304000_NS8EqualityEEEPlJS6_EEE10hipError_tPvRmT3_T4_T5_T6_T7_T9_mT8_P12ihipStream_tbDpT10_ENKUlT_T0_E_clISt17integral_constantIbLb1EES16_IbLb0EEEEDaS12_S13_EUlS12_E_NS1_11comp_targetILNS1_3genE9ELNS1_11target_archE1100ELNS1_3gpuE3ELNS1_3repE0EEENS1_30default_config_static_selectorELNS0_4arch9wavefront6targetE1EEEvT1_,comdat
	.protected	_ZN7rocprim17ROCPRIM_400000_NS6detail17trampoline_kernelINS0_14default_configENS1_25partition_config_selectorILNS1_17partition_subalgoE8EfNS0_10empty_typeEbEEZZNS1_14partition_implILS5_8ELb0ES3_jPKfPS6_PKS6_NS0_5tupleIJPfS6_EEENSE_IJSB_SB_EEENS0_18inequality_wrapperIN6hipcub16HIPCUB_304000_NS8EqualityEEEPlJS6_EEE10hipError_tPvRmT3_T4_T5_T6_T7_T9_mT8_P12ihipStream_tbDpT10_ENKUlT_T0_E_clISt17integral_constantIbLb1EES16_IbLb0EEEEDaS12_S13_EUlS12_E_NS1_11comp_targetILNS1_3genE9ELNS1_11target_archE1100ELNS1_3gpuE3ELNS1_3repE0EEENS1_30default_config_static_selectorELNS0_4arch9wavefront6targetE1EEEvT1_ ; -- Begin function _ZN7rocprim17ROCPRIM_400000_NS6detail17trampoline_kernelINS0_14default_configENS1_25partition_config_selectorILNS1_17partition_subalgoE8EfNS0_10empty_typeEbEEZZNS1_14partition_implILS5_8ELb0ES3_jPKfPS6_PKS6_NS0_5tupleIJPfS6_EEENSE_IJSB_SB_EEENS0_18inequality_wrapperIN6hipcub16HIPCUB_304000_NS8EqualityEEEPlJS6_EEE10hipError_tPvRmT3_T4_T5_T6_T7_T9_mT8_P12ihipStream_tbDpT10_ENKUlT_T0_E_clISt17integral_constantIbLb1EES16_IbLb0EEEEDaS12_S13_EUlS12_E_NS1_11comp_targetILNS1_3genE9ELNS1_11target_archE1100ELNS1_3gpuE3ELNS1_3repE0EEENS1_30default_config_static_selectorELNS0_4arch9wavefront6targetE1EEEvT1_
	.globl	_ZN7rocprim17ROCPRIM_400000_NS6detail17trampoline_kernelINS0_14default_configENS1_25partition_config_selectorILNS1_17partition_subalgoE8EfNS0_10empty_typeEbEEZZNS1_14partition_implILS5_8ELb0ES3_jPKfPS6_PKS6_NS0_5tupleIJPfS6_EEENSE_IJSB_SB_EEENS0_18inequality_wrapperIN6hipcub16HIPCUB_304000_NS8EqualityEEEPlJS6_EEE10hipError_tPvRmT3_T4_T5_T6_T7_T9_mT8_P12ihipStream_tbDpT10_ENKUlT_T0_E_clISt17integral_constantIbLb1EES16_IbLb0EEEEDaS12_S13_EUlS12_E_NS1_11comp_targetILNS1_3genE9ELNS1_11target_archE1100ELNS1_3gpuE3ELNS1_3repE0EEENS1_30default_config_static_selectorELNS0_4arch9wavefront6targetE1EEEvT1_
	.p2align	8
	.type	_ZN7rocprim17ROCPRIM_400000_NS6detail17trampoline_kernelINS0_14default_configENS1_25partition_config_selectorILNS1_17partition_subalgoE8EfNS0_10empty_typeEbEEZZNS1_14partition_implILS5_8ELb0ES3_jPKfPS6_PKS6_NS0_5tupleIJPfS6_EEENSE_IJSB_SB_EEENS0_18inequality_wrapperIN6hipcub16HIPCUB_304000_NS8EqualityEEEPlJS6_EEE10hipError_tPvRmT3_T4_T5_T6_T7_T9_mT8_P12ihipStream_tbDpT10_ENKUlT_T0_E_clISt17integral_constantIbLb1EES16_IbLb0EEEEDaS12_S13_EUlS12_E_NS1_11comp_targetILNS1_3genE9ELNS1_11target_archE1100ELNS1_3gpuE3ELNS1_3repE0EEENS1_30default_config_static_selectorELNS0_4arch9wavefront6targetE1EEEvT1_,@function
_ZN7rocprim17ROCPRIM_400000_NS6detail17trampoline_kernelINS0_14default_configENS1_25partition_config_selectorILNS1_17partition_subalgoE8EfNS0_10empty_typeEbEEZZNS1_14partition_implILS5_8ELb0ES3_jPKfPS6_PKS6_NS0_5tupleIJPfS6_EEENSE_IJSB_SB_EEENS0_18inequality_wrapperIN6hipcub16HIPCUB_304000_NS8EqualityEEEPlJS6_EEE10hipError_tPvRmT3_T4_T5_T6_T7_T9_mT8_P12ihipStream_tbDpT10_ENKUlT_T0_E_clISt17integral_constantIbLb1EES16_IbLb0EEEEDaS12_S13_EUlS12_E_NS1_11comp_targetILNS1_3genE9ELNS1_11target_archE1100ELNS1_3gpuE3ELNS1_3repE0EEENS1_30default_config_static_selectorELNS0_4arch9wavefront6targetE1EEEvT1_: ; @_ZN7rocprim17ROCPRIM_400000_NS6detail17trampoline_kernelINS0_14default_configENS1_25partition_config_selectorILNS1_17partition_subalgoE8EfNS0_10empty_typeEbEEZZNS1_14partition_implILS5_8ELb0ES3_jPKfPS6_PKS6_NS0_5tupleIJPfS6_EEENSE_IJSB_SB_EEENS0_18inequality_wrapperIN6hipcub16HIPCUB_304000_NS8EqualityEEEPlJS6_EEE10hipError_tPvRmT3_T4_T5_T6_T7_T9_mT8_P12ihipStream_tbDpT10_ENKUlT_T0_E_clISt17integral_constantIbLb1EES16_IbLb0EEEEDaS12_S13_EUlS12_E_NS1_11comp_targetILNS1_3genE9ELNS1_11target_archE1100ELNS1_3gpuE3ELNS1_3repE0EEENS1_30default_config_static_selectorELNS0_4arch9wavefront6targetE1EEEvT1_
; %bb.0:
	.section	.rodata,"a",@progbits
	.p2align	6, 0x0
	.amdhsa_kernel _ZN7rocprim17ROCPRIM_400000_NS6detail17trampoline_kernelINS0_14default_configENS1_25partition_config_selectorILNS1_17partition_subalgoE8EfNS0_10empty_typeEbEEZZNS1_14partition_implILS5_8ELb0ES3_jPKfPS6_PKS6_NS0_5tupleIJPfS6_EEENSE_IJSB_SB_EEENS0_18inequality_wrapperIN6hipcub16HIPCUB_304000_NS8EqualityEEEPlJS6_EEE10hipError_tPvRmT3_T4_T5_T6_T7_T9_mT8_P12ihipStream_tbDpT10_ENKUlT_T0_E_clISt17integral_constantIbLb1EES16_IbLb0EEEEDaS12_S13_EUlS12_E_NS1_11comp_targetILNS1_3genE9ELNS1_11target_archE1100ELNS1_3gpuE3ELNS1_3repE0EEENS1_30default_config_static_selectorELNS0_4arch9wavefront6targetE1EEEvT1_
		.amdhsa_group_segment_fixed_size 0
		.amdhsa_private_segment_fixed_size 0
		.amdhsa_kernarg_size 112
		.amdhsa_user_sgpr_count 6
		.amdhsa_user_sgpr_private_segment_buffer 1
		.amdhsa_user_sgpr_dispatch_ptr 0
		.amdhsa_user_sgpr_queue_ptr 0
		.amdhsa_user_sgpr_kernarg_segment_ptr 1
		.amdhsa_user_sgpr_dispatch_id 0
		.amdhsa_user_sgpr_flat_scratch_init 0
		.amdhsa_user_sgpr_kernarg_preload_length 0
		.amdhsa_user_sgpr_kernarg_preload_offset 0
		.amdhsa_user_sgpr_private_segment_size 0
		.amdhsa_uses_dynamic_stack 0
		.amdhsa_system_sgpr_private_segment_wavefront_offset 0
		.amdhsa_system_sgpr_workgroup_id_x 1
		.amdhsa_system_sgpr_workgroup_id_y 0
		.amdhsa_system_sgpr_workgroup_id_z 0
		.amdhsa_system_sgpr_workgroup_info 0
		.amdhsa_system_vgpr_workitem_id 0
		.amdhsa_next_free_vgpr 1
		.amdhsa_next_free_sgpr 0
		.amdhsa_accum_offset 4
		.amdhsa_reserve_vcc 0
		.amdhsa_reserve_flat_scratch 0
		.amdhsa_float_round_mode_32 0
		.amdhsa_float_round_mode_16_64 0
		.amdhsa_float_denorm_mode_32 3
		.amdhsa_float_denorm_mode_16_64 3
		.amdhsa_dx10_clamp 1
		.amdhsa_ieee_mode 1
		.amdhsa_fp16_overflow 0
		.amdhsa_tg_split 0
		.amdhsa_exception_fp_ieee_invalid_op 0
		.amdhsa_exception_fp_denorm_src 0
		.amdhsa_exception_fp_ieee_div_zero 0
		.amdhsa_exception_fp_ieee_overflow 0
		.amdhsa_exception_fp_ieee_underflow 0
		.amdhsa_exception_fp_ieee_inexact 0
		.amdhsa_exception_int_div_zero 0
	.end_amdhsa_kernel
	.section	.text._ZN7rocprim17ROCPRIM_400000_NS6detail17trampoline_kernelINS0_14default_configENS1_25partition_config_selectorILNS1_17partition_subalgoE8EfNS0_10empty_typeEbEEZZNS1_14partition_implILS5_8ELb0ES3_jPKfPS6_PKS6_NS0_5tupleIJPfS6_EEENSE_IJSB_SB_EEENS0_18inequality_wrapperIN6hipcub16HIPCUB_304000_NS8EqualityEEEPlJS6_EEE10hipError_tPvRmT3_T4_T5_T6_T7_T9_mT8_P12ihipStream_tbDpT10_ENKUlT_T0_E_clISt17integral_constantIbLb1EES16_IbLb0EEEEDaS12_S13_EUlS12_E_NS1_11comp_targetILNS1_3genE9ELNS1_11target_archE1100ELNS1_3gpuE3ELNS1_3repE0EEENS1_30default_config_static_selectorELNS0_4arch9wavefront6targetE1EEEvT1_,"axG",@progbits,_ZN7rocprim17ROCPRIM_400000_NS6detail17trampoline_kernelINS0_14default_configENS1_25partition_config_selectorILNS1_17partition_subalgoE8EfNS0_10empty_typeEbEEZZNS1_14partition_implILS5_8ELb0ES3_jPKfPS6_PKS6_NS0_5tupleIJPfS6_EEENSE_IJSB_SB_EEENS0_18inequality_wrapperIN6hipcub16HIPCUB_304000_NS8EqualityEEEPlJS6_EEE10hipError_tPvRmT3_T4_T5_T6_T7_T9_mT8_P12ihipStream_tbDpT10_ENKUlT_T0_E_clISt17integral_constantIbLb1EES16_IbLb0EEEEDaS12_S13_EUlS12_E_NS1_11comp_targetILNS1_3genE9ELNS1_11target_archE1100ELNS1_3gpuE3ELNS1_3repE0EEENS1_30default_config_static_selectorELNS0_4arch9wavefront6targetE1EEEvT1_,comdat
.Lfunc_end363:
	.size	_ZN7rocprim17ROCPRIM_400000_NS6detail17trampoline_kernelINS0_14default_configENS1_25partition_config_selectorILNS1_17partition_subalgoE8EfNS0_10empty_typeEbEEZZNS1_14partition_implILS5_8ELb0ES3_jPKfPS6_PKS6_NS0_5tupleIJPfS6_EEENSE_IJSB_SB_EEENS0_18inequality_wrapperIN6hipcub16HIPCUB_304000_NS8EqualityEEEPlJS6_EEE10hipError_tPvRmT3_T4_T5_T6_T7_T9_mT8_P12ihipStream_tbDpT10_ENKUlT_T0_E_clISt17integral_constantIbLb1EES16_IbLb0EEEEDaS12_S13_EUlS12_E_NS1_11comp_targetILNS1_3genE9ELNS1_11target_archE1100ELNS1_3gpuE3ELNS1_3repE0EEENS1_30default_config_static_selectorELNS0_4arch9wavefront6targetE1EEEvT1_, .Lfunc_end363-_ZN7rocprim17ROCPRIM_400000_NS6detail17trampoline_kernelINS0_14default_configENS1_25partition_config_selectorILNS1_17partition_subalgoE8EfNS0_10empty_typeEbEEZZNS1_14partition_implILS5_8ELb0ES3_jPKfPS6_PKS6_NS0_5tupleIJPfS6_EEENSE_IJSB_SB_EEENS0_18inequality_wrapperIN6hipcub16HIPCUB_304000_NS8EqualityEEEPlJS6_EEE10hipError_tPvRmT3_T4_T5_T6_T7_T9_mT8_P12ihipStream_tbDpT10_ENKUlT_T0_E_clISt17integral_constantIbLb1EES16_IbLb0EEEEDaS12_S13_EUlS12_E_NS1_11comp_targetILNS1_3genE9ELNS1_11target_archE1100ELNS1_3gpuE3ELNS1_3repE0EEENS1_30default_config_static_selectorELNS0_4arch9wavefront6targetE1EEEvT1_
                                        ; -- End function
	.section	.AMDGPU.csdata,"",@progbits
; Kernel info:
; codeLenInByte = 0
; NumSgprs: 4
; NumVgprs: 0
; NumAgprs: 0
; TotalNumVgprs: 0
; ScratchSize: 0
; MemoryBound: 0
; FloatMode: 240
; IeeeMode: 1
; LDSByteSize: 0 bytes/workgroup (compile time only)
; SGPRBlocks: 0
; VGPRBlocks: 0
; NumSGPRsForWavesPerEU: 4
; NumVGPRsForWavesPerEU: 1
; AccumOffset: 4
; Occupancy: 8
; WaveLimiterHint : 0
; COMPUTE_PGM_RSRC2:SCRATCH_EN: 0
; COMPUTE_PGM_RSRC2:USER_SGPR: 6
; COMPUTE_PGM_RSRC2:TRAP_HANDLER: 0
; COMPUTE_PGM_RSRC2:TGID_X_EN: 1
; COMPUTE_PGM_RSRC2:TGID_Y_EN: 0
; COMPUTE_PGM_RSRC2:TGID_Z_EN: 0
; COMPUTE_PGM_RSRC2:TIDIG_COMP_CNT: 0
; COMPUTE_PGM_RSRC3_GFX90A:ACCUM_OFFSET: 0
; COMPUTE_PGM_RSRC3_GFX90A:TG_SPLIT: 0
	.section	.text._ZN7rocprim17ROCPRIM_400000_NS6detail17trampoline_kernelINS0_14default_configENS1_25partition_config_selectorILNS1_17partition_subalgoE8EfNS0_10empty_typeEbEEZZNS1_14partition_implILS5_8ELb0ES3_jPKfPS6_PKS6_NS0_5tupleIJPfS6_EEENSE_IJSB_SB_EEENS0_18inequality_wrapperIN6hipcub16HIPCUB_304000_NS8EqualityEEEPlJS6_EEE10hipError_tPvRmT3_T4_T5_T6_T7_T9_mT8_P12ihipStream_tbDpT10_ENKUlT_T0_E_clISt17integral_constantIbLb1EES16_IbLb0EEEEDaS12_S13_EUlS12_E_NS1_11comp_targetILNS1_3genE8ELNS1_11target_archE1030ELNS1_3gpuE2ELNS1_3repE0EEENS1_30default_config_static_selectorELNS0_4arch9wavefront6targetE1EEEvT1_,"axG",@progbits,_ZN7rocprim17ROCPRIM_400000_NS6detail17trampoline_kernelINS0_14default_configENS1_25partition_config_selectorILNS1_17partition_subalgoE8EfNS0_10empty_typeEbEEZZNS1_14partition_implILS5_8ELb0ES3_jPKfPS6_PKS6_NS0_5tupleIJPfS6_EEENSE_IJSB_SB_EEENS0_18inequality_wrapperIN6hipcub16HIPCUB_304000_NS8EqualityEEEPlJS6_EEE10hipError_tPvRmT3_T4_T5_T6_T7_T9_mT8_P12ihipStream_tbDpT10_ENKUlT_T0_E_clISt17integral_constantIbLb1EES16_IbLb0EEEEDaS12_S13_EUlS12_E_NS1_11comp_targetILNS1_3genE8ELNS1_11target_archE1030ELNS1_3gpuE2ELNS1_3repE0EEENS1_30default_config_static_selectorELNS0_4arch9wavefront6targetE1EEEvT1_,comdat
	.protected	_ZN7rocprim17ROCPRIM_400000_NS6detail17trampoline_kernelINS0_14default_configENS1_25partition_config_selectorILNS1_17partition_subalgoE8EfNS0_10empty_typeEbEEZZNS1_14partition_implILS5_8ELb0ES3_jPKfPS6_PKS6_NS0_5tupleIJPfS6_EEENSE_IJSB_SB_EEENS0_18inequality_wrapperIN6hipcub16HIPCUB_304000_NS8EqualityEEEPlJS6_EEE10hipError_tPvRmT3_T4_T5_T6_T7_T9_mT8_P12ihipStream_tbDpT10_ENKUlT_T0_E_clISt17integral_constantIbLb1EES16_IbLb0EEEEDaS12_S13_EUlS12_E_NS1_11comp_targetILNS1_3genE8ELNS1_11target_archE1030ELNS1_3gpuE2ELNS1_3repE0EEENS1_30default_config_static_selectorELNS0_4arch9wavefront6targetE1EEEvT1_ ; -- Begin function _ZN7rocprim17ROCPRIM_400000_NS6detail17trampoline_kernelINS0_14default_configENS1_25partition_config_selectorILNS1_17partition_subalgoE8EfNS0_10empty_typeEbEEZZNS1_14partition_implILS5_8ELb0ES3_jPKfPS6_PKS6_NS0_5tupleIJPfS6_EEENSE_IJSB_SB_EEENS0_18inequality_wrapperIN6hipcub16HIPCUB_304000_NS8EqualityEEEPlJS6_EEE10hipError_tPvRmT3_T4_T5_T6_T7_T9_mT8_P12ihipStream_tbDpT10_ENKUlT_T0_E_clISt17integral_constantIbLb1EES16_IbLb0EEEEDaS12_S13_EUlS12_E_NS1_11comp_targetILNS1_3genE8ELNS1_11target_archE1030ELNS1_3gpuE2ELNS1_3repE0EEENS1_30default_config_static_selectorELNS0_4arch9wavefront6targetE1EEEvT1_
	.globl	_ZN7rocprim17ROCPRIM_400000_NS6detail17trampoline_kernelINS0_14default_configENS1_25partition_config_selectorILNS1_17partition_subalgoE8EfNS0_10empty_typeEbEEZZNS1_14partition_implILS5_8ELb0ES3_jPKfPS6_PKS6_NS0_5tupleIJPfS6_EEENSE_IJSB_SB_EEENS0_18inequality_wrapperIN6hipcub16HIPCUB_304000_NS8EqualityEEEPlJS6_EEE10hipError_tPvRmT3_T4_T5_T6_T7_T9_mT8_P12ihipStream_tbDpT10_ENKUlT_T0_E_clISt17integral_constantIbLb1EES16_IbLb0EEEEDaS12_S13_EUlS12_E_NS1_11comp_targetILNS1_3genE8ELNS1_11target_archE1030ELNS1_3gpuE2ELNS1_3repE0EEENS1_30default_config_static_selectorELNS0_4arch9wavefront6targetE1EEEvT1_
	.p2align	8
	.type	_ZN7rocprim17ROCPRIM_400000_NS6detail17trampoline_kernelINS0_14default_configENS1_25partition_config_selectorILNS1_17partition_subalgoE8EfNS0_10empty_typeEbEEZZNS1_14partition_implILS5_8ELb0ES3_jPKfPS6_PKS6_NS0_5tupleIJPfS6_EEENSE_IJSB_SB_EEENS0_18inequality_wrapperIN6hipcub16HIPCUB_304000_NS8EqualityEEEPlJS6_EEE10hipError_tPvRmT3_T4_T5_T6_T7_T9_mT8_P12ihipStream_tbDpT10_ENKUlT_T0_E_clISt17integral_constantIbLb1EES16_IbLb0EEEEDaS12_S13_EUlS12_E_NS1_11comp_targetILNS1_3genE8ELNS1_11target_archE1030ELNS1_3gpuE2ELNS1_3repE0EEENS1_30default_config_static_selectorELNS0_4arch9wavefront6targetE1EEEvT1_,@function
_ZN7rocprim17ROCPRIM_400000_NS6detail17trampoline_kernelINS0_14default_configENS1_25partition_config_selectorILNS1_17partition_subalgoE8EfNS0_10empty_typeEbEEZZNS1_14partition_implILS5_8ELb0ES3_jPKfPS6_PKS6_NS0_5tupleIJPfS6_EEENSE_IJSB_SB_EEENS0_18inequality_wrapperIN6hipcub16HIPCUB_304000_NS8EqualityEEEPlJS6_EEE10hipError_tPvRmT3_T4_T5_T6_T7_T9_mT8_P12ihipStream_tbDpT10_ENKUlT_T0_E_clISt17integral_constantIbLb1EES16_IbLb0EEEEDaS12_S13_EUlS12_E_NS1_11comp_targetILNS1_3genE8ELNS1_11target_archE1030ELNS1_3gpuE2ELNS1_3repE0EEENS1_30default_config_static_selectorELNS0_4arch9wavefront6targetE1EEEvT1_: ; @_ZN7rocprim17ROCPRIM_400000_NS6detail17trampoline_kernelINS0_14default_configENS1_25partition_config_selectorILNS1_17partition_subalgoE8EfNS0_10empty_typeEbEEZZNS1_14partition_implILS5_8ELb0ES3_jPKfPS6_PKS6_NS0_5tupleIJPfS6_EEENSE_IJSB_SB_EEENS0_18inequality_wrapperIN6hipcub16HIPCUB_304000_NS8EqualityEEEPlJS6_EEE10hipError_tPvRmT3_T4_T5_T6_T7_T9_mT8_P12ihipStream_tbDpT10_ENKUlT_T0_E_clISt17integral_constantIbLb1EES16_IbLb0EEEEDaS12_S13_EUlS12_E_NS1_11comp_targetILNS1_3genE8ELNS1_11target_archE1030ELNS1_3gpuE2ELNS1_3repE0EEENS1_30default_config_static_selectorELNS0_4arch9wavefront6targetE1EEEvT1_
; %bb.0:
	.section	.rodata,"a",@progbits
	.p2align	6, 0x0
	.amdhsa_kernel _ZN7rocprim17ROCPRIM_400000_NS6detail17trampoline_kernelINS0_14default_configENS1_25partition_config_selectorILNS1_17partition_subalgoE8EfNS0_10empty_typeEbEEZZNS1_14partition_implILS5_8ELb0ES3_jPKfPS6_PKS6_NS0_5tupleIJPfS6_EEENSE_IJSB_SB_EEENS0_18inequality_wrapperIN6hipcub16HIPCUB_304000_NS8EqualityEEEPlJS6_EEE10hipError_tPvRmT3_T4_T5_T6_T7_T9_mT8_P12ihipStream_tbDpT10_ENKUlT_T0_E_clISt17integral_constantIbLb1EES16_IbLb0EEEEDaS12_S13_EUlS12_E_NS1_11comp_targetILNS1_3genE8ELNS1_11target_archE1030ELNS1_3gpuE2ELNS1_3repE0EEENS1_30default_config_static_selectorELNS0_4arch9wavefront6targetE1EEEvT1_
		.amdhsa_group_segment_fixed_size 0
		.amdhsa_private_segment_fixed_size 0
		.amdhsa_kernarg_size 112
		.amdhsa_user_sgpr_count 6
		.amdhsa_user_sgpr_private_segment_buffer 1
		.amdhsa_user_sgpr_dispatch_ptr 0
		.amdhsa_user_sgpr_queue_ptr 0
		.amdhsa_user_sgpr_kernarg_segment_ptr 1
		.amdhsa_user_sgpr_dispatch_id 0
		.amdhsa_user_sgpr_flat_scratch_init 0
		.amdhsa_user_sgpr_kernarg_preload_length 0
		.amdhsa_user_sgpr_kernarg_preload_offset 0
		.amdhsa_user_sgpr_private_segment_size 0
		.amdhsa_uses_dynamic_stack 0
		.amdhsa_system_sgpr_private_segment_wavefront_offset 0
		.amdhsa_system_sgpr_workgroup_id_x 1
		.amdhsa_system_sgpr_workgroup_id_y 0
		.amdhsa_system_sgpr_workgroup_id_z 0
		.amdhsa_system_sgpr_workgroup_info 0
		.amdhsa_system_vgpr_workitem_id 0
		.amdhsa_next_free_vgpr 1
		.amdhsa_next_free_sgpr 0
		.amdhsa_accum_offset 4
		.amdhsa_reserve_vcc 0
		.amdhsa_reserve_flat_scratch 0
		.amdhsa_float_round_mode_32 0
		.amdhsa_float_round_mode_16_64 0
		.amdhsa_float_denorm_mode_32 3
		.amdhsa_float_denorm_mode_16_64 3
		.amdhsa_dx10_clamp 1
		.amdhsa_ieee_mode 1
		.amdhsa_fp16_overflow 0
		.amdhsa_tg_split 0
		.amdhsa_exception_fp_ieee_invalid_op 0
		.amdhsa_exception_fp_denorm_src 0
		.amdhsa_exception_fp_ieee_div_zero 0
		.amdhsa_exception_fp_ieee_overflow 0
		.amdhsa_exception_fp_ieee_underflow 0
		.amdhsa_exception_fp_ieee_inexact 0
		.amdhsa_exception_int_div_zero 0
	.end_amdhsa_kernel
	.section	.text._ZN7rocprim17ROCPRIM_400000_NS6detail17trampoline_kernelINS0_14default_configENS1_25partition_config_selectorILNS1_17partition_subalgoE8EfNS0_10empty_typeEbEEZZNS1_14partition_implILS5_8ELb0ES3_jPKfPS6_PKS6_NS0_5tupleIJPfS6_EEENSE_IJSB_SB_EEENS0_18inequality_wrapperIN6hipcub16HIPCUB_304000_NS8EqualityEEEPlJS6_EEE10hipError_tPvRmT3_T4_T5_T6_T7_T9_mT8_P12ihipStream_tbDpT10_ENKUlT_T0_E_clISt17integral_constantIbLb1EES16_IbLb0EEEEDaS12_S13_EUlS12_E_NS1_11comp_targetILNS1_3genE8ELNS1_11target_archE1030ELNS1_3gpuE2ELNS1_3repE0EEENS1_30default_config_static_selectorELNS0_4arch9wavefront6targetE1EEEvT1_,"axG",@progbits,_ZN7rocprim17ROCPRIM_400000_NS6detail17trampoline_kernelINS0_14default_configENS1_25partition_config_selectorILNS1_17partition_subalgoE8EfNS0_10empty_typeEbEEZZNS1_14partition_implILS5_8ELb0ES3_jPKfPS6_PKS6_NS0_5tupleIJPfS6_EEENSE_IJSB_SB_EEENS0_18inequality_wrapperIN6hipcub16HIPCUB_304000_NS8EqualityEEEPlJS6_EEE10hipError_tPvRmT3_T4_T5_T6_T7_T9_mT8_P12ihipStream_tbDpT10_ENKUlT_T0_E_clISt17integral_constantIbLb1EES16_IbLb0EEEEDaS12_S13_EUlS12_E_NS1_11comp_targetILNS1_3genE8ELNS1_11target_archE1030ELNS1_3gpuE2ELNS1_3repE0EEENS1_30default_config_static_selectorELNS0_4arch9wavefront6targetE1EEEvT1_,comdat
.Lfunc_end364:
	.size	_ZN7rocprim17ROCPRIM_400000_NS6detail17trampoline_kernelINS0_14default_configENS1_25partition_config_selectorILNS1_17partition_subalgoE8EfNS0_10empty_typeEbEEZZNS1_14partition_implILS5_8ELb0ES3_jPKfPS6_PKS6_NS0_5tupleIJPfS6_EEENSE_IJSB_SB_EEENS0_18inequality_wrapperIN6hipcub16HIPCUB_304000_NS8EqualityEEEPlJS6_EEE10hipError_tPvRmT3_T4_T5_T6_T7_T9_mT8_P12ihipStream_tbDpT10_ENKUlT_T0_E_clISt17integral_constantIbLb1EES16_IbLb0EEEEDaS12_S13_EUlS12_E_NS1_11comp_targetILNS1_3genE8ELNS1_11target_archE1030ELNS1_3gpuE2ELNS1_3repE0EEENS1_30default_config_static_selectorELNS0_4arch9wavefront6targetE1EEEvT1_, .Lfunc_end364-_ZN7rocprim17ROCPRIM_400000_NS6detail17trampoline_kernelINS0_14default_configENS1_25partition_config_selectorILNS1_17partition_subalgoE8EfNS0_10empty_typeEbEEZZNS1_14partition_implILS5_8ELb0ES3_jPKfPS6_PKS6_NS0_5tupleIJPfS6_EEENSE_IJSB_SB_EEENS0_18inequality_wrapperIN6hipcub16HIPCUB_304000_NS8EqualityEEEPlJS6_EEE10hipError_tPvRmT3_T4_T5_T6_T7_T9_mT8_P12ihipStream_tbDpT10_ENKUlT_T0_E_clISt17integral_constantIbLb1EES16_IbLb0EEEEDaS12_S13_EUlS12_E_NS1_11comp_targetILNS1_3genE8ELNS1_11target_archE1030ELNS1_3gpuE2ELNS1_3repE0EEENS1_30default_config_static_selectorELNS0_4arch9wavefront6targetE1EEEvT1_
                                        ; -- End function
	.section	.AMDGPU.csdata,"",@progbits
; Kernel info:
; codeLenInByte = 0
; NumSgprs: 4
; NumVgprs: 0
; NumAgprs: 0
; TotalNumVgprs: 0
; ScratchSize: 0
; MemoryBound: 0
; FloatMode: 240
; IeeeMode: 1
; LDSByteSize: 0 bytes/workgroup (compile time only)
; SGPRBlocks: 0
; VGPRBlocks: 0
; NumSGPRsForWavesPerEU: 4
; NumVGPRsForWavesPerEU: 1
; AccumOffset: 4
; Occupancy: 8
; WaveLimiterHint : 0
; COMPUTE_PGM_RSRC2:SCRATCH_EN: 0
; COMPUTE_PGM_RSRC2:USER_SGPR: 6
; COMPUTE_PGM_RSRC2:TRAP_HANDLER: 0
; COMPUTE_PGM_RSRC2:TGID_X_EN: 1
; COMPUTE_PGM_RSRC2:TGID_Y_EN: 0
; COMPUTE_PGM_RSRC2:TGID_Z_EN: 0
; COMPUTE_PGM_RSRC2:TIDIG_COMP_CNT: 0
; COMPUTE_PGM_RSRC3_GFX90A:ACCUM_OFFSET: 0
; COMPUTE_PGM_RSRC3_GFX90A:TG_SPLIT: 0
	.section	.text._ZN7rocprim17ROCPRIM_400000_NS6detail17trampoline_kernelINS0_14default_configENS1_25partition_config_selectorILNS1_17partition_subalgoE8EfNS0_10empty_typeEbEEZZNS1_14partition_implILS5_8ELb0ES3_jPKfPS6_PKS6_NS0_5tupleIJPfS6_EEENSE_IJSB_SB_EEENS0_18inequality_wrapperIN6hipcub16HIPCUB_304000_NS8EqualityEEEPlJS6_EEE10hipError_tPvRmT3_T4_T5_T6_T7_T9_mT8_P12ihipStream_tbDpT10_ENKUlT_T0_E_clISt17integral_constantIbLb0EES16_IbLb1EEEEDaS12_S13_EUlS12_E_NS1_11comp_targetILNS1_3genE0ELNS1_11target_archE4294967295ELNS1_3gpuE0ELNS1_3repE0EEENS1_30default_config_static_selectorELNS0_4arch9wavefront6targetE1EEEvT1_,"axG",@progbits,_ZN7rocprim17ROCPRIM_400000_NS6detail17trampoline_kernelINS0_14default_configENS1_25partition_config_selectorILNS1_17partition_subalgoE8EfNS0_10empty_typeEbEEZZNS1_14partition_implILS5_8ELb0ES3_jPKfPS6_PKS6_NS0_5tupleIJPfS6_EEENSE_IJSB_SB_EEENS0_18inequality_wrapperIN6hipcub16HIPCUB_304000_NS8EqualityEEEPlJS6_EEE10hipError_tPvRmT3_T4_T5_T6_T7_T9_mT8_P12ihipStream_tbDpT10_ENKUlT_T0_E_clISt17integral_constantIbLb0EES16_IbLb1EEEEDaS12_S13_EUlS12_E_NS1_11comp_targetILNS1_3genE0ELNS1_11target_archE4294967295ELNS1_3gpuE0ELNS1_3repE0EEENS1_30default_config_static_selectorELNS0_4arch9wavefront6targetE1EEEvT1_,comdat
	.protected	_ZN7rocprim17ROCPRIM_400000_NS6detail17trampoline_kernelINS0_14default_configENS1_25partition_config_selectorILNS1_17partition_subalgoE8EfNS0_10empty_typeEbEEZZNS1_14partition_implILS5_8ELb0ES3_jPKfPS6_PKS6_NS0_5tupleIJPfS6_EEENSE_IJSB_SB_EEENS0_18inequality_wrapperIN6hipcub16HIPCUB_304000_NS8EqualityEEEPlJS6_EEE10hipError_tPvRmT3_T4_T5_T6_T7_T9_mT8_P12ihipStream_tbDpT10_ENKUlT_T0_E_clISt17integral_constantIbLb0EES16_IbLb1EEEEDaS12_S13_EUlS12_E_NS1_11comp_targetILNS1_3genE0ELNS1_11target_archE4294967295ELNS1_3gpuE0ELNS1_3repE0EEENS1_30default_config_static_selectorELNS0_4arch9wavefront6targetE1EEEvT1_ ; -- Begin function _ZN7rocprim17ROCPRIM_400000_NS6detail17trampoline_kernelINS0_14default_configENS1_25partition_config_selectorILNS1_17partition_subalgoE8EfNS0_10empty_typeEbEEZZNS1_14partition_implILS5_8ELb0ES3_jPKfPS6_PKS6_NS0_5tupleIJPfS6_EEENSE_IJSB_SB_EEENS0_18inequality_wrapperIN6hipcub16HIPCUB_304000_NS8EqualityEEEPlJS6_EEE10hipError_tPvRmT3_T4_T5_T6_T7_T9_mT8_P12ihipStream_tbDpT10_ENKUlT_T0_E_clISt17integral_constantIbLb0EES16_IbLb1EEEEDaS12_S13_EUlS12_E_NS1_11comp_targetILNS1_3genE0ELNS1_11target_archE4294967295ELNS1_3gpuE0ELNS1_3repE0EEENS1_30default_config_static_selectorELNS0_4arch9wavefront6targetE1EEEvT1_
	.globl	_ZN7rocprim17ROCPRIM_400000_NS6detail17trampoline_kernelINS0_14default_configENS1_25partition_config_selectorILNS1_17partition_subalgoE8EfNS0_10empty_typeEbEEZZNS1_14partition_implILS5_8ELb0ES3_jPKfPS6_PKS6_NS0_5tupleIJPfS6_EEENSE_IJSB_SB_EEENS0_18inequality_wrapperIN6hipcub16HIPCUB_304000_NS8EqualityEEEPlJS6_EEE10hipError_tPvRmT3_T4_T5_T6_T7_T9_mT8_P12ihipStream_tbDpT10_ENKUlT_T0_E_clISt17integral_constantIbLb0EES16_IbLb1EEEEDaS12_S13_EUlS12_E_NS1_11comp_targetILNS1_3genE0ELNS1_11target_archE4294967295ELNS1_3gpuE0ELNS1_3repE0EEENS1_30default_config_static_selectorELNS0_4arch9wavefront6targetE1EEEvT1_
	.p2align	8
	.type	_ZN7rocprim17ROCPRIM_400000_NS6detail17trampoline_kernelINS0_14default_configENS1_25partition_config_selectorILNS1_17partition_subalgoE8EfNS0_10empty_typeEbEEZZNS1_14partition_implILS5_8ELb0ES3_jPKfPS6_PKS6_NS0_5tupleIJPfS6_EEENSE_IJSB_SB_EEENS0_18inequality_wrapperIN6hipcub16HIPCUB_304000_NS8EqualityEEEPlJS6_EEE10hipError_tPvRmT3_T4_T5_T6_T7_T9_mT8_P12ihipStream_tbDpT10_ENKUlT_T0_E_clISt17integral_constantIbLb0EES16_IbLb1EEEEDaS12_S13_EUlS12_E_NS1_11comp_targetILNS1_3genE0ELNS1_11target_archE4294967295ELNS1_3gpuE0ELNS1_3repE0EEENS1_30default_config_static_selectorELNS0_4arch9wavefront6targetE1EEEvT1_,@function
_ZN7rocprim17ROCPRIM_400000_NS6detail17trampoline_kernelINS0_14default_configENS1_25partition_config_selectorILNS1_17partition_subalgoE8EfNS0_10empty_typeEbEEZZNS1_14partition_implILS5_8ELb0ES3_jPKfPS6_PKS6_NS0_5tupleIJPfS6_EEENSE_IJSB_SB_EEENS0_18inequality_wrapperIN6hipcub16HIPCUB_304000_NS8EqualityEEEPlJS6_EEE10hipError_tPvRmT3_T4_T5_T6_T7_T9_mT8_P12ihipStream_tbDpT10_ENKUlT_T0_E_clISt17integral_constantIbLb0EES16_IbLb1EEEEDaS12_S13_EUlS12_E_NS1_11comp_targetILNS1_3genE0ELNS1_11target_archE4294967295ELNS1_3gpuE0ELNS1_3repE0EEENS1_30default_config_static_selectorELNS0_4arch9wavefront6targetE1EEEvT1_: ; @_ZN7rocprim17ROCPRIM_400000_NS6detail17trampoline_kernelINS0_14default_configENS1_25partition_config_selectorILNS1_17partition_subalgoE8EfNS0_10empty_typeEbEEZZNS1_14partition_implILS5_8ELb0ES3_jPKfPS6_PKS6_NS0_5tupleIJPfS6_EEENSE_IJSB_SB_EEENS0_18inequality_wrapperIN6hipcub16HIPCUB_304000_NS8EqualityEEEPlJS6_EEE10hipError_tPvRmT3_T4_T5_T6_T7_T9_mT8_P12ihipStream_tbDpT10_ENKUlT_T0_E_clISt17integral_constantIbLb0EES16_IbLb1EEEEDaS12_S13_EUlS12_E_NS1_11comp_targetILNS1_3genE0ELNS1_11target_archE4294967295ELNS1_3gpuE0ELNS1_3repE0EEENS1_30default_config_static_selectorELNS0_4arch9wavefront6targetE1EEEvT1_
; %bb.0:
	.section	.rodata,"a",@progbits
	.p2align	6, 0x0
	.amdhsa_kernel _ZN7rocprim17ROCPRIM_400000_NS6detail17trampoline_kernelINS0_14default_configENS1_25partition_config_selectorILNS1_17partition_subalgoE8EfNS0_10empty_typeEbEEZZNS1_14partition_implILS5_8ELb0ES3_jPKfPS6_PKS6_NS0_5tupleIJPfS6_EEENSE_IJSB_SB_EEENS0_18inequality_wrapperIN6hipcub16HIPCUB_304000_NS8EqualityEEEPlJS6_EEE10hipError_tPvRmT3_T4_T5_T6_T7_T9_mT8_P12ihipStream_tbDpT10_ENKUlT_T0_E_clISt17integral_constantIbLb0EES16_IbLb1EEEEDaS12_S13_EUlS12_E_NS1_11comp_targetILNS1_3genE0ELNS1_11target_archE4294967295ELNS1_3gpuE0ELNS1_3repE0EEENS1_30default_config_static_selectorELNS0_4arch9wavefront6targetE1EEEvT1_
		.amdhsa_group_segment_fixed_size 0
		.amdhsa_private_segment_fixed_size 0
		.amdhsa_kernarg_size 128
		.amdhsa_user_sgpr_count 6
		.amdhsa_user_sgpr_private_segment_buffer 1
		.amdhsa_user_sgpr_dispatch_ptr 0
		.amdhsa_user_sgpr_queue_ptr 0
		.amdhsa_user_sgpr_kernarg_segment_ptr 1
		.amdhsa_user_sgpr_dispatch_id 0
		.amdhsa_user_sgpr_flat_scratch_init 0
		.amdhsa_user_sgpr_kernarg_preload_length 0
		.amdhsa_user_sgpr_kernarg_preload_offset 0
		.amdhsa_user_sgpr_private_segment_size 0
		.amdhsa_uses_dynamic_stack 0
		.amdhsa_system_sgpr_private_segment_wavefront_offset 0
		.amdhsa_system_sgpr_workgroup_id_x 1
		.amdhsa_system_sgpr_workgroup_id_y 0
		.amdhsa_system_sgpr_workgroup_id_z 0
		.amdhsa_system_sgpr_workgroup_info 0
		.amdhsa_system_vgpr_workitem_id 0
		.amdhsa_next_free_vgpr 1
		.amdhsa_next_free_sgpr 0
		.amdhsa_accum_offset 4
		.amdhsa_reserve_vcc 0
		.amdhsa_reserve_flat_scratch 0
		.amdhsa_float_round_mode_32 0
		.amdhsa_float_round_mode_16_64 0
		.amdhsa_float_denorm_mode_32 3
		.amdhsa_float_denorm_mode_16_64 3
		.amdhsa_dx10_clamp 1
		.amdhsa_ieee_mode 1
		.amdhsa_fp16_overflow 0
		.amdhsa_tg_split 0
		.amdhsa_exception_fp_ieee_invalid_op 0
		.amdhsa_exception_fp_denorm_src 0
		.amdhsa_exception_fp_ieee_div_zero 0
		.amdhsa_exception_fp_ieee_overflow 0
		.amdhsa_exception_fp_ieee_underflow 0
		.amdhsa_exception_fp_ieee_inexact 0
		.amdhsa_exception_int_div_zero 0
	.end_amdhsa_kernel
	.section	.text._ZN7rocprim17ROCPRIM_400000_NS6detail17trampoline_kernelINS0_14default_configENS1_25partition_config_selectorILNS1_17partition_subalgoE8EfNS0_10empty_typeEbEEZZNS1_14partition_implILS5_8ELb0ES3_jPKfPS6_PKS6_NS0_5tupleIJPfS6_EEENSE_IJSB_SB_EEENS0_18inequality_wrapperIN6hipcub16HIPCUB_304000_NS8EqualityEEEPlJS6_EEE10hipError_tPvRmT3_T4_T5_T6_T7_T9_mT8_P12ihipStream_tbDpT10_ENKUlT_T0_E_clISt17integral_constantIbLb0EES16_IbLb1EEEEDaS12_S13_EUlS12_E_NS1_11comp_targetILNS1_3genE0ELNS1_11target_archE4294967295ELNS1_3gpuE0ELNS1_3repE0EEENS1_30default_config_static_selectorELNS0_4arch9wavefront6targetE1EEEvT1_,"axG",@progbits,_ZN7rocprim17ROCPRIM_400000_NS6detail17trampoline_kernelINS0_14default_configENS1_25partition_config_selectorILNS1_17partition_subalgoE8EfNS0_10empty_typeEbEEZZNS1_14partition_implILS5_8ELb0ES3_jPKfPS6_PKS6_NS0_5tupleIJPfS6_EEENSE_IJSB_SB_EEENS0_18inequality_wrapperIN6hipcub16HIPCUB_304000_NS8EqualityEEEPlJS6_EEE10hipError_tPvRmT3_T4_T5_T6_T7_T9_mT8_P12ihipStream_tbDpT10_ENKUlT_T0_E_clISt17integral_constantIbLb0EES16_IbLb1EEEEDaS12_S13_EUlS12_E_NS1_11comp_targetILNS1_3genE0ELNS1_11target_archE4294967295ELNS1_3gpuE0ELNS1_3repE0EEENS1_30default_config_static_selectorELNS0_4arch9wavefront6targetE1EEEvT1_,comdat
.Lfunc_end365:
	.size	_ZN7rocprim17ROCPRIM_400000_NS6detail17trampoline_kernelINS0_14default_configENS1_25partition_config_selectorILNS1_17partition_subalgoE8EfNS0_10empty_typeEbEEZZNS1_14partition_implILS5_8ELb0ES3_jPKfPS6_PKS6_NS0_5tupleIJPfS6_EEENSE_IJSB_SB_EEENS0_18inequality_wrapperIN6hipcub16HIPCUB_304000_NS8EqualityEEEPlJS6_EEE10hipError_tPvRmT3_T4_T5_T6_T7_T9_mT8_P12ihipStream_tbDpT10_ENKUlT_T0_E_clISt17integral_constantIbLb0EES16_IbLb1EEEEDaS12_S13_EUlS12_E_NS1_11comp_targetILNS1_3genE0ELNS1_11target_archE4294967295ELNS1_3gpuE0ELNS1_3repE0EEENS1_30default_config_static_selectorELNS0_4arch9wavefront6targetE1EEEvT1_, .Lfunc_end365-_ZN7rocprim17ROCPRIM_400000_NS6detail17trampoline_kernelINS0_14default_configENS1_25partition_config_selectorILNS1_17partition_subalgoE8EfNS0_10empty_typeEbEEZZNS1_14partition_implILS5_8ELb0ES3_jPKfPS6_PKS6_NS0_5tupleIJPfS6_EEENSE_IJSB_SB_EEENS0_18inequality_wrapperIN6hipcub16HIPCUB_304000_NS8EqualityEEEPlJS6_EEE10hipError_tPvRmT3_T4_T5_T6_T7_T9_mT8_P12ihipStream_tbDpT10_ENKUlT_T0_E_clISt17integral_constantIbLb0EES16_IbLb1EEEEDaS12_S13_EUlS12_E_NS1_11comp_targetILNS1_3genE0ELNS1_11target_archE4294967295ELNS1_3gpuE0ELNS1_3repE0EEENS1_30default_config_static_selectorELNS0_4arch9wavefront6targetE1EEEvT1_
                                        ; -- End function
	.section	.AMDGPU.csdata,"",@progbits
; Kernel info:
; codeLenInByte = 0
; NumSgprs: 4
; NumVgprs: 0
; NumAgprs: 0
; TotalNumVgprs: 0
; ScratchSize: 0
; MemoryBound: 0
; FloatMode: 240
; IeeeMode: 1
; LDSByteSize: 0 bytes/workgroup (compile time only)
; SGPRBlocks: 0
; VGPRBlocks: 0
; NumSGPRsForWavesPerEU: 4
; NumVGPRsForWavesPerEU: 1
; AccumOffset: 4
; Occupancy: 8
; WaveLimiterHint : 0
; COMPUTE_PGM_RSRC2:SCRATCH_EN: 0
; COMPUTE_PGM_RSRC2:USER_SGPR: 6
; COMPUTE_PGM_RSRC2:TRAP_HANDLER: 0
; COMPUTE_PGM_RSRC2:TGID_X_EN: 1
; COMPUTE_PGM_RSRC2:TGID_Y_EN: 0
; COMPUTE_PGM_RSRC2:TGID_Z_EN: 0
; COMPUTE_PGM_RSRC2:TIDIG_COMP_CNT: 0
; COMPUTE_PGM_RSRC3_GFX90A:ACCUM_OFFSET: 0
; COMPUTE_PGM_RSRC3_GFX90A:TG_SPLIT: 0
	.section	.text._ZN7rocprim17ROCPRIM_400000_NS6detail17trampoline_kernelINS0_14default_configENS1_25partition_config_selectorILNS1_17partition_subalgoE8EfNS0_10empty_typeEbEEZZNS1_14partition_implILS5_8ELb0ES3_jPKfPS6_PKS6_NS0_5tupleIJPfS6_EEENSE_IJSB_SB_EEENS0_18inequality_wrapperIN6hipcub16HIPCUB_304000_NS8EqualityEEEPlJS6_EEE10hipError_tPvRmT3_T4_T5_T6_T7_T9_mT8_P12ihipStream_tbDpT10_ENKUlT_T0_E_clISt17integral_constantIbLb0EES16_IbLb1EEEEDaS12_S13_EUlS12_E_NS1_11comp_targetILNS1_3genE5ELNS1_11target_archE942ELNS1_3gpuE9ELNS1_3repE0EEENS1_30default_config_static_selectorELNS0_4arch9wavefront6targetE1EEEvT1_,"axG",@progbits,_ZN7rocprim17ROCPRIM_400000_NS6detail17trampoline_kernelINS0_14default_configENS1_25partition_config_selectorILNS1_17partition_subalgoE8EfNS0_10empty_typeEbEEZZNS1_14partition_implILS5_8ELb0ES3_jPKfPS6_PKS6_NS0_5tupleIJPfS6_EEENSE_IJSB_SB_EEENS0_18inequality_wrapperIN6hipcub16HIPCUB_304000_NS8EqualityEEEPlJS6_EEE10hipError_tPvRmT3_T4_T5_T6_T7_T9_mT8_P12ihipStream_tbDpT10_ENKUlT_T0_E_clISt17integral_constantIbLb0EES16_IbLb1EEEEDaS12_S13_EUlS12_E_NS1_11comp_targetILNS1_3genE5ELNS1_11target_archE942ELNS1_3gpuE9ELNS1_3repE0EEENS1_30default_config_static_selectorELNS0_4arch9wavefront6targetE1EEEvT1_,comdat
	.protected	_ZN7rocprim17ROCPRIM_400000_NS6detail17trampoline_kernelINS0_14default_configENS1_25partition_config_selectorILNS1_17partition_subalgoE8EfNS0_10empty_typeEbEEZZNS1_14partition_implILS5_8ELb0ES3_jPKfPS6_PKS6_NS0_5tupleIJPfS6_EEENSE_IJSB_SB_EEENS0_18inequality_wrapperIN6hipcub16HIPCUB_304000_NS8EqualityEEEPlJS6_EEE10hipError_tPvRmT3_T4_T5_T6_T7_T9_mT8_P12ihipStream_tbDpT10_ENKUlT_T0_E_clISt17integral_constantIbLb0EES16_IbLb1EEEEDaS12_S13_EUlS12_E_NS1_11comp_targetILNS1_3genE5ELNS1_11target_archE942ELNS1_3gpuE9ELNS1_3repE0EEENS1_30default_config_static_selectorELNS0_4arch9wavefront6targetE1EEEvT1_ ; -- Begin function _ZN7rocprim17ROCPRIM_400000_NS6detail17trampoline_kernelINS0_14default_configENS1_25partition_config_selectorILNS1_17partition_subalgoE8EfNS0_10empty_typeEbEEZZNS1_14partition_implILS5_8ELb0ES3_jPKfPS6_PKS6_NS0_5tupleIJPfS6_EEENSE_IJSB_SB_EEENS0_18inequality_wrapperIN6hipcub16HIPCUB_304000_NS8EqualityEEEPlJS6_EEE10hipError_tPvRmT3_T4_T5_T6_T7_T9_mT8_P12ihipStream_tbDpT10_ENKUlT_T0_E_clISt17integral_constantIbLb0EES16_IbLb1EEEEDaS12_S13_EUlS12_E_NS1_11comp_targetILNS1_3genE5ELNS1_11target_archE942ELNS1_3gpuE9ELNS1_3repE0EEENS1_30default_config_static_selectorELNS0_4arch9wavefront6targetE1EEEvT1_
	.globl	_ZN7rocprim17ROCPRIM_400000_NS6detail17trampoline_kernelINS0_14default_configENS1_25partition_config_selectorILNS1_17partition_subalgoE8EfNS0_10empty_typeEbEEZZNS1_14partition_implILS5_8ELb0ES3_jPKfPS6_PKS6_NS0_5tupleIJPfS6_EEENSE_IJSB_SB_EEENS0_18inequality_wrapperIN6hipcub16HIPCUB_304000_NS8EqualityEEEPlJS6_EEE10hipError_tPvRmT3_T4_T5_T6_T7_T9_mT8_P12ihipStream_tbDpT10_ENKUlT_T0_E_clISt17integral_constantIbLb0EES16_IbLb1EEEEDaS12_S13_EUlS12_E_NS1_11comp_targetILNS1_3genE5ELNS1_11target_archE942ELNS1_3gpuE9ELNS1_3repE0EEENS1_30default_config_static_selectorELNS0_4arch9wavefront6targetE1EEEvT1_
	.p2align	8
	.type	_ZN7rocprim17ROCPRIM_400000_NS6detail17trampoline_kernelINS0_14default_configENS1_25partition_config_selectorILNS1_17partition_subalgoE8EfNS0_10empty_typeEbEEZZNS1_14partition_implILS5_8ELb0ES3_jPKfPS6_PKS6_NS0_5tupleIJPfS6_EEENSE_IJSB_SB_EEENS0_18inequality_wrapperIN6hipcub16HIPCUB_304000_NS8EqualityEEEPlJS6_EEE10hipError_tPvRmT3_T4_T5_T6_T7_T9_mT8_P12ihipStream_tbDpT10_ENKUlT_T0_E_clISt17integral_constantIbLb0EES16_IbLb1EEEEDaS12_S13_EUlS12_E_NS1_11comp_targetILNS1_3genE5ELNS1_11target_archE942ELNS1_3gpuE9ELNS1_3repE0EEENS1_30default_config_static_selectorELNS0_4arch9wavefront6targetE1EEEvT1_,@function
_ZN7rocprim17ROCPRIM_400000_NS6detail17trampoline_kernelINS0_14default_configENS1_25partition_config_selectorILNS1_17partition_subalgoE8EfNS0_10empty_typeEbEEZZNS1_14partition_implILS5_8ELb0ES3_jPKfPS6_PKS6_NS0_5tupleIJPfS6_EEENSE_IJSB_SB_EEENS0_18inequality_wrapperIN6hipcub16HIPCUB_304000_NS8EqualityEEEPlJS6_EEE10hipError_tPvRmT3_T4_T5_T6_T7_T9_mT8_P12ihipStream_tbDpT10_ENKUlT_T0_E_clISt17integral_constantIbLb0EES16_IbLb1EEEEDaS12_S13_EUlS12_E_NS1_11comp_targetILNS1_3genE5ELNS1_11target_archE942ELNS1_3gpuE9ELNS1_3repE0EEENS1_30default_config_static_selectorELNS0_4arch9wavefront6targetE1EEEvT1_: ; @_ZN7rocprim17ROCPRIM_400000_NS6detail17trampoline_kernelINS0_14default_configENS1_25partition_config_selectorILNS1_17partition_subalgoE8EfNS0_10empty_typeEbEEZZNS1_14partition_implILS5_8ELb0ES3_jPKfPS6_PKS6_NS0_5tupleIJPfS6_EEENSE_IJSB_SB_EEENS0_18inequality_wrapperIN6hipcub16HIPCUB_304000_NS8EqualityEEEPlJS6_EEE10hipError_tPvRmT3_T4_T5_T6_T7_T9_mT8_P12ihipStream_tbDpT10_ENKUlT_T0_E_clISt17integral_constantIbLb0EES16_IbLb1EEEEDaS12_S13_EUlS12_E_NS1_11comp_targetILNS1_3genE5ELNS1_11target_archE942ELNS1_3gpuE9ELNS1_3repE0EEENS1_30default_config_static_selectorELNS0_4arch9wavefront6targetE1EEEvT1_
; %bb.0:
	.section	.rodata,"a",@progbits
	.p2align	6, 0x0
	.amdhsa_kernel _ZN7rocprim17ROCPRIM_400000_NS6detail17trampoline_kernelINS0_14default_configENS1_25partition_config_selectorILNS1_17partition_subalgoE8EfNS0_10empty_typeEbEEZZNS1_14partition_implILS5_8ELb0ES3_jPKfPS6_PKS6_NS0_5tupleIJPfS6_EEENSE_IJSB_SB_EEENS0_18inequality_wrapperIN6hipcub16HIPCUB_304000_NS8EqualityEEEPlJS6_EEE10hipError_tPvRmT3_T4_T5_T6_T7_T9_mT8_P12ihipStream_tbDpT10_ENKUlT_T0_E_clISt17integral_constantIbLb0EES16_IbLb1EEEEDaS12_S13_EUlS12_E_NS1_11comp_targetILNS1_3genE5ELNS1_11target_archE942ELNS1_3gpuE9ELNS1_3repE0EEENS1_30default_config_static_selectorELNS0_4arch9wavefront6targetE1EEEvT1_
		.amdhsa_group_segment_fixed_size 0
		.amdhsa_private_segment_fixed_size 0
		.amdhsa_kernarg_size 128
		.amdhsa_user_sgpr_count 6
		.amdhsa_user_sgpr_private_segment_buffer 1
		.amdhsa_user_sgpr_dispatch_ptr 0
		.amdhsa_user_sgpr_queue_ptr 0
		.amdhsa_user_sgpr_kernarg_segment_ptr 1
		.amdhsa_user_sgpr_dispatch_id 0
		.amdhsa_user_sgpr_flat_scratch_init 0
		.amdhsa_user_sgpr_kernarg_preload_length 0
		.amdhsa_user_sgpr_kernarg_preload_offset 0
		.amdhsa_user_sgpr_private_segment_size 0
		.amdhsa_uses_dynamic_stack 0
		.amdhsa_system_sgpr_private_segment_wavefront_offset 0
		.amdhsa_system_sgpr_workgroup_id_x 1
		.amdhsa_system_sgpr_workgroup_id_y 0
		.amdhsa_system_sgpr_workgroup_id_z 0
		.amdhsa_system_sgpr_workgroup_info 0
		.amdhsa_system_vgpr_workitem_id 0
		.amdhsa_next_free_vgpr 1
		.amdhsa_next_free_sgpr 0
		.amdhsa_accum_offset 4
		.amdhsa_reserve_vcc 0
		.amdhsa_reserve_flat_scratch 0
		.amdhsa_float_round_mode_32 0
		.amdhsa_float_round_mode_16_64 0
		.amdhsa_float_denorm_mode_32 3
		.amdhsa_float_denorm_mode_16_64 3
		.amdhsa_dx10_clamp 1
		.amdhsa_ieee_mode 1
		.amdhsa_fp16_overflow 0
		.amdhsa_tg_split 0
		.amdhsa_exception_fp_ieee_invalid_op 0
		.amdhsa_exception_fp_denorm_src 0
		.amdhsa_exception_fp_ieee_div_zero 0
		.amdhsa_exception_fp_ieee_overflow 0
		.amdhsa_exception_fp_ieee_underflow 0
		.amdhsa_exception_fp_ieee_inexact 0
		.amdhsa_exception_int_div_zero 0
	.end_amdhsa_kernel
	.section	.text._ZN7rocprim17ROCPRIM_400000_NS6detail17trampoline_kernelINS0_14default_configENS1_25partition_config_selectorILNS1_17partition_subalgoE8EfNS0_10empty_typeEbEEZZNS1_14partition_implILS5_8ELb0ES3_jPKfPS6_PKS6_NS0_5tupleIJPfS6_EEENSE_IJSB_SB_EEENS0_18inequality_wrapperIN6hipcub16HIPCUB_304000_NS8EqualityEEEPlJS6_EEE10hipError_tPvRmT3_T4_T5_T6_T7_T9_mT8_P12ihipStream_tbDpT10_ENKUlT_T0_E_clISt17integral_constantIbLb0EES16_IbLb1EEEEDaS12_S13_EUlS12_E_NS1_11comp_targetILNS1_3genE5ELNS1_11target_archE942ELNS1_3gpuE9ELNS1_3repE0EEENS1_30default_config_static_selectorELNS0_4arch9wavefront6targetE1EEEvT1_,"axG",@progbits,_ZN7rocprim17ROCPRIM_400000_NS6detail17trampoline_kernelINS0_14default_configENS1_25partition_config_selectorILNS1_17partition_subalgoE8EfNS0_10empty_typeEbEEZZNS1_14partition_implILS5_8ELb0ES3_jPKfPS6_PKS6_NS0_5tupleIJPfS6_EEENSE_IJSB_SB_EEENS0_18inequality_wrapperIN6hipcub16HIPCUB_304000_NS8EqualityEEEPlJS6_EEE10hipError_tPvRmT3_T4_T5_T6_T7_T9_mT8_P12ihipStream_tbDpT10_ENKUlT_T0_E_clISt17integral_constantIbLb0EES16_IbLb1EEEEDaS12_S13_EUlS12_E_NS1_11comp_targetILNS1_3genE5ELNS1_11target_archE942ELNS1_3gpuE9ELNS1_3repE0EEENS1_30default_config_static_selectorELNS0_4arch9wavefront6targetE1EEEvT1_,comdat
.Lfunc_end366:
	.size	_ZN7rocprim17ROCPRIM_400000_NS6detail17trampoline_kernelINS0_14default_configENS1_25partition_config_selectorILNS1_17partition_subalgoE8EfNS0_10empty_typeEbEEZZNS1_14partition_implILS5_8ELb0ES3_jPKfPS6_PKS6_NS0_5tupleIJPfS6_EEENSE_IJSB_SB_EEENS0_18inequality_wrapperIN6hipcub16HIPCUB_304000_NS8EqualityEEEPlJS6_EEE10hipError_tPvRmT3_T4_T5_T6_T7_T9_mT8_P12ihipStream_tbDpT10_ENKUlT_T0_E_clISt17integral_constantIbLb0EES16_IbLb1EEEEDaS12_S13_EUlS12_E_NS1_11comp_targetILNS1_3genE5ELNS1_11target_archE942ELNS1_3gpuE9ELNS1_3repE0EEENS1_30default_config_static_selectorELNS0_4arch9wavefront6targetE1EEEvT1_, .Lfunc_end366-_ZN7rocprim17ROCPRIM_400000_NS6detail17trampoline_kernelINS0_14default_configENS1_25partition_config_selectorILNS1_17partition_subalgoE8EfNS0_10empty_typeEbEEZZNS1_14partition_implILS5_8ELb0ES3_jPKfPS6_PKS6_NS0_5tupleIJPfS6_EEENSE_IJSB_SB_EEENS0_18inequality_wrapperIN6hipcub16HIPCUB_304000_NS8EqualityEEEPlJS6_EEE10hipError_tPvRmT3_T4_T5_T6_T7_T9_mT8_P12ihipStream_tbDpT10_ENKUlT_T0_E_clISt17integral_constantIbLb0EES16_IbLb1EEEEDaS12_S13_EUlS12_E_NS1_11comp_targetILNS1_3genE5ELNS1_11target_archE942ELNS1_3gpuE9ELNS1_3repE0EEENS1_30default_config_static_selectorELNS0_4arch9wavefront6targetE1EEEvT1_
                                        ; -- End function
	.section	.AMDGPU.csdata,"",@progbits
; Kernel info:
; codeLenInByte = 0
; NumSgprs: 4
; NumVgprs: 0
; NumAgprs: 0
; TotalNumVgprs: 0
; ScratchSize: 0
; MemoryBound: 0
; FloatMode: 240
; IeeeMode: 1
; LDSByteSize: 0 bytes/workgroup (compile time only)
; SGPRBlocks: 0
; VGPRBlocks: 0
; NumSGPRsForWavesPerEU: 4
; NumVGPRsForWavesPerEU: 1
; AccumOffset: 4
; Occupancy: 8
; WaveLimiterHint : 0
; COMPUTE_PGM_RSRC2:SCRATCH_EN: 0
; COMPUTE_PGM_RSRC2:USER_SGPR: 6
; COMPUTE_PGM_RSRC2:TRAP_HANDLER: 0
; COMPUTE_PGM_RSRC2:TGID_X_EN: 1
; COMPUTE_PGM_RSRC2:TGID_Y_EN: 0
; COMPUTE_PGM_RSRC2:TGID_Z_EN: 0
; COMPUTE_PGM_RSRC2:TIDIG_COMP_CNT: 0
; COMPUTE_PGM_RSRC3_GFX90A:ACCUM_OFFSET: 0
; COMPUTE_PGM_RSRC3_GFX90A:TG_SPLIT: 0
	.section	.text._ZN7rocprim17ROCPRIM_400000_NS6detail17trampoline_kernelINS0_14default_configENS1_25partition_config_selectorILNS1_17partition_subalgoE8EfNS0_10empty_typeEbEEZZNS1_14partition_implILS5_8ELb0ES3_jPKfPS6_PKS6_NS0_5tupleIJPfS6_EEENSE_IJSB_SB_EEENS0_18inequality_wrapperIN6hipcub16HIPCUB_304000_NS8EqualityEEEPlJS6_EEE10hipError_tPvRmT3_T4_T5_T6_T7_T9_mT8_P12ihipStream_tbDpT10_ENKUlT_T0_E_clISt17integral_constantIbLb0EES16_IbLb1EEEEDaS12_S13_EUlS12_E_NS1_11comp_targetILNS1_3genE4ELNS1_11target_archE910ELNS1_3gpuE8ELNS1_3repE0EEENS1_30default_config_static_selectorELNS0_4arch9wavefront6targetE1EEEvT1_,"axG",@progbits,_ZN7rocprim17ROCPRIM_400000_NS6detail17trampoline_kernelINS0_14default_configENS1_25partition_config_selectorILNS1_17partition_subalgoE8EfNS0_10empty_typeEbEEZZNS1_14partition_implILS5_8ELb0ES3_jPKfPS6_PKS6_NS0_5tupleIJPfS6_EEENSE_IJSB_SB_EEENS0_18inequality_wrapperIN6hipcub16HIPCUB_304000_NS8EqualityEEEPlJS6_EEE10hipError_tPvRmT3_T4_T5_T6_T7_T9_mT8_P12ihipStream_tbDpT10_ENKUlT_T0_E_clISt17integral_constantIbLb0EES16_IbLb1EEEEDaS12_S13_EUlS12_E_NS1_11comp_targetILNS1_3genE4ELNS1_11target_archE910ELNS1_3gpuE8ELNS1_3repE0EEENS1_30default_config_static_selectorELNS0_4arch9wavefront6targetE1EEEvT1_,comdat
	.protected	_ZN7rocprim17ROCPRIM_400000_NS6detail17trampoline_kernelINS0_14default_configENS1_25partition_config_selectorILNS1_17partition_subalgoE8EfNS0_10empty_typeEbEEZZNS1_14partition_implILS5_8ELb0ES3_jPKfPS6_PKS6_NS0_5tupleIJPfS6_EEENSE_IJSB_SB_EEENS0_18inequality_wrapperIN6hipcub16HIPCUB_304000_NS8EqualityEEEPlJS6_EEE10hipError_tPvRmT3_T4_T5_T6_T7_T9_mT8_P12ihipStream_tbDpT10_ENKUlT_T0_E_clISt17integral_constantIbLb0EES16_IbLb1EEEEDaS12_S13_EUlS12_E_NS1_11comp_targetILNS1_3genE4ELNS1_11target_archE910ELNS1_3gpuE8ELNS1_3repE0EEENS1_30default_config_static_selectorELNS0_4arch9wavefront6targetE1EEEvT1_ ; -- Begin function _ZN7rocprim17ROCPRIM_400000_NS6detail17trampoline_kernelINS0_14default_configENS1_25partition_config_selectorILNS1_17partition_subalgoE8EfNS0_10empty_typeEbEEZZNS1_14partition_implILS5_8ELb0ES3_jPKfPS6_PKS6_NS0_5tupleIJPfS6_EEENSE_IJSB_SB_EEENS0_18inequality_wrapperIN6hipcub16HIPCUB_304000_NS8EqualityEEEPlJS6_EEE10hipError_tPvRmT3_T4_T5_T6_T7_T9_mT8_P12ihipStream_tbDpT10_ENKUlT_T0_E_clISt17integral_constantIbLb0EES16_IbLb1EEEEDaS12_S13_EUlS12_E_NS1_11comp_targetILNS1_3genE4ELNS1_11target_archE910ELNS1_3gpuE8ELNS1_3repE0EEENS1_30default_config_static_selectorELNS0_4arch9wavefront6targetE1EEEvT1_
	.globl	_ZN7rocprim17ROCPRIM_400000_NS6detail17trampoline_kernelINS0_14default_configENS1_25partition_config_selectorILNS1_17partition_subalgoE8EfNS0_10empty_typeEbEEZZNS1_14partition_implILS5_8ELb0ES3_jPKfPS6_PKS6_NS0_5tupleIJPfS6_EEENSE_IJSB_SB_EEENS0_18inequality_wrapperIN6hipcub16HIPCUB_304000_NS8EqualityEEEPlJS6_EEE10hipError_tPvRmT3_T4_T5_T6_T7_T9_mT8_P12ihipStream_tbDpT10_ENKUlT_T0_E_clISt17integral_constantIbLb0EES16_IbLb1EEEEDaS12_S13_EUlS12_E_NS1_11comp_targetILNS1_3genE4ELNS1_11target_archE910ELNS1_3gpuE8ELNS1_3repE0EEENS1_30default_config_static_selectorELNS0_4arch9wavefront6targetE1EEEvT1_
	.p2align	8
	.type	_ZN7rocprim17ROCPRIM_400000_NS6detail17trampoline_kernelINS0_14default_configENS1_25partition_config_selectorILNS1_17partition_subalgoE8EfNS0_10empty_typeEbEEZZNS1_14partition_implILS5_8ELb0ES3_jPKfPS6_PKS6_NS0_5tupleIJPfS6_EEENSE_IJSB_SB_EEENS0_18inequality_wrapperIN6hipcub16HIPCUB_304000_NS8EqualityEEEPlJS6_EEE10hipError_tPvRmT3_T4_T5_T6_T7_T9_mT8_P12ihipStream_tbDpT10_ENKUlT_T0_E_clISt17integral_constantIbLb0EES16_IbLb1EEEEDaS12_S13_EUlS12_E_NS1_11comp_targetILNS1_3genE4ELNS1_11target_archE910ELNS1_3gpuE8ELNS1_3repE0EEENS1_30default_config_static_selectorELNS0_4arch9wavefront6targetE1EEEvT1_,@function
_ZN7rocprim17ROCPRIM_400000_NS6detail17trampoline_kernelINS0_14default_configENS1_25partition_config_selectorILNS1_17partition_subalgoE8EfNS0_10empty_typeEbEEZZNS1_14partition_implILS5_8ELb0ES3_jPKfPS6_PKS6_NS0_5tupleIJPfS6_EEENSE_IJSB_SB_EEENS0_18inequality_wrapperIN6hipcub16HIPCUB_304000_NS8EqualityEEEPlJS6_EEE10hipError_tPvRmT3_T4_T5_T6_T7_T9_mT8_P12ihipStream_tbDpT10_ENKUlT_T0_E_clISt17integral_constantIbLb0EES16_IbLb1EEEEDaS12_S13_EUlS12_E_NS1_11comp_targetILNS1_3genE4ELNS1_11target_archE910ELNS1_3gpuE8ELNS1_3repE0EEENS1_30default_config_static_selectorELNS0_4arch9wavefront6targetE1EEEvT1_: ; @_ZN7rocprim17ROCPRIM_400000_NS6detail17trampoline_kernelINS0_14default_configENS1_25partition_config_selectorILNS1_17partition_subalgoE8EfNS0_10empty_typeEbEEZZNS1_14partition_implILS5_8ELb0ES3_jPKfPS6_PKS6_NS0_5tupleIJPfS6_EEENSE_IJSB_SB_EEENS0_18inequality_wrapperIN6hipcub16HIPCUB_304000_NS8EqualityEEEPlJS6_EEE10hipError_tPvRmT3_T4_T5_T6_T7_T9_mT8_P12ihipStream_tbDpT10_ENKUlT_T0_E_clISt17integral_constantIbLb0EES16_IbLb1EEEEDaS12_S13_EUlS12_E_NS1_11comp_targetILNS1_3genE4ELNS1_11target_archE910ELNS1_3gpuE8ELNS1_3repE0EEENS1_30default_config_static_selectorELNS0_4arch9wavefront6targetE1EEEvT1_
; %bb.0:
	s_load_dwordx2 s[28:29], s[4:5], 0x28
	s_load_dwordx4 s[24:27], s[4:5], 0x40
	s_load_dwordx2 s[6:7], s[4:5], 0x50
	s_load_dwordx2 s[30:31], s[4:5], 0x60
	v_cmp_ne_u32_e64 s[2:3], 0, v0
	v_cmp_eq_u32_e64 s[0:1], 0, v0
	s_and_saveexec_b64 s[8:9], s[0:1]
	s_cbranch_execz .LBB367_4
; %bb.1:
	s_mov_b64 s[12:13], exec
	v_mbcnt_lo_u32_b32 v1, s12, 0
	v_mbcnt_hi_u32_b32 v1, s13, v1
	v_cmp_eq_u32_e32 vcc, 0, v1
                                        ; implicit-def: $vgpr2
	s_and_saveexec_b64 s[10:11], vcc
	s_cbranch_execz .LBB367_3
; %bb.2:
	s_load_dwordx2 s[14:15], s[4:5], 0x70
	s_bcnt1_i32_b64 s12, s[12:13]
	v_mov_b32_e32 v2, 0
	v_mov_b32_e32 v3, s12
	s_waitcnt lgkmcnt(0)
	global_atomic_add v2, v2, v3, s[14:15] glc
.LBB367_3:
	s_or_b64 exec, exec, s[10:11]
	s_waitcnt vmcnt(0)
	v_readfirstlane_b32 s10, v2
	v_add_u32_e32 v1, s10, v1
	v_mov_b32_e32 v2, 0
	ds_write_b32 v2, v1
.LBB367_4:
	s_or_b64 exec, exec, s[8:9]
	v_mov_b32_e32 v3, 0
	s_load_dwordx4 s[8:11], s[4:5], 0x8
	s_load_dword s12, s[4:5], 0x68
	s_waitcnt lgkmcnt(0)
	s_barrier
	ds_read_b32 v1, v3
	s_waitcnt lgkmcnt(0)
	s_barrier
	global_load_dwordx2 v[14:15], v3, s[26:27]
	s_lshl_b64 s[4:5], s[10:11], 2
	v_mov_b32_e32 v5, s7
	s_add_u32 s7, s8, s4
	s_movk_i32 s4, 0xa00
	v_mul_lo_u32 v2, v1, s4
	s_mul_i32 s4, s12, 0xa00
	s_addc_u32 s8, s9, s5
	s_add_i32 s5, s4, s10
	s_add_i32 s9, s12, -1
	s_sub_i32 s40, s6, s5
	s_add_u32 s4, s10, s4
	v_readfirstlane_b32 s33, v1
	s_addc_u32 s5, s11, 0
	v_mov_b32_e32 v4, s6
	s_cmp_eq_u32 s33, s9
	v_cmp_ge_u64_e32 vcc, s[4:5], v[4:5]
	s_cselect_b64 s[22:23], -1, 0
	v_lshlrev_b64 v[2:3], 2, v[2:3]
	s_and_b64 s[34:35], vcc, s[22:23]
	v_mov_b32_e32 v1, s8
	v_add_co_u32_e32 v12, vcc, s7, v2
	s_xor_b64 s[26:27], s[34:35], -1
	v_addc_co_u32_e32 v13, vcc, v1, v3, vcc
	s_mov_b64 s[4:5], -1
	s_and_b64 vcc, exec, s[26:27]
	s_cbranch_vccz .LBB367_6
; %bb.5:
	v_lshlrev_b32_e32 v1, 2, v0
	v_add_co_u32_e32 v4, vcc, v12, v1
	v_addc_co_u32_e32 v5, vcc, 0, v13, vcc
	v_add_co_u32_e32 v2, vcc, 0x1000, v4
	v_readfirstlane_b32 s4, v12
	v_readfirstlane_b32 s5, v13
	v_addc_co_u32_e32 v3, vcc, 0, v5, vcc
	s_nop 3
	global_load_dword v6, v1, s[4:5]
	global_load_dword v7, v1, s[4:5] offset:1024
	global_load_dword v8, v1, s[4:5] offset:2048
	;; [unrolled: 1-line block ×3, first 2 shown]
	global_load_dword v10, v[2:3], off
	global_load_dword v11, v[2:3], off offset:1024
	global_load_dword v16, v[2:3], off offset:2048
	;; [unrolled: 1-line block ×3, first 2 shown]
	v_add_co_u32_e32 v2, vcc, 0x2000, v4
	v_addc_co_u32_e32 v3, vcc, 0, v5, vcc
	global_load_dword v4, v[2:3], off
	global_load_dword v5, v[2:3], off offset:1024
	s_mov_b64 s[4:5], 0
	s_waitcnt vmcnt(8)
	ds_write2st64_b32 v1, v6, v7 offset1:4
	s_waitcnt vmcnt(6)
	ds_write2st64_b32 v1, v8, v9 offset0:8 offset1:12
	s_waitcnt vmcnt(4)
	ds_write2st64_b32 v1, v10, v11 offset0:16 offset1:20
	s_waitcnt vmcnt(2)
	ds_write2st64_b32 v1, v16, v17 offset0:24 offset1:28
	s_waitcnt vmcnt(0)
	ds_write2st64_b32 v1, v4, v5 offset0:32 offset1:36
	s_waitcnt lgkmcnt(0)
	s_barrier
.LBB367_6:
	s_andn2_b64 vcc, exec, s[4:5]
	s_addk_i32 s40, 0xa00
	s_cbranch_vccnz .LBB367_28
; %bb.7:
	v_cmp_gt_u32_e32 vcc, s40, v0
                                        ; implicit-def: $vgpr2_vgpr3_vgpr4_vgpr5_vgpr6_vgpr7_vgpr8_vgpr9_vgpr10_vgpr11
	s_and_saveexec_b64 s[4:5], vcc
	s_cbranch_execz .LBB367_9
; %bb.8:
	v_lshlrev_b32_e32 v1, 2, v0
	v_readfirstlane_b32 s6, v12
	v_readfirstlane_b32 s7, v13
	s_nop 4
	global_load_dword v2, v1, s[6:7]
.LBB367_9:
	s_or_b64 exec, exec, s[4:5]
	v_or_b32_e32 v1, 0x100, v0
	v_cmp_gt_u32_e32 vcc, s40, v1
	s_and_saveexec_b64 s[4:5], vcc
	s_cbranch_execz .LBB367_11
; %bb.10:
	v_lshlrev_b32_e32 v1, 2, v0
	v_readfirstlane_b32 s6, v12
	v_readfirstlane_b32 s7, v13
	s_nop 4
	global_load_dword v3, v1, s[6:7] offset:1024
.LBB367_11:
	s_or_b64 exec, exec, s[4:5]
	v_or_b32_e32 v1, 0x200, v0
	v_cmp_gt_u32_e32 vcc, s40, v1
	s_and_saveexec_b64 s[4:5], vcc
	s_cbranch_execz .LBB367_13
; %bb.12:
	v_lshlrev_b32_e32 v1, 2, v0
	v_readfirstlane_b32 s6, v12
	v_readfirstlane_b32 s7, v13
	s_nop 4
	global_load_dword v4, v1, s[6:7] offset:2048
.LBB367_13:
	;; [unrolled: 12-line block ×3, first 2 shown]
	s_or_b64 exec, exec, s[4:5]
	v_or_b32_e32 v1, 0x400, v0
	v_cmp_gt_u32_e32 vcc, s40, v1
	s_and_saveexec_b64 s[4:5], vcc
	s_cbranch_execz .LBB367_17
; %bb.16:
	v_lshlrev_b32_e32 v1, 2, v1
	v_readfirstlane_b32 s6, v12
	v_readfirstlane_b32 s7, v13
	s_nop 4
	global_load_dword v6, v1, s[6:7]
.LBB367_17:
	s_or_b64 exec, exec, s[4:5]
	v_or_b32_e32 v1, 0x500, v0
	v_cmp_gt_u32_e32 vcc, s40, v1
	s_and_saveexec_b64 s[4:5], vcc
	s_cbranch_execz .LBB367_19
; %bb.18:
	v_lshlrev_b32_e32 v1, 2, v1
	v_readfirstlane_b32 s6, v12
	v_readfirstlane_b32 s7, v13
	s_nop 4
	global_load_dword v7, v1, s[6:7]
.LBB367_19:
	;; [unrolled: 12-line block ×6, first 2 shown]
	s_or_b64 exec, exec, s[4:5]
	v_lshlrev_b32_e32 v1, 2, v0
	s_waitcnt vmcnt(0)
	ds_write2st64_b32 v1, v2, v3 offset1:4
	ds_write2st64_b32 v1, v4, v5 offset0:8 offset1:12
	ds_write2st64_b32 v1, v6, v7 offset0:16 offset1:20
	;; [unrolled: 1-line block ×4, first 2 shown]
	s_waitcnt lgkmcnt(0)
	s_barrier
.LBB367_28:
	v_mul_u32_u24_e32 v28, 10, v0
	v_lshlrev_b32_e32 v1, 2, v28
	ds_read2_b64 v[6:9], v1 offset1:1
	ds_read2_b64 v[2:5], v1 offset0:2 offset1:3
	ds_read_b64 v[16:17], v1 offset:32
	s_cmp_lg_u32 s33, 0
	s_cselect_b64 s[36:37], -1, 0
	s_cmp_lg_u64 s[10:11], 0
	s_cselect_b64 s[4:5], -1, 0
	s_or_b64 s[4:5], s[4:5], s[36:37]
	v_or_b32_e32 v29, 1, v28
	v_mad_u32_u24 v27, v0, 10, 2
	v_mad_u32_u24 v26, v0, 10, 3
	;; [unrolled: 1-line block ×8, first 2 shown]
	s_mov_b64 s[38:39], 0
	s_and_b64 vcc, exec, s[4:5]
	s_waitcnt lgkmcnt(0)
	s_barrier
	s_cbranch_vccz .LBB367_33
; %bb.29:
	global_load_dword v10, v[12:13], off offset:-4
	v_lshlrev_b32_e32 v11, 2, v0
	s_and_b64 vcc, exec, s[26:27]
	ds_write_b32 v11, v17
	s_cbranch_vccz .LBB367_35
; %bb.30:
	s_waitcnt vmcnt(0)
	v_mov_b32_e32 v12, v10
	s_waitcnt lgkmcnt(0)
	s_barrier
	s_and_saveexec_b64 s[4:5], s[2:3]
	s_cbranch_execz .LBB367_32
; %bb.31:
	v_add_u32_e32 v12, -4, v11
	ds_read_b32 v12, v12
.LBB367_32:
	s_or_b64 exec, exec, s[4:5]
	v_cmp_neq_f32_e32 vcc, v16, v17
	v_cndmask_b32_e64 v13, 0, 1, vcc
	v_cmp_neq_f32_e32 vcc, v5, v16
	v_cndmask_b32_e64 v30, 0, 1, vcc
	;; [unrolled: 2-line block ×9, first 2 shown]
	s_waitcnt lgkmcnt(0)
	v_cmp_neq_f32_e64 s[4:5], v12, v6
	v_lshlrev_b16_e32 v12, 8, v18
	v_or_b32_sdwa v12, v34, v12 dst_sel:WORD_1 dst_unused:UNUSED_PAD src0_sel:DWORD src1_sel:DWORD
	v_lshlrev_b16_e32 v18, 8, v35
	v_or_b32_e32 v18, v18, v12
	v_lshlrev_b16_e32 v12, 8, v32
	v_lshlrev_b16_e32 v19, 8, v19
	v_or_b32_e32 v12, v33, v12
	v_or_b32_sdwa v19, v31, v19 dst_sel:WORD_1 dst_unused:UNUSED_PAD src0_sel:DWORD src1_sel:DWORD
	v_or_b32_sdwa v19, v12, v19 dst_sel:DWORD dst_unused:UNUSED_PAD src0_sel:WORD_0 src1_sel:DWORD
	s_branch .LBB367_39
.LBB367_33:
                                        ; implicit-def: $sgpr4_sgpr5
                                        ; implicit-def: $vgpr13
                                        ; implicit-def: $vgpr30
                                        ; implicit-def: $vgpr19
	s_branch .LBB367_40
.LBB367_34:
                                        ; implicit-def: $vgpr10_vgpr11_vgpr12
	s_and_saveexec_b64 s[2:3], s[38:39]
	s_cbranch_execnz .LBB367_48
	s_branch .LBB367_49
.LBB367_35:
                                        ; implicit-def: $sgpr4_sgpr5
                                        ; implicit-def: $vgpr13
                                        ; implicit-def: $vgpr30
                                        ; implicit-def: $vgpr19
	s_cbranch_execz .LBB367_39
; %bb.36:
	s_waitcnt lgkmcnt(0)
	s_barrier
	s_and_saveexec_b64 s[4:5], s[2:3]
	s_cbranch_execz .LBB367_38
; %bb.37:
	s_waitcnt vmcnt(0)
	v_add_u32_e32 v10, -4, v11
	ds_read_b32 v10, v10
.LBB367_38:
	s_or_b64 exec, exec, s[4:5]
	v_cmp_gt_u32_e32 vcc, s40, v20
	v_cmp_neq_f32_e64 s[4:5], v16, v17
	s_and_b64 s[4:5], vcc, s[4:5]
	v_cndmask_b32_e64 v13, 0, 1, s[4:5]
	v_cmp_gt_u32_e32 vcc, s40, v21
	v_cmp_neq_f32_e64 s[4:5], v5, v16
	s_and_b64 s[4:5], vcc, s[4:5]
	v_cndmask_b32_e64 v30, 0, 1, s[4:5]
	;; [unrolled: 4-line block ×9, first 2 shown]
	s_waitcnt vmcnt(0) lgkmcnt(0)
	v_cmp_neq_f32_e64 s[4:5], v10, v6
	v_lshlrev_b16_e32 v10, 8, v18
	v_or_b32_sdwa v10, v32, v10 dst_sel:WORD_1 dst_unused:UNUSED_PAD src0_sel:DWORD src1_sel:DWORD
	v_lshlrev_b16_e32 v18, 8, v33
	v_or_b32_e32 v18, v18, v10
	v_lshlrev_b16_e32 v10, 8, v19
	v_lshlrev_b16_e32 v11, 8, v11
	v_cmp_gt_u32_e32 vcc, s40, v28
	v_or_b32_e32 v10, v31, v10
	v_or_b32_sdwa v11, v12, v11 dst_sel:WORD_1 dst_unused:UNUSED_PAD src0_sel:DWORD src1_sel:DWORD
	s_and_b64 s[4:5], vcc, s[4:5]
	v_or_b32_sdwa v19, v10, v11 dst_sel:DWORD dst_unused:UNUSED_PAD src0_sel:WORD_0 src1_sel:DWORD
.LBB367_39:
	s_mov_b64 s[38:39], -1
	s_cbranch_execnz .LBB367_34
.LBB367_40:
	s_movk_i32 s4, 0xffdc
	v_mad_i32_i24 v31, v0, s4, v1
	s_and_b64 vcc, exec, s[26:27]
	v_cmp_neq_f32_e64 s[4:5], v16, v17
	v_cmp_neq_f32_e64 s[6:7], v5, v16
	;; [unrolled: 1-line block ×9, first 2 shown]
	ds_write_b32 v31, v17
	s_cbranch_vccz .LBB367_44
; %bb.41:
	s_waitcnt vmcnt(0)
	v_cndmask_b32_e64 v10, 0, 1, s[8:9]
	v_cndmask_b32_e64 v12, 0, 1, s[12:13]
	;; [unrolled: 1-line block ×4, first 2 shown]
	v_lshlrev_b16_e32 v12, 8, v12
	v_lshlrev_b16_e32 v10, 8, v10
	v_cndmask_b32_e64 v13, 0, 1, s[4:5]
	v_or_b32_e32 v12, v18, v12
	v_or_b32_sdwa v10, v11, v10 dst_sel:WORD_1 dst_unused:UNUSED_PAD src0_sel:DWORD src1_sel:DWORD
	v_cndmask_b32_e64 v30, 0, 1, s[6:7]
	v_or_b32_sdwa v19, v12, v10 dst_sel:DWORD dst_unused:UNUSED_PAD src0_sel:WORD_0 src1_sel:DWORD
	v_lshlrev_b16_e32 v10, 8, v13
	v_cndmask_b32_e64 v32, 0, 1, s[16:17]
	v_cndmask_b32_e64 v34, 0, 1, s[20:21]
	v_or_b32_e32 v10, v30, v10
	v_cndmask_b32_e64 v33, 0, 1, s[18:19]
	v_and_b32_e32 v12, 0xffff, v10
	v_lshlrev_b16_e32 v10, 8, v32
	v_lshlrev_b16_e32 v11, 8, v34
	v_or_b32_sdwa v10, v33, v10 dst_sel:WORD_1 dst_unused:UNUSED_PAD src0_sel:DWORD src1_sel:DWORD
	v_or_b32_e32 v11, 1, v11
	v_or_b32_sdwa v18, v11, v10 dst_sel:DWORD dst_unused:UNUSED_PAD src0_sel:WORD_0 src1_sel:DWORD
	s_waitcnt lgkmcnt(0)
	s_barrier
	s_waitcnt lgkmcnt(0)
                                        ; implicit-def: $sgpr4_sgpr5
	s_and_saveexec_b64 s[6:7], s[2:3]
	s_xor_b64 s[6:7], exec, s[6:7]
	s_cbranch_execz .LBB367_43
; %bb.42:
	v_add_u32_e32 v10, -4, v31
	ds_read_b32 v10, v10
	s_or_b64 s[38:39], s[38:39], exec
	s_waitcnt lgkmcnt(0)
	v_cmp_neq_f32_e32 vcc, v10, v6
	s_and_b64 s[4:5], vcc, exec
                                        ; implicit-def: $vgpr10_vgpr11_vgpr12
.LBB367_43:
	s_or_b64 exec, exec, s[6:7]
	s_branch .LBB367_47
.LBB367_44:
                                        ; implicit-def: $sgpr4_sgpr5
                                        ; implicit-def: $vgpr13
                                        ; implicit-def: $vgpr30
                                        ; implicit-def: $vgpr19
                                        ; implicit-def: $vgpr10_vgpr11_vgpr12
	s_cbranch_execz .LBB367_47
; %bb.45:
	v_cmp_gt_u32_e32 vcc, s40, v20
	v_cmp_neq_f32_e64 s[4:5], v16, v17
	s_and_b64 s[4:5], vcc, s[4:5]
	v_cndmask_b32_e64 v13, 0, 1, s[4:5]
	v_cmp_gt_u32_e32 vcc, s40, v21
	v_cmp_neq_f32_e64 s[4:5], v5, v16
	s_and_b64 s[4:5], vcc, s[4:5]
	v_cndmask_b32_e64 v30, 0, 1, s[4:5]
	v_cmp_gt_u32_e32 vcc, s40, v22
	v_cmp_neq_f32_e64 s[4:5], v4, v5
	s_and_b64 s[4:5], vcc, s[4:5]
	s_waitcnt vmcnt(0)
	v_cndmask_b32_e64 v10, 0, 1, s[4:5]
	v_cmp_gt_u32_e32 vcc, s40, v23
	v_cmp_neq_f32_e64 s[4:5], v3, v4
	s_and_b64 s[4:5], vcc, s[4:5]
	v_cndmask_b32_e64 v11, 0, 1, s[4:5]
	v_cmp_gt_u32_e32 vcc, s40, v24
	v_cmp_neq_f32_e64 s[4:5], v2, v3
	s_and_b64 s[4:5], vcc, s[4:5]
	;; [unrolled: 4-line block ×5, first 2 shown]
	v_lshlrev_b16_e32 v12, 8, v12
	v_lshlrev_b16_e32 v10, 8, v10
	v_cndmask_b32_e64 v33, 0, 1, s[4:5]
	v_cmp_gt_u32_e32 vcc, s40, v29
	v_cmp_neq_f32_e64 s[4:5], v6, v7
	v_or_b32_e32 v12, v18, v12
	v_or_b32_sdwa v10, v11, v10 dst_sel:WORD_1 dst_unused:UNUSED_PAD src0_sel:DWORD src1_sel:DWORD
	s_and_b64 s[4:5], vcc, s[4:5]
	v_or_b32_sdwa v19, v12, v10 dst_sel:DWORD dst_unused:UNUSED_PAD src0_sel:WORD_0 src1_sel:DWORD
	v_lshlrev_b16_e32 v10, 8, v13
	v_cndmask_b32_e64 v34, 0, 1, s[4:5]
	v_or_b32_e32 v10, v30, v10
	v_and_b32_e32 v12, 0xffff, v10
	v_lshlrev_b16_e32 v10, 8, v32
	v_lshlrev_b16_e32 v11, 8, v34
	v_or_b32_sdwa v10, v33, v10 dst_sel:WORD_1 dst_unused:UNUSED_PAD src0_sel:DWORD src1_sel:DWORD
	v_or_b32_e32 v11, 1, v11
	v_or_b32_sdwa v18, v11, v10 dst_sel:DWORD dst_unused:UNUSED_PAD src0_sel:WORD_0 src1_sel:DWORD
	s_waitcnt lgkmcnt(0)
	s_barrier
	s_waitcnt lgkmcnt(0)
                                        ; implicit-def: $sgpr4_sgpr5
	s_and_saveexec_b64 s[6:7], s[2:3]
	s_cbranch_execz .LBB367_160
; %bb.46:
	v_add_u32_e32 v10, -4, v31
	ds_read_b32 v10, v10
	v_cmp_gt_u32_e32 vcc, s40, v28
	s_or_b64 s[38:39], s[38:39], exec
	s_waitcnt lgkmcnt(0)
	v_cmp_neq_f32_e64 s[2:3], v10, v6
	s_and_b64 s[2:3], vcc, s[2:3]
	s_and_b64 s[4:5], s[2:3], exec
                                        ; implicit-def: $vgpr10_vgpr11_vgpr12
	s_or_b64 exec, exec, s[6:7]
.LBB367_47:
	s_and_saveexec_b64 s[2:3], s[38:39]
	s_cbranch_execz .LBB367_49
.LBB367_48:
	v_lshlrev_b16_e32 v11, 8, v13
	v_or_b32_sdwa v11, v30, v11 dst_sel:DWORD dst_unused:UNUSED_PAD src0_sel:BYTE_0 src1_sel:DWORD
	s_waitcnt vmcnt(0)
	v_cndmask_b32_e64 v10, 0, 1, s[4:5]
	s_movk_i32 s4, 0xff
	v_and_b32_e32 v12, 0xffff, v11
	v_lshrrev_b32_e32 v11, 24, v18
	v_lshlrev_b16_e32 v11, 8, v11
	v_and_b32_sdwa v13, v18, s4 dst_sel:DWORD dst_unused:UNUSED_PAD src0_sel:WORD_1 src1_sel:DWORD
	v_or_b32_sdwa v11, v13, v11 dst_sel:WORD_1 dst_unused:UNUSED_PAD src0_sel:DWORD src1_sel:DWORD
	v_mov_b32_e32 v13, 8
	v_lshrrev_b32_sdwa v13, v13, v18 dst_sel:BYTE_1 dst_unused:UNUSED_PAD src0_sel:DWORD src1_sel:DWORD
	v_or_b32_e32 v10, v10, v13
	v_or_b32_sdwa v18, v10, v11 dst_sel:DWORD dst_unused:UNUSED_PAD src0_sel:WORD_0 src1_sel:DWORD
.LBB367_49:
	s_or_b64 exec, exec, s[2:3]
	s_andn2_b64 vcc, exec, s[34:35]
	s_cbranch_vccnz .LBB367_51
; %bb.50:
	v_and_b32_e32 v11, 0xffff0000, v18
	v_cmp_gt_u32_e32 vcc, s40, v28
	v_cndmask_b32_e32 v11, v11, v18, vcc
	v_and_b32_e32 v11, 0xffff00ff, v11
	v_cmp_gt_u32_e32 vcc, s40, v29
	v_cndmask_b32_e32 v11, v11, v18, vcc
	v_lshrrev_b32_e32 v13, 24, v11
	s_mov_b32 s2, 0x40c0100
	v_perm_b32 v11, v13, v11, s2
	v_cmp_gt_u32_e32 vcc, s40, v27
	v_cndmask_b32_e32 v11, v11, v18, vcc
	v_and_b32_e32 v11, 0xffffff, v11
	v_cmp_gt_u32_e32 vcc, s40, v26
	v_cndmask_b32_e32 v11, v11, v18, vcc
	v_and_b32_e32 v13, 0xffffff00, v19
	;; [unrolled: 3-line block ×3, first 2 shown]
	v_cndmask_b32_e32 v11, v11, v18, vcc
	v_cmp_gt_u32_e32 vcc, s40, v24
	v_cndmask_b32_e32 v13, v13, v19, vcc
	v_lshrrev_b32_e32 v24, 24, v13
	s_waitcnt vmcnt(0)
	v_and_b32_e32 v10, 0xffff0000, v12
	v_cndmask_b32_e32 v11, v11, v18, vcc
	v_perm_b32 v13, v24, v13, s2
	v_cmp_gt_u32_e32 vcc, s40, v23
	v_cmp_gt_u32_e64 s[2:3], s40, v21
	v_cmp_gt_u32_e64 s[4:5], s40, v20
	v_cndmask_b32_e32 v13, v13, v19, vcc
	v_cndmask_b32_e32 v11, v11, v18, vcc
	v_cmp_gt_u32_e32 vcc, s40, v22
	v_cndmask_b32_e64 v10, v10, v12, s[2:3]
	s_or_b64 s[2:3], s[4:5], s[2:3]
	s_or_b64 vcc, s[2:3], vcc
	v_and_b32_e32 v10, 0xffff00ff, v10
	v_cndmask_b32_e32 v11, v11, v18, vcc
	s_mov_b32 s2, 0x3020104
	v_cndmask_b32_e64 v10, v10, v12, s[4:5]
	v_perm_b32 v18, v11, v11, s2
	v_mov_b32_e32 v11, 8
	v_lshrrev_b32_sdwa v11, v11, v10 dst_sel:BYTE_1 dst_unused:UNUSED_PAD src0_sel:DWORD src1_sel:DWORD
	v_and_b32_e32 v13, 0xffffff, v13
	v_or_b32_sdwa v10, v10, v11 dst_sel:DWORD dst_unused:UNUSED_PAD src0_sel:BYTE_0 src1_sel:DWORD
	v_cndmask_b32_e32 v19, v13, v19, vcc
	v_and_b32_e32 v12, 0xffff, v10
.LBB367_51:
	s_waitcnt vmcnt(0)
	v_alignbit_b32 v10, v19, v18, 24
	v_bfe_u32 v29, v18, 16, 8
	v_and_b32_e32 v31, 0xff, v10
	v_add_u32_sdwa v11, v18, v18 dst_sel:DWORD dst_unused:UNUSED_PAD src0_sel:BYTE_1 src1_sel:BYTE_0
	v_and_b32_e32 v33, 0xff, v19
	v_bfe_u32 v35, v19, 8, 8
	v_add3_u32 v11, v11, v29, v31
	v_bfe_u32 v37, v19, 16, 8
	v_lshrrev_b32_e32 v13, 24, v19
	v_add3_u32 v11, v11, v33, v35
	v_and_b32_e32 v39, 0xff, v12
	v_bfe_u32 v10, v12, 8, 8
	v_add3_u32 v11, v11, v37, v13
	v_add3_u32 v44, v11, v39, v10
	v_mbcnt_lo_u32_b32 v10, -1, 0
	v_mbcnt_hi_u32_b32 v41, -1, v10
	v_and_b32_e32 v10, 15, v41
	v_cmp_eq_u32_e64 s[14:15], 0, v10
	v_cmp_lt_u32_e64 s[12:13], 1, v10
	v_cmp_lt_u32_e64 s[10:11], 3, v10
	;; [unrolled: 1-line block ×3, first 2 shown]
	v_and_b32_e32 v10, 16, v41
	v_cmp_eq_u32_e64 s[6:7], 0, v10
	v_or_b32_e32 v10, 63, v0
	v_cmp_lt_u32_e64 s[2:3], 31, v41
	v_lshrrev_b32_e32 v43, 6, v0
	v_cmp_eq_u32_e64 s[4:5], v10, v0
	s_and_b64 vcc, exec, s[36:37]
	s_waitcnt lgkmcnt(0)
	s_barrier
	s_cbranch_vccz .LBB367_78
; %bb.52:
	v_mov_b32_dpp v10, v44 row_shr:1 row_mask:0xf bank_mask:0xf
	v_cndmask_b32_e64 v10, v10, 0, s[14:15]
	v_add_u32_e32 v10, v10, v44
	s_nop 1
	v_mov_b32_dpp v11, v10 row_shr:2 row_mask:0xf bank_mask:0xf
	v_cndmask_b32_e64 v11, 0, v11, s[12:13]
	v_add_u32_e32 v10, v10, v11
	s_nop 1
	;; [unrolled: 4-line block ×4, first 2 shown]
	v_mov_b32_dpp v11, v10 row_bcast:15 row_mask:0xf bank_mask:0xf
	v_cndmask_b32_e64 v11, v11, 0, s[6:7]
	v_add_u32_e32 v10, v10, v11
	s_nop 1
	v_mov_b32_dpp v11, v10 row_bcast:31 row_mask:0xf bank_mask:0xf
	v_cndmask_b32_e64 v11, 0, v11, s[2:3]
	v_add_u32_e32 v10, v10, v11
	s_and_saveexec_b64 s[16:17], s[4:5]
	s_cbranch_execz .LBB367_54
; %bb.53:
	v_lshlrev_b32_e32 v11, 2, v43
	ds_write_b32 v11, v10
.LBB367_54:
	s_or_b64 exec, exec, s[16:17]
	v_cmp_gt_u32_e32 vcc, 4, v0
	s_waitcnt lgkmcnt(0)
	s_barrier
	s_and_saveexec_b64 s[16:17], vcc
	s_cbranch_execz .LBB367_56
; %bb.55:
	v_lshlrev_b32_e32 v11, 2, v0
	ds_read_b32 v20, v11
	v_and_b32_e32 v21, 3, v41
	v_cmp_ne_u32_e32 vcc, 0, v21
	s_waitcnt lgkmcnt(0)
	v_mov_b32_dpp v22, v20 row_shr:1 row_mask:0xf bank_mask:0xf
	v_cndmask_b32_e32 v22, 0, v22, vcc
	v_add_u32_e32 v20, v22, v20
	v_cmp_lt_u32_e32 vcc, 1, v21
	s_nop 0
	v_mov_b32_dpp v22, v20 row_shr:2 row_mask:0xf bank_mask:0xf
	v_cndmask_b32_e32 v21, 0, v22, vcc
	v_add_u32_e32 v20, v20, v21
	ds_write_b32 v11, v20
.LBB367_56:
	s_or_b64 exec, exec, s[16:17]
	v_cmp_gt_u32_e32 vcc, 64, v0
	v_cmp_lt_u32_e64 s[16:17], 63, v0
	s_waitcnt lgkmcnt(0)
	s_barrier
	s_waitcnt lgkmcnt(0)
                                        ; implicit-def: $vgpr28
	s_and_saveexec_b64 s[18:19], s[16:17]
	s_cbranch_execz .LBB367_58
; %bb.57:
	v_lshl_add_u32 v11, v43, 2, -4
	ds_read_b32 v28, v11
	s_waitcnt lgkmcnt(0)
	v_add_u32_e32 v10, v28, v10
.LBB367_58:
	s_or_b64 exec, exec, s[18:19]
	v_add_u32_e32 v11, -1, v41
	v_and_b32_e32 v20, 64, v41
	v_cmp_lt_i32_e64 s[16:17], v11, v20
	v_cndmask_b32_e64 v11, v11, v41, s[16:17]
	v_lshlrev_b32_e32 v11, 2, v11
	ds_bpermute_b32 v30, v11, v10
	v_cmp_eq_u32_e64 s[16:17], 0, v41
	s_and_saveexec_b64 s[18:19], vcc
	s_cbranch_execz .LBB367_77
; %bb.59:
	v_mov_b32_e32 v25, 0
	ds_read_b32 v10, v25 offset:12
	s_and_saveexec_b64 s[20:21], s[16:17]
	s_cbranch_execz .LBB367_61
; %bb.60:
	s_add_i32 s34, s33, 64
	s_mov_b32 s35, 0
	s_lshl_b64 s[34:35], s[34:35], 3
	s_add_u32 s34, s30, s34
	v_mov_b32_e32 v11, 1
	s_addc_u32 s35, s31, s35
	s_waitcnt lgkmcnt(0)
	global_store_dwordx2 v25, v[10:11], s[34:35]
.LBB367_61:
	s_or_b64 exec, exec, s[20:21]
	v_xad_u32 v20, v41, -1, s33
	v_add_u32_e32 v24, 64, v20
	v_lshlrev_b64 v[22:23], 3, v[24:25]
	v_mov_b32_e32 v11, s31
	v_add_co_u32_e32 v26, vcc, s30, v22
	v_addc_co_u32_e32 v27, vcc, v11, v23, vcc
	global_load_dwordx2 v[22:23], v[26:27], off glc
	s_waitcnt vmcnt(0)
	v_cmp_eq_u16_sdwa s[34:35], v23, v25 src0_sel:BYTE_0 src1_sel:DWORD
	s_and_saveexec_b64 s[20:21], s[34:35]
	s_cbranch_execz .LBB367_65
; %bb.62:
	s_mov_b64 s[34:35], 0
	v_mov_b32_e32 v11, 0
.LBB367_63:                             ; =>This Inner Loop Header: Depth=1
	global_load_dwordx2 v[22:23], v[26:27], off glc
	s_waitcnt vmcnt(0)
	v_cmp_ne_u16_sdwa s[36:37], v23, v11 src0_sel:BYTE_0 src1_sel:DWORD
	s_or_b64 s[34:35], s[36:37], s[34:35]
	s_andn2_b64 exec, exec, s[34:35]
	s_cbranch_execnz .LBB367_63
; %bb.64:
	s_or_b64 exec, exec, s[34:35]
.LBB367_65:
	s_or_b64 exec, exec, s[20:21]
	v_and_b32_e32 v34, 63, v41
	v_mov_b32_e32 v32, 2
	v_cmp_ne_u32_e32 vcc, 63, v34
	v_cmp_eq_u16_sdwa s[20:21], v23, v32 src0_sel:BYTE_0 src1_sel:DWORD
	v_lshlrev_b64 v[24:25], v41, -1
	v_addc_co_u32_e32 v26, vcc, 0, v41, vcc
	v_and_b32_e32 v11, s21, v25
	v_lshlrev_b32_e32 v36, 2, v26
	v_or_b32_e32 v11, 0x80000000, v11
	ds_bpermute_b32 v26, v36, v22
	v_and_b32_e32 v21, s20, v24
	v_ffbl_b32_e32 v11, v11
	v_add_u32_e32 v11, 32, v11
	v_ffbl_b32_e32 v21, v21
	v_min_u32_e32 v11, v21, v11
	v_cmp_lt_u32_e32 vcc, v34, v11
	s_waitcnt lgkmcnt(0)
	v_cndmask_b32_e32 v21, 0, v26, vcc
	v_cmp_gt_u32_e32 vcc, 62, v34
	v_add_u32_e32 v21, v21, v22
	v_cndmask_b32_e64 v22, 0, 1, vcc
	v_lshlrev_b32_e32 v22, 1, v22
	v_add_lshl_u32 v38, v22, v41, 2
	ds_bpermute_b32 v22, v38, v21
	v_add_u32_e32 v40, 2, v34
	v_cmp_le_u32_e32 vcc, v40, v11
	v_add_u32_e32 v45, 4, v34
	v_add_u32_e32 v47, 8, v34
	s_waitcnt lgkmcnt(0)
	v_cndmask_b32_e32 v22, 0, v22, vcc
	v_cmp_gt_u32_e32 vcc, 60, v34
	v_add_u32_e32 v21, v21, v22
	v_cndmask_b32_e64 v22, 0, 1, vcc
	v_lshlrev_b32_e32 v22, 2, v22
	v_add_lshl_u32 v42, v22, v41, 2
	ds_bpermute_b32 v22, v42, v21
	v_cmp_le_u32_e32 vcc, v45, v11
	v_add_u32_e32 v49, 16, v34
	v_add_u32_e32 v51, 32, v34
	s_waitcnt lgkmcnt(0)
	v_cndmask_b32_e32 v22, 0, v22, vcc
	v_cmp_gt_u32_e32 vcc, 56, v34
	v_add_u32_e32 v21, v21, v22
	v_cndmask_b32_e64 v22, 0, 1, vcc
	v_lshlrev_b32_e32 v22, 3, v22
	v_add_lshl_u32 v46, v22, v41, 2
	ds_bpermute_b32 v22, v46, v21
	v_cmp_le_u32_e32 vcc, v47, v11
	s_waitcnt lgkmcnt(0)
	v_cndmask_b32_e32 v22, 0, v22, vcc
	v_cmp_gt_u32_e32 vcc, 48, v34
	v_add_u32_e32 v21, v21, v22
	v_cndmask_b32_e64 v22, 0, 1, vcc
	v_lshlrev_b32_e32 v22, 4, v22
	v_add_lshl_u32 v48, v22, v41, 2
	ds_bpermute_b32 v22, v48, v21
	v_cmp_le_u32_e32 vcc, v49, v11
	s_waitcnt lgkmcnt(0)
	v_cndmask_b32_e32 v22, 0, v22, vcc
	v_cmp_gt_u32_e32 vcc, 32, v34
	v_add_u32_e32 v21, v21, v22
	v_cndmask_b32_e64 v22, 0, 1, vcc
	v_lshlrev_b32_e32 v22, 5, v22
	v_add_lshl_u32 v50, v22, v41, 2
	ds_bpermute_b32 v22, v50, v21
	v_cmp_le_u32_e32 vcc, v51, v11
	s_waitcnt lgkmcnt(0)
	v_cndmask_b32_e32 v11, 0, v22, vcc
	v_add_u32_e32 v22, v21, v11
	v_mov_b32_e32 v21, 0
	s_branch .LBB367_67
.LBB367_66:                             ;   in Loop: Header=BB367_67 Depth=1
	s_or_b64 exec, exec, s[20:21]
	v_cmp_eq_u16_sdwa s[20:21], v23, v32 src0_sel:BYTE_0 src1_sel:DWORD
	v_and_b32_e32 v26, s21, v25
	v_or_b32_e32 v26, 0x80000000, v26
	ds_bpermute_b32 v52, v36, v22
	v_and_b32_e32 v27, s20, v24
	v_ffbl_b32_e32 v26, v26
	v_add_u32_e32 v26, 32, v26
	v_ffbl_b32_e32 v27, v27
	v_min_u32_e32 v26, v27, v26
	v_cmp_lt_u32_e32 vcc, v34, v26
	s_waitcnt lgkmcnt(0)
	v_cndmask_b32_e32 v27, 0, v52, vcc
	v_add_u32_e32 v22, v27, v22
	ds_bpermute_b32 v27, v38, v22
	v_cmp_le_u32_e32 vcc, v40, v26
	v_subrev_u32_e32 v20, 64, v20
	s_waitcnt lgkmcnt(0)
	v_cndmask_b32_e32 v27, 0, v27, vcc
	v_add_u32_e32 v22, v22, v27
	ds_bpermute_b32 v27, v42, v22
	v_cmp_le_u32_e32 vcc, v45, v26
	s_waitcnt lgkmcnt(0)
	v_cndmask_b32_e32 v27, 0, v27, vcc
	v_add_u32_e32 v22, v22, v27
	ds_bpermute_b32 v27, v46, v22
	v_cmp_le_u32_e32 vcc, v47, v26
	;; [unrolled: 5-line block ×4, first 2 shown]
	s_waitcnt lgkmcnt(0)
	v_cndmask_b32_e32 v26, 0, v27, vcc
	v_add3_u32 v22, v26, v11, v22
.LBB367_67:                             ; =>This Loop Header: Depth=1
                                        ;     Child Loop BB367_70 Depth 2
	v_cmp_ne_u16_sdwa s[20:21], v23, v32 src0_sel:BYTE_0 src1_sel:DWORD
	v_cndmask_b32_e64 v11, 0, 1, s[20:21]
	;;#ASMSTART
	;;#ASMEND
	v_cmp_ne_u32_e32 vcc, 0, v11
	s_cmp_lg_u64 vcc, exec
	v_mov_b32_e32 v11, v22
	s_cbranch_scc1 .LBB367_72
; %bb.68:                               ;   in Loop: Header=BB367_67 Depth=1
	v_lshlrev_b64 v[22:23], 3, v[20:21]
	v_mov_b32_e32 v27, s31
	v_add_co_u32_e32 v26, vcc, s30, v22
	v_addc_co_u32_e32 v27, vcc, v27, v23, vcc
	global_load_dwordx2 v[22:23], v[26:27], off glc
	s_waitcnt vmcnt(0)
	v_cmp_eq_u16_sdwa s[34:35], v23, v21 src0_sel:BYTE_0 src1_sel:DWORD
	s_and_saveexec_b64 s[20:21], s[34:35]
	s_cbranch_execz .LBB367_66
; %bb.69:                               ;   in Loop: Header=BB367_67 Depth=1
	s_mov_b64 s[34:35], 0
.LBB367_70:                             ;   Parent Loop BB367_67 Depth=1
                                        ; =>  This Inner Loop Header: Depth=2
	global_load_dwordx2 v[22:23], v[26:27], off glc
	s_waitcnt vmcnt(0)
	v_cmp_ne_u16_sdwa s[36:37], v23, v21 src0_sel:BYTE_0 src1_sel:DWORD
	s_or_b64 s[34:35], s[36:37], s[34:35]
	s_andn2_b64 exec, exec, s[34:35]
	s_cbranch_execnz .LBB367_70
; %bb.71:                               ;   in Loop: Header=BB367_67 Depth=1
	s_or_b64 exec, exec, s[34:35]
	s_branch .LBB367_66
.LBB367_72:                             ;   in Loop: Header=BB367_67 Depth=1
                                        ; implicit-def: $vgpr22
                                        ; implicit-def: $vgpr23
	s_cbranch_execz .LBB367_67
; %bb.73:
	s_and_saveexec_b64 s[20:21], s[16:17]
	s_cbranch_execz .LBB367_75
; %bb.74:
	s_add_i32 s34, s33, 64
	s_mov_b32 s35, 0
	s_lshl_b64 s[34:35], s[34:35], 3
	s_add_u32 s34, s30, s34
	v_add_u32_e32 v20, v11, v10
	v_mov_b32_e32 v21, 2
	s_addc_u32 s35, s31, s35
	v_mov_b32_e32 v22, 0
	global_store_dwordx2 v22, v[20:21], s[34:35]
	ds_write_b64 v22, v[10:11] offset:10240
.LBB367_75:
	s_or_b64 exec, exec, s[20:21]
	s_and_b64 exec, exec, s[0:1]
	s_cbranch_execz .LBB367_77
; %bb.76:
	v_mov_b32_e32 v10, 0
	ds_write_b32 v10, v11 offset:12
.LBB367_77:
	s_or_b64 exec, exec, s[18:19]
	v_mov_b32_e32 v10, 0
	s_waitcnt lgkmcnt(0)
	s_barrier
	ds_read_b32 v11, v10 offset:12
	v_cndmask_b32_e64 v20, v30, v28, s[16:17]
	v_cndmask_b32_e64 v20, v20, 0, s[0:1]
	s_waitcnt lgkmcnt(0)
	s_barrier
	v_add_u32_e32 v42, v11, v20
	v_add_u32_sdwa v40, v42, v18 dst_sel:DWORD dst_unused:UNUSED_PAD src0_sel:DWORD src1_sel:BYTE_0
	v_add_u32_sdwa v38, v40, v18 dst_sel:DWORD dst_unused:UNUSED_PAD src0_sel:DWORD src1_sel:BYTE_1
	v_add_u32_e32 v36, v38, v29
	v_add_u32_e32 v34, v36, v31
	ds_read_b64 v[10:11], v10 offset:10240
	v_add_u32_e32 v32, v34, v33
	v_add_u32_e32 v30, v32, v35
	;; [unrolled: 1-line block ×5, first 2 shown]
	s_waitcnt lgkmcnt(0)
	v_mov_b32_e32 v20, v11
	v_lshrrev_b64 v[26:27], 24, v[18:19]
	s_branch .LBB367_88
.LBB367_78:
                                        ; implicit-def: $vgpr20
                                        ; implicit-def: $vgpr10
                                        ; implicit-def: $vgpr22
                                        ; implicit-def: $vgpr24
                                        ; implicit-def: $vgpr28
                                        ; implicit-def: $vgpr30
                                        ; implicit-def: $vgpr32
                                        ; implicit-def: $vgpr34
                                        ; implicit-def: $vgpr36
                                        ; implicit-def: $vgpr38
                                        ; implicit-def: $vgpr40
                                        ; implicit-def: $vgpr42
	v_lshrrev_b64 v[26:27], 24, v[18:19]
	s_cbranch_execz .LBB367_88
; %bb.79:
	v_mov_b32_dpp v10, v44 row_shr:1 row_mask:0xf bank_mask:0xf
	v_cndmask_b32_e64 v10, v10, 0, s[14:15]
	v_add_u32_e32 v10, v10, v44
	s_nop 1
	v_mov_b32_dpp v11, v10 row_shr:2 row_mask:0xf bank_mask:0xf
	v_cndmask_b32_e64 v11, 0, v11, s[12:13]
	v_add_u32_e32 v10, v10, v11
	s_nop 1
	;; [unrolled: 4-line block ×4, first 2 shown]
	v_mov_b32_dpp v11, v10 row_bcast:15 row_mask:0xf bank_mask:0xf
	v_cndmask_b32_e64 v11, v11, 0, s[6:7]
	v_add_u32_e32 v10, v10, v11
	s_nop 1
	v_mov_b32_dpp v11, v10 row_bcast:31 row_mask:0xf bank_mask:0xf
	v_cndmask_b32_e64 v11, 0, v11, s[2:3]
	v_add_u32_e32 v10, v10, v11
	s_and_saveexec_b64 s[2:3], s[4:5]
	s_cbranch_execz .LBB367_81
; %bb.80:
	v_lshlrev_b32_e32 v11, 2, v43
	ds_write_b32 v11, v10
.LBB367_81:
	s_or_b64 exec, exec, s[2:3]
	v_cmp_gt_u32_e32 vcc, 4, v0
	s_waitcnt lgkmcnt(0)
	s_barrier
	s_and_saveexec_b64 s[2:3], vcc
	s_cbranch_execz .LBB367_83
; %bb.82:
	s_movk_i32 s4, 0xffdc
	v_mad_i32_i24 v1, v0, s4, v1
	ds_read_b32 v11, v1
	v_and_b32_e32 v20, 3, v41
	v_cmp_ne_u32_e32 vcc, 0, v20
	s_waitcnt lgkmcnt(0)
	v_mov_b32_dpp v21, v11 row_shr:1 row_mask:0xf bank_mask:0xf
	v_cndmask_b32_e32 v21, 0, v21, vcc
	v_add_u32_e32 v11, v21, v11
	v_cmp_lt_u32_e32 vcc, 1, v20
	s_nop 0
	v_mov_b32_dpp v21, v11 row_shr:2 row_mask:0xf bank_mask:0xf
	v_cndmask_b32_e32 v20, 0, v21, vcc
	v_add_u32_e32 v11, v11, v20
	ds_write_b32 v1, v11
.LBB367_83:
	s_or_b64 exec, exec, s[2:3]
	v_cmp_lt_u32_e32 vcc, 63, v0
	v_mov_b32_e32 v11, 0
	v_mov_b32_e32 v1, 0
	s_waitcnt lgkmcnt(0)
	s_barrier
	s_and_saveexec_b64 s[2:3], vcc
	s_cbranch_execz .LBB367_85
; %bb.84:
	v_lshl_add_u32 v1, v43, 2, -4
	ds_read_b32 v1, v1
.LBB367_85:
	s_or_b64 exec, exec, s[2:3]
	v_add_u32_e32 v20, -1, v41
	v_and_b32_e32 v21, 64, v41
	v_cmp_lt_i32_e32 vcc, v20, v21
	v_cndmask_b32_e32 v20, v20, v41, vcc
	s_waitcnt lgkmcnt(0)
	v_add_u32_e32 v10, v1, v10
	v_lshlrev_b32_e32 v20, 2, v20
	ds_bpermute_b32 v20, v20, v10
	ds_read_b32 v10, v11 offset:12
	s_and_saveexec_b64 s[2:3], s[0:1]
	s_cbranch_execz .LBB367_87
; %bb.86:
	v_mov_b32_e32 v21, 0
	v_mov_b32_e32 v11, 2
	s_waitcnt lgkmcnt(0)
	global_store_dwordx2 v21, v[10:11], s[30:31] offset:512
.LBB367_87:
	s_or_b64 exec, exec, s[2:3]
	v_cmp_eq_u32_e32 vcc, 0, v41
	s_waitcnt lgkmcnt(1)
	v_cndmask_b32_e32 v1, v20, v1, vcc
	v_cndmask_b32_e64 v42, v1, 0, s[0:1]
	v_add_u32_sdwa v40, v42, v18 dst_sel:DWORD dst_unused:UNUSED_PAD src0_sel:DWORD src1_sel:BYTE_0
	v_add_u32_sdwa v38, v40, v18 dst_sel:DWORD dst_unused:UNUSED_PAD src0_sel:DWORD src1_sel:BYTE_1
	v_add_u32_e32 v36, v38, v29
	v_add_u32_e32 v34, v36, v31
	;; [unrolled: 1-line block ×6, first 2 shown]
	v_mov_b32_e32 v20, 0
	v_add_u32_e32 v22, v24, v39
	s_waitcnt lgkmcnt(0)
	s_barrier
.LBB367_88:
	s_movk_i32 s2, 0x101
	v_cmp_gt_u32_e32 vcc, s2, v10
	v_lshrrev_b32_e32 v21, 8, v18
	v_lshrrev_b32_e32 v11, 8, v19
	;; [unrolled: 1-line block ×3, first 2 shown]
	s_mov_b64 s[2:3], -1
	s_cbranch_vccnz .LBB367_92
; %bb.89:
	s_and_b64 vcc, exec, s[2:3]
	s_cbranch_vccnz .LBB367_123
.LBB367_90:
	s_and_b64 s[0:1], s[0:1], s[22:23]
	s_and_saveexec_b64 s[2:3], s[0:1]
	s_cbranch_execnz .LBB367_159
.LBB367_91:
	s_endpgm
.LBB367_92:
	v_lshlrev_b64 v[44:45], 2, v[14:15]
	v_mov_b32_e32 v25, s29
	v_add_co_u32_e32 v27, vcc, s28, v44
	v_add_u32_e32 v23, v20, v10
	v_addc_co_u32_e32 v44, vcc, v25, v45, vcc
	v_cmp_lt_u32_e32 vcc, v42, v23
	s_or_b64 s[4:5], s[26:27], vcc
	s_and_saveexec_b64 s[2:3], s[4:5]
	s_cbranch_execz .LBB367_95
; %bb.93:
	v_and_b32_e32 v25, 1, v18
	v_cmp_eq_u32_e32 vcc, 1, v25
	s_and_b64 exec, exec, vcc
	s_cbranch_execz .LBB367_95
; %bb.94:
	v_mov_b32_e32 v43, 0
	v_lshlrev_b64 v[46:47], 2, v[42:43]
	v_add_co_u32_e32 v46, vcc, v27, v46
	v_addc_co_u32_e32 v47, vcc, v44, v47, vcc
	global_store_dword v[46:47], v6, off
.LBB367_95:
	s_or_b64 exec, exec, s[2:3]
	v_cmp_lt_u32_e32 vcc, v40, v23
	s_or_b64 s[4:5], s[26:27], vcc
	s_and_saveexec_b64 s[2:3], s[4:5]
	s_cbranch_execz .LBB367_98
; %bb.96:
	v_and_b32_e32 v25, 1, v21
	v_cmp_eq_u32_e32 vcc, 1, v25
	s_and_b64 exec, exec, vcc
	s_cbranch_execz .LBB367_98
; %bb.97:
	v_mov_b32_e32 v41, 0
	v_lshlrev_b64 v[46:47], 2, v[40:41]
	v_add_co_u32_e32 v46, vcc, v27, v46
	v_addc_co_u32_e32 v47, vcc, v44, v47, vcc
	global_store_dword v[46:47], v7, off
.LBB367_98:
	s_or_b64 exec, exec, s[2:3]
	v_cmp_lt_u32_e32 vcc, v38, v23
	s_or_b64 s[4:5], s[26:27], vcc
	s_and_saveexec_b64 s[2:3], s[4:5]
	s_cbranch_execz .LBB367_101
; %bb.99:
	v_mov_b32_e32 v25, 1
	v_and_b32_sdwa v25, v25, v18 dst_sel:DWORD dst_unused:UNUSED_PAD src0_sel:DWORD src1_sel:WORD_1
	v_cmp_eq_u32_e32 vcc, 1, v25
	s_and_b64 exec, exec, vcc
	s_cbranch_execz .LBB367_101
; %bb.100:
	v_mov_b32_e32 v39, 0
	v_lshlrev_b64 v[46:47], 2, v[38:39]
	v_add_co_u32_e32 v46, vcc, v27, v46
	v_addc_co_u32_e32 v47, vcc, v44, v47, vcc
	global_store_dword v[46:47], v8, off
.LBB367_101:
	s_or_b64 exec, exec, s[2:3]
	v_cmp_lt_u32_e32 vcc, v36, v23
	s_or_b64 s[4:5], s[26:27], vcc
	s_and_saveexec_b64 s[2:3], s[4:5]
	s_cbranch_execz .LBB367_104
; %bb.102:
	v_and_b32_e32 v25, 1, v26
	v_cmp_eq_u32_e32 vcc, 1, v25
	s_and_b64 exec, exec, vcc
	s_cbranch_execz .LBB367_104
; %bb.103:
	v_mov_b32_e32 v37, 0
	v_lshlrev_b64 v[46:47], 2, v[36:37]
	v_add_co_u32_e32 v46, vcc, v27, v46
	v_addc_co_u32_e32 v47, vcc, v44, v47, vcc
	global_store_dword v[46:47], v9, off
.LBB367_104:
	s_or_b64 exec, exec, s[2:3]
	v_cmp_lt_u32_e32 vcc, v34, v23
	s_or_b64 s[4:5], s[26:27], vcc
	s_and_saveexec_b64 s[2:3], s[4:5]
	s_cbranch_execz .LBB367_107
; %bb.105:
	v_and_b32_e32 v25, 1, v19
	v_cmp_eq_u32_e32 vcc, 1, v25
	s_and_b64 exec, exec, vcc
	s_cbranch_execz .LBB367_107
; %bb.106:
	v_mov_b32_e32 v35, 0
	v_lshlrev_b64 v[46:47], 2, v[34:35]
	v_add_co_u32_e32 v46, vcc, v27, v46
	v_addc_co_u32_e32 v47, vcc, v44, v47, vcc
	global_store_dword v[46:47], v2, off
.LBB367_107:
	;; [unrolled: 17-line block ×3, first 2 shown]
	s_or_b64 exec, exec, s[2:3]
	v_cmp_lt_u32_e32 vcc, v30, v23
	s_or_b64 s[4:5], s[26:27], vcc
	s_and_saveexec_b64 s[2:3], s[4:5]
	s_cbranch_execz .LBB367_113
; %bb.111:
	v_mov_b32_e32 v25, 1
	v_and_b32_sdwa v25, v25, v19 dst_sel:DWORD dst_unused:UNUSED_PAD src0_sel:DWORD src1_sel:WORD_1
	v_cmp_eq_u32_e32 vcc, 1, v25
	s_and_b64 exec, exec, vcc
	s_cbranch_execz .LBB367_113
; %bb.112:
	v_mov_b32_e32 v31, 0
	v_lshlrev_b64 v[46:47], 2, v[30:31]
	v_add_co_u32_e32 v46, vcc, v27, v46
	v_addc_co_u32_e32 v47, vcc, v44, v47, vcc
	global_store_dword v[46:47], v4, off
.LBB367_113:
	s_or_b64 exec, exec, s[2:3]
	v_cmp_lt_u32_e32 vcc, v28, v23
	s_or_b64 s[4:5], s[26:27], vcc
	s_and_saveexec_b64 s[2:3], s[4:5]
	s_cbranch_execz .LBB367_116
; %bb.114:
	v_and_b32_e32 v25, 1, v13
	v_cmp_eq_u32_e32 vcc, 1, v25
	s_and_b64 exec, exec, vcc
	s_cbranch_execz .LBB367_116
; %bb.115:
	v_mov_b32_e32 v29, 0
	v_lshlrev_b64 v[46:47], 2, v[28:29]
	v_add_co_u32_e32 v46, vcc, v27, v46
	v_addc_co_u32_e32 v47, vcc, v44, v47, vcc
	global_store_dword v[46:47], v5, off
.LBB367_116:
	s_or_b64 exec, exec, s[2:3]
	v_cmp_lt_u32_e32 vcc, v24, v23
	s_or_b64 s[4:5], s[26:27], vcc
	s_and_saveexec_b64 s[2:3], s[4:5]
	s_cbranch_execz .LBB367_119
; %bb.117:
	v_and_b32_e32 v25, 1, v12
	v_cmp_eq_u32_e32 vcc, 1, v25
	s_and_b64 exec, exec, vcc
	s_cbranch_execz .LBB367_119
; %bb.118:
	v_mov_b32_e32 v25, 0
	v_lshlrev_b64 v[46:47], 2, v[24:25]
	v_add_co_u32_e32 v46, vcc, v27, v46
	v_addc_co_u32_e32 v47, vcc, v44, v47, vcc
	global_store_dword v[46:47], v16, off
.LBB367_119:
	;; [unrolled: 17-line block ×3, first 2 shown]
	s_or_b64 exec, exec, s[2:3]
	s_branch .LBB367_90
.LBB367_123:
	v_and_b32_e32 v23, 1, v18
	v_cmp_eq_u32_e32 vcc, 1, v23
	s_and_saveexec_b64 s[2:3], vcc
	s_cbranch_execz .LBB367_125
; %bb.124:
	v_sub_u32_e32 v23, v42, v20
	v_lshlrev_b32_e32 v23, 2, v23
	ds_write_b32 v23, v6
.LBB367_125:
	s_or_b64 exec, exec, s[2:3]
	v_and_b32_e32 v6, 1, v21
	v_cmp_eq_u32_e32 vcc, 1, v6
	s_and_saveexec_b64 s[2:3], vcc
	s_cbranch_execz .LBB367_127
; %bb.126:
	v_sub_u32_e32 v6, v40, v20
	v_lshlrev_b32_e32 v6, 2, v6
	ds_write_b32 v6, v7
.LBB367_127:
	s_or_b64 exec, exec, s[2:3]
	v_mov_b32_e32 v6, 1
	v_and_b32_sdwa v6, v6, v18 dst_sel:DWORD dst_unused:UNUSED_PAD src0_sel:DWORD src1_sel:WORD_1
	v_cmp_eq_u32_e32 vcc, 1, v6
	s_and_saveexec_b64 s[2:3], vcc
	s_cbranch_execz .LBB367_129
; %bb.128:
	v_sub_u32_e32 v6, v38, v20
	v_lshlrev_b32_e32 v6, 2, v6
	ds_write_b32 v6, v8
.LBB367_129:
	s_or_b64 exec, exec, s[2:3]
	v_and_b32_e32 v6, 1, v26
	v_cmp_eq_u32_e32 vcc, 1, v6
	s_and_saveexec_b64 s[2:3], vcc
	s_cbranch_execz .LBB367_131
; %bb.130:
	v_sub_u32_e32 v6, v36, v20
	v_lshlrev_b32_e32 v6, 2, v6
	ds_write_b32 v6, v9
.LBB367_131:
	s_or_b64 exec, exec, s[2:3]
	v_and_b32_e32 v6, 1, v19
	;; [unrolled: 10-line block ×3, first 2 shown]
	v_cmp_eq_u32_e32 vcc, 1, v2
	s_and_saveexec_b64 s[2:3], vcc
	s_cbranch_execz .LBB367_135
; %bb.134:
	v_sub_u32_e32 v2, v32, v20
	v_lshlrev_b32_e32 v2, 2, v2
	ds_write_b32 v2, v3
.LBB367_135:
	s_or_b64 exec, exec, s[2:3]
	v_mov_b32_e32 v2, 1
	v_and_b32_sdwa v2, v2, v19 dst_sel:DWORD dst_unused:UNUSED_PAD src0_sel:DWORD src1_sel:WORD_1
	v_cmp_eq_u32_e32 vcc, 1, v2
	s_and_saveexec_b64 s[2:3], vcc
	s_cbranch_execz .LBB367_137
; %bb.136:
	v_sub_u32_e32 v2, v30, v20
	v_lshlrev_b32_e32 v2, 2, v2
	ds_write_b32 v2, v4
.LBB367_137:
	s_or_b64 exec, exec, s[2:3]
	v_and_b32_e32 v2, 1, v13
	v_cmp_eq_u32_e32 vcc, 1, v2
	s_and_saveexec_b64 s[2:3], vcc
	s_cbranch_execz .LBB367_139
; %bb.138:
	v_sub_u32_e32 v2, v28, v20
	v_lshlrev_b32_e32 v2, 2, v2
	ds_write_b32 v2, v5
.LBB367_139:
	s_or_b64 exec, exec, s[2:3]
	v_and_b32_e32 v2, 1, v12
	;; [unrolled: 10-line block ×3, first 2 shown]
	v_cmp_eq_u32_e32 vcc, 1, v1
	s_and_saveexec_b64 s[2:3], vcc
	s_cbranch_execz .LBB367_143
; %bb.142:
	v_sub_u32_e32 v1, v22, v20
	v_lshlrev_b32_e32 v1, 2, v1
	ds_write_b32 v1, v17
.LBB367_143:
	s_or_b64 exec, exec, s[2:3]
	v_cmp_lt_u32_e32 vcc, v0, v10
	s_waitcnt lgkmcnt(0)
	s_barrier
	s_and_saveexec_b64 s[6:7], vcc
	s_cbranch_execz .LBB367_158
; %bb.144:
	v_lshlrev_b64 v[2:3], 2, v[14:15]
	v_mov_b32_e32 v21, 0
	v_mov_b32_e32 v1, s29
	v_add_co_u32_e32 v4, vcc, s28, v2
	v_addc_co_u32_e32 v1, vcc, v1, v3, vcc
	v_lshlrev_b64 v[2:3], 2, v[20:21]
	v_add_co_u32_e32 v6, vcc, v4, v2
	v_addc_co_u32_e32 v7, vcc, v1, v3, vcc
	v_xad_u32 v1, v0, -1, v10
	s_movk_i32 s2, 0x1700
	v_cmp_gt_u32_e32 vcc, s2, v1
	s_movk_i32 s2, 0x16ff
	v_cmp_lt_u32_e64 s[2:3], s2, v1
	s_and_saveexec_b64 s[8:9], s[2:3]
	s_cbranch_execz .LBB367_155
; %bb.145:
	v_sub_u32_e32 v2, v0, v10
	v_or_b32_e32 v2, 0xff, v2
	v_cmp_ge_u32_e64 s[2:3], v2, v0
	s_mov_b64 s[4:5], -1
	s_and_saveexec_b64 s[10:11], s[2:3]
	s_cbranch_execz .LBB367_154
; %bb.146:
	v_lshrrev_b32_e32 v8, 8, v1
	v_add_u32_e32 v2, -1, v8
	v_or_b32_e32 v1, 0x100, v0
	v_lshrrev_b32_e32 v3, 1, v2
	v_add_u32_e32 v11, 1, v3
	v_cmp_lt_u32_e64 s[2:3], 13, v2
	v_mov_b32_e32 v16, 0
	v_lshlrev_b32_e32 v9, 2, v0
	v_pk_mov_b32 v[2:3], v[0:1], v[0:1] op_sel:[0,1]
	s_and_saveexec_b64 s[12:13], s[2:3]
	s_cbranch_execz .LBB367_150
; %bb.147:
	v_and_b32_e32 v12, -8, v11
	s_mov_b32 s16, 0
	s_mov_b64 s[14:15], 0
	v_mov_b32_e32 v5, 0
	v_mov_b32_e32 v13, v9
	v_pk_mov_b32 v[2:3], v[0:1], v[0:1] op_sel:[0,1]
.LBB367_148:                            ; =>This Inner Loop Header: Depth=1
	v_mov_b32_e32 v4, v2
	v_add_u32_e32 v12, -8, v12
	v_lshlrev_b64 v[48:49], 2, v[4:5]
	v_mov_b32_e32 v4, v3
	ds_read2st64_b32 v[18:19], v13 offset1:4
	s_add_i32 s16, s16, 16
	v_cmp_eq_u32_e64 s[2:3], 0, v12
	v_lshlrev_b64 v[52:53], 2, v[4:5]
	v_add_u32_e32 v4, 0x200, v2
	s_or_b64 s[14:15], s[2:3], s[14:15]
	v_add_co_u32_e64 v52, s[2:3], v6, v52
	v_add_u32_e32 v16, 0x200, v3
	ds_read2st64_b32 v[22:23], v13 offset0:8 offset1:12
	v_mov_b32_e32 v17, v5
	ds_read2st64_b32 v[26:27], v13 offset0:16 offset1:20
	v_add_co_u32_e64 v48, s[4:5], v6, v48
	v_addc_co_u32_e64 v53, s[2:3], v7, v53, s[2:3]
	v_lshlrev_b64 v[54:55], 2, v[4:5]
	v_lshlrev_b64 v[50:51], 2, v[16:17]
	v_addc_co_u32_e64 v49, s[4:5], v7, v49, s[4:5]
	v_add_u32_e32 v4, 0x400, v2
	v_add_co_u32_e64 v54, s[2:3], v6, v54
	v_add_u32_e32 v24, 0x400, v3
	v_mov_b32_e32 v25, v5
	ds_read2st64_b32 v[30:31], v13 offset0:24 offset1:28
	v_add_co_u32_e64 v50, s[4:5], v6, v50
	v_addc_co_u32_e64 v55, s[2:3], v7, v55, s[2:3]
	v_lshlrev_b64 v[56:57], 2, v[4:5]
	ds_read2st64_b32 v[34:35], v13 offset0:32 offset1:36
	ds_read2st64_b32 v[38:39], v13 offset0:40 offset1:44
	;; [unrolled: 1-line block ×4, first 2 shown]
	v_lshlrev_b64 v[24:25], 2, v[24:25]
	v_addc_co_u32_e64 v51, s[4:5], v7, v51, s[4:5]
	v_add_u32_e32 v4, 0x600, v2
	s_waitcnt lgkmcnt(7)
	global_store_dword v[48:49], v18, off
	global_store_dword v[52:53], v19, off
	s_waitcnt lgkmcnt(6)
	global_store_dword v[54:55], v22, off
	global_store_dword v[50:51], v23, off
	v_add_co_u32_e64 v18, s[2:3], v6, v56
	v_add_u32_e32 v28, 0x600, v3
	v_mov_b32_e32 v29, v5
	v_add_co_u32_e64 v24, s[4:5], v6, v24
	v_addc_co_u32_e64 v19, s[2:3], v7, v57, s[2:3]
	v_lshlrev_b64 v[22:23], 2, v[4:5]
	v_lshlrev_b64 v[28:29], 2, v[28:29]
	v_addc_co_u32_e64 v25, s[4:5], v7, v25, s[4:5]
	v_add_u32_e32 v4, 0x800, v2
	s_waitcnt lgkmcnt(5)
	global_store_dword v[18:19], v26, off
	global_store_dword v[24:25], v27, off
	v_add_co_u32_e64 v18, s[2:3], v6, v22
	v_add_u32_e32 v32, 0x800, v3
	v_mov_b32_e32 v33, v5
	v_add_co_u32_e64 v28, s[4:5], v6, v28
	v_addc_co_u32_e64 v19, s[2:3], v7, v23, s[2:3]
	v_lshlrev_b64 v[22:23], 2, v[4:5]
	v_lshlrev_b64 v[32:33], 2, v[32:33]
	v_addc_co_u32_e64 v29, s[4:5], v7, v29, s[4:5]
	v_add_u32_e32 v4, 0xa00, v2
	;; [unrolled: 12-line block ×4, first 2 shown]
	s_waitcnt lgkmcnt(2)
	global_store_dword v[18:19], v38, off
	global_store_dword v[36:37], v39, off
	v_add_co_u32_e64 v18, s[2:3], v6, v22
	v_add_u32_e32 v44, 0xe00, v3
	v_mov_b32_e32 v45, v5
	v_add_co_u32_e64 v40, s[4:5], v6, v40
	v_addc_co_u32_e64 v19, s[2:3], v7, v23, s[2:3]
	v_lshlrev_b64 v[22:23], 2, v[4:5]
	v_lshlrev_b64 v[44:45], 2, v[44:45]
	v_addc_co_u32_e64 v41, s[4:5], v7, v41, s[4:5]
	s_waitcnt lgkmcnt(1)
	global_store_dword v[18:19], v42, off
	global_store_dword v[40:41], v43, off
	v_add_co_u32_e64 v18, s[2:3], v6, v22
	v_add_u32_e32 v13, 0x4000, v13
	v_add_u32_e32 v3, 0x1000, v3
	v_mov_b32_e32 v16, s16
	v_add_co_u32_e64 v44, s[4:5], v6, v44
	v_add_u32_e32 v2, 0x1000, v2
	v_addc_co_u32_e64 v19, s[2:3], v7, v23, s[2:3]
	v_addc_co_u32_e64 v45, s[4:5], v7, v45, s[4:5]
	s_waitcnt lgkmcnt(0)
	global_store_dword v[18:19], v46, off
	global_store_dword v[44:45], v47, off
	s_andn2_b64 exec, exec, s[14:15]
	s_cbranch_execnz .LBB367_148
; %bb.149:
	s_or_b64 exec, exec, s[14:15]
.LBB367_150:
	s_or_b64 exec, exec, s[12:13]
	v_and_b32_e32 v1, 7, v11
	v_cmp_ne_u32_e64 s[2:3], 0, v1
	s_and_saveexec_b64 s[12:13], s[2:3]
	s_cbranch_execz .LBB367_153
; %bb.151:
	v_lshl_or_b32 v9, v16, 10, v9
	s_mov_b64 s[14:15], 0
	v_mov_b32_e32 v5, 0
.LBB367_152:                            ; =>This Inner Loop Header: Depth=1
	ds_read2st64_b32 v[12:13], v9 offset1:4
	v_mov_b32_e32 v4, v2
	v_add_u32_e32 v1, -1, v1
	v_lshlrev_b64 v[16:17], 2, v[4:5]
	v_mov_b32_e32 v4, v3
	v_cmp_eq_u32_e64 s[2:3], 0, v1
	v_add_co_u32_e64 v16, s[4:5], v6, v16
	v_lshlrev_b64 v[18:19], 2, v[4:5]
	v_add_u32_e32 v2, 0x200, v2
	v_add_u32_e32 v9, 0x800, v9
	;; [unrolled: 1-line block ×3, first 2 shown]
	v_addc_co_u32_e64 v17, s[4:5], v7, v17, s[4:5]
	s_or_b64 s[14:15], s[2:3], s[14:15]
	v_add_co_u32_e64 v18, s[2:3], v6, v18
	v_addc_co_u32_e64 v19, s[2:3], v7, v19, s[2:3]
	s_waitcnt lgkmcnt(0)
	global_store_dword v[16:17], v12, off
	global_store_dword v[18:19], v13, off
	s_andn2_b64 exec, exec, s[14:15]
	s_cbranch_execnz .LBB367_152
.LBB367_153:
	s_or_b64 exec, exec, s[12:13]
	v_add_u32_e32 v1, 1, v8
	v_and_b32_e32 v2, 0x1fffffe, v1
	v_cmp_ne_u32_e64 s[2:3], v1, v2
	v_lshl_or_b32 v0, v2, 8, v0
	s_orn2_b64 s[4:5], s[2:3], exec
.LBB367_154:
	s_or_b64 exec, exec, s[10:11]
	s_andn2_b64 s[2:3], vcc, exec
	s_and_b64 s[4:5], s[4:5], exec
	s_or_b64 vcc, s[2:3], s[4:5]
.LBB367_155:
	s_or_b64 exec, exec, s[8:9]
	s_and_b64 exec, exec, vcc
	s_cbranch_execz .LBB367_158
; %bb.156:
	v_lshlrev_b32_e32 v2, 2, v0
	s_mov_b64 s[2:3], 0
	v_mov_b32_e32 v1, 0
.LBB367_157:                            ; =>This Inner Loop Header: Depth=1
	ds_read_b32 v3, v2
	v_lshlrev_b64 v[4:5], 2, v[0:1]
	v_add_co_u32_e32 v4, vcc, v6, v4
	v_add_u32_e32 v0, 0x100, v0
	v_addc_co_u32_e32 v5, vcc, v7, v5, vcc
	v_cmp_ge_u32_e32 vcc, v0, v10
	v_add_u32_e32 v2, 0x400, v2
	s_or_b64 s[2:3], vcc, s[2:3]
	s_waitcnt lgkmcnt(0)
	global_store_dword v[4:5], v3, off
	s_andn2_b64 exec, exec, s[2:3]
	s_cbranch_execnz .LBB367_157
.LBB367_158:
	s_or_b64 exec, exec, s[6:7]
	s_and_b64 s[0:1], s[0:1], s[22:23]
	s_and_saveexec_b64 s[2:3], s[0:1]
	s_cbranch_execz .LBB367_91
.LBB367_159:
	v_add_co_u32_e32 v0, vcc, v14, v10
	v_addc_co_u32_e32 v1, vcc, 0, v15, vcc
	v_add_co_u32_e32 v0, vcc, v0, v20
	v_mov_b32_e32 v2, 0
	v_addc_co_u32_e32 v1, vcc, 0, v1, vcc
	global_store_dwordx2 v2, v[0:1], s[24:25]
	s_endpgm
.LBB367_160:
	s_or_b64 exec, exec, s[6:7]
	s_and_saveexec_b64 s[2:3], s[38:39]
	s_cbranch_execnz .LBB367_48
	s_branch .LBB367_49
	.section	.rodata,"a",@progbits
	.p2align	6, 0x0
	.amdhsa_kernel _ZN7rocprim17ROCPRIM_400000_NS6detail17trampoline_kernelINS0_14default_configENS1_25partition_config_selectorILNS1_17partition_subalgoE8EfNS0_10empty_typeEbEEZZNS1_14partition_implILS5_8ELb0ES3_jPKfPS6_PKS6_NS0_5tupleIJPfS6_EEENSE_IJSB_SB_EEENS0_18inequality_wrapperIN6hipcub16HIPCUB_304000_NS8EqualityEEEPlJS6_EEE10hipError_tPvRmT3_T4_T5_T6_T7_T9_mT8_P12ihipStream_tbDpT10_ENKUlT_T0_E_clISt17integral_constantIbLb0EES16_IbLb1EEEEDaS12_S13_EUlS12_E_NS1_11comp_targetILNS1_3genE4ELNS1_11target_archE910ELNS1_3gpuE8ELNS1_3repE0EEENS1_30default_config_static_selectorELNS0_4arch9wavefront6targetE1EEEvT1_
		.amdhsa_group_segment_fixed_size 10248
		.amdhsa_private_segment_fixed_size 0
		.amdhsa_kernarg_size 128
		.amdhsa_user_sgpr_count 6
		.amdhsa_user_sgpr_private_segment_buffer 1
		.amdhsa_user_sgpr_dispatch_ptr 0
		.amdhsa_user_sgpr_queue_ptr 0
		.amdhsa_user_sgpr_kernarg_segment_ptr 1
		.amdhsa_user_sgpr_dispatch_id 0
		.amdhsa_user_sgpr_flat_scratch_init 0
		.amdhsa_user_sgpr_kernarg_preload_length 0
		.amdhsa_user_sgpr_kernarg_preload_offset 0
		.amdhsa_user_sgpr_private_segment_size 0
		.amdhsa_uses_dynamic_stack 0
		.amdhsa_system_sgpr_private_segment_wavefront_offset 0
		.amdhsa_system_sgpr_workgroup_id_x 1
		.amdhsa_system_sgpr_workgroup_id_y 0
		.amdhsa_system_sgpr_workgroup_id_z 0
		.amdhsa_system_sgpr_workgroup_info 0
		.amdhsa_system_vgpr_workitem_id 0
		.amdhsa_next_free_vgpr 58
		.amdhsa_next_free_sgpr 41
		.amdhsa_accum_offset 60
		.amdhsa_reserve_vcc 1
		.amdhsa_reserve_flat_scratch 0
		.amdhsa_float_round_mode_32 0
		.amdhsa_float_round_mode_16_64 0
		.amdhsa_float_denorm_mode_32 3
		.amdhsa_float_denorm_mode_16_64 3
		.amdhsa_dx10_clamp 1
		.amdhsa_ieee_mode 1
		.amdhsa_fp16_overflow 0
		.amdhsa_tg_split 0
		.amdhsa_exception_fp_ieee_invalid_op 0
		.amdhsa_exception_fp_denorm_src 0
		.amdhsa_exception_fp_ieee_div_zero 0
		.amdhsa_exception_fp_ieee_overflow 0
		.amdhsa_exception_fp_ieee_underflow 0
		.amdhsa_exception_fp_ieee_inexact 0
		.amdhsa_exception_int_div_zero 0
	.end_amdhsa_kernel
	.section	.text._ZN7rocprim17ROCPRIM_400000_NS6detail17trampoline_kernelINS0_14default_configENS1_25partition_config_selectorILNS1_17partition_subalgoE8EfNS0_10empty_typeEbEEZZNS1_14partition_implILS5_8ELb0ES3_jPKfPS6_PKS6_NS0_5tupleIJPfS6_EEENSE_IJSB_SB_EEENS0_18inequality_wrapperIN6hipcub16HIPCUB_304000_NS8EqualityEEEPlJS6_EEE10hipError_tPvRmT3_T4_T5_T6_T7_T9_mT8_P12ihipStream_tbDpT10_ENKUlT_T0_E_clISt17integral_constantIbLb0EES16_IbLb1EEEEDaS12_S13_EUlS12_E_NS1_11comp_targetILNS1_3genE4ELNS1_11target_archE910ELNS1_3gpuE8ELNS1_3repE0EEENS1_30default_config_static_selectorELNS0_4arch9wavefront6targetE1EEEvT1_,"axG",@progbits,_ZN7rocprim17ROCPRIM_400000_NS6detail17trampoline_kernelINS0_14default_configENS1_25partition_config_selectorILNS1_17partition_subalgoE8EfNS0_10empty_typeEbEEZZNS1_14partition_implILS5_8ELb0ES3_jPKfPS6_PKS6_NS0_5tupleIJPfS6_EEENSE_IJSB_SB_EEENS0_18inequality_wrapperIN6hipcub16HIPCUB_304000_NS8EqualityEEEPlJS6_EEE10hipError_tPvRmT3_T4_T5_T6_T7_T9_mT8_P12ihipStream_tbDpT10_ENKUlT_T0_E_clISt17integral_constantIbLb0EES16_IbLb1EEEEDaS12_S13_EUlS12_E_NS1_11comp_targetILNS1_3genE4ELNS1_11target_archE910ELNS1_3gpuE8ELNS1_3repE0EEENS1_30default_config_static_selectorELNS0_4arch9wavefront6targetE1EEEvT1_,comdat
.Lfunc_end367:
	.size	_ZN7rocprim17ROCPRIM_400000_NS6detail17trampoline_kernelINS0_14default_configENS1_25partition_config_selectorILNS1_17partition_subalgoE8EfNS0_10empty_typeEbEEZZNS1_14partition_implILS5_8ELb0ES3_jPKfPS6_PKS6_NS0_5tupleIJPfS6_EEENSE_IJSB_SB_EEENS0_18inequality_wrapperIN6hipcub16HIPCUB_304000_NS8EqualityEEEPlJS6_EEE10hipError_tPvRmT3_T4_T5_T6_T7_T9_mT8_P12ihipStream_tbDpT10_ENKUlT_T0_E_clISt17integral_constantIbLb0EES16_IbLb1EEEEDaS12_S13_EUlS12_E_NS1_11comp_targetILNS1_3genE4ELNS1_11target_archE910ELNS1_3gpuE8ELNS1_3repE0EEENS1_30default_config_static_selectorELNS0_4arch9wavefront6targetE1EEEvT1_, .Lfunc_end367-_ZN7rocprim17ROCPRIM_400000_NS6detail17trampoline_kernelINS0_14default_configENS1_25partition_config_selectorILNS1_17partition_subalgoE8EfNS0_10empty_typeEbEEZZNS1_14partition_implILS5_8ELb0ES3_jPKfPS6_PKS6_NS0_5tupleIJPfS6_EEENSE_IJSB_SB_EEENS0_18inequality_wrapperIN6hipcub16HIPCUB_304000_NS8EqualityEEEPlJS6_EEE10hipError_tPvRmT3_T4_T5_T6_T7_T9_mT8_P12ihipStream_tbDpT10_ENKUlT_T0_E_clISt17integral_constantIbLb0EES16_IbLb1EEEEDaS12_S13_EUlS12_E_NS1_11comp_targetILNS1_3genE4ELNS1_11target_archE910ELNS1_3gpuE8ELNS1_3repE0EEENS1_30default_config_static_selectorELNS0_4arch9wavefront6targetE1EEEvT1_
                                        ; -- End function
	.section	.AMDGPU.csdata,"",@progbits
; Kernel info:
; codeLenInByte = 7468
; NumSgprs: 45
; NumVgprs: 58
; NumAgprs: 0
; TotalNumVgprs: 58
; ScratchSize: 0
; MemoryBound: 0
; FloatMode: 240
; IeeeMode: 1
; LDSByteSize: 10248 bytes/workgroup (compile time only)
; SGPRBlocks: 5
; VGPRBlocks: 7
; NumSGPRsForWavesPerEU: 45
; NumVGPRsForWavesPerEU: 58
; AccumOffset: 60
; Occupancy: 6
; WaveLimiterHint : 1
; COMPUTE_PGM_RSRC2:SCRATCH_EN: 0
; COMPUTE_PGM_RSRC2:USER_SGPR: 6
; COMPUTE_PGM_RSRC2:TRAP_HANDLER: 0
; COMPUTE_PGM_RSRC2:TGID_X_EN: 1
; COMPUTE_PGM_RSRC2:TGID_Y_EN: 0
; COMPUTE_PGM_RSRC2:TGID_Z_EN: 0
; COMPUTE_PGM_RSRC2:TIDIG_COMP_CNT: 0
; COMPUTE_PGM_RSRC3_GFX90A:ACCUM_OFFSET: 14
; COMPUTE_PGM_RSRC3_GFX90A:TG_SPLIT: 0
	.section	.text._ZN7rocprim17ROCPRIM_400000_NS6detail17trampoline_kernelINS0_14default_configENS1_25partition_config_selectorILNS1_17partition_subalgoE8EfNS0_10empty_typeEbEEZZNS1_14partition_implILS5_8ELb0ES3_jPKfPS6_PKS6_NS0_5tupleIJPfS6_EEENSE_IJSB_SB_EEENS0_18inequality_wrapperIN6hipcub16HIPCUB_304000_NS8EqualityEEEPlJS6_EEE10hipError_tPvRmT3_T4_T5_T6_T7_T9_mT8_P12ihipStream_tbDpT10_ENKUlT_T0_E_clISt17integral_constantIbLb0EES16_IbLb1EEEEDaS12_S13_EUlS12_E_NS1_11comp_targetILNS1_3genE3ELNS1_11target_archE908ELNS1_3gpuE7ELNS1_3repE0EEENS1_30default_config_static_selectorELNS0_4arch9wavefront6targetE1EEEvT1_,"axG",@progbits,_ZN7rocprim17ROCPRIM_400000_NS6detail17trampoline_kernelINS0_14default_configENS1_25partition_config_selectorILNS1_17partition_subalgoE8EfNS0_10empty_typeEbEEZZNS1_14partition_implILS5_8ELb0ES3_jPKfPS6_PKS6_NS0_5tupleIJPfS6_EEENSE_IJSB_SB_EEENS0_18inequality_wrapperIN6hipcub16HIPCUB_304000_NS8EqualityEEEPlJS6_EEE10hipError_tPvRmT3_T4_T5_T6_T7_T9_mT8_P12ihipStream_tbDpT10_ENKUlT_T0_E_clISt17integral_constantIbLb0EES16_IbLb1EEEEDaS12_S13_EUlS12_E_NS1_11comp_targetILNS1_3genE3ELNS1_11target_archE908ELNS1_3gpuE7ELNS1_3repE0EEENS1_30default_config_static_selectorELNS0_4arch9wavefront6targetE1EEEvT1_,comdat
	.protected	_ZN7rocprim17ROCPRIM_400000_NS6detail17trampoline_kernelINS0_14default_configENS1_25partition_config_selectorILNS1_17partition_subalgoE8EfNS0_10empty_typeEbEEZZNS1_14partition_implILS5_8ELb0ES3_jPKfPS6_PKS6_NS0_5tupleIJPfS6_EEENSE_IJSB_SB_EEENS0_18inequality_wrapperIN6hipcub16HIPCUB_304000_NS8EqualityEEEPlJS6_EEE10hipError_tPvRmT3_T4_T5_T6_T7_T9_mT8_P12ihipStream_tbDpT10_ENKUlT_T0_E_clISt17integral_constantIbLb0EES16_IbLb1EEEEDaS12_S13_EUlS12_E_NS1_11comp_targetILNS1_3genE3ELNS1_11target_archE908ELNS1_3gpuE7ELNS1_3repE0EEENS1_30default_config_static_selectorELNS0_4arch9wavefront6targetE1EEEvT1_ ; -- Begin function _ZN7rocprim17ROCPRIM_400000_NS6detail17trampoline_kernelINS0_14default_configENS1_25partition_config_selectorILNS1_17partition_subalgoE8EfNS0_10empty_typeEbEEZZNS1_14partition_implILS5_8ELb0ES3_jPKfPS6_PKS6_NS0_5tupleIJPfS6_EEENSE_IJSB_SB_EEENS0_18inequality_wrapperIN6hipcub16HIPCUB_304000_NS8EqualityEEEPlJS6_EEE10hipError_tPvRmT3_T4_T5_T6_T7_T9_mT8_P12ihipStream_tbDpT10_ENKUlT_T0_E_clISt17integral_constantIbLb0EES16_IbLb1EEEEDaS12_S13_EUlS12_E_NS1_11comp_targetILNS1_3genE3ELNS1_11target_archE908ELNS1_3gpuE7ELNS1_3repE0EEENS1_30default_config_static_selectorELNS0_4arch9wavefront6targetE1EEEvT1_
	.globl	_ZN7rocprim17ROCPRIM_400000_NS6detail17trampoline_kernelINS0_14default_configENS1_25partition_config_selectorILNS1_17partition_subalgoE8EfNS0_10empty_typeEbEEZZNS1_14partition_implILS5_8ELb0ES3_jPKfPS6_PKS6_NS0_5tupleIJPfS6_EEENSE_IJSB_SB_EEENS0_18inequality_wrapperIN6hipcub16HIPCUB_304000_NS8EqualityEEEPlJS6_EEE10hipError_tPvRmT3_T4_T5_T6_T7_T9_mT8_P12ihipStream_tbDpT10_ENKUlT_T0_E_clISt17integral_constantIbLb0EES16_IbLb1EEEEDaS12_S13_EUlS12_E_NS1_11comp_targetILNS1_3genE3ELNS1_11target_archE908ELNS1_3gpuE7ELNS1_3repE0EEENS1_30default_config_static_selectorELNS0_4arch9wavefront6targetE1EEEvT1_
	.p2align	8
	.type	_ZN7rocprim17ROCPRIM_400000_NS6detail17trampoline_kernelINS0_14default_configENS1_25partition_config_selectorILNS1_17partition_subalgoE8EfNS0_10empty_typeEbEEZZNS1_14partition_implILS5_8ELb0ES3_jPKfPS6_PKS6_NS0_5tupleIJPfS6_EEENSE_IJSB_SB_EEENS0_18inequality_wrapperIN6hipcub16HIPCUB_304000_NS8EqualityEEEPlJS6_EEE10hipError_tPvRmT3_T4_T5_T6_T7_T9_mT8_P12ihipStream_tbDpT10_ENKUlT_T0_E_clISt17integral_constantIbLb0EES16_IbLb1EEEEDaS12_S13_EUlS12_E_NS1_11comp_targetILNS1_3genE3ELNS1_11target_archE908ELNS1_3gpuE7ELNS1_3repE0EEENS1_30default_config_static_selectorELNS0_4arch9wavefront6targetE1EEEvT1_,@function
_ZN7rocprim17ROCPRIM_400000_NS6detail17trampoline_kernelINS0_14default_configENS1_25partition_config_selectorILNS1_17partition_subalgoE8EfNS0_10empty_typeEbEEZZNS1_14partition_implILS5_8ELb0ES3_jPKfPS6_PKS6_NS0_5tupleIJPfS6_EEENSE_IJSB_SB_EEENS0_18inequality_wrapperIN6hipcub16HIPCUB_304000_NS8EqualityEEEPlJS6_EEE10hipError_tPvRmT3_T4_T5_T6_T7_T9_mT8_P12ihipStream_tbDpT10_ENKUlT_T0_E_clISt17integral_constantIbLb0EES16_IbLb1EEEEDaS12_S13_EUlS12_E_NS1_11comp_targetILNS1_3genE3ELNS1_11target_archE908ELNS1_3gpuE7ELNS1_3repE0EEENS1_30default_config_static_selectorELNS0_4arch9wavefront6targetE1EEEvT1_: ; @_ZN7rocprim17ROCPRIM_400000_NS6detail17trampoline_kernelINS0_14default_configENS1_25partition_config_selectorILNS1_17partition_subalgoE8EfNS0_10empty_typeEbEEZZNS1_14partition_implILS5_8ELb0ES3_jPKfPS6_PKS6_NS0_5tupleIJPfS6_EEENSE_IJSB_SB_EEENS0_18inequality_wrapperIN6hipcub16HIPCUB_304000_NS8EqualityEEEPlJS6_EEE10hipError_tPvRmT3_T4_T5_T6_T7_T9_mT8_P12ihipStream_tbDpT10_ENKUlT_T0_E_clISt17integral_constantIbLb0EES16_IbLb1EEEEDaS12_S13_EUlS12_E_NS1_11comp_targetILNS1_3genE3ELNS1_11target_archE908ELNS1_3gpuE7ELNS1_3repE0EEENS1_30default_config_static_selectorELNS0_4arch9wavefront6targetE1EEEvT1_
; %bb.0:
	.section	.rodata,"a",@progbits
	.p2align	6, 0x0
	.amdhsa_kernel _ZN7rocprim17ROCPRIM_400000_NS6detail17trampoline_kernelINS0_14default_configENS1_25partition_config_selectorILNS1_17partition_subalgoE8EfNS0_10empty_typeEbEEZZNS1_14partition_implILS5_8ELb0ES3_jPKfPS6_PKS6_NS0_5tupleIJPfS6_EEENSE_IJSB_SB_EEENS0_18inequality_wrapperIN6hipcub16HIPCUB_304000_NS8EqualityEEEPlJS6_EEE10hipError_tPvRmT3_T4_T5_T6_T7_T9_mT8_P12ihipStream_tbDpT10_ENKUlT_T0_E_clISt17integral_constantIbLb0EES16_IbLb1EEEEDaS12_S13_EUlS12_E_NS1_11comp_targetILNS1_3genE3ELNS1_11target_archE908ELNS1_3gpuE7ELNS1_3repE0EEENS1_30default_config_static_selectorELNS0_4arch9wavefront6targetE1EEEvT1_
		.amdhsa_group_segment_fixed_size 0
		.amdhsa_private_segment_fixed_size 0
		.amdhsa_kernarg_size 128
		.amdhsa_user_sgpr_count 6
		.amdhsa_user_sgpr_private_segment_buffer 1
		.amdhsa_user_sgpr_dispatch_ptr 0
		.amdhsa_user_sgpr_queue_ptr 0
		.amdhsa_user_sgpr_kernarg_segment_ptr 1
		.amdhsa_user_sgpr_dispatch_id 0
		.amdhsa_user_sgpr_flat_scratch_init 0
		.amdhsa_user_sgpr_kernarg_preload_length 0
		.amdhsa_user_sgpr_kernarg_preload_offset 0
		.amdhsa_user_sgpr_private_segment_size 0
		.amdhsa_uses_dynamic_stack 0
		.amdhsa_system_sgpr_private_segment_wavefront_offset 0
		.amdhsa_system_sgpr_workgroup_id_x 1
		.amdhsa_system_sgpr_workgroup_id_y 0
		.amdhsa_system_sgpr_workgroup_id_z 0
		.amdhsa_system_sgpr_workgroup_info 0
		.amdhsa_system_vgpr_workitem_id 0
		.amdhsa_next_free_vgpr 1
		.amdhsa_next_free_sgpr 0
		.amdhsa_accum_offset 4
		.amdhsa_reserve_vcc 0
		.amdhsa_reserve_flat_scratch 0
		.amdhsa_float_round_mode_32 0
		.amdhsa_float_round_mode_16_64 0
		.amdhsa_float_denorm_mode_32 3
		.amdhsa_float_denorm_mode_16_64 3
		.amdhsa_dx10_clamp 1
		.amdhsa_ieee_mode 1
		.amdhsa_fp16_overflow 0
		.amdhsa_tg_split 0
		.amdhsa_exception_fp_ieee_invalid_op 0
		.amdhsa_exception_fp_denorm_src 0
		.amdhsa_exception_fp_ieee_div_zero 0
		.amdhsa_exception_fp_ieee_overflow 0
		.amdhsa_exception_fp_ieee_underflow 0
		.amdhsa_exception_fp_ieee_inexact 0
		.amdhsa_exception_int_div_zero 0
	.end_amdhsa_kernel
	.section	.text._ZN7rocprim17ROCPRIM_400000_NS6detail17trampoline_kernelINS0_14default_configENS1_25partition_config_selectorILNS1_17partition_subalgoE8EfNS0_10empty_typeEbEEZZNS1_14partition_implILS5_8ELb0ES3_jPKfPS6_PKS6_NS0_5tupleIJPfS6_EEENSE_IJSB_SB_EEENS0_18inequality_wrapperIN6hipcub16HIPCUB_304000_NS8EqualityEEEPlJS6_EEE10hipError_tPvRmT3_T4_T5_T6_T7_T9_mT8_P12ihipStream_tbDpT10_ENKUlT_T0_E_clISt17integral_constantIbLb0EES16_IbLb1EEEEDaS12_S13_EUlS12_E_NS1_11comp_targetILNS1_3genE3ELNS1_11target_archE908ELNS1_3gpuE7ELNS1_3repE0EEENS1_30default_config_static_selectorELNS0_4arch9wavefront6targetE1EEEvT1_,"axG",@progbits,_ZN7rocprim17ROCPRIM_400000_NS6detail17trampoline_kernelINS0_14default_configENS1_25partition_config_selectorILNS1_17partition_subalgoE8EfNS0_10empty_typeEbEEZZNS1_14partition_implILS5_8ELb0ES3_jPKfPS6_PKS6_NS0_5tupleIJPfS6_EEENSE_IJSB_SB_EEENS0_18inequality_wrapperIN6hipcub16HIPCUB_304000_NS8EqualityEEEPlJS6_EEE10hipError_tPvRmT3_T4_T5_T6_T7_T9_mT8_P12ihipStream_tbDpT10_ENKUlT_T0_E_clISt17integral_constantIbLb0EES16_IbLb1EEEEDaS12_S13_EUlS12_E_NS1_11comp_targetILNS1_3genE3ELNS1_11target_archE908ELNS1_3gpuE7ELNS1_3repE0EEENS1_30default_config_static_selectorELNS0_4arch9wavefront6targetE1EEEvT1_,comdat
.Lfunc_end368:
	.size	_ZN7rocprim17ROCPRIM_400000_NS6detail17trampoline_kernelINS0_14default_configENS1_25partition_config_selectorILNS1_17partition_subalgoE8EfNS0_10empty_typeEbEEZZNS1_14partition_implILS5_8ELb0ES3_jPKfPS6_PKS6_NS0_5tupleIJPfS6_EEENSE_IJSB_SB_EEENS0_18inequality_wrapperIN6hipcub16HIPCUB_304000_NS8EqualityEEEPlJS6_EEE10hipError_tPvRmT3_T4_T5_T6_T7_T9_mT8_P12ihipStream_tbDpT10_ENKUlT_T0_E_clISt17integral_constantIbLb0EES16_IbLb1EEEEDaS12_S13_EUlS12_E_NS1_11comp_targetILNS1_3genE3ELNS1_11target_archE908ELNS1_3gpuE7ELNS1_3repE0EEENS1_30default_config_static_selectorELNS0_4arch9wavefront6targetE1EEEvT1_, .Lfunc_end368-_ZN7rocprim17ROCPRIM_400000_NS6detail17trampoline_kernelINS0_14default_configENS1_25partition_config_selectorILNS1_17partition_subalgoE8EfNS0_10empty_typeEbEEZZNS1_14partition_implILS5_8ELb0ES3_jPKfPS6_PKS6_NS0_5tupleIJPfS6_EEENSE_IJSB_SB_EEENS0_18inequality_wrapperIN6hipcub16HIPCUB_304000_NS8EqualityEEEPlJS6_EEE10hipError_tPvRmT3_T4_T5_T6_T7_T9_mT8_P12ihipStream_tbDpT10_ENKUlT_T0_E_clISt17integral_constantIbLb0EES16_IbLb1EEEEDaS12_S13_EUlS12_E_NS1_11comp_targetILNS1_3genE3ELNS1_11target_archE908ELNS1_3gpuE7ELNS1_3repE0EEENS1_30default_config_static_selectorELNS0_4arch9wavefront6targetE1EEEvT1_
                                        ; -- End function
	.section	.AMDGPU.csdata,"",@progbits
; Kernel info:
; codeLenInByte = 0
; NumSgprs: 4
; NumVgprs: 0
; NumAgprs: 0
; TotalNumVgprs: 0
; ScratchSize: 0
; MemoryBound: 0
; FloatMode: 240
; IeeeMode: 1
; LDSByteSize: 0 bytes/workgroup (compile time only)
; SGPRBlocks: 0
; VGPRBlocks: 0
; NumSGPRsForWavesPerEU: 4
; NumVGPRsForWavesPerEU: 1
; AccumOffset: 4
; Occupancy: 8
; WaveLimiterHint : 0
; COMPUTE_PGM_RSRC2:SCRATCH_EN: 0
; COMPUTE_PGM_RSRC2:USER_SGPR: 6
; COMPUTE_PGM_RSRC2:TRAP_HANDLER: 0
; COMPUTE_PGM_RSRC2:TGID_X_EN: 1
; COMPUTE_PGM_RSRC2:TGID_Y_EN: 0
; COMPUTE_PGM_RSRC2:TGID_Z_EN: 0
; COMPUTE_PGM_RSRC2:TIDIG_COMP_CNT: 0
; COMPUTE_PGM_RSRC3_GFX90A:ACCUM_OFFSET: 0
; COMPUTE_PGM_RSRC3_GFX90A:TG_SPLIT: 0
	.section	.text._ZN7rocprim17ROCPRIM_400000_NS6detail17trampoline_kernelINS0_14default_configENS1_25partition_config_selectorILNS1_17partition_subalgoE8EfNS0_10empty_typeEbEEZZNS1_14partition_implILS5_8ELb0ES3_jPKfPS6_PKS6_NS0_5tupleIJPfS6_EEENSE_IJSB_SB_EEENS0_18inequality_wrapperIN6hipcub16HIPCUB_304000_NS8EqualityEEEPlJS6_EEE10hipError_tPvRmT3_T4_T5_T6_T7_T9_mT8_P12ihipStream_tbDpT10_ENKUlT_T0_E_clISt17integral_constantIbLb0EES16_IbLb1EEEEDaS12_S13_EUlS12_E_NS1_11comp_targetILNS1_3genE2ELNS1_11target_archE906ELNS1_3gpuE6ELNS1_3repE0EEENS1_30default_config_static_selectorELNS0_4arch9wavefront6targetE1EEEvT1_,"axG",@progbits,_ZN7rocprim17ROCPRIM_400000_NS6detail17trampoline_kernelINS0_14default_configENS1_25partition_config_selectorILNS1_17partition_subalgoE8EfNS0_10empty_typeEbEEZZNS1_14partition_implILS5_8ELb0ES3_jPKfPS6_PKS6_NS0_5tupleIJPfS6_EEENSE_IJSB_SB_EEENS0_18inequality_wrapperIN6hipcub16HIPCUB_304000_NS8EqualityEEEPlJS6_EEE10hipError_tPvRmT3_T4_T5_T6_T7_T9_mT8_P12ihipStream_tbDpT10_ENKUlT_T0_E_clISt17integral_constantIbLb0EES16_IbLb1EEEEDaS12_S13_EUlS12_E_NS1_11comp_targetILNS1_3genE2ELNS1_11target_archE906ELNS1_3gpuE6ELNS1_3repE0EEENS1_30default_config_static_selectorELNS0_4arch9wavefront6targetE1EEEvT1_,comdat
	.protected	_ZN7rocprim17ROCPRIM_400000_NS6detail17trampoline_kernelINS0_14default_configENS1_25partition_config_selectorILNS1_17partition_subalgoE8EfNS0_10empty_typeEbEEZZNS1_14partition_implILS5_8ELb0ES3_jPKfPS6_PKS6_NS0_5tupleIJPfS6_EEENSE_IJSB_SB_EEENS0_18inequality_wrapperIN6hipcub16HIPCUB_304000_NS8EqualityEEEPlJS6_EEE10hipError_tPvRmT3_T4_T5_T6_T7_T9_mT8_P12ihipStream_tbDpT10_ENKUlT_T0_E_clISt17integral_constantIbLb0EES16_IbLb1EEEEDaS12_S13_EUlS12_E_NS1_11comp_targetILNS1_3genE2ELNS1_11target_archE906ELNS1_3gpuE6ELNS1_3repE0EEENS1_30default_config_static_selectorELNS0_4arch9wavefront6targetE1EEEvT1_ ; -- Begin function _ZN7rocprim17ROCPRIM_400000_NS6detail17trampoline_kernelINS0_14default_configENS1_25partition_config_selectorILNS1_17partition_subalgoE8EfNS0_10empty_typeEbEEZZNS1_14partition_implILS5_8ELb0ES3_jPKfPS6_PKS6_NS0_5tupleIJPfS6_EEENSE_IJSB_SB_EEENS0_18inequality_wrapperIN6hipcub16HIPCUB_304000_NS8EqualityEEEPlJS6_EEE10hipError_tPvRmT3_T4_T5_T6_T7_T9_mT8_P12ihipStream_tbDpT10_ENKUlT_T0_E_clISt17integral_constantIbLb0EES16_IbLb1EEEEDaS12_S13_EUlS12_E_NS1_11comp_targetILNS1_3genE2ELNS1_11target_archE906ELNS1_3gpuE6ELNS1_3repE0EEENS1_30default_config_static_selectorELNS0_4arch9wavefront6targetE1EEEvT1_
	.globl	_ZN7rocprim17ROCPRIM_400000_NS6detail17trampoline_kernelINS0_14default_configENS1_25partition_config_selectorILNS1_17partition_subalgoE8EfNS0_10empty_typeEbEEZZNS1_14partition_implILS5_8ELb0ES3_jPKfPS6_PKS6_NS0_5tupleIJPfS6_EEENSE_IJSB_SB_EEENS0_18inequality_wrapperIN6hipcub16HIPCUB_304000_NS8EqualityEEEPlJS6_EEE10hipError_tPvRmT3_T4_T5_T6_T7_T9_mT8_P12ihipStream_tbDpT10_ENKUlT_T0_E_clISt17integral_constantIbLb0EES16_IbLb1EEEEDaS12_S13_EUlS12_E_NS1_11comp_targetILNS1_3genE2ELNS1_11target_archE906ELNS1_3gpuE6ELNS1_3repE0EEENS1_30default_config_static_selectorELNS0_4arch9wavefront6targetE1EEEvT1_
	.p2align	8
	.type	_ZN7rocprim17ROCPRIM_400000_NS6detail17trampoline_kernelINS0_14default_configENS1_25partition_config_selectorILNS1_17partition_subalgoE8EfNS0_10empty_typeEbEEZZNS1_14partition_implILS5_8ELb0ES3_jPKfPS6_PKS6_NS0_5tupleIJPfS6_EEENSE_IJSB_SB_EEENS0_18inequality_wrapperIN6hipcub16HIPCUB_304000_NS8EqualityEEEPlJS6_EEE10hipError_tPvRmT3_T4_T5_T6_T7_T9_mT8_P12ihipStream_tbDpT10_ENKUlT_T0_E_clISt17integral_constantIbLb0EES16_IbLb1EEEEDaS12_S13_EUlS12_E_NS1_11comp_targetILNS1_3genE2ELNS1_11target_archE906ELNS1_3gpuE6ELNS1_3repE0EEENS1_30default_config_static_selectorELNS0_4arch9wavefront6targetE1EEEvT1_,@function
_ZN7rocprim17ROCPRIM_400000_NS6detail17trampoline_kernelINS0_14default_configENS1_25partition_config_selectorILNS1_17partition_subalgoE8EfNS0_10empty_typeEbEEZZNS1_14partition_implILS5_8ELb0ES3_jPKfPS6_PKS6_NS0_5tupleIJPfS6_EEENSE_IJSB_SB_EEENS0_18inequality_wrapperIN6hipcub16HIPCUB_304000_NS8EqualityEEEPlJS6_EEE10hipError_tPvRmT3_T4_T5_T6_T7_T9_mT8_P12ihipStream_tbDpT10_ENKUlT_T0_E_clISt17integral_constantIbLb0EES16_IbLb1EEEEDaS12_S13_EUlS12_E_NS1_11comp_targetILNS1_3genE2ELNS1_11target_archE906ELNS1_3gpuE6ELNS1_3repE0EEENS1_30default_config_static_selectorELNS0_4arch9wavefront6targetE1EEEvT1_: ; @_ZN7rocprim17ROCPRIM_400000_NS6detail17trampoline_kernelINS0_14default_configENS1_25partition_config_selectorILNS1_17partition_subalgoE8EfNS0_10empty_typeEbEEZZNS1_14partition_implILS5_8ELb0ES3_jPKfPS6_PKS6_NS0_5tupleIJPfS6_EEENSE_IJSB_SB_EEENS0_18inequality_wrapperIN6hipcub16HIPCUB_304000_NS8EqualityEEEPlJS6_EEE10hipError_tPvRmT3_T4_T5_T6_T7_T9_mT8_P12ihipStream_tbDpT10_ENKUlT_T0_E_clISt17integral_constantIbLb0EES16_IbLb1EEEEDaS12_S13_EUlS12_E_NS1_11comp_targetILNS1_3genE2ELNS1_11target_archE906ELNS1_3gpuE6ELNS1_3repE0EEENS1_30default_config_static_selectorELNS0_4arch9wavefront6targetE1EEEvT1_
; %bb.0:
	.section	.rodata,"a",@progbits
	.p2align	6, 0x0
	.amdhsa_kernel _ZN7rocprim17ROCPRIM_400000_NS6detail17trampoline_kernelINS0_14default_configENS1_25partition_config_selectorILNS1_17partition_subalgoE8EfNS0_10empty_typeEbEEZZNS1_14partition_implILS5_8ELb0ES3_jPKfPS6_PKS6_NS0_5tupleIJPfS6_EEENSE_IJSB_SB_EEENS0_18inequality_wrapperIN6hipcub16HIPCUB_304000_NS8EqualityEEEPlJS6_EEE10hipError_tPvRmT3_T4_T5_T6_T7_T9_mT8_P12ihipStream_tbDpT10_ENKUlT_T0_E_clISt17integral_constantIbLb0EES16_IbLb1EEEEDaS12_S13_EUlS12_E_NS1_11comp_targetILNS1_3genE2ELNS1_11target_archE906ELNS1_3gpuE6ELNS1_3repE0EEENS1_30default_config_static_selectorELNS0_4arch9wavefront6targetE1EEEvT1_
		.amdhsa_group_segment_fixed_size 0
		.amdhsa_private_segment_fixed_size 0
		.amdhsa_kernarg_size 128
		.amdhsa_user_sgpr_count 6
		.amdhsa_user_sgpr_private_segment_buffer 1
		.amdhsa_user_sgpr_dispatch_ptr 0
		.amdhsa_user_sgpr_queue_ptr 0
		.amdhsa_user_sgpr_kernarg_segment_ptr 1
		.amdhsa_user_sgpr_dispatch_id 0
		.amdhsa_user_sgpr_flat_scratch_init 0
		.amdhsa_user_sgpr_kernarg_preload_length 0
		.amdhsa_user_sgpr_kernarg_preload_offset 0
		.amdhsa_user_sgpr_private_segment_size 0
		.amdhsa_uses_dynamic_stack 0
		.amdhsa_system_sgpr_private_segment_wavefront_offset 0
		.amdhsa_system_sgpr_workgroup_id_x 1
		.amdhsa_system_sgpr_workgroup_id_y 0
		.amdhsa_system_sgpr_workgroup_id_z 0
		.amdhsa_system_sgpr_workgroup_info 0
		.amdhsa_system_vgpr_workitem_id 0
		.amdhsa_next_free_vgpr 1
		.amdhsa_next_free_sgpr 0
		.amdhsa_accum_offset 4
		.amdhsa_reserve_vcc 0
		.amdhsa_reserve_flat_scratch 0
		.amdhsa_float_round_mode_32 0
		.amdhsa_float_round_mode_16_64 0
		.amdhsa_float_denorm_mode_32 3
		.amdhsa_float_denorm_mode_16_64 3
		.amdhsa_dx10_clamp 1
		.amdhsa_ieee_mode 1
		.amdhsa_fp16_overflow 0
		.amdhsa_tg_split 0
		.amdhsa_exception_fp_ieee_invalid_op 0
		.amdhsa_exception_fp_denorm_src 0
		.amdhsa_exception_fp_ieee_div_zero 0
		.amdhsa_exception_fp_ieee_overflow 0
		.amdhsa_exception_fp_ieee_underflow 0
		.amdhsa_exception_fp_ieee_inexact 0
		.amdhsa_exception_int_div_zero 0
	.end_amdhsa_kernel
	.section	.text._ZN7rocprim17ROCPRIM_400000_NS6detail17trampoline_kernelINS0_14default_configENS1_25partition_config_selectorILNS1_17partition_subalgoE8EfNS0_10empty_typeEbEEZZNS1_14partition_implILS5_8ELb0ES3_jPKfPS6_PKS6_NS0_5tupleIJPfS6_EEENSE_IJSB_SB_EEENS0_18inequality_wrapperIN6hipcub16HIPCUB_304000_NS8EqualityEEEPlJS6_EEE10hipError_tPvRmT3_T4_T5_T6_T7_T9_mT8_P12ihipStream_tbDpT10_ENKUlT_T0_E_clISt17integral_constantIbLb0EES16_IbLb1EEEEDaS12_S13_EUlS12_E_NS1_11comp_targetILNS1_3genE2ELNS1_11target_archE906ELNS1_3gpuE6ELNS1_3repE0EEENS1_30default_config_static_selectorELNS0_4arch9wavefront6targetE1EEEvT1_,"axG",@progbits,_ZN7rocprim17ROCPRIM_400000_NS6detail17trampoline_kernelINS0_14default_configENS1_25partition_config_selectorILNS1_17partition_subalgoE8EfNS0_10empty_typeEbEEZZNS1_14partition_implILS5_8ELb0ES3_jPKfPS6_PKS6_NS0_5tupleIJPfS6_EEENSE_IJSB_SB_EEENS0_18inequality_wrapperIN6hipcub16HIPCUB_304000_NS8EqualityEEEPlJS6_EEE10hipError_tPvRmT3_T4_T5_T6_T7_T9_mT8_P12ihipStream_tbDpT10_ENKUlT_T0_E_clISt17integral_constantIbLb0EES16_IbLb1EEEEDaS12_S13_EUlS12_E_NS1_11comp_targetILNS1_3genE2ELNS1_11target_archE906ELNS1_3gpuE6ELNS1_3repE0EEENS1_30default_config_static_selectorELNS0_4arch9wavefront6targetE1EEEvT1_,comdat
.Lfunc_end369:
	.size	_ZN7rocprim17ROCPRIM_400000_NS6detail17trampoline_kernelINS0_14default_configENS1_25partition_config_selectorILNS1_17partition_subalgoE8EfNS0_10empty_typeEbEEZZNS1_14partition_implILS5_8ELb0ES3_jPKfPS6_PKS6_NS0_5tupleIJPfS6_EEENSE_IJSB_SB_EEENS0_18inequality_wrapperIN6hipcub16HIPCUB_304000_NS8EqualityEEEPlJS6_EEE10hipError_tPvRmT3_T4_T5_T6_T7_T9_mT8_P12ihipStream_tbDpT10_ENKUlT_T0_E_clISt17integral_constantIbLb0EES16_IbLb1EEEEDaS12_S13_EUlS12_E_NS1_11comp_targetILNS1_3genE2ELNS1_11target_archE906ELNS1_3gpuE6ELNS1_3repE0EEENS1_30default_config_static_selectorELNS0_4arch9wavefront6targetE1EEEvT1_, .Lfunc_end369-_ZN7rocprim17ROCPRIM_400000_NS6detail17trampoline_kernelINS0_14default_configENS1_25partition_config_selectorILNS1_17partition_subalgoE8EfNS0_10empty_typeEbEEZZNS1_14partition_implILS5_8ELb0ES3_jPKfPS6_PKS6_NS0_5tupleIJPfS6_EEENSE_IJSB_SB_EEENS0_18inequality_wrapperIN6hipcub16HIPCUB_304000_NS8EqualityEEEPlJS6_EEE10hipError_tPvRmT3_T4_T5_T6_T7_T9_mT8_P12ihipStream_tbDpT10_ENKUlT_T0_E_clISt17integral_constantIbLb0EES16_IbLb1EEEEDaS12_S13_EUlS12_E_NS1_11comp_targetILNS1_3genE2ELNS1_11target_archE906ELNS1_3gpuE6ELNS1_3repE0EEENS1_30default_config_static_selectorELNS0_4arch9wavefront6targetE1EEEvT1_
                                        ; -- End function
	.section	.AMDGPU.csdata,"",@progbits
; Kernel info:
; codeLenInByte = 0
; NumSgprs: 4
; NumVgprs: 0
; NumAgprs: 0
; TotalNumVgprs: 0
; ScratchSize: 0
; MemoryBound: 0
; FloatMode: 240
; IeeeMode: 1
; LDSByteSize: 0 bytes/workgroup (compile time only)
; SGPRBlocks: 0
; VGPRBlocks: 0
; NumSGPRsForWavesPerEU: 4
; NumVGPRsForWavesPerEU: 1
; AccumOffset: 4
; Occupancy: 8
; WaveLimiterHint : 0
; COMPUTE_PGM_RSRC2:SCRATCH_EN: 0
; COMPUTE_PGM_RSRC2:USER_SGPR: 6
; COMPUTE_PGM_RSRC2:TRAP_HANDLER: 0
; COMPUTE_PGM_RSRC2:TGID_X_EN: 1
; COMPUTE_PGM_RSRC2:TGID_Y_EN: 0
; COMPUTE_PGM_RSRC2:TGID_Z_EN: 0
; COMPUTE_PGM_RSRC2:TIDIG_COMP_CNT: 0
; COMPUTE_PGM_RSRC3_GFX90A:ACCUM_OFFSET: 0
; COMPUTE_PGM_RSRC3_GFX90A:TG_SPLIT: 0
	.section	.text._ZN7rocprim17ROCPRIM_400000_NS6detail17trampoline_kernelINS0_14default_configENS1_25partition_config_selectorILNS1_17partition_subalgoE8EfNS0_10empty_typeEbEEZZNS1_14partition_implILS5_8ELb0ES3_jPKfPS6_PKS6_NS0_5tupleIJPfS6_EEENSE_IJSB_SB_EEENS0_18inequality_wrapperIN6hipcub16HIPCUB_304000_NS8EqualityEEEPlJS6_EEE10hipError_tPvRmT3_T4_T5_T6_T7_T9_mT8_P12ihipStream_tbDpT10_ENKUlT_T0_E_clISt17integral_constantIbLb0EES16_IbLb1EEEEDaS12_S13_EUlS12_E_NS1_11comp_targetILNS1_3genE10ELNS1_11target_archE1200ELNS1_3gpuE4ELNS1_3repE0EEENS1_30default_config_static_selectorELNS0_4arch9wavefront6targetE1EEEvT1_,"axG",@progbits,_ZN7rocprim17ROCPRIM_400000_NS6detail17trampoline_kernelINS0_14default_configENS1_25partition_config_selectorILNS1_17partition_subalgoE8EfNS0_10empty_typeEbEEZZNS1_14partition_implILS5_8ELb0ES3_jPKfPS6_PKS6_NS0_5tupleIJPfS6_EEENSE_IJSB_SB_EEENS0_18inequality_wrapperIN6hipcub16HIPCUB_304000_NS8EqualityEEEPlJS6_EEE10hipError_tPvRmT3_T4_T5_T6_T7_T9_mT8_P12ihipStream_tbDpT10_ENKUlT_T0_E_clISt17integral_constantIbLb0EES16_IbLb1EEEEDaS12_S13_EUlS12_E_NS1_11comp_targetILNS1_3genE10ELNS1_11target_archE1200ELNS1_3gpuE4ELNS1_3repE0EEENS1_30default_config_static_selectorELNS0_4arch9wavefront6targetE1EEEvT1_,comdat
	.protected	_ZN7rocprim17ROCPRIM_400000_NS6detail17trampoline_kernelINS0_14default_configENS1_25partition_config_selectorILNS1_17partition_subalgoE8EfNS0_10empty_typeEbEEZZNS1_14partition_implILS5_8ELb0ES3_jPKfPS6_PKS6_NS0_5tupleIJPfS6_EEENSE_IJSB_SB_EEENS0_18inequality_wrapperIN6hipcub16HIPCUB_304000_NS8EqualityEEEPlJS6_EEE10hipError_tPvRmT3_T4_T5_T6_T7_T9_mT8_P12ihipStream_tbDpT10_ENKUlT_T0_E_clISt17integral_constantIbLb0EES16_IbLb1EEEEDaS12_S13_EUlS12_E_NS1_11comp_targetILNS1_3genE10ELNS1_11target_archE1200ELNS1_3gpuE4ELNS1_3repE0EEENS1_30default_config_static_selectorELNS0_4arch9wavefront6targetE1EEEvT1_ ; -- Begin function _ZN7rocprim17ROCPRIM_400000_NS6detail17trampoline_kernelINS0_14default_configENS1_25partition_config_selectorILNS1_17partition_subalgoE8EfNS0_10empty_typeEbEEZZNS1_14partition_implILS5_8ELb0ES3_jPKfPS6_PKS6_NS0_5tupleIJPfS6_EEENSE_IJSB_SB_EEENS0_18inequality_wrapperIN6hipcub16HIPCUB_304000_NS8EqualityEEEPlJS6_EEE10hipError_tPvRmT3_T4_T5_T6_T7_T9_mT8_P12ihipStream_tbDpT10_ENKUlT_T0_E_clISt17integral_constantIbLb0EES16_IbLb1EEEEDaS12_S13_EUlS12_E_NS1_11comp_targetILNS1_3genE10ELNS1_11target_archE1200ELNS1_3gpuE4ELNS1_3repE0EEENS1_30default_config_static_selectorELNS0_4arch9wavefront6targetE1EEEvT1_
	.globl	_ZN7rocprim17ROCPRIM_400000_NS6detail17trampoline_kernelINS0_14default_configENS1_25partition_config_selectorILNS1_17partition_subalgoE8EfNS0_10empty_typeEbEEZZNS1_14partition_implILS5_8ELb0ES3_jPKfPS6_PKS6_NS0_5tupleIJPfS6_EEENSE_IJSB_SB_EEENS0_18inequality_wrapperIN6hipcub16HIPCUB_304000_NS8EqualityEEEPlJS6_EEE10hipError_tPvRmT3_T4_T5_T6_T7_T9_mT8_P12ihipStream_tbDpT10_ENKUlT_T0_E_clISt17integral_constantIbLb0EES16_IbLb1EEEEDaS12_S13_EUlS12_E_NS1_11comp_targetILNS1_3genE10ELNS1_11target_archE1200ELNS1_3gpuE4ELNS1_3repE0EEENS1_30default_config_static_selectorELNS0_4arch9wavefront6targetE1EEEvT1_
	.p2align	8
	.type	_ZN7rocprim17ROCPRIM_400000_NS6detail17trampoline_kernelINS0_14default_configENS1_25partition_config_selectorILNS1_17partition_subalgoE8EfNS0_10empty_typeEbEEZZNS1_14partition_implILS5_8ELb0ES3_jPKfPS6_PKS6_NS0_5tupleIJPfS6_EEENSE_IJSB_SB_EEENS0_18inequality_wrapperIN6hipcub16HIPCUB_304000_NS8EqualityEEEPlJS6_EEE10hipError_tPvRmT3_T4_T5_T6_T7_T9_mT8_P12ihipStream_tbDpT10_ENKUlT_T0_E_clISt17integral_constantIbLb0EES16_IbLb1EEEEDaS12_S13_EUlS12_E_NS1_11comp_targetILNS1_3genE10ELNS1_11target_archE1200ELNS1_3gpuE4ELNS1_3repE0EEENS1_30default_config_static_selectorELNS0_4arch9wavefront6targetE1EEEvT1_,@function
_ZN7rocprim17ROCPRIM_400000_NS6detail17trampoline_kernelINS0_14default_configENS1_25partition_config_selectorILNS1_17partition_subalgoE8EfNS0_10empty_typeEbEEZZNS1_14partition_implILS5_8ELb0ES3_jPKfPS6_PKS6_NS0_5tupleIJPfS6_EEENSE_IJSB_SB_EEENS0_18inequality_wrapperIN6hipcub16HIPCUB_304000_NS8EqualityEEEPlJS6_EEE10hipError_tPvRmT3_T4_T5_T6_T7_T9_mT8_P12ihipStream_tbDpT10_ENKUlT_T0_E_clISt17integral_constantIbLb0EES16_IbLb1EEEEDaS12_S13_EUlS12_E_NS1_11comp_targetILNS1_3genE10ELNS1_11target_archE1200ELNS1_3gpuE4ELNS1_3repE0EEENS1_30default_config_static_selectorELNS0_4arch9wavefront6targetE1EEEvT1_: ; @_ZN7rocprim17ROCPRIM_400000_NS6detail17trampoline_kernelINS0_14default_configENS1_25partition_config_selectorILNS1_17partition_subalgoE8EfNS0_10empty_typeEbEEZZNS1_14partition_implILS5_8ELb0ES3_jPKfPS6_PKS6_NS0_5tupleIJPfS6_EEENSE_IJSB_SB_EEENS0_18inequality_wrapperIN6hipcub16HIPCUB_304000_NS8EqualityEEEPlJS6_EEE10hipError_tPvRmT3_T4_T5_T6_T7_T9_mT8_P12ihipStream_tbDpT10_ENKUlT_T0_E_clISt17integral_constantIbLb0EES16_IbLb1EEEEDaS12_S13_EUlS12_E_NS1_11comp_targetILNS1_3genE10ELNS1_11target_archE1200ELNS1_3gpuE4ELNS1_3repE0EEENS1_30default_config_static_selectorELNS0_4arch9wavefront6targetE1EEEvT1_
; %bb.0:
	.section	.rodata,"a",@progbits
	.p2align	6, 0x0
	.amdhsa_kernel _ZN7rocprim17ROCPRIM_400000_NS6detail17trampoline_kernelINS0_14default_configENS1_25partition_config_selectorILNS1_17partition_subalgoE8EfNS0_10empty_typeEbEEZZNS1_14partition_implILS5_8ELb0ES3_jPKfPS6_PKS6_NS0_5tupleIJPfS6_EEENSE_IJSB_SB_EEENS0_18inequality_wrapperIN6hipcub16HIPCUB_304000_NS8EqualityEEEPlJS6_EEE10hipError_tPvRmT3_T4_T5_T6_T7_T9_mT8_P12ihipStream_tbDpT10_ENKUlT_T0_E_clISt17integral_constantIbLb0EES16_IbLb1EEEEDaS12_S13_EUlS12_E_NS1_11comp_targetILNS1_3genE10ELNS1_11target_archE1200ELNS1_3gpuE4ELNS1_3repE0EEENS1_30default_config_static_selectorELNS0_4arch9wavefront6targetE1EEEvT1_
		.amdhsa_group_segment_fixed_size 0
		.amdhsa_private_segment_fixed_size 0
		.amdhsa_kernarg_size 128
		.amdhsa_user_sgpr_count 6
		.amdhsa_user_sgpr_private_segment_buffer 1
		.amdhsa_user_sgpr_dispatch_ptr 0
		.amdhsa_user_sgpr_queue_ptr 0
		.amdhsa_user_sgpr_kernarg_segment_ptr 1
		.amdhsa_user_sgpr_dispatch_id 0
		.amdhsa_user_sgpr_flat_scratch_init 0
		.amdhsa_user_sgpr_kernarg_preload_length 0
		.amdhsa_user_sgpr_kernarg_preload_offset 0
		.amdhsa_user_sgpr_private_segment_size 0
		.amdhsa_uses_dynamic_stack 0
		.amdhsa_system_sgpr_private_segment_wavefront_offset 0
		.amdhsa_system_sgpr_workgroup_id_x 1
		.amdhsa_system_sgpr_workgroup_id_y 0
		.amdhsa_system_sgpr_workgroup_id_z 0
		.amdhsa_system_sgpr_workgroup_info 0
		.amdhsa_system_vgpr_workitem_id 0
		.amdhsa_next_free_vgpr 1
		.amdhsa_next_free_sgpr 0
		.amdhsa_accum_offset 4
		.amdhsa_reserve_vcc 0
		.amdhsa_reserve_flat_scratch 0
		.amdhsa_float_round_mode_32 0
		.amdhsa_float_round_mode_16_64 0
		.amdhsa_float_denorm_mode_32 3
		.amdhsa_float_denorm_mode_16_64 3
		.amdhsa_dx10_clamp 1
		.amdhsa_ieee_mode 1
		.amdhsa_fp16_overflow 0
		.amdhsa_tg_split 0
		.amdhsa_exception_fp_ieee_invalid_op 0
		.amdhsa_exception_fp_denorm_src 0
		.amdhsa_exception_fp_ieee_div_zero 0
		.amdhsa_exception_fp_ieee_overflow 0
		.amdhsa_exception_fp_ieee_underflow 0
		.amdhsa_exception_fp_ieee_inexact 0
		.amdhsa_exception_int_div_zero 0
	.end_amdhsa_kernel
	.section	.text._ZN7rocprim17ROCPRIM_400000_NS6detail17trampoline_kernelINS0_14default_configENS1_25partition_config_selectorILNS1_17partition_subalgoE8EfNS0_10empty_typeEbEEZZNS1_14partition_implILS5_8ELb0ES3_jPKfPS6_PKS6_NS0_5tupleIJPfS6_EEENSE_IJSB_SB_EEENS0_18inequality_wrapperIN6hipcub16HIPCUB_304000_NS8EqualityEEEPlJS6_EEE10hipError_tPvRmT3_T4_T5_T6_T7_T9_mT8_P12ihipStream_tbDpT10_ENKUlT_T0_E_clISt17integral_constantIbLb0EES16_IbLb1EEEEDaS12_S13_EUlS12_E_NS1_11comp_targetILNS1_3genE10ELNS1_11target_archE1200ELNS1_3gpuE4ELNS1_3repE0EEENS1_30default_config_static_selectorELNS0_4arch9wavefront6targetE1EEEvT1_,"axG",@progbits,_ZN7rocprim17ROCPRIM_400000_NS6detail17trampoline_kernelINS0_14default_configENS1_25partition_config_selectorILNS1_17partition_subalgoE8EfNS0_10empty_typeEbEEZZNS1_14partition_implILS5_8ELb0ES3_jPKfPS6_PKS6_NS0_5tupleIJPfS6_EEENSE_IJSB_SB_EEENS0_18inequality_wrapperIN6hipcub16HIPCUB_304000_NS8EqualityEEEPlJS6_EEE10hipError_tPvRmT3_T4_T5_T6_T7_T9_mT8_P12ihipStream_tbDpT10_ENKUlT_T0_E_clISt17integral_constantIbLb0EES16_IbLb1EEEEDaS12_S13_EUlS12_E_NS1_11comp_targetILNS1_3genE10ELNS1_11target_archE1200ELNS1_3gpuE4ELNS1_3repE0EEENS1_30default_config_static_selectorELNS0_4arch9wavefront6targetE1EEEvT1_,comdat
.Lfunc_end370:
	.size	_ZN7rocprim17ROCPRIM_400000_NS6detail17trampoline_kernelINS0_14default_configENS1_25partition_config_selectorILNS1_17partition_subalgoE8EfNS0_10empty_typeEbEEZZNS1_14partition_implILS5_8ELb0ES3_jPKfPS6_PKS6_NS0_5tupleIJPfS6_EEENSE_IJSB_SB_EEENS0_18inequality_wrapperIN6hipcub16HIPCUB_304000_NS8EqualityEEEPlJS6_EEE10hipError_tPvRmT3_T4_T5_T6_T7_T9_mT8_P12ihipStream_tbDpT10_ENKUlT_T0_E_clISt17integral_constantIbLb0EES16_IbLb1EEEEDaS12_S13_EUlS12_E_NS1_11comp_targetILNS1_3genE10ELNS1_11target_archE1200ELNS1_3gpuE4ELNS1_3repE0EEENS1_30default_config_static_selectorELNS0_4arch9wavefront6targetE1EEEvT1_, .Lfunc_end370-_ZN7rocprim17ROCPRIM_400000_NS6detail17trampoline_kernelINS0_14default_configENS1_25partition_config_selectorILNS1_17partition_subalgoE8EfNS0_10empty_typeEbEEZZNS1_14partition_implILS5_8ELb0ES3_jPKfPS6_PKS6_NS0_5tupleIJPfS6_EEENSE_IJSB_SB_EEENS0_18inequality_wrapperIN6hipcub16HIPCUB_304000_NS8EqualityEEEPlJS6_EEE10hipError_tPvRmT3_T4_T5_T6_T7_T9_mT8_P12ihipStream_tbDpT10_ENKUlT_T0_E_clISt17integral_constantIbLb0EES16_IbLb1EEEEDaS12_S13_EUlS12_E_NS1_11comp_targetILNS1_3genE10ELNS1_11target_archE1200ELNS1_3gpuE4ELNS1_3repE0EEENS1_30default_config_static_selectorELNS0_4arch9wavefront6targetE1EEEvT1_
                                        ; -- End function
	.section	.AMDGPU.csdata,"",@progbits
; Kernel info:
; codeLenInByte = 0
; NumSgprs: 4
; NumVgprs: 0
; NumAgprs: 0
; TotalNumVgprs: 0
; ScratchSize: 0
; MemoryBound: 0
; FloatMode: 240
; IeeeMode: 1
; LDSByteSize: 0 bytes/workgroup (compile time only)
; SGPRBlocks: 0
; VGPRBlocks: 0
; NumSGPRsForWavesPerEU: 4
; NumVGPRsForWavesPerEU: 1
; AccumOffset: 4
; Occupancy: 8
; WaveLimiterHint : 0
; COMPUTE_PGM_RSRC2:SCRATCH_EN: 0
; COMPUTE_PGM_RSRC2:USER_SGPR: 6
; COMPUTE_PGM_RSRC2:TRAP_HANDLER: 0
; COMPUTE_PGM_RSRC2:TGID_X_EN: 1
; COMPUTE_PGM_RSRC2:TGID_Y_EN: 0
; COMPUTE_PGM_RSRC2:TGID_Z_EN: 0
; COMPUTE_PGM_RSRC2:TIDIG_COMP_CNT: 0
; COMPUTE_PGM_RSRC3_GFX90A:ACCUM_OFFSET: 0
; COMPUTE_PGM_RSRC3_GFX90A:TG_SPLIT: 0
	.section	.text._ZN7rocprim17ROCPRIM_400000_NS6detail17trampoline_kernelINS0_14default_configENS1_25partition_config_selectorILNS1_17partition_subalgoE8EfNS0_10empty_typeEbEEZZNS1_14partition_implILS5_8ELb0ES3_jPKfPS6_PKS6_NS0_5tupleIJPfS6_EEENSE_IJSB_SB_EEENS0_18inequality_wrapperIN6hipcub16HIPCUB_304000_NS8EqualityEEEPlJS6_EEE10hipError_tPvRmT3_T4_T5_T6_T7_T9_mT8_P12ihipStream_tbDpT10_ENKUlT_T0_E_clISt17integral_constantIbLb0EES16_IbLb1EEEEDaS12_S13_EUlS12_E_NS1_11comp_targetILNS1_3genE9ELNS1_11target_archE1100ELNS1_3gpuE3ELNS1_3repE0EEENS1_30default_config_static_selectorELNS0_4arch9wavefront6targetE1EEEvT1_,"axG",@progbits,_ZN7rocprim17ROCPRIM_400000_NS6detail17trampoline_kernelINS0_14default_configENS1_25partition_config_selectorILNS1_17partition_subalgoE8EfNS0_10empty_typeEbEEZZNS1_14partition_implILS5_8ELb0ES3_jPKfPS6_PKS6_NS0_5tupleIJPfS6_EEENSE_IJSB_SB_EEENS0_18inequality_wrapperIN6hipcub16HIPCUB_304000_NS8EqualityEEEPlJS6_EEE10hipError_tPvRmT3_T4_T5_T6_T7_T9_mT8_P12ihipStream_tbDpT10_ENKUlT_T0_E_clISt17integral_constantIbLb0EES16_IbLb1EEEEDaS12_S13_EUlS12_E_NS1_11comp_targetILNS1_3genE9ELNS1_11target_archE1100ELNS1_3gpuE3ELNS1_3repE0EEENS1_30default_config_static_selectorELNS0_4arch9wavefront6targetE1EEEvT1_,comdat
	.protected	_ZN7rocprim17ROCPRIM_400000_NS6detail17trampoline_kernelINS0_14default_configENS1_25partition_config_selectorILNS1_17partition_subalgoE8EfNS0_10empty_typeEbEEZZNS1_14partition_implILS5_8ELb0ES3_jPKfPS6_PKS6_NS0_5tupleIJPfS6_EEENSE_IJSB_SB_EEENS0_18inequality_wrapperIN6hipcub16HIPCUB_304000_NS8EqualityEEEPlJS6_EEE10hipError_tPvRmT3_T4_T5_T6_T7_T9_mT8_P12ihipStream_tbDpT10_ENKUlT_T0_E_clISt17integral_constantIbLb0EES16_IbLb1EEEEDaS12_S13_EUlS12_E_NS1_11comp_targetILNS1_3genE9ELNS1_11target_archE1100ELNS1_3gpuE3ELNS1_3repE0EEENS1_30default_config_static_selectorELNS0_4arch9wavefront6targetE1EEEvT1_ ; -- Begin function _ZN7rocprim17ROCPRIM_400000_NS6detail17trampoline_kernelINS0_14default_configENS1_25partition_config_selectorILNS1_17partition_subalgoE8EfNS0_10empty_typeEbEEZZNS1_14partition_implILS5_8ELb0ES3_jPKfPS6_PKS6_NS0_5tupleIJPfS6_EEENSE_IJSB_SB_EEENS0_18inequality_wrapperIN6hipcub16HIPCUB_304000_NS8EqualityEEEPlJS6_EEE10hipError_tPvRmT3_T4_T5_T6_T7_T9_mT8_P12ihipStream_tbDpT10_ENKUlT_T0_E_clISt17integral_constantIbLb0EES16_IbLb1EEEEDaS12_S13_EUlS12_E_NS1_11comp_targetILNS1_3genE9ELNS1_11target_archE1100ELNS1_3gpuE3ELNS1_3repE0EEENS1_30default_config_static_selectorELNS0_4arch9wavefront6targetE1EEEvT1_
	.globl	_ZN7rocprim17ROCPRIM_400000_NS6detail17trampoline_kernelINS0_14default_configENS1_25partition_config_selectorILNS1_17partition_subalgoE8EfNS0_10empty_typeEbEEZZNS1_14partition_implILS5_8ELb0ES3_jPKfPS6_PKS6_NS0_5tupleIJPfS6_EEENSE_IJSB_SB_EEENS0_18inequality_wrapperIN6hipcub16HIPCUB_304000_NS8EqualityEEEPlJS6_EEE10hipError_tPvRmT3_T4_T5_T6_T7_T9_mT8_P12ihipStream_tbDpT10_ENKUlT_T0_E_clISt17integral_constantIbLb0EES16_IbLb1EEEEDaS12_S13_EUlS12_E_NS1_11comp_targetILNS1_3genE9ELNS1_11target_archE1100ELNS1_3gpuE3ELNS1_3repE0EEENS1_30default_config_static_selectorELNS0_4arch9wavefront6targetE1EEEvT1_
	.p2align	8
	.type	_ZN7rocprim17ROCPRIM_400000_NS6detail17trampoline_kernelINS0_14default_configENS1_25partition_config_selectorILNS1_17partition_subalgoE8EfNS0_10empty_typeEbEEZZNS1_14partition_implILS5_8ELb0ES3_jPKfPS6_PKS6_NS0_5tupleIJPfS6_EEENSE_IJSB_SB_EEENS0_18inequality_wrapperIN6hipcub16HIPCUB_304000_NS8EqualityEEEPlJS6_EEE10hipError_tPvRmT3_T4_T5_T6_T7_T9_mT8_P12ihipStream_tbDpT10_ENKUlT_T0_E_clISt17integral_constantIbLb0EES16_IbLb1EEEEDaS12_S13_EUlS12_E_NS1_11comp_targetILNS1_3genE9ELNS1_11target_archE1100ELNS1_3gpuE3ELNS1_3repE0EEENS1_30default_config_static_selectorELNS0_4arch9wavefront6targetE1EEEvT1_,@function
_ZN7rocprim17ROCPRIM_400000_NS6detail17trampoline_kernelINS0_14default_configENS1_25partition_config_selectorILNS1_17partition_subalgoE8EfNS0_10empty_typeEbEEZZNS1_14partition_implILS5_8ELb0ES3_jPKfPS6_PKS6_NS0_5tupleIJPfS6_EEENSE_IJSB_SB_EEENS0_18inequality_wrapperIN6hipcub16HIPCUB_304000_NS8EqualityEEEPlJS6_EEE10hipError_tPvRmT3_T4_T5_T6_T7_T9_mT8_P12ihipStream_tbDpT10_ENKUlT_T0_E_clISt17integral_constantIbLb0EES16_IbLb1EEEEDaS12_S13_EUlS12_E_NS1_11comp_targetILNS1_3genE9ELNS1_11target_archE1100ELNS1_3gpuE3ELNS1_3repE0EEENS1_30default_config_static_selectorELNS0_4arch9wavefront6targetE1EEEvT1_: ; @_ZN7rocprim17ROCPRIM_400000_NS6detail17trampoline_kernelINS0_14default_configENS1_25partition_config_selectorILNS1_17partition_subalgoE8EfNS0_10empty_typeEbEEZZNS1_14partition_implILS5_8ELb0ES3_jPKfPS6_PKS6_NS0_5tupleIJPfS6_EEENSE_IJSB_SB_EEENS0_18inequality_wrapperIN6hipcub16HIPCUB_304000_NS8EqualityEEEPlJS6_EEE10hipError_tPvRmT3_T4_T5_T6_T7_T9_mT8_P12ihipStream_tbDpT10_ENKUlT_T0_E_clISt17integral_constantIbLb0EES16_IbLb1EEEEDaS12_S13_EUlS12_E_NS1_11comp_targetILNS1_3genE9ELNS1_11target_archE1100ELNS1_3gpuE3ELNS1_3repE0EEENS1_30default_config_static_selectorELNS0_4arch9wavefront6targetE1EEEvT1_
; %bb.0:
	.section	.rodata,"a",@progbits
	.p2align	6, 0x0
	.amdhsa_kernel _ZN7rocprim17ROCPRIM_400000_NS6detail17trampoline_kernelINS0_14default_configENS1_25partition_config_selectorILNS1_17partition_subalgoE8EfNS0_10empty_typeEbEEZZNS1_14partition_implILS5_8ELb0ES3_jPKfPS6_PKS6_NS0_5tupleIJPfS6_EEENSE_IJSB_SB_EEENS0_18inequality_wrapperIN6hipcub16HIPCUB_304000_NS8EqualityEEEPlJS6_EEE10hipError_tPvRmT3_T4_T5_T6_T7_T9_mT8_P12ihipStream_tbDpT10_ENKUlT_T0_E_clISt17integral_constantIbLb0EES16_IbLb1EEEEDaS12_S13_EUlS12_E_NS1_11comp_targetILNS1_3genE9ELNS1_11target_archE1100ELNS1_3gpuE3ELNS1_3repE0EEENS1_30default_config_static_selectorELNS0_4arch9wavefront6targetE1EEEvT1_
		.amdhsa_group_segment_fixed_size 0
		.amdhsa_private_segment_fixed_size 0
		.amdhsa_kernarg_size 128
		.amdhsa_user_sgpr_count 6
		.amdhsa_user_sgpr_private_segment_buffer 1
		.amdhsa_user_sgpr_dispatch_ptr 0
		.amdhsa_user_sgpr_queue_ptr 0
		.amdhsa_user_sgpr_kernarg_segment_ptr 1
		.amdhsa_user_sgpr_dispatch_id 0
		.amdhsa_user_sgpr_flat_scratch_init 0
		.amdhsa_user_sgpr_kernarg_preload_length 0
		.amdhsa_user_sgpr_kernarg_preload_offset 0
		.amdhsa_user_sgpr_private_segment_size 0
		.amdhsa_uses_dynamic_stack 0
		.amdhsa_system_sgpr_private_segment_wavefront_offset 0
		.amdhsa_system_sgpr_workgroup_id_x 1
		.amdhsa_system_sgpr_workgroup_id_y 0
		.amdhsa_system_sgpr_workgroup_id_z 0
		.amdhsa_system_sgpr_workgroup_info 0
		.amdhsa_system_vgpr_workitem_id 0
		.amdhsa_next_free_vgpr 1
		.amdhsa_next_free_sgpr 0
		.amdhsa_accum_offset 4
		.amdhsa_reserve_vcc 0
		.amdhsa_reserve_flat_scratch 0
		.amdhsa_float_round_mode_32 0
		.amdhsa_float_round_mode_16_64 0
		.amdhsa_float_denorm_mode_32 3
		.amdhsa_float_denorm_mode_16_64 3
		.amdhsa_dx10_clamp 1
		.amdhsa_ieee_mode 1
		.amdhsa_fp16_overflow 0
		.amdhsa_tg_split 0
		.amdhsa_exception_fp_ieee_invalid_op 0
		.amdhsa_exception_fp_denorm_src 0
		.amdhsa_exception_fp_ieee_div_zero 0
		.amdhsa_exception_fp_ieee_overflow 0
		.amdhsa_exception_fp_ieee_underflow 0
		.amdhsa_exception_fp_ieee_inexact 0
		.amdhsa_exception_int_div_zero 0
	.end_amdhsa_kernel
	.section	.text._ZN7rocprim17ROCPRIM_400000_NS6detail17trampoline_kernelINS0_14default_configENS1_25partition_config_selectorILNS1_17partition_subalgoE8EfNS0_10empty_typeEbEEZZNS1_14partition_implILS5_8ELb0ES3_jPKfPS6_PKS6_NS0_5tupleIJPfS6_EEENSE_IJSB_SB_EEENS0_18inequality_wrapperIN6hipcub16HIPCUB_304000_NS8EqualityEEEPlJS6_EEE10hipError_tPvRmT3_T4_T5_T6_T7_T9_mT8_P12ihipStream_tbDpT10_ENKUlT_T0_E_clISt17integral_constantIbLb0EES16_IbLb1EEEEDaS12_S13_EUlS12_E_NS1_11comp_targetILNS1_3genE9ELNS1_11target_archE1100ELNS1_3gpuE3ELNS1_3repE0EEENS1_30default_config_static_selectorELNS0_4arch9wavefront6targetE1EEEvT1_,"axG",@progbits,_ZN7rocprim17ROCPRIM_400000_NS6detail17trampoline_kernelINS0_14default_configENS1_25partition_config_selectorILNS1_17partition_subalgoE8EfNS0_10empty_typeEbEEZZNS1_14partition_implILS5_8ELb0ES3_jPKfPS6_PKS6_NS0_5tupleIJPfS6_EEENSE_IJSB_SB_EEENS0_18inequality_wrapperIN6hipcub16HIPCUB_304000_NS8EqualityEEEPlJS6_EEE10hipError_tPvRmT3_T4_T5_T6_T7_T9_mT8_P12ihipStream_tbDpT10_ENKUlT_T0_E_clISt17integral_constantIbLb0EES16_IbLb1EEEEDaS12_S13_EUlS12_E_NS1_11comp_targetILNS1_3genE9ELNS1_11target_archE1100ELNS1_3gpuE3ELNS1_3repE0EEENS1_30default_config_static_selectorELNS0_4arch9wavefront6targetE1EEEvT1_,comdat
.Lfunc_end371:
	.size	_ZN7rocprim17ROCPRIM_400000_NS6detail17trampoline_kernelINS0_14default_configENS1_25partition_config_selectorILNS1_17partition_subalgoE8EfNS0_10empty_typeEbEEZZNS1_14partition_implILS5_8ELb0ES3_jPKfPS6_PKS6_NS0_5tupleIJPfS6_EEENSE_IJSB_SB_EEENS0_18inequality_wrapperIN6hipcub16HIPCUB_304000_NS8EqualityEEEPlJS6_EEE10hipError_tPvRmT3_T4_T5_T6_T7_T9_mT8_P12ihipStream_tbDpT10_ENKUlT_T0_E_clISt17integral_constantIbLb0EES16_IbLb1EEEEDaS12_S13_EUlS12_E_NS1_11comp_targetILNS1_3genE9ELNS1_11target_archE1100ELNS1_3gpuE3ELNS1_3repE0EEENS1_30default_config_static_selectorELNS0_4arch9wavefront6targetE1EEEvT1_, .Lfunc_end371-_ZN7rocprim17ROCPRIM_400000_NS6detail17trampoline_kernelINS0_14default_configENS1_25partition_config_selectorILNS1_17partition_subalgoE8EfNS0_10empty_typeEbEEZZNS1_14partition_implILS5_8ELb0ES3_jPKfPS6_PKS6_NS0_5tupleIJPfS6_EEENSE_IJSB_SB_EEENS0_18inequality_wrapperIN6hipcub16HIPCUB_304000_NS8EqualityEEEPlJS6_EEE10hipError_tPvRmT3_T4_T5_T6_T7_T9_mT8_P12ihipStream_tbDpT10_ENKUlT_T0_E_clISt17integral_constantIbLb0EES16_IbLb1EEEEDaS12_S13_EUlS12_E_NS1_11comp_targetILNS1_3genE9ELNS1_11target_archE1100ELNS1_3gpuE3ELNS1_3repE0EEENS1_30default_config_static_selectorELNS0_4arch9wavefront6targetE1EEEvT1_
                                        ; -- End function
	.section	.AMDGPU.csdata,"",@progbits
; Kernel info:
; codeLenInByte = 0
; NumSgprs: 4
; NumVgprs: 0
; NumAgprs: 0
; TotalNumVgprs: 0
; ScratchSize: 0
; MemoryBound: 0
; FloatMode: 240
; IeeeMode: 1
; LDSByteSize: 0 bytes/workgroup (compile time only)
; SGPRBlocks: 0
; VGPRBlocks: 0
; NumSGPRsForWavesPerEU: 4
; NumVGPRsForWavesPerEU: 1
; AccumOffset: 4
; Occupancy: 8
; WaveLimiterHint : 0
; COMPUTE_PGM_RSRC2:SCRATCH_EN: 0
; COMPUTE_PGM_RSRC2:USER_SGPR: 6
; COMPUTE_PGM_RSRC2:TRAP_HANDLER: 0
; COMPUTE_PGM_RSRC2:TGID_X_EN: 1
; COMPUTE_PGM_RSRC2:TGID_Y_EN: 0
; COMPUTE_PGM_RSRC2:TGID_Z_EN: 0
; COMPUTE_PGM_RSRC2:TIDIG_COMP_CNT: 0
; COMPUTE_PGM_RSRC3_GFX90A:ACCUM_OFFSET: 0
; COMPUTE_PGM_RSRC3_GFX90A:TG_SPLIT: 0
	.section	.text._ZN7rocprim17ROCPRIM_400000_NS6detail17trampoline_kernelINS0_14default_configENS1_25partition_config_selectorILNS1_17partition_subalgoE8EfNS0_10empty_typeEbEEZZNS1_14partition_implILS5_8ELb0ES3_jPKfPS6_PKS6_NS0_5tupleIJPfS6_EEENSE_IJSB_SB_EEENS0_18inequality_wrapperIN6hipcub16HIPCUB_304000_NS8EqualityEEEPlJS6_EEE10hipError_tPvRmT3_T4_T5_T6_T7_T9_mT8_P12ihipStream_tbDpT10_ENKUlT_T0_E_clISt17integral_constantIbLb0EES16_IbLb1EEEEDaS12_S13_EUlS12_E_NS1_11comp_targetILNS1_3genE8ELNS1_11target_archE1030ELNS1_3gpuE2ELNS1_3repE0EEENS1_30default_config_static_selectorELNS0_4arch9wavefront6targetE1EEEvT1_,"axG",@progbits,_ZN7rocprim17ROCPRIM_400000_NS6detail17trampoline_kernelINS0_14default_configENS1_25partition_config_selectorILNS1_17partition_subalgoE8EfNS0_10empty_typeEbEEZZNS1_14partition_implILS5_8ELb0ES3_jPKfPS6_PKS6_NS0_5tupleIJPfS6_EEENSE_IJSB_SB_EEENS0_18inequality_wrapperIN6hipcub16HIPCUB_304000_NS8EqualityEEEPlJS6_EEE10hipError_tPvRmT3_T4_T5_T6_T7_T9_mT8_P12ihipStream_tbDpT10_ENKUlT_T0_E_clISt17integral_constantIbLb0EES16_IbLb1EEEEDaS12_S13_EUlS12_E_NS1_11comp_targetILNS1_3genE8ELNS1_11target_archE1030ELNS1_3gpuE2ELNS1_3repE0EEENS1_30default_config_static_selectorELNS0_4arch9wavefront6targetE1EEEvT1_,comdat
	.protected	_ZN7rocprim17ROCPRIM_400000_NS6detail17trampoline_kernelINS0_14default_configENS1_25partition_config_selectorILNS1_17partition_subalgoE8EfNS0_10empty_typeEbEEZZNS1_14partition_implILS5_8ELb0ES3_jPKfPS6_PKS6_NS0_5tupleIJPfS6_EEENSE_IJSB_SB_EEENS0_18inequality_wrapperIN6hipcub16HIPCUB_304000_NS8EqualityEEEPlJS6_EEE10hipError_tPvRmT3_T4_T5_T6_T7_T9_mT8_P12ihipStream_tbDpT10_ENKUlT_T0_E_clISt17integral_constantIbLb0EES16_IbLb1EEEEDaS12_S13_EUlS12_E_NS1_11comp_targetILNS1_3genE8ELNS1_11target_archE1030ELNS1_3gpuE2ELNS1_3repE0EEENS1_30default_config_static_selectorELNS0_4arch9wavefront6targetE1EEEvT1_ ; -- Begin function _ZN7rocprim17ROCPRIM_400000_NS6detail17trampoline_kernelINS0_14default_configENS1_25partition_config_selectorILNS1_17partition_subalgoE8EfNS0_10empty_typeEbEEZZNS1_14partition_implILS5_8ELb0ES3_jPKfPS6_PKS6_NS0_5tupleIJPfS6_EEENSE_IJSB_SB_EEENS0_18inequality_wrapperIN6hipcub16HIPCUB_304000_NS8EqualityEEEPlJS6_EEE10hipError_tPvRmT3_T4_T5_T6_T7_T9_mT8_P12ihipStream_tbDpT10_ENKUlT_T0_E_clISt17integral_constantIbLb0EES16_IbLb1EEEEDaS12_S13_EUlS12_E_NS1_11comp_targetILNS1_3genE8ELNS1_11target_archE1030ELNS1_3gpuE2ELNS1_3repE0EEENS1_30default_config_static_selectorELNS0_4arch9wavefront6targetE1EEEvT1_
	.globl	_ZN7rocprim17ROCPRIM_400000_NS6detail17trampoline_kernelINS0_14default_configENS1_25partition_config_selectorILNS1_17partition_subalgoE8EfNS0_10empty_typeEbEEZZNS1_14partition_implILS5_8ELb0ES3_jPKfPS6_PKS6_NS0_5tupleIJPfS6_EEENSE_IJSB_SB_EEENS0_18inequality_wrapperIN6hipcub16HIPCUB_304000_NS8EqualityEEEPlJS6_EEE10hipError_tPvRmT3_T4_T5_T6_T7_T9_mT8_P12ihipStream_tbDpT10_ENKUlT_T0_E_clISt17integral_constantIbLb0EES16_IbLb1EEEEDaS12_S13_EUlS12_E_NS1_11comp_targetILNS1_3genE8ELNS1_11target_archE1030ELNS1_3gpuE2ELNS1_3repE0EEENS1_30default_config_static_selectorELNS0_4arch9wavefront6targetE1EEEvT1_
	.p2align	8
	.type	_ZN7rocprim17ROCPRIM_400000_NS6detail17trampoline_kernelINS0_14default_configENS1_25partition_config_selectorILNS1_17partition_subalgoE8EfNS0_10empty_typeEbEEZZNS1_14partition_implILS5_8ELb0ES3_jPKfPS6_PKS6_NS0_5tupleIJPfS6_EEENSE_IJSB_SB_EEENS0_18inequality_wrapperIN6hipcub16HIPCUB_304000_NS8EqualityEEEPlJS6_EEE10hipError_tPvRmT3_T4_T5_T6_T7_T9_mT8_P12ihipStream_tbDpT10_ENKUlT_T0_E_clISt17integral_constantIbLb0EES16_IbLb1EEEEDaS12_S13_EUlS12_E_NS1_11comp_targetILNS1_3genE8ELNS1_11target_archE1030ELNS1_3gpuE2ELNS1_3repE0EEENS1_30default_config_static_selectorELNS0_4arch9wavefront6targetE1EEEvT1_,@function
_ZN7rocprim17ROCPRIM_400000_NS6detail17trampoline_kernelINS0_14default_configENS1_25partition_config_selectorILNS1_17partition_subalgoE8EfNS0_10empty_typeEbEEZZNS1_14partition_implILS5_8ELb0ES3_jPKfPS6_PKS6_NS0_5tupleIJPfS6_EEENSE_IJSB_SB_EEENS0_18inequality_wrapperIN6hipcub16HIPCUB_304000_NS8EqualityEEEPlJS6_EEE10hipError_tPvRmT3_T4_T5_T6_T7_T9_mT8_P12ihipStream_tbDpT10_ENKUlT_T0_E_clISt17integral_constantIbLb0EES16_IbLb1EEEEDaS12_S13_EUlS12_E_NS1_11comp_targetILNS1_3genE8ELNS1_11target_archE1030ELNS1_3gpuE2ELNS1_3repE0EEENS1_30default_config_static_selectorELNS0_4arch9wavefront6targetE1EEEvT1_: ; @_ZN7rocprim17ROCPRIM_400000_NS6detail17trampoline_kernelINS0_14default_configENS1_25partition_config_selectorILNS1_17partition_subalgoE8EfNS0_10empty_typeEbEEZZNS1_14partition_implILS5_8ELb0ES3_jPKfPS6_PKS6_NS0_5tupleIJPfS6_EEENSE_IJSB_SB_EEENS0_18inequality_wrapperIN6hipcub16HIPCUB_304000_NS8EqualityEEEPlJS6_EEE10hipError_tPvRmT3_T4_T5_T6_T7_T9_mT8_P12ihipStream_tbDpT10_ENKUlT_T0_E_clISt17integral_constantIbLb0EES16_IbLb1EEEEDaS12_S13_EUlS12_E_NS1_11comp_targetILNS1_3genE8ELNS1_11target_archE1030ELNS1_3gpuE2ELNS1_3repE0EEENS1_30default_config_static_selectorELNS0_4arch9wavefront6targetE1EEEvT1_
; %bb.0:
	.section	.rodata,"a",@progbits
	.p2align	6, 0x0
	.amdhsa_kernel _ZN7rocprim17ROCPRIM_400000_NS6detail17trampoline_kernelINS0_14default_configENS1_25partition_config_selectorILNS1_17partition_subalgoE8EfNS0_10empty_typeEbEEZZNS1_14partition_implILS5_8ELb0ES3_jPKfPS6_PKS6_NS0_5tupleIJPfS6_EEENSE_IJSB_SB_EEENS0_18inequality_wrapperIN6hipcub16HIPCUB_304000_NS8EqualityEEEPlJS6_EEE10hipError_tPvRmT3_T4_T5_T6_T7_T9_mT8_P12ihipStream_tbDpT10_ENKUlT_T0_E_clISt17integral_constantIbLb0EES16_IbLb1EEEEDaS12_S13_EUlS12_E_NS1_11comp_targetILNS1_3genE8ELNS1_11target_archE1030ELNS1_3gpuE2ELNS1_3repE0EEENS1_30default_config_static_selectorELNS0_4arch9wavefront6targetE1EEEvT1_
		.amdhsa_group_segment_fixed_size 0
		.amdhsa_private_segment_fixed_size 0
		.amdhsa_kernarg_size 128
		.amdhsa_user_sgpr_count 6
		.amdhsa_user_sgpr_private_segment_buffer 1
		.amdhsa_user_sgpr_dispatch_ptr 0
		.amdhsa_user_sgpr_queue_ptr 0
		.amdhsa_user_sgpr_kernarg_segment_ptr 1
		.amdhsa_user_sgpr_dispatch_id 0
		.amdhsa_user_sgpr_flat_scratch_init 0
		.amdhsa_user_sgpr_kernarg_preload_length 0
		.amdhsa_user_sgpr_kernarg_preload_offset 0
		.amdhsa_user_sgpr_private_segment_size 0
		.amdhsa_uses_dynamic_stack 0
		.amdhsa_system_sgpr_private_segment_wavefront_offset 0
		.amdhsa_system_sgpr_workgroup_id_x 1
		.amdhsa_system_sgpr_workgroup_id_y 0
		.amdhsa_system_sgpr_workgroup_id_z 0
		.amdhsa_system_sgpr_workgroup_info 0
		.amdhsa_system_vgpr_workitem_id 0
		.amdhsa_next_free_vgpr 1
		.amdhsa_next_free_sgpr 0
		.amdhsa_accum_offset 4
		.amdhsa_reserve_vcc 0
		.amdhsa_reserve_flat_scratch 0
		.amdhsa_float_round_mode_32 0
		.amdhsa_float_round_mode_16_64 0
		.amdhsa_float_denorm_mode_32 3
		.amdhsa_float_denorm_mode_16_64 3
		.amdhsa_dx10_clamp 1
		.amdhsa_ieee_mode 1
		.amdhsa_fp16_overflow 0
		.amdhsa_tg_split 0
		.amdhsa_exception_fp_ieee_invalid_op 0
		.amdhsa_exception_fp_denorm_src 0
		.amdhsa_exception_fp_ieee_div_zero 0
		.amdhsa_exception_fp_ieee_overflow 0
		.amdhsa_exception_fp_ieee_underflow 0
		.amdhsa_exception_fp_ieee_inexact 0
		.amdhsa_exception_int_div_zero 0
	.end_amdhsa_kernel
	.section	.text._ZN7rocprim17ROCPRIM_400000_NS6detail17trampoline_kernelINS0_14default_configENS1_25partition_config_selectorILNS1_17partition_subalgoE8EfNS0_10empty_typeEbEEZZNS1_14partition_implILS5_8ELb0ES3_jPKfPS6_PKS6_NS0_5tupleIJPfS6_EEENSE_IJSB_SB_EEENS0_18inequality_wrapperIN6hipcub16HIPCUB_304000_NS8EqualityEEEPlJS6_EEE10hipError_tPvRmT3_T4_T5_T6_T7_T9_mT8_P12ihipStream_tbDpT10_ENKUlT_T0_E_clISt17integral_constantIbLb0EES16_IbLb1EEEEDaS12_S13_EUlS12_E_NS1_11comp_targetILNS1_3genE8ELNS1_11target_archE1030ELNS1_3gpuE2ELNS1_3repE0EEENS1_30default_config_static_selectorELNS0_4arch9wavefront6targetE1EEEvT1_,"axG",@progbits,_ZN7rocprim17ROCPRIM_400000_NS6detail17trampoline_kernelINS0_14default_configENS1_25partition_config_selectorILNS1_17partition_subalgoE8EfNS0_10empty_typeEbEEZZNS1_14partition_implILS5_8ELb0ES3_jPKfPS6_PKS6_NS0_5tupleIJPfS6_EEENSE_IJSB_SB_EEENS0_18inequality_wrapperIN6hipcub16HIPCUB_304000_NS8EqualityEEEPlJS6_EEE10hipError_tPvRmT3_T4_T5_T6_T7_T9_mT8_P12ihipStream_tbDpT10_ENKUlT_T0_E_clISt17integral_constantIbLb0EES16_IbLb1EEEEDaS12_S13_EUlS12_E_NS1_11comp_targetILNS1_3genE8ELNS1_11target_archE1030ELNS1_3gpuE2ELNS1_3repE0EEENS1_30default_config_static_selectorELNS0_4arch9wavefront6targetE1EEEvT1_,comdat
.Lfunc_end372:
	.size	_ZN7rocprim17ROCPRIM_400000_NS6detail17trampoline_kernelINS0_14default_configENS1_25partition_config_selectorILNS1_17partition_subalgoE8EfNS0_10empty_typeEbEEZZNS1_14partition_implILS5_8ELb0ES3_jPKfPS6_PKS6_NS0_5tupleIJPfS6_EEENSE_IJSB_SB_EEENS0_18inequality_wrapperIN6hipcub16HIPCUB_304000_NS8EqualityEEEPlJS6_EEE10hipError_tPvRmT3_T4_T5_T6_T7_T9_mT8_P12ihipStream_tbDpT10_ENKUlT_T0_E_clISt17integral_constantIbLb0EES16_IbLb1EEEEDaS12_S13_EUlS12_E_NS1_11comp_targetILNS1_3genE8ELNS1_11target_archE1030ELNS1_3gpuE2ELNS1_3repE0EEENS1_30default_config_static_selectorELNS0_4arch9wavefront6targetE1EEEvT1_, .Lfunc_end372-_ZN7rocprim17ROCPRIM_400000_NS6detail17trampoline_kernelINS0_14default_configENS1_25partition_config_selectorILNS1_17partition_subalgoE8EfNS0_10empty_typeEbEEZZNS1_14partition_implILS5_8ELb0ES3_jPKfPS6_PKS6_NS0_5tupleIJPfS6_EEENSE_IJSB_SB_EEENS0_18inequality_wrapperIN6hipcub16HIPCUB_304000_NS8EqualityEEEPlJS6_EEE10hipError_tPvRmT3_T4_T5_T6_T7_T9_mT8_P12ihipStream_tbDpT10_ENKUlT_T0_E_clISt17integral_constantIbLb0EES16_IbLb1EEEEDaS12_S13_EUlS12_E_NS1_11comp_targetILNS1_3genE8ELNS1_11target_archE1030ELNS1_3gpuE2ELNS1_3repE0EEENS1_30default_config_static_selectorELNS0_4arch9wavefront6targetE1EEEvT1_
                                        ; -- End function
	.section	.AMDGPU.csdata,"",@progbits
; Kernel info:
; codeLenInByte = 0
; NumSgprs: 4
; NumVgprs: 0
; NumAgprs: 0
; TotalNumVgprs: 0
; ScratchSize: 0
; MemoryBound: 0
; FloatMode: 240
; IeeeMode: 1
; LDSByteSize: 0 bytes/workgroup (compile time only)
; SGPRBlocks: 0
; VGPRBlocks: 0
; NumSGPRsForWavesPerEU: 4
; NumVGPRsForWavesPerEU: 1
; AccumOffset: 4
; Occupancy: 8
; WaveLimiterHint : 0
; COMPUTE_PGM_RSRC2:SCRATCH_EN: 0
; COMPUTE_PGM_RSRC2:USER_SGPR: 6
; COMPUTE_PGM_RSRC2:TRAP_HANDLER: 0
; COMPUTE_PGM_RSRC2:TGID_X_EN: 1
; COMPUTE_PGM_RSRC2:TGID_Y_EN: 0
; COMPUTE_PGM_RSRC2:TGID_Z_EN: 0
; COMPUTE_PGM_RSRC2:TIDIG_COMP_CNT: 0
; COMPUTE_PGM_RSRC3_GFX90A:ACCUM_OFFSET: 0
; COMPUTE_PGM_RSRC3_GFX90A:TG_SPLIT: 0
	.section	.text._ZN7rocprim17ROCPRIM_400000_NS6detail17trampoline_kernelINS0_14default_configENS1_33run_length_encode_config_selectorIfjNS0_4plusIjEEEEZZNS1_33reduce_by_key_impl_wrapped_configILNS1_25lookback_scan_determinismE0ES3_S7_PKfNS0_17constant_iteratorIjlEEPfPlSF_S6_NS0_8equal_toIfEEEE10hipError_tPvRmT2_T3_mT4_T5_T6_T7_T8_P12ihipStream_tbENKUlT_T0_E_clISt17integral_constantIbLb0EESZ_EEDaSU_SV_EUlSU_E_NS1_11comp_targetILNS1_3genE0ELNS1_11target_archE4294967295ELNS1_3gpuE0ELNS1_3repE0EEENS1_30default_config_static_selectorELNS0_4arch9wavefront6targetE1EEEvT1_,"axG",@progbits,_ZN7rocprim17ROCPRIM_400000_NS6detail17trampoline_kernelINS0_14default_configENS1_33run_length_encode_config_selectorIfjNS0_4plusIjEEEEZZNS1_33reduce_by_key_impl_wrapped_configILNS1_25lookback_scan_determinismE0ES3_S7_PKfNS0_17constant_iteratorIjlEEPfPlSF_S6_NS0_8equal_toIfEEEE10hipError_tPvRmT2_T3_mT4_T5_T6_T7_T8_P12ihipStream_tbENKUlT_T0_E_clISt17integral_constantIbLb0EESZ_EEDaSU_SV_EUlSU_E_NS1_11comp_targetILNS1_3genE0ELNS1_11target_archE4294967295ELNS1_3gpuE0ELNS1_3repE0EEENS1_30default_config_static_selectorELNS0_4arch9wavefront6targetE1EEEvT1_,comdat
	.protected	_ZN7rocprim17ROCPRIM_400000_NS6detail17trampoline_kernelINS0_14default_configENS1_33run_length_encode_config_selectorIfjNS0_4plusIjEEEEZZNS1_33reduce_by_key_impl_wrapped_configILNS1_25lookback_scan_determinismE0ES3_S7_PKfNS0_17constant_iteratorIjlEEPfPlSF_S6_NS0_8equal_toIfEEEE10hipError_tPvRmT2_T3_mT4_T5_T6_T7_T8_P12ihipStream_tbENKUlT_T0_E_clISt17integral_constantIbLb0EESZ_EEDaSU_SV_EUlSU_E_NS1_11comp_targetILNS1_3genE0ELNS1_11target_archE4294967295ELNS1_3gpuE0ELNS1_3repE0EEENS1_30default_config_static_selectorELNS0_4arch9wavefront6targetE1EEEvT1_ ; -- Begin function _ZN7rocprim17ROCPRIM_400000_NS6detail17trampoline_kernelINS0_14default_configENS1_33run_length_encode_config_selectorIfjNS0_4plusIjEEEEZZNS1_33reduce_by_key_impl_wrapped_configILNS1_25lookback_scan_determinismE0ES3_S7_PKfNS0_17constant_iteratorIjlEEPfPlSF_S6_NS0_8equal_toIfEEEE10hipError_tPvRmT2_T3_mT4_T5_T6_T7_T8_P12ihipStream_tbENKUlT_T0_E_clISt17integral_constantIbLb0EESZ_EEDaSU_SV_EUlSU_E_NS1_11comp_targetILNS1_3genE0ELNS1_11target_archE4294967295ELNS1_3gpuE0ELNS1_3repE0EEENS1_30default_config_static_selectorELNS0_4arch9wavefront6targetE1EEEvT1_
	.globl	_ZN7rocprim17ROCPRIM_400000_NS6detail17trampoline_kernelINS0_14default_configENS1_33run_length_encode_config_selectorIfjNS0_4plusIjEEEEZZNS1_33reduce_by_key_impl_wrapped_configILNS1_25lookback_scan_determinismE0ES3_S7_PKfNS0_17constant_iteratorIjlEEPfPlSF_S6_NS0_8equal_toIfEEEE10hipError_tPvRmT2_T3_mT4_T5_T6_T7_T8_P12ihipStream_tbENKUlT_T0_E_clISt17integral_constantIbLb0EESZ_EEDaSU_SV_EUlSU_E_NS1_11comp_targetILNS1_3genE0ELNS1_11target_archE4294967295ELNS1_3gpuE0ELNS1_3repE0EEENS1_30default_config_static_selectorELNS0_4arch9wavefront6targetE1EEEvT1_
	.p2align	8
	.type	_ZN7rocprim17ROCPRIM_400000_NS6detail17trampoline_kernelINS0_14default_configENS1_33run_length_encode_config_selectorIfjNS0_4plusIjEEEEZZNS1_33reduce_by_key_impl_wrapped_configILNS1_25lookback_scan_determinismE0ES3_S7_PKfNS0_17constant_iteratorIjlEEPfPlSF_S6_NS0_8equal_toIfEEEE10hipError_tPvRmT2_T3_mT4_T5_T6_T7_T8_P12ihipStream_tbENKUlT_T0_E_clISt17integral_constantIbLb0EESZ_EEDaSU_SV_EUlSU_E_NS1_11comp_targetILNS1_3genE0ELNS1_11target_archE4294967295ELNS1_3gpuE0ELNS1_3repE0EEENS1_30default_config_static_selectorELNS0_4arch9wavefront6targetE1EEEvT1_,@function
_ZN7rocprim17ROCPRIM_400000_NS6detail17trampoline_kernelINS0_14default_configENS1_33run_length_encode_config_selectorIfjNS0_4plusIjEEEEZZNS1_33reduce_by_key_impl_wrapped_configILNS1_25lookback_scan_determinismE0ES3_S7_PKfNS0_17constant_iteratorIjlEEPfPlSF_S6_NS0_8equal_toIfEEEE10hipError_tPvRmT2_T3_mT4_T5_T6_T7_T8_P12ihipStream_tbENKUlT_T0_E_clISt17integral_constantIbLb0EESZ_EEDaSU_SV_EUlSU_E_NS1_11comp_targetILNS1_3genE0ELNS1_11target_archE4294967295ELNS1_3gpuE0ELNS1_3repE0EEENS1_30default_config_static_selectorELNS0_4arch9wavefront6targetE1EEEvT1_: ; @_ZN7rocprim17ROCPRIM_400000_NS6detail17trampoline_kernelINS0_14default_configENS1_33run_length_encode_config_selectorIfjNS0_4plusIjEEEEZZNS1_33reduce_by_key_impl_wrapped_configILNS1_25lookback_scan_determinismE0ES3_S7_PKfNS0_17constant_iteratorIjlEEPfPlSF_S6_NS0_8equal_toIfEEEE10hipError_tPvRmT2_T3_mT4_T5_T6_T7_T8_P12ihipStream_tbENKUlT_T0_E_clISt17integral_constantIbLb0EESZ_EEDaSU_SV_EUlSU_E_NS1_11comp_targetILNS1_3genE0ELNS1_11target_archE4294967295ELNS1_3gpuE0ELNS1_3repE0EEENS1_30default_config_static_selectorELNS0_4arch9wavefront6targetE1EEEvT1_
; %bb.0:
	.section	.rodata,"a",@progbits
	.p2align	6, 0x0
	.amdhsa_kernel _ZN7rocprim17ROCPRIM_400000_NS6detail17trampoline_kernelINS0_14default_configENS1_33run_length_encode_config_selectorIfjNS0_4plusIjEEEEZZNS1_33reduce_by_key_impl_wrapped_configILNS1_25lookback_scan_determinismE0ES3_S7_PKfNS0_17constant_iteratorIjlEEPfPlSF_S6_NS0_8equal_toIfEEEE10hipError_tPvRmT2_T3_mT4_T5_T6_T7_T8_P12ihipStream_tbENKUlT_T0_E_clISt17integral_constantIbLb0EESZ_EEDaSU_SV_EUlSU_E_NS1_11comp_targetILNS1_3genE0ELNS1_11target_archE4294967295ELNS1_3gpuE0ELNS1_3repE0EEENS1_30default_config_static_selectorELNS0_4arch9wavefront6targetE1EEEvT1_
		.amdhsa_group_segment_fixed_size 0
		.amdhsa_private_segment_fixed_size 0
		.amdhsa_kernarg_size 128
		.amdhsa_user_sgpr_count 6
		.amdhsa_user_sgpr_private_segment_buffer 1
		.amdhsa_user_sgpr_dispatch_ptr 0
		.amdhsa_user_sgpr_queue_ptr 0
		.amdhsa_user_sgpr_kernarg_segment_ptr 1
		.amdhsa_user_sgpr_dispatch_id 0
		.amdhsa_user_sgpr_flat_scratch_init 0
		.amdhsa_user_sgpr_kernarg_preload_length 0
		.amdhsa_user_sgpr_kernarg_preload_offset 0
		.amdhsa_user_sgpr_private_segment_size 0
		.amdhsa_uses_dynamic_stack 0
		.amdhsa_system_sgpr_private_segment_wavefront_offset 0
		.amdhsa_system_sgpr_workgroup_id_x 1
		.amdhsa_system_sgpr_workgroup_id_y 0
		.amdhsa_system_sgpr_workgroup_id_z 0
		.amdhsa_system_sgpr_workgroup_info 0
		.amdhsa_system_vgpr_workitem_id 0
		.amdhsa_next_free_vgpr 1
		.amdhsa_next_free_sgpr 0
		.amdhsa_accum_offset 4
		.amdhsa_reserve_vcc 0
		.amdhsa_reserve_flat_scratch 0
		.amdhsa_float_round_mode_32 0
		.amdhsa_float_round_mode_16_64 0
		.amdhsa_float_denorm_mode_32 3
		.amdhsa_float_denorm_mode_16_64 3
		.amdhsa_dx10_clamp 1
		.amdhsa_ieee_mode 1
		.amdhsa_fp16_overflow 0
		.amdhsa_tg_split 0
		.amdhsa_exception_fp_ieee_invalid_op 0
		.amdhsa_exception_fp_denorm_src 0
		.amdhsa_exception_fp_ieee_div_zero 0
		.amdhsa_exception_fp_ieee_overflow 0
		.amdhsa_exception_fp_ieee_underflow 0
		.amdhsa_exception_fp_ieee_inexact 0
		.amdhsa_exception_int_div_zero 0
	.end_amdhsa_kernel
	.section	.text._ZN7rocprim17ROCPRIM_400000_NS6detail17trampoline_kernelINS0_14default_configENS1_33run_length_encode_config_selectorIfjNS0_4plusIjEEEEZZNS1_33reduce_by_key_impl_wrapped_configILNS1_25lookback_scan_determinismE0ES3_S7_PKfNS0_17constant_iteratorIjlEEPfPlSF_S6_NS0_8equal_toIfEEEE10hipError_tPvRmT2_T3_mT4_T5_T6_T7_T8_P12ihipStream_tbENKUlT_T0_E_clISt17integral_constantIbLb0EESZ_EEDaSU_SV_EUlSU_E_NS1_11comp_targetILNS1_3genE0ELNS1_11target_archE4294967295ELNS1_3gpuE0ELNS1_3repE0EEENS1_30default_config_static_selectorELNS0_4arch9wavefront6targetE1EEEvT1_,"axG",@progbits,_ZN7rocprim17ROCPRIM_400000_NS6detail17trampoline_kernelINS0_14default_configENS1_33run_length_encode_config_selectorIfjNS0_4plusIjEEEEZZNS1_33reduce_by_key_impl_wrapped_configILNS1_25lookback_scan_determinismE0ES3_S7_PKfNS0_17constant_iteratorIjlEEPfPlSF_S6_NS0_8equal_toIfEEEE10hipError_tPvRmT2_T3_mT4_T5_T6_T7_T8_P12ihipStream_tbENKUlT_T0_E_clISt17integral_constantIbLb0EESZ_EEDaSU_SV_EUlSU_E_NS1_11comp_targetILNS1_3genE0ELNS1_11target_archE4294967295ELNS1_3gpuE0ELNS1_3repE0EEENS1_30default_config_static_selectorELNS0_4arch9wavefront6targetE1EEEvT1_,comdat
.Lfunc_end373:
	.size	_ZN7rocprim17ROCPRIM_400000_NS6detail17trampoline_kernelINS0_14default_configENS1_33run_length_encode_config_selectorIfjNS0_4plusIjEEEEZZNS1_33reduce_by_key_impl_wrapped_configILNS1_25lookback_scan_determinismE0ES3_S7_PKfNS0_17constant_iteratorIjlEEPfPlSF_S6_NS0_8equal_toIfEEEE10hipError_tPvRmT2_T3_mT4_T5_T6_T7_T8_P12ihipStream_tbENKUlT_T0_E_clISt17integral_constantIbLb0EESZ_EEDaSU_SV_EUlSU_E_NS1_11comp_targetILNS1_3genE0ELNS1_11target_archE4294967295ELNS1_3gpuE0ELNS1_3repE0EEENS1_30default_config_static_selectorELNS0_4arch9wavefront6targetE1EEEvT1_, .Lfunc_end373-_ZN7rocprim17ROCPRIM_400000_NS6detail17trampoline_kernelINS0_14default_configENS1_33run_length_encode_config_selectorIfjNS0_4plusIjEEEEZZNS1_33reduce_by_key_impl_wrapped_configILNS1_25lookback_scan_determinismE0ES3_S7_PKfNS0_17constant_iteratorIjlEEPfPlSF_S6_NS0_8equal_toIfEEEE10hipError_tPvRmT2_T3_mT4_T5_T6_T7_T8_P12ihipStream_tbENKUlT_T0_E_clISt17integral_constantIbLb0EESZ_EEDaSU_SV_EUlSU_E_NS1_11comp_targetILNS1_3genE0ELNS1_11target_archE4294967295ELNS1_3gpuE0ELNS1_3repE0EEENS1_30default_config_static_selectorELNS0_4arch9wavefront6targetE1EEEvT1_
                                        ; -- End function
	.section	.AMDGPU.csdata,"",@progbits
; Kernel info:
; codeLenInByte = 0
; NumSgprs: 4
; NumVgprs: 0
; NumAgprs: 0
; TotalNumVgprs: 0
; ScratchSize: 0
; MemoryBound: 0
; FloatMode: 240
; IeeeMode: 1
; LDSByteSize: 0 bytes/workgroup (compile time only)
; SGPRBlocks: 0
; VGPRBlocks: 0
; NumSGPRsForWavesPerEU: 4
; NumVGPRsForWavesPerEU: 1
; AccumOffset: 4
; Occupancy: 8
; WaveLimiterHint : 0
; COMPUTE_PGM_RSRC2:SCRATCH_EN: 0
; COMPUTE_PGM_RSRC2:USER_SGPR: 6
; COMPUTE_PGM_RSRC2:TRAP_HANDLER: 0
; COMPUTE_PGM_RSRC2:TGID_X_EN: 1
; COMPUTE_PGM_RSRC2:TGID_Y_EN: 0
; COMPUTE_PGM_RSRC2:TGID_Z_EN: 0
; COMPUTE_PGM_RSRC2:TIDIG_COMP_CNT: 0
; COMPUTE_PGM_RSRC3_GFX90A:ACCUM_OFFSET: 0
; COMPUTE_PGM_RSRC3_GFX90A:TG_SPLIT: 0
	.section	.text._ZN7rocprim17ROCPRIM_400000_NS6detail17trampoline_kernelINS0_14default_configENS1_33run_length_encode_config_selectorIfjNS0_4plusIjEEEEZZNS1_33reduce_by_key_impl_wrapped_configILNS1_25lookback_scan_determinismE0ES3_S7_PKfNS0_17constant_iteratorIjlEEPfPlSF_S6_NS0_8equal_toIfEEEE10hipError_tPvRmT2_T3_mT4_T5_T6_T7_T8_P12ihipStream_tbENKUlT_T0_E_clISt17integral_constantIbLb0EESZ_EEDaSU_SV_EUlSU_E_NS1_11comp_targetILNS1_3genE5ELNS1_11target_archE942ELNS1_3gpuE9ELNS1_3repE0EEENS1_30default_config_static_selectorELNS0_4arch9wavefront6targetE1EEEvT1_,"axG",@progbits,_ZN7rocprim17ROCPRIM_400000_NS6detail17trampoline_kernelINS0_14default_configENS1_33run_length_encode_config_selectorIfjNS0_4plusIjEEEEZZNS1_33reduce_by_key_impl_wrapped_configILNS1_25lookback_scan_determinismE0ES3_S7_PKfNS0_17constant_iteratorIjlEEPfPlSF_S6_NS0_8equal_toIfEEEE10hipError_tPvRmT2_T3_mT4_T5_T6_T7_T8_P12ihipStream_tbENKUlT_T0_E_clISt17integral_constantIbLb0EESZ_EEDaSU_SV_EUlSU_E_NS1_11comp_targetILNS1_3genE5ELNS1_11target_archE942ELNS1_3gpuE9ELNS1_3repE0EEENS1_30default_config_static_selectorELNS0_4arch9wavefront6targetE1EEEvT1_,comdat
	.protected	_ZN7rocprim17ROCPRIM_400000_NS6detail17trampoline_kernelINS0_14default_configENS1_33run_length_encode_config_selectorIfjNS0_4plusIjEEEEZZNS1_33reduce_by_key_impl_wrapped_configILNS1_25lookback_scan_determinismE0ES3_S7_PKfNS0_17constant_iteratorIjlEEPfPlSF_S6_NS0_8equal_toIfEEEE10hipError_tPvRmT2_T3_mT4_T5_T6_T7_T8_P12ihipStream_tbENKUlT_T0_E_clISt17integral_constantIbLb0EESZ_EEDaSU_SV_EUlSU_E_NS1_11comp_targetILNS1_3genE5ELNS1_11target_archE942ELNS1_3gpuE9ELNS1_3repE0EEENS1_30default_config_static_selectorELNS0_4arch9wavefront6targetE1EEEvT1_ ; -- Begin function _ZN7rocprim17ROCPRIM_400000_NS6detail17trampoline_kernelINS0_14default_configENS1_33run_length_encode_config_selectorIfjNS0_4plusIjEEEEZZNS1_33reduce_by_key_impl_wrapped_configILNS1_25lookback_scan_determinismE0ES3_S7_PKfNS0_17constant_iteratorIjlEEPfPlSF_S6_NS0_8equal_toIfEEEE10hipError_tPvRmT2_T3_mT4_T5_T6_T7_T8_P12ihipStream_tbENKUlT_T0_E_clISt17integral_constantIbLb0EESZ_EEDaSU_SV_EUlSU_E_NS1_11comp_targetILNS1_3genE5ELNS1_11target_archE942ELNS1_3gpuE9ELNS1_3repE0EEENS1_30default_config_static_selectorELNS0_4arch9wavefront6targetE1EEEvT1_
	.globl	_ZN7rocprim17ROCPRIM_400000_NS6detail17trampoline_kernelINS0_14default_configENS1_33run_length_encode_config_selectorIfjNS0_4plusIjEEEEZZNS1_33reduce_by_key_impl_wrapped_configILNS1_25lookback_scan_determinismE0ES3_S7_PKfNS0_17constant_iteratorIjlEEPfPlSF_S6_NS0_8equal_toIfEEEE10hipError_tPvRmT2_T3_mT4_T5_T6_T7_T8_P12ihipStream_tbENKUlT_T0_E_clISt17integral_constantIbLb0EESZ_EEDaSU_SV_EUlSU_E_NS1_11comp_targetILNS1_3genE5ELNS1_11target_archE942ELNS1_3gpuE9ELNS1_3repE0EEENS1_30default_config_static_selectorELNS0_4arch9wavefront6targetE1EEEvT1_
	.p2align	8
	.type	_ZN7rocprim17ROCPRIM_400000_NS6detail17trampoline_kernelINS0_14default_configENS1_33run_length_encode_config_selectorIfjNS0_4plusIjEEEEZZNS1_33reduce_by_key_impl_wrapped_configILNS1_25lookback_scan_determinismE0ES3_S7_PKfNS0_17constant_iteratorIjlEEPfPlSF_S6_NS0_8equal_toIfEEEE10hipError_tPvRmT2_T3_mT4_T5_T6_T7_T8_P12ihipStream_tbENKUlT_T0_E_clISt17integral_constantIbLb0EESZ_EEDaSU_SV_EUlSU_E_NS1_11comp_targetILNS1_3genE5ELNS1_11target_archE942ELNS1_3gpuE9ELNS1_3repE0EEENS1_30default_config_static_selectorELNS0_4arch9wavefront6targetE1EEEvT1_,@function
_ZN7rocprim17ROCPRIM_400000_NS6detail17trampoline_kernelINS0_14default_configENS1_33run_length_encode_config_selectorIfjNS0_4plusIjEEEEZZNS1_33reduce_by_key_impl_wrapped_configILNS1_25lookback_scan_determinismE0ES3_S7_PKfNS0_17constant_iteratorIjlEEPfPlSF_S6_NS0_8equal_toIfEEEE10hipError_tPvRmT2_T3_mT4_T5_T6_T7_T8_P12ihipStream_tbENKUlT_T0_E_clISt17integral_constantIbLb0EESZ_EEDaSU_SV_EUlSU_E_NS1_11comp_targetILNS1_3genE5ELNS1_11target_archE942ELNS1_3gpuE9ELNS1_3repE0EEENS1_30default_config_static_selectorELNS0_4arch9wavefront6targetE1EEEvT1_: ; @_ZN7rocprim17ROCPRIM_400000_NS6detail17trampoline_kernelINS0_14default_configENS1_33run_length_encode_config_selectorIfjNS0_4plusIjEEEEZZNS1_33reduce_by_key_impl_wrapped_configILNS1_25lookback_scan_determinismE0ES3_S7_PKfNS0_17constant_iteratorIjlEEPfPlSF_S6_NS0_8equal_toIfEEEE10hipError_tPvRmT2_T3_mT4_T5_T6_T7_T8_P12ihipStream_tbENKUlT_T0_E_clISt17integral_constantIbLb0EESZ_EEDaSU_SV_EUlSU_E_NS1_11comp_targetILNS1_3genE5ELNS1_11target_archE942ELNS1_3gpuE9ELNS1_3repE0EEENS1_30default_config_static_selectorELNS0_4arch9wavefront6targetE1EEEvT1_
; %bb.0:
	.section	.rodata,"a",@progbits
	.p2align	6, 0x0
	.amdhsa_kernel _ZN7rocprim17ROCPRIM_400000_NS6detail17trampoline_kernelINS0_14default_configENS1_33run_length_encode_config_selectorIfjNS0_4plusIjEEEEZZNS1_33reduce_by_key_impl_wrapped_configILNS1_25lookback_scan_determinismE0ES3_S7_PKfNS0_17constant_iteratorIjlEEPfPlSF_S6_NS0_8equal_toIfEEEE10hipError_tPvRmT2_T3_mT4_T5_T6_T7_T8_P12ihipStream_tbENKUlT_T0_E_clISt17integral_constantIbLb0EESZ_EEDaSU_SV_EUlSU_E_NS1_11comp_targetILNS1_3genE5ELNS1_11target_archE942ELNS1_3gpuE9ELNS1_3repE0EEENS1_30default_config_static_selectorELNS0_4arch9wavefront6targetE1EEEvT1_
		.amdhsa_group_segment_fixed_size 0
		.amdhsa_private_segment_fixed_size 0
		.amdhsa_kernarg_size 128
		.amdhsa_user_sgpr_count 6
		.amdhsa_user_sgpr_private_segment_buffer 1
		.amdhsa_user_sgpr_dispatch_ptr 0
		.amdhsa_user_sgpr_queue_ptr 0
		.amdhsa_user_sgpr_kernarg_segment_ptr 1
		.amdhsa_user_sgpr_dispatch_id 0
		.amdhsa_user_sgpr_flat_scratch_init 0
		.amdhsa_user_sgpr_kernarg_preload_length 0
		.amdhsa_user_sgpr_kernarg_preload_offset 0
		.amdhsa_user_sgpr_private_segment_size 0
		.amdhsa_uses_dynamic_stack 0
		.amdhsa_system_sgpr_private_segment_wavefront_offset 0
		.amdhsa_system_sgpr_workgroup_id_x 1
		.amdhsa_system_sgpr_workgroup_id_y 0
		.amdhsa_system_sgpr_workgroup_id_z 0
		.amdhsa_system_sgpr_workgroup_info 0
		.amdhsa_system_vgpr_workitem_id 0
		.amdhsa_next_free_vgpr 1
		.amdhsa_next_free_sgpr 0
		.amdhsa_accum_offset 4
		.amdhsa_reserve_vcc 0
		.amdhsa_reserve_flat_scratch 0
		.amdhsa_float_round_mode_32 0
		.amdhsa_float_round_mode_16_64 0
		.amdhsa_float_denorm_mode_32 3
		.amdhsa_float_denorm_mode_16_64 3
		.amdhsa_dx10_clamp 1
		.amdhsa_ieee_mode 1
		.amdhsa_fp16_overflow 0
		.amdhsa_tg_split 0
		.amdhsa_exception_fp_ieee_invalid_op 0
		.amdhsa_exception_fp_denorm_src 0
		.amdhsa_exception_fp_ieee_div_zero 0
		.amdhsa_exception_fp_ieee_overflow 0
		.amdhsa_exception_fp_ieee_underflow 0
		.amdhsa_exception_fp_ieee_inexact 0
		.amdhsa_exception_int_div_zero 0
	.end_amdhsa_kernel
	.section	.text._ZN7rocprim17ROCPRIM_400000_NS6detail17trampoline_kernelINS0_14default_configENS1_33run_length_encode_config_selectorIfjNS0_4plusIjEEEEZZNS1_33reduce_by_key_impl_wrapped_configILNS1_25lookback_scan_determinismE0ES3_S7_PKfNS0_17constant_iteratorIjlEEPfPlSF_S6_NS0_8equal_toIfEEEE10hipError_tPvRmT2_T3_mT4_T5_T6_T7_T8_P12ihipStream_tbENKUlT_T0_E_clISt17integral_constantIbLb0EESZ_EEDaSU_SV_EUlSU_E_NS1_11comp_targetILNS1_3genE5ELNS1_11target_archE942ELNS1_3gpuE9ELNS1_3repE0EEENS1_30default_config_static_selectorELNS0_4arch9wavefront6targetE1EEEvT1_,"axG",@progbits,_ZN7rocprim17ROCPRIM_400000_NS6detail17trampoline_kernelINS0_14default_configENS1_33run_length_encode_config_selectorIfjNS0_4plusIjEEEEZZNS1_33reduce_by_key_impl_wrapped_configILNS1_25lookback_scan_determinismE0ES3_S7_PKfNS0_17constant_iteratorIjlEEPfPlSF_S6_NS0_8equal_toIfEEEE10hipError_tPvRmT2_T3_mT4_T5_T6_T7_T8_P12ihipStream_tbENKUlT_T0_E_clISt17integral_constantIbLb0EESZ_EEDaSU_SV_EUlSU_E_NS1_11comp_targetILNS1_3genE5ELNS1_11target_archE942ELNS1_3gpuE9ELNS1_3repE0EEENS1_30default_config_static_selectorELNS0_4arch9wavefront6targetE1EEEvT1_,comdat
.Lfunc_end374:
	.size	_ZN7rocprim17ROCPRIM_400000_NS6detail17trampoline_kernelINS0_14default_configENS1_33run_length_encode_config_selectorIfjNS0_4plusIjEEEEZZNS1_33reduce_by_key_impl_wrapped_configILNS1_25lookback_scan_determinismE0ES3_S7_PKfNS0_17constant_iteratorIjlEEPfPlSF_S6_NS0_8equal_toIfEEEE10hipError_tPvRmT2_T3_mT4_T5_T6_T7_T8_P12ihipStream_tbENKUlT_T0_E_clISt17integral_constantIbLb0EESZ_EEDaSU_SV_EUlSU_E_NS1_11comp_targetILNS1_3genE5ELNS1_11target_archE942ELNS1_3gpuE9ELNS1_3repE0EEENS1_30default_config_static_selectorELNS0_4arch9wavefront6targetE1EEEvT1_, .Lfunc_end374-_ZN7rocprim17ROCPRIM_400000_NS6detail17trampoline_kernelINS0_14default_configENS1_33run_length_encode_config_selectorIfjNS0_4plusIjEEEEZZNS1_33reduce_by_key_impl_wrapped_configILNS1_25lookback_scan_determinismE0ES3_S7_PKfNS0_17constant_iteratorIjlEEPfPlSF_S6_NS0_8equal_toIfEEEE10hipError_tPvRmT2_T3_mT4_T5_T6_T7_T8_P12ihipStream_tbENKUlT_T0_E_clISt17integral_constantIbLb0EESZ_EEDaSU_SV_EUlSU_E_NS1_11comp_targetILNS1_3genE5ELNS1_11target_archE942ELNS1_3gpuE9ELNS1_3repE0EEENS1_30default_config_static_selectorELNS0_4arch9wavefront6targetE1EEEvT1_
                                        ; -- End function
	.section	.AMDGPU.csdata,"",@progbits
; Kernel info:
; codeLenInByte = 0
; NumSgprs: 4
; NumVgprs: 0
; NumAgprs: 0
; TotalNumVgprs: 0
; ScratchSize: 0
; MemoryBound: 0
; FloatMode: 240
; IeeeMode: 1
; LDSByteSize: 0 bytes/workgroup (compile time only)
; SGPRBlocks: 0
; VGPRBlocks: 0
; NumSGPRsForWavesPerEU: 4
; NumVGPRsForWavesPerEU: 1
; AccumOffset: 4
; Occupancy: 8
; WaveLimiterHint : 0
; COMPUTE_PGM_RSRC2:SCRATCH_EN: 0
; COMPUTE_PGM_RSRC2:USER_SGPR: 6
; COMPUTE_PGM_RSRC2:TRAP_HANDLER: 0
; COMPUTE_PGM_RSRC2:TGID_X_EN: 1
; COMPUTE_PGM_RSRC2:TGID_Y_EN: 0
; COMPUTE_PGM_RSRC2:TGID_Z_EN: 0
; COMPUTE_PGM_RSRC2:TIDIG_COMP_CNT: 0
; COMPUTE_PGM_RSRC3_GFX90A:ACCUM_OFFSET: 0
; COMPUTE_PGM_RSRC3_GFX90A:TG_SPLIT: 0
	.section	.text._ZN7rocprim17ROCPRIM_400000_NS6detail17trampoline_kernelINS0_14default_configENS1_33run_length_encode_config_selectorIfjNS0_4plusIjEEEEZZNS1_33reduce_by_key_impl_wrapped_configILNS1_25lookback_scan_determinismE0ES3_S7_PKfNS0_17constant_iteratorIjlEEPfPlSF_S6_NS0_8equal_toIfEEEE10hipError_tPvRmT2_T3_mT4_T5_T6_T7_T8_P12ihipStream_tbENKUlT_T0_E_clISt17integral_constantIbLb0EESZ_EEDaSU_SV_EUlSU_E_NS1_11comp_targetILNS1_3genE4ELNS1_11target_archE910ELNS1_3gpuE8ELNS1_3repE0EEENS1_30default_config_static_selectorELNS0_4arch9wavefront6targetE1EEEvT1_,"axG",@progbits,_ZN7rocprim17ROCPRIM_400000_NS6detail17trampoline_kernelINS0_14default_configENS1_33run_length_encode_config_selectorIfjNS0_4plusIjEEEEZZNS1_33reduce_by_key_impl_wrapped_configILNS1_25lookback_scan_determinismE0ES3_S7_PKfNS0_17constant_iteratorIjlEEPfPlSF_S6_NS0_8equal_toIfEEEE10hipError_tPvRmT2_T3_mT4_T5_T6_T7_T8_P12ihipStream_tbENKUlT_T0_E_clISt17integral_constantIbLb0EESZ_EEDaSU_SV_EUlSU_E_NS1_11comp_targetILNS1_3genE4ELNS1_11target_archE910ELNS1_3gpuE8ELNS1_3repE0EEENS1_30default_config_static_selectorELNS0_4arch9wavefront6targetE1EEEvT1_,comdat
	.protected	_ZN7rocprim17ROCPRIM_400000_NS6detail17trampoline_kernelINS0_14default_configENS1_33run_length_encode_config_selectorIfjNS0_4plusIjEEEEZZNS1_33reduce_by_key_impl_wrapped_configILNS1_25lookback_scan_determinismE0ES3_S7_PKfNS0_17constant_iteratorIjlEEPfPlSF_S6_NS0_8equal_toIfEEEE10hipError_tPvRmT2_T3_mT4_T5_T6_T7_T8_P12ihipStream_tbENKUlT_T0_E_clISt17integral_constantIbLb0EESZ_EEDaSU_SV_EUlSU_E_NS1_11comp_targetILNS1_3genE4ELNS1_11target_archE910ELNS1_3gpuE8ELNS1_3repE0EEENS1_30default_config_static_selectorELNS0_4arch9wavefront6targetE1EEEvT1_ ; -- Begin function _ZN7rocprim17ROCPRIM_400000_NS6detail17trampoline_kernelINS0_14default_configENS1_33run_length_encode_config_selectorIfjNS0_4plusIjEEEEZZNS1_33reduce_by_key_impl_wrapped_configILNS1_25lookback_scan_determinismE0ES3_S7_PKfNS0_17constant_iteratorIjlEEPfPlSF_S6_NS0_8equal_toIfEEEE10hipError_tPvRmT2_T3_mT4_T5_T6_T7_T8_P12ihipStream_tbENKUlT_T0_E_clISt17integral_constantIbLb0EESZ_EEDaSU_SV_EUlSU_E_NS1_11comp_targetILNS1_3genE4ELNS1_11target_archE910ELNS1_3gpuE8ELNS1_3repE0EEENS1_30default_config_static_selectorELNS0_4arch9wavefront6targetE1EEEvT1_
	.globl	_ZN7rocprim17ROCPRIM_400000_NS6detail17trampoline_kernelINS0_14default_configENS1_33run_length_encode_config_selectorIfjNS0_4plusIjEEEEZZNS1_33reduce_by_key_impl_wrapped_configILNS1_25lookback_scan_determinismE0ES3_S7_PKfNS0_17constant_iteratorIjlEEPfPlSF_S6_NS0_8equal_toIfEEEE10hipError_tPvRmT2_T3_mT4_T5_T6_T7_T8_P12ihipStream_tbENKUlT_T0_E_clISt17integral_constantIbLb0EESZ_EEDaSU_SV_EUlSU_E_NS1_11comp_targetILNS1_3genE4ELNS1_11target_archE910ELNS1_3gpuE8ELNS1_3repE0EEENS1_30default_config_static_selectorELNS0_4arch9wavefront6targetE1EEEvT1_
	.p2align	8
	.type	_ZN7rocprim17ROCPRIM_400000_NS6detail17trampoline_kernelINS0_14default_configENS1_33run_length_encode_config_selectorIfjNS0_4plusIjEEEEZZNS1_33reduce_by_key_impl_wrapped_configILNS1_25lookback_scan_determinismE0ES3_S7_PKfNS0_17constant_iteratorIjlEEPfPlSF_S6_NS0_8equal_toIfEEEE10hipError_tPvRmT2_T3_mT4_T5_T6_T7_T8_P12ihipStream_tbENKUlT_T0_E_clISt17integral_constantIbLb0EESZ_EEDaSU_SV_EUlSU_E_NS1_11comp_targetILNS1_3genE4ELNS1_11target_archE910ELNS1_3gpuE8ELNS1_3repE0EEENS1_30default_config_static_selectorELNS0_4arch9wavefront6targetE1EEEvT1_,@function
_ZN7rocprim17ROCPRIM_400000_NS6detail17trampoline_kernelINS0_14default_configENS1_33run_length_encode_config_selectorIfjNS0_4plusIjEEEEZZNS1_33reduce_by_key_impl_wrapped_configILNS1_25lookback_scan_determinismE0ES3_S7_PKfNS0_17constant_iteratorIjlEEPfPlSF_S6_NS0_8equal_toIfEEEE10hipError_tPvRmT2_T3_mT4_T5_T6_T7_T8_P12ihipStream_tbENKUlT_T0_E_clISt17integral_constantIbLb0EESZ_EEDaSU_SV_EUlSU_E_NS1_11comp_targetILNS1_3genE4ELNS1_11target_archE910ELNS1_3gpuE8ELNS1_3repE0EEENS1_30default_config_static_selectorELNS0_4arch9wavefront6targetE1EEEvT1_: ; @_ZN7rocprim17ROCPRIM_400000_NS6detail17trampoline_kernelINS0_14default_configENS1_33run_length_encode_config_selectorIfjNS0_4plusIjEEEEZZNS1_33reduce_by_key_impl_wrapped_configILNS1_25lookback_scan_determinismE0ES3_S7_PKfNS0_17constant_iteratorIjlEEPfPlSF_S6_NS0_8equal_toIfEEEE10hipError_tPvRmT2_T3_mT4_T5_T6_T7_T8_P12ihipStream_tbENKUlT_T0_E_clISt17integral_constantIbLb0EESZ_EEDaSU_SV_EUlSU_E_NS1_11comp_targetILNS1_3genE4ELNS1_11target_archE910ELNS1_3gpuE8ELNS1_3repE0EEENS1_30default_config_static_selectorELNS0_4arch9wavefront6targetE1EEEvT1_
; %bb.0:
	s_load_dwordx8 s[36:43], s[4:5], 0x40
	s_load_dwordx4 s[0:3], s[4:5], 0x0
	s_load_dword s7, s[4:5], 0x10
	s_load_dwordx4 s[44:47], s[4:5], 0x60
	s_mov_b64 s[10:11], -1
	s_waitcnt lgkmcnt(0)
	s_mul_i32 s8, s40, s39
	s_mul_hi_u32 s9, s40, s38
	s_add_i32 s8, s9, s8
	s_mul_i32 s9, s41, s38
	s_add_i32 s8, s8, s9
	s_lshl_b64 s[2:3], s[2:3], 2
	s_add_u32 s2, s0, s2
	s_addc_u32 s3, s1, s3
	s_mul_i32 s0, s6, 0xf00
	s_mov_b32 s1, 0
	s_lshl_b64 s[0:1], s[0:1], 2
	s_mul_i32 s9, s40, s38
	s_add_u32 s40, s2, s0
	s_addc_u32 s41, s3, s1
	s_add_u32 s0, s9, s6
	s_addc_u32 s1, s8, 0
	s_add_u32 s8, s42, -1
	s_addc_u32 s9, s43, -1
	s_cmp_eq_u64 s[0:1], s[8:9]
	s_cselect_b64 s[48:49], -1, 0
	s_cmp_lg_u64 s[0:1], s[8:9]
	s_cselect_b64 s[2:3], -1, 0
	s_mul_i32 s33, s8, 0xfffff100
	s_and_b64 vcc, exec, s[48:49]
	s_cbranch_vccnz .LBB375_2
; %bb.1:
	v_lshlrev_b32_e32 v1, 2, v0
	v_mov_b32_e32 v2, s41
	v_add_co_u32_e32 v4, vcc, s40, v1
	v_addc_co_u32_e32 v5, vcc, 0, v2, vcc
	v_add_co_u32_e32 v2, vcc, 0x1000, v4
	v_addc_co_u32_e32 v3, vcc, 0, v5, vcc
	global_load_dword v6, v1, s[40:41]
	global_load_dword v7, v1, s[40:41] offset:1024
	global_load_dword v8, v1, s[40:41] offset:2048
	;; [unrolled: 1-line block ×3, first 2 shown]
	global_load_dword v10, v[2:3], off
	global_load_dword v11, v[2:3], off offset:1024
	global_load_dword v12, v[2:3], off offset:2048
	global_load_dword v13, v[2:3], off offset:3072
	v_add_co_u32_e32 v2, vcc, 0x2000, v4
	v_addc_co_u32_e32 v3, vcc, 0, v5, vcc
	v_add_co_u32_e32 v4, vcc, 0x3000, v4
	v_addc_co_u32_e32 v5, vcc, 0, v5, vcc
	global_load_dword v14, v[2:3], off
	global_load_dword v15, v[2:3], off offset:1024
	global_load_dword v16, v[2:3], off offset:2048
	;; [unrolled: 1-line block ×3, first 2 shown]
	global_load_dword v18, v[4:5], off
	global_load_dword v19, v[4:5], off offset:1024
	global_load_dword v20, v[4:5], off offset:2048
	v_mad_u32_u24 v2, v0, 56, v1
	s_mov_b64 s[8:9], -1
	s_waitcnt vmcnt(13)
	ds_write2st64_b32 v1, v6, v7 offset1:4
	s_waitcnt vmcnt(11)
	ds_write2st64_b32 v1, v8, v9 offset0:8 offset1:12
	s_waitcnt vmcnt(9)
	ds_write2st64_b32 v1, v10, v11 offset0:16 offset1:20
	;; [unrolled: 2-line block ×6, first 2 shown]
	s_waitcnt vmcnt(0)
	ds_write_b32 v1, v20 offset:14336
	s_waitcnt lgkmcnt(0)
	s_barrier
	ds_read2_b32 v[20:21], v2 offset1:1
	ds_read2_b32 v[18:19], v2 offset0:2 offset1:3
	ds_read2_b32 v[16:17], v2 offset0:4 offset1:5
	;; [unrolled: 1-line block ×6, first 2 shown]
	ds_read_b32 v1, v2 offset:56
	s_waitcnt lgkmcnt(7)
	v_mov_b32_e32 v22, v20
	s_waitcnt lgkmcnt(6)
	v_mov_b32_e32 v23, v18
	;; [unrolled: 2-line block ×7, first 2 shown]
	s_add_i32 s33, s33, s44
	s_cbranch_execz .LBB375_3
	s_branch .LBB375_34
.LBB375_2:
	s_mov_b64 s[8:9], 0
                                        ; implicit-def: $vgpr1
                                        ; implicit-def: $vgpr8
                                        ; implicit-def: $vgpr10
                                        ; implicit-def: $vgpr12
                                        ; implicit-def: $vgpr14
                                        ; implicit-def: $vgpr16
                                        ; implicit-def: $vgpr18
                                        ; implicit-def: $vgpr20
                                        ; implicit-def: $vgpr2_vgpr3
                                        ; implicit-def: $vgpr4_vgpr5
                                        ; implicit-def: $vgpr22_vgpr23
                                        ; implicit-def: $vgpr6_vgpr7
	s_add_i32 s33, s33, s44
	s_andn2_b64 vcc, exec, s[10:11]
	s_cbranch_vccnz .LBB375_34
.LBB375_3:
	v_cmp_gt_u32_e32 vcc, s33, v0
                                        ; implicit-def: $vgpr1
	s_and_saveexec_b64 s[8:9], vcc
	s_cbranch_execz .LBB375_5
; %bb.4:
	s_waitcnt lgkmcnt(0)
	v_lshlrev_b32_e32 v1, 2, v0
	global_load_dword v1, v1, s[40:41]
.LBB375_5:
	s_or_b64 exec, exec, s[8:9]
	v_or_b32_e32 v2, 0x100, v0
	v_cmp_gt_u32_e32 vcc, s33, v2
                                        ; implicit-def: $vgpr2
	s_and_saveexec_b64 s[8:9], vcc
	s_cbranch_execz .LBB375_7
; %bb.6:
	v_lshlrev_b32_e32 v2, 2, v0
	global_load_dword v2, v2, s[40:41] offset:1024
.LBB375_7:
	s_or_b64 exec, exec, s[8:9]
	v_or_b32_e32 v3, 0x200, v0
	v_cmp_gt_u32_e32 vcc, s33, v3
                                        ; implicit-def: $vgpr3
	s_and_saveexec_b64 s[8:9], vcc
	s_cbranch_execz .LBB375_9
; %bb.8:
	v_lshlrev_b32_e32 v3, 2, v0
	global_load_dword v3, v3, s[40:41] offset:2048
.LBB375_9:
	s_or_b64 exec, exec, s[8:9]
	v_or_b32_e32 v4, 0x300, v0
	v_cmp_gt_u32_e32 vcc, s33, v4
                                        ; implicit-def: $vgpr4
	s_and_saveexec_b64 s[8:9], vcc
	s_cbranch_execz .LBB375_11
; %bb.10:
	v_lshlrev_b32_e32 v4, 2, v0
	global_load_dword v4, v4, s[40:41] offset:3072
.LBB375_11:
	s_or_b64 exec, exec, s[8:9]
	v_or_b32_e32 v6, 0x400, v0
	v_cmp_gt_u32_e32 vcc, s33, v6
                                        ; implicit-def: $vgpr5
	s_and_saveexec_b64 s[8:9], vcc
	s_cbranch_execz .LBB375_13
; %bb.12:
	v_lshlrev_b32_e32 v5, 2, v6
	global_load_dword v5, v5, s[40:41]
.LBB375_13:
	s_or_b64 exec, exec, s[8:9]
	v_or_b32_e32 v7, 0x500, v0
	v_cmp_gt_u32_e32 vcc, s33, v7
                                        ; implicit-def: $vgpr6
	s_and_saveexec_b64 s[8:9], vcc
	s_cbranch_execz .LBB375_15
; %bb.14:
	v_lshlrev_b32_e32 v6, 2, v7
	global_load_dword v6, v6, s[40:41]
.LBB375_15:
	s_or_b64 exec, exec, s[8:9]
	v_or_b32_e32 v8, 0x600, v0
	v_cmp_gt_u32_e32 vcc, s33, v8
                                        ; implicit-def: $vgpr7
	s_and_saveexec_b64 s[8:9], vcc
	s_cbranch_execz .LBB375_17
; %bb.16:
	v_lshlrev_b32_e32 v7, 2, v8
	global_load_dword v7, v7, s[40:41]
.LBB375_17:
	s_or_b64 exec, exec, s[8:9]
	v_or_b32_e32 v9, 0x700, v0
	v_cmp_gt_u32_e32 vcc, s33, v9
                                        ; implicit-def: $vgpr8
	s_and_saveexec_b64 s[8:9], vcc
	s_cbranch_execz .LBB375_19
; %bb.18:
	v_lshlrev_b32_e32 v8, 2, v9
	global_load_dword v8, v8, s[40:41]
.LBB375_19:
	s_or_b64 exec, exec, s[8:9]
	v_or_b32_e32 v10, 0x800, v0
	v_cmp_gt_u32_e32 vcc, s33, v10
                                        ; implicit-def: $vgpr9
	s_and_saveexec_b64 s[8:9], vcc
	s_cbranch_execz .LBB375_21
; %bb.20:
	v_lshlrev_b32_e32 v9, 2, v10
	global_load_dword v9, v9, s[40:41]
.LBB375_21:
	s_or_b64 exec, exec, s[8:9]
	v_or_b32_e32 v11, 0x900, v0
	v_cmp_gt_u32_e32 vcc, s33, v11
                                        ; implicit-def: $vgpr10
	s_and_saveexec_b64 s[8:9], vcc
	s_cbranch_execz .LBB375_23
; %bb.22:
	v_lshlrev_b32_e32 v10, 2, v11
	global_load_dword v10, v10, s[40:41]
.LBB375_23:
	s_or_b64 exec, exec, s[8:9]
	v_or_b32_e32 v12, 0xa00, v0
	v_cmp_gt_u32_e32 vcc, s33, v12
                                        ; implicit-def: $vgpr11
	s_and_saveexec_b64 s[8:9], vcc
	s_cbranch_execz .LBB375_25
; %bb.24:
	v_lshlrev_b32_e32 v11, 2, v12
	global_load_dword v11, v11, s[40:41]
.LBB375_25:
	s_or_b64 exec, exec, s[8:9]
	v_or_b32_e32 v13, 0xb00, v0
	v_cmp_gt_u32_e32 vcc, s33, v13
                                        ; implicit-def: $vgpr12
	s_and_saveexec_b64 s[8:9], vcc
	s_cbranch_execz .LBB375_27
; %bb.26:
	v_lshlrev_b32_e32 v12, 2, v13
	global_load_dword v12, v12, s[40:41]
.LBB375_27:
	s_or_b64 exec, exec, s[8:9]
	v_or_b32_e32 v14, 0xc00, v0
	v_cmp_gt_u32_e32 vcc, s33, v14
                                        ; implicit-def: $vgpr13
	s_and_saveexec_b64 s[8:9], vcc
	s_cbranch_execz .LBB375_29
; %bb.28:
	v_lshlrev_b32_e32 v13, 2, v14
	global_load_dword v13, v13, s[40:41]
.LBB375_29:
	s_or_b64 exec, exec, s[8:9]
	v_or_b32_e32 v15, 0xd00, v0
	v_cmp_gt_u32_e32 vcc, s33, v15
                                        ; implicit-def: $vgpr14
	s_and_saveexec_b64 s[8:9], vcc
	s_cbranch_execz .LBB375_31
; %bb.30:
	v_lshlrev_b32_e32 v14, 2, v15
	global_load_dword v14, v14, s[40:41]
.LBB375_31:
	s_or_b64 exec, exec, s[8:9]
	v_or_b32_e32 v16, 0xe00, v0
	v_cmp_gt_u32_e32 vcc, s33, v16
                                        ; implicit-def: $vgpr15
	s_and_saveexec_b64 s[8:9], vcc
	s_cbranch_execz .LBB375_33
; %bb.32:
	v_lshlrev_b32_e32 v15, 2, v16
	global_load_dword v15, v15, s[40:41]
.LBB375_33:
	s_or_b64 exec, exec, s[8:9]
	v_lshlrev_b32_e32 v16, 2, v0
	s_waitcnt vmcnt(0) lgkmcnt(0)
	ds_write2st64_b32 v16, v1, v2 offset1:4
	ds_write2st64_b32 v16, v3, v4 offset0:8 offset1:12
	ds_write2st64_b32 v16, v5, v6 offset0:16 offset1:20
	;; [unrolled: 1-line block ×6, first 2 shown]
	ds_write_b32 v16, v15 offset:14336
	v_mad_u32_u24 v1, v0, 56, v16
	s_waitcnt lgkmcnt(0)
	s_barrier
	ds_read2_b32 v[20:21], v1 offset1:1
	ds_read2_b32 v[18:19], v1 offset0:2 offset1:3
	ds_read2_b32 v[16:17], v1 offset0:4 offset1:5
	;; [unrolled: 1-line block ×6, first 2 shown]
	ds_read_b32 v1, v1 offset:56
	v_mad_u32_u24 v2, v0, 15, 14
	v_cmp_gt_u32_e64 s[8:9], s33, v2
	s_waitcnt lgkmcnt(7)
	v_mov_b32_e32 v22, v20
	s_waitcnt lgkmcnt(6)
	v_mov_b32_e32 v23, v18
	;; [unrolled: 2-line block ×7, first 2 shown]
.LBB375_34:
	v_mov_b32_e32 v52, s7
                                        ; implicit-def: $vgpr53
	s_and_saveexec_b64 s[10:11], s[8:9]
; %bb.35:
	v_mov_b32_e32 v53, s7
; %bb.36:
	s_or_b64 exec, exec, s[10:11]
	s_load_dwordx2 s[52:53], s[4:5], 0x70
	s_cmp_eq_u64 s[0:1], 0
	s_cselect_b64 s[50:51], -1, 0
	s_cmp_lg_u64 s[0:1], 0
	s_mov_b64 s[42:43], 0
	s_cselect_b64 s[8:9], -1, 0
	s_and_b64 vcc, exec, s[2:3]
	s_waitcnt lgkmcnt(0)
	s_barrier
	s_cbranch_vccz .LBB375_42
; %bb.37:
	s_and_b64 vcc, exec, s[8:9]
	s_cbranch_vccz .LBB375_43
; %bb.38:
	s_add_u32 s2, s40, -4
	s_addc_u32 s3, s41, -1
	s_load_dword s2, s[2:3], 0x0
	v_lshlrev_b32_e32 v24, 2, v0
	v_cmp_ne_u32_e32 vcc, 0, v0
	ds_write_b32 v24, v1
	s_waitcnt lgkmcnt(0)
	v_mov_b32_e32 v7, s2
	s_barrier
	s_and_saveexec_b64 s[2:3], vcc
	s_cbranch_execz .LBB375_40
; %bb.39:
	v_add_u32_e32 v7, -4, v24
	ds_read_b32 v7, v7
.LBB375_40:
	s_or_b64 exec, exec, s[2:3]
	v_cmp_neq_f32_e32 vcc, v22, v21
	v_cndmask_b32_e64 v67, 0, 1, vcc
	v_cmp_neq_f32_e32 vcc, v23, v21
	v_cndmask_b32_e64 v66, 0, 1, vcc
	;; [unrolled: 2-line block ×14, first 2 shown]
	s_waitcnt lgkmcnt(0)
	v_cmp_neq_f32_e64 s[2:3], v7, v20
	s_mov_b64 s[42:43], -1
.LBB375_41:
                                        ; implicit-def: $sgpr7
	s_branch .LBB375_55
.LBB375_42:
                                        ; implicit-def: $sgpr2_sgpr3
                                        ; implicit-def: $vgpr54
                                        ; implicit-def: $vgpr55
                                        ; implicit-def: $vgpr56
                                        ; implicit-def: $vgpr57
                                        ; implicit-def: $vgpr58
                                        ; implicit-def: $vgpr59
                                        ; implicit-def: $vgpr60
                                        ; implicit-def: $vgpr61
                                        ; implicit-def: $vgpr62
                                        ; implicit-def: $vgpr63
                                        ; implicit-def: $vgpr64
                                        ; implicit-def: $vgpr65
                                        ; implicit-def: $vgpr66
                                        ; implicit-def: $vgpr67
                                        ; implicit-def: $sgpr7
	s_cbranch_execnz .LBB375_47
	s_branch .LBB375_55
.LBB375_43:
                                        ; implicit-def: $sgpr2_sgpr3
                                        ; implicit-def: $vgpr54
                                        ; implicit-def: $vgpr55
                                        ; implicit-def: $vgpr56
                                        ; implicit-def: $vgpr57
                                        ; implicit-def: $vgpr58
                                        ; implicit-def: $vgpr59
                                        ; implicit-def: $vgpr60
                                        ; implicit-def: $vgpr61
                                        ; implicit-def: $vgpr62
                                        ; implicit-def: $vgpr63
                                        ; implicit-def: $vgpr64
                                        ; implicit-def: $vgpr65
                                        ; implicit-def: $vgpr66
                                        ; implicit-def: $vgpr67
	s_cbranch_execz .LBB375_41
; %bb.44:
	v_cmp_neq_f32_e32 vcc, v21, v22
	v_cndmask_b32_e64 v67, 0, 1, vcc
	v_cmp_neq_f32_e32 vcc, v21, v23
	v_cndmask_b32_e64 v66, 0, 1, vcc
	;; [unrolled: 2-line block ×13, first 2 shown]
	v_cmp_neq_f32_e32 vcc, v9, v1
	v_lshlrev_b32_e32 v7, 2, v0
	v_cndmask_b32_e64 v54, 0, 1, vcc
	v_cmp_ne_u32_e32 vcc, 0, v0
	ds_write_b32 v7, v1
	s_waitcnt lgkmcnt(0)
	s_barrier
	s_waitcnt lgkmcnt(0)
                                        ; implicit-def: $sgpr2_sgpr3
	s_and_saveexec_b64 s[10:11], vcc
	s_xor_b64 s[10:11], exec, s[10:11]
	s_cbranch_execz .LBB375_46
; %bb.45:
	v_add_u32_e32 v2, -4, v7
	ds_read_b32 v2, v2
	s_or_b64 s[42:43], s[42:43], exec
	s_waitcnt lgkmcnt(0)
	v_cmp_neq_f32_e32 vcc, v2, v20
	s_and_b64 s[2:3], vcc, exec
.LBB375_46:
	s_or_b64 exec, exec, s[10:11]
	s_mov_b32 s7, 1
	s_branch .LBB375_55
.LBB375_47:
	s_mul_hi_u32 s2, s0, 0xfffff100
	s_mulk_i32 s1, 0xf100
	s_sub_i32 s2, s2, s0
	s_add_i32 s2, s2, s1
	s_mulk_i32 s0, 0xf100
	s_add_u32 s44, s0, s44
	s_addc_u32 s45, s2, s45
	s_and_b64 vcc, exec, s[8:9]
	v_cmp_neq_f32_e64 s[30:31], v9, v1
	v_cmp_neq_f32_e64 s[28:29], v8, v9
	;; [unrolled: 1-line block ×14, first 2 shown]
	v_mad_u32_u24 v2, v0, 15, 14
	v_mad_u32_u24 v42, v0, 15, 13
	;; [unrolled: 1-line block ×14, first 2 shown]
	v_cmp_ne_u32_e64 s[8:9], 0, v0
	s_cbranch_vccz .LBB375_52
; %bb.48:
	v_mov_b32_e32 v3, 0
	s_add_u32 s40, s40, -4
	v_cmp_gt_u64_e32 vcc, s[44:45], v[2:3]
	v_mov_b32_e32 v43, v3
	s_addc_u32 s41, s41, -1
	s_and_b64 s[30:31], vcc, s[30:31]
	v_cmp_gt_u64_e32 vcc, s[44:45], v[42:43]
	v_mov_b32_e32 v41, v3
	s_and_b64 s[28:29], vcc, s[28:29]
	v_cmp_gt_u64_e32 vcc, s[44:45], v[40:41]
	v_mov_b32_e32 v39, v3
	;; [unrolled: 3-line block ×8, first 2 shown]
	s_load_dword s7, s[40:41], 0x0
	s_and_b64 s[14:15], vcc, s[14:15]
	v_cmp_gt_u64_e32 vcc, s[44:45], v[26:27]
	v_mov_b32_e32 v25, v3
	s_and_b64 s[12:13], vcc, s[12:13]
	v_cmp_gt_u64_e32 vcc, s[44:45], v[24:25]
	v_mov_b32_e32 v23, v3
	s_and_b64 s[10:11], vcc, s[10:11]
	v_cmp_gt_u64_e32 vcc, s[44:45], v[22:23]
	v_mov_b32_e32 v7, v3
	s_and_b64 s[34:35], vcc, s[34:35]
	v_cmp_gt_u64_e32 vcc, s[44:45], v[6:7]
	v_mov_b32_e32 v5, v3
	s_and_b64 s[2:3], vcc, s[2:3]
	v_cmp_gt_u64_e32 vcc, s[44:45], v[4:5]
	v_lshlrev_b32_e32 v45, 2, v0
	v_mul_u32_u24_e32 v44, 15, v0
	s_and_b64 s[0:1], vcc, s[0:1]
	s_waitcnt lgkmcnt(0)
	v_mov_b32_e32 v5, s7
	ds_write_b32 v45, v1
	s_waitcnt lgkmcnt(0)
	s_barrier
	s_and_saveexec_b64 s[40:41], s[8:9]
	s_cbranch_execz .LBB375_50
; %bb.49:
	v_add_u32_e32 v5, -4, v45
	ds_read_b32 v5, v5
.LBB375_50:
	s_or_b64 exec, exec, s[40:41]
	v_mov_b32_e32 v45, v3
	v_cndmask_b32_e64 v67, 0, 1, s[0:1]
	v_cmp_gt_u64_e32 vcc, s[44:45], v[44:45]
	s_waitcnt lgkmcnt(0)
	v_cmp_neq_f32_e64 s[0:1], v5, v20
	v_cndmask_b32_e64 v54, 0, 1, s[30:31]
	v_cndmask_b32_e64 v55, 0, 1, s[28:29]
	;; [unrolled: 1-line block ×13, first 2 shown]
	s_and_b64 s[2:3], vcc, s[0:1]
	s_mov_b64 s[42:43], -1
.LBB375_51:
                                        ; implicit-def: $sgpr7
	v_mov_b32_e32 v68, s7
	s_and_saveexec_b64 s[0:1], s[42:43]
	s_cbranch_execnz .LBB375_56
	s_branch .LBB375_57
.LBB375_52:
                                        ; implicit-def: $sgpr2_sgpr3
                                        ; implicit-def: $vgpr54
                                        ; implicit-def: $vgpr55
                                        ; implicit-def: $vgpr56
                                        ; implicit-def: $vgpr57
                                        ; implicit-def: $vgpr58
                                        ; implicit-def: $vgpr59
                                        ; implicit-def: $vgpr60
                                        ; implicit-def: $vgpr61
                                        ; implicit-def: $vgpr62
                                        ; implicit-def: $vgpr63
                                        ; implicit-def: $vgpr64
                                        ; implicit-def: $vgpr65
                                        ; implicit-def: $vgpr66
                                        ; implicit-def: $vgpr67
	s_cbranch_execz .LBB375_51
; %bb.53:
	v_mov_b32_e32 v3, 0
	v_cmp_gt_u64_e32 vcc, s[44:45], v[2:3]
	v_cmp_neq_f32_e64 s[0:1], v9, v1
	s_and_b64 s[0:1], vcc, s[0:1]
	v_mov_b32_e32 v43, v3
	v_cndmask_b32_e64 v54, 0, 1, s[0:1]
	v_cmp_gt_u64_e32 vcc, s[44:45], v[42:43]
	v_cmp_neq_f32_e64 s[0:1], v8, v9
	s_and_b64 s[0:1], vcc, s[0:1]
	v_mov_b32_e32 v41, v3
	v_cndmask_b32_e64 v55, 0, 1, s[0:1]
	;; [unrolled: 5-line block ×13, first 2 shown]
	v_cmp_gt_u64_e32 vcc, s[44:45], v[4:5]
	v_cmp_neq_f32_e64 s[0:1], v20, v21
	s_and_b64 s[0:1], vcc, s[0:1]
	v_lshlrev_b32_e32 v44, 2, v0
	s_mov_b32 s7, 1
	v_cndmask_b32_e64 v67, 0, 1, s[0:1]
	v_cmp_ne_u32_e32 vcc, 0, v0
	ds_write_b32 v44, v1
	s_waitcnt lgkmcnt(0)
	s_barrier
	s_waitcnt lgkmcnt(0)
                                        ; implicit-def: $sgpr2_sgpr3
	s_and_saveexec_b64 s[8:9], vcc
	s_cbranch_execz .LBB375_148
; %bb.54:
	v_add_u32_e32 v2, -4, v44
	ds_read_b32 v4, v2
	v_mul_u32_u24_e32 v2, 15, v0
	v_cmp_gt_u64_e32 vcc, s[44:45], v[2:3]
	s_or_b64 s[42:43], s[42:43], exec
	s_waitcnt lgkmcnt(0)
	v_cmp_neq_f32_e64 s[0:1], v4, v20
	s_and_b64 s[0:1], vcc, s[0:1]
	s_and_b64 s[2:3], s[0:1], exec
	s_or_b64 exec, exec, s[8:9]
.LBB375_55:
	v_mov_b32_e32 v68, s7
	s_and_saveexec_b64 s[0:1], s[42:43]
.LBB375_56:
	v_cndmask_b32_e64 v68, 0, 1, s[2:3]
.LBB375_57:
	s_or_b64 exec, exec, s[0:1]
	s_load_dwordx4 s[40:43], s[4:5], 0x20
	s_load_dwordx2 s[34:35], s[4:5], 0x30
	s_cmp_eq_u64 s[38:39], 0
	v_add3_u32 v2, v67, v68, v66
	s_cselect_b64 s[38:39], -1, 0
	s_cmp_lg_u32 s6, 0
	v_cmp_eq_u32_e64 s[24:25], 0, v67
	v_cmp_eq_u32_e64 s[22:23], 0, v66
	;; [unrolled: 1-line block ×3, first 2 shown]
	v_add3_u32 v72, v2, v65, v64
	v_cmp_eq_u32_e64 s[18:19], 0, v64
	v_cmp_eq_u32_e64 s[16:17], 0, v63
	;; [unrolled: 1-line block ×10, first 2 shown]
	v_cmp_eq_u32_e32 vcc, 0, v54
	v_mbcnt_lo_u32_b32 v71, -1, 0
	v_lshrrev_b32_e32 v69, 6, v0
	v_or_b32_e32 v70, 63, v0
	s_cbranch_scc0 .LBB375_84
; %bb.58:
	v_cndmask_b32_e64 v2, 0, v52, s[24:25]
	v_add_u32_e32 v2, v2, v52
	v_cndmask_b32_e64 v2, 0, v2, s[22:23]
	v_add_u32_e32 v2, v2, v52
	;; [unrolled: 2-line block ×11, first 2 shown]
	v_cndmask_b32_e64 v2, 0, v2, s[2:3]
	v_add3_u32 v3, v72, v63, v62
	v_add_u32_e32 v2, v2, v52
	v_add3_u32 v3, v3, v61, v60
	v_cndmask_b32_e64 v2, 0, v2, s[0:1]
	v_add3_u32 v3, v3, v59, v58
	v_add_u32_e32 v2, v2, v52
	v_add3_u32 v3, v3, v57, v56
	v_cndmask_b32_e32 v2, 0, v2, vcc
	v_add3_u32 v3, v3, v55, v54
	v_add_u32_e32 v2, v2, v53
	v_mbcnt_hi_u32_b32 v25, -1, v71
	v_and_b32_e32 v4, 15, v25
	v_mov_b32_dpp v6, v2 row_shr:1 row_mask:0xf bank_mask:0xf
	v_cmp_eq_u32_e32 vcc, 0, v3
	v_mov_b32_dpp v5, v3 row_shr:1 row_mask:0xf bank_mask:0xf
	v_cndmask_b32_e32 v6, 0, v6, vcc
	v_cmp_eq_u32_e32 vcc, 0, v4
	v_cndmask_b32_e64 v5, v5, 0, vcc
	v_add_u32_e32 v3, v5, v3
	v_cndmask_b32_e64 v5, v6, 0, vcc
	v_add_u32_e32 v2, v5, v2
	v_cmp_eq_u32_e32 vcc, 0, v3
	v_mov_b32_dpp v5, v3 row_shr:2 row_mask:0xf bank_mask:0xf
	v_cmp_lt_u32_e64 s[26:27], 1, v4
	v_mov_b32_dpp v6, v2 row_shr:2 row_mask:0xf bank_mask:0xf
	v_cndmask_b32_e64 v5, 0, v5, s[26:27]
	s_and_b64 vcc, s[26:27], vcc
	v_cndmask_b32_e32 v6, 0, v6, vcc
	v_add_u32_e32 v3, v3, v5
	v_add_u32_e32 v2, v6, v2
	v_cmp_eq_u32_e32 vcc, 0, v3
	v_mov_b32_dpp v5, v3 row_shr:4 row_mask:0xf bank_mask:0xf
	v_cmp_lt_u32_e64 s[26:27], 3, v4
	v_mov_b32_dpp v6, v2 row_shr:4 row_mask:0xf bank_mask:0xf
	v_cndmask_b32_e64 v5, 0, v5, s[26:27]
	s_and_b64 vcc, s[26:27], vcc
	v_cndmask_b32_e32 v6, 0, v6, vcc
	v_add_u32_e32 v3, v5, v3
	v_add_u32_e32 v2, v2, v6
	v_cmp_eq_u32_e32 vcc, 0, v3
	v_cmp_lt_u32_e64 s[26:27], 7, v4
	v_mov_b32_dpp v5, v3 row_shr:8 row_mask:0xf bank_mask:0xf
	v_mov_b32_dpp v6, v2 row_shr:8 row_mask:0xf bank_mask:0xf
	s_and_b64 vcc, s[26:27], vcc
	v_cndmask_b32_e64 v4, 0, v5, s[26:27]
	v_cndmask_b32_e32 v5, 0, v6, vcc
	v_add_u32_e32 v2, v5, v2
	v_add_u32_e32 v3, v4, v3
	v_bfe_i32 v6, v25, 4, 1
	v_mov_b32_dpp v5, v2 row_bcast:15 row_mask:0xf bank_mask:0xf
	v_mov_b32_dpp v4, v3 row_bcast:15 row_mask:0xf bank_mask:0xf
	v_cmp_eq_u32_e32 vcc, 0, v3
	v_cndmask_b32_e32 v5, 0, v5, vcc
	v_and_b32_e32 v4, v6, v4
	v_add_u32_e32 v3, v4, v3
	v_and_b32_e32 v4, v6, v5
	v_add_u32_e32 v4, v4, v2
	v_mov_b32_dpp v2, v3 row_bcast:31 row_mask:0xf bank_mask:0xf
	v_cmp_eq_u32_e32 vcc, 0, v3
	v_cmp_lt_u32_e64 s[26:27], 31, v25
	v_mov_b32_dpp v5, v4 row_bcast:31 row_mask:0xf bank_mask:0xf
	v_cndmask_b32_e64 v2, 0, v2, s[26:27]
	s_and_b64 vcc, s[26:27], vcc
	v_add_u32_e32 v2, v2, v3
	v_cndmask_b32_e32 v3, 0, v5, vcc
	v_add_u32_e32 v3, v3, v4
	v_cmp_eq_u32_e32 vcc, v70, v0
	v_lshlrev_b32_e32 v4, 3, v69
	s_and_saveexec_b64 s[26:27], vcc
	s_cbranch_execz .LBB375_60
; %bb.59:
	ds_write_b64 v4, v[2:3] offset:2064
.LBB375_60:
	s_or_b64 exec, exec, s[26:27]
	v_cmp_gt_u32_e32 vcc, 4, v0
	s_waitcnt lgkmcnt(0)
	s_barrier
	s_and_saveexec_b64 s[30:31], vcc
	s_cbranch_execz .LBB375_62
; %bb.61:
	v_lshlrev_b32_e32 v5, 3, v0
	ds_read_b64 v[6:7], v5 offset:2064
	v_and_b32_e32 v22, 3, v25
	v_cmp_lt_u32_e64 s[26:27], 1, v22
	s_waitcnt lgkmcnt(0)
	v_mov_b32_dpp v24, v7 row_shr:1 row_mask:0xf bank_mask:0xf
	v_cmp_eq_u32_e32 vcc, 0, v6
	v_mov_b32_dpp v23, v6 row_shr:1 row_mask:0xf bank_mask:0xf
	v_cndmask_b32_e32 v24, 0, v24, vcc
	v_cmp_eq_u32_e32 vcc, 0, v22
	v_cndmask_b32_e64 v23, v23, 0, vcc
	v_add_u32_e32 v6, v23, v6
	v_cndmask_b32_e64 v23, v24, 0, vcc
	v_add_u32_e32 v7, v23, v7
	v_cmp_eq_u32_e32 vcc, 0, v6
	v_mov_b32_dpp v23, v6 row_shr:2 row_mask:0xf bank_mask:0xf
	v_mov_b32_dpp v24, v7 row_shr:2 row_mask:0xf bank_mask:0xf
	v_cndmask_b32_e64 v22, 0, v23, s[26:27]
	s_and_b64 vcc, s[26:27], vcc
	v_add_u32_e32 v6, v22, v6
	v_cndmask_b32_e32 v22, 0, v24, vcc
	v_add_u32_e32 v7, v22, v7
	ds_write_b64 v5, v[6:7] offset:2064
.LBB375_62:
	s_or_b64 exec, exec, s[30:31]
	v_cmp_gt_u32_e32 vcc, 64, v0
	v_cmp_lt_u32_e64 s[26:27], 63, v0
	v_mov_b32_e32 v22, 0
	v_mov_b32_e32 v23, 0
	s_waitcnt lgkmcnt(0)
	s_barrier
	s_and_saveexec_b64 s[30:31], s[26:27]
	s_cbranch_execz .LBB375_64
; %bb.63:
	ds_read_b64 v[22:23], v4 offset:2056
	v_cmp_eq_u32_e64 s[26:27], 0, v2
	s_waitcnt lgkmcnt(0)
	v_add_u32_e32 v4, v22, v2
	v_cndmask_b32_e64 v2, 0, v23, s[26:27]
	v_add_u32_e32 v3, v2, v3
	v_mov_b32_e32 v2, v4
.LBB375_64:
	s_or_b64 exec, exec, s[30:31]
	v_add_u32_e32 v4, -1, v25
	v_and_b32_e32 v5, 64, v25
	v_cmp_lt_i32_e64 s[26:27], v4, v5
	v_cndmask_b32_e64 v4, v4, v25, s[26:27]
	v_lshlrev_b32_e32 v4, 2, v4
	ds_bpermute_b32 v30, v4, v2
	ds_bpermute_b32 v31, v4, v3
	v_cmp_eq_u32_e64 s[26:27], 0, v25
	s_and_saveexec_b64 s[44:45], vcc
	s_cbranch_execz .LBB375_83
; %bb.65:
	v_mov_b32_e32 v7, 0
	ds_read_b64 v[2:3], v7 offset:2088
	s_waitcnt lgkmcnt(0)
	v_readfirstlane_b32 s7, v2
	v_readfirstlane_b32 s56, v3
	s_and_saveexec_b64 s[30:31], s[26:27]
	s_cbranch_execz .LBB375_67
; %bb.66:
	s_add_i32 s54, s6, 64
	s_mov_b32 s55, 0
	s_lshl_b64 s[58:59], s[54:55], 4
	s_add_u32 s58, s36, s58
	s_addc_u32 s59, s37, s59
	s_and_b32 s61, s56, 0xff000000
	s_mov_b32 s60, s55
	s_and_b32 s63, s56, 0xff0000
	s_mov_b32 s62, s55
	s_or_b64 s[60:61], s[62:63], s[60:61]
	s_and_b32 s63, s56, 0xff00
	s_or_b64 s[60:61], s[60:61], s[62:63]
	s_and_b32 s63, s56, 0xff
	s_or_b64 s[54:55], s[60:61], s[62:63]
	v_mov_b32_e32 v4, s7
	v_mov_b32_e32 v5, s55
	;; [unrolled: 1-line block ×3, first 2 shown]
	v_pk_mov_b32 v[2:3], s[58:59], s[58:59] op_sel:[0,1]
	;;#ASMSTART
	global_store_dwordx4 v[2:3], v[4:7] off	
s_waitcnt vmcnt(0)
	;;#ASMEND
.LBB375_67:
	s_or_b64 exec, exec, s[30:31]
	v_xad_u32 v24, v25, -1, s6
	v_add_u32_e32 v6, 64, v24
	v_lshlrev_b64 v[2:3], 4, v[6:7]
	v_mov_b32_e32 v4, s37
	v_add_co_u32_e32 v26, vcc, s36, v2
	v_addc_co_u32_e32 v27, vcc, v4, v3, vcc
	;;#ASMSTART
	global_load_dwordx4 v[2:5], v[26:27] off glc	
s_waitcnt vmcnt(0)
	;;#ASMEND
	v_and_b32_e32 v5, 0xff, v3
	v_and_b32_e32 v6, 0xff00, v3
	v_or3_b32 v5, 0, v5, v6
	v_or3_b32 v2, v2, 0, 0
	v_and_b32_e32 v6, 0xff000000, v3
	v_and_b32_e32 v3, 0xff0000, v3
	v_or3_b32 v3, v5, v3, v6
	v_or3_b32 v2, v2, 0, 0
	v_cmp_eq_u16_sdwa s[54:55], v4, v7 src0_sel:BYTE_0 src1_sel:DWORD
	s_and_saveexec_b64 s[30:31], s[54:55]
	s_cbranch_execz .LBB375_71
; %bb.68:
	s_mov_b64 s[54:55], 0
	v_mov_b32_e32 v6, 0
.LBB375_69:                             ; =>This Inner Loop Header: Depth=1
	;;#ASMSTART
	global_load_dwordx4 v[2:5], v[26:27] off glc	
s_waitcnt vmcnt(0)
	;;#ASMEND
	v_cmp_ne_u16_sdwa s[58:59], v4, v6 src0_sel:BYTE_0 src1_sel:DWORD
	s_or_b64 s[54:55], s[58:59], s[54:55]
	s_andn2_b64 exec, exec, s[54:55]
	s_cbranch_execnz .LBB375_69
; %bb.70:
	s_or_b64 exec, exec, s[54:55]
.LBB375_71:
	s_or_b64 exec, exec, s[30:31]
	v_mov_b32_e32 v32, 2
	v_cmp_eq_u16_sdwa s[30:31], v4, v32 src0_sel:BYTE_0 src1_sel:DWORD
	v_lshlrev_b64 v[26:27], v25, -1
	v_and_b32_e32 v5, s31, v27
	v_and_b32_e32 v33, 63, v25
	v_or_b32_e32 v5, 0x80000000, v5
	v_cmp_ne_u32_e32 vcc, 63, v33
	v_and_b32_e32 v6, s30, v26
	v_ffbl_b32_e32 v5, v5
	v_addc_co_u32_e32 v7, vcc, 0, v25, vcc
	v_add_u32_e32 v5, 32, v5
	v_ffbl_b32_e32 v6, v6
	v_lshlrev_b32_e32 v34, 2, v7
	v_min_u32_e32 v5, v6, v5
	ds_bpermute_b32 v6, v34, v3
	v_cmp_eq_u32_e32 vcc, 0, v2
	v_cmp_lt_u32_e64 s[30:31], v33, v5
	ds_bpermute_b32 v7, v34, v2
	s_and_b64 vcc, s[30:31], vcc
	s_waitcnt lgkmcnt(1)
	v_cndmask_b32_e32 v6, 0, v6, vcc
	v_cmp_gt_u32_e32 vcc, 62, v33
	v_add_u32_e32 v3, v6, v3
	v_cndmask_b32_e64 v6, 0, 1, vcc
	v_lshlrev_b32_e32 v6, 1, v6
	v_add_lshl_u32 v35, v6, v25, 2
	s_waitcnt lgkmcnt(0)
	v_cndmask_b32_e64 v7, 0, v7, s[30:31]
	ds_bpermute_b32 v6, v35, v3
	v_add_u32_e32 v2, v7, v2
	ds_bpermute_b32 v7, v35, v2
	v_add_u32_e32 v36, 2, v33
	v_cmp_eq_u32_e32 vcc, 0, v2
	s_waitcnt lgkmcnt(1)
	v_cndmask_b32_e32 v6, 0, v6, vcc
	v_cmp_gt_u32_e32 vcc, v36, v5
	v_cndmask_b32_e64 v6, v6, 0, vcc
	v_add_u32_e32 v3, v6, v3
	s_waitcnt lgkmcnt(0)
	v_cndmask_b32_e64 v6, v7, 0, vcc
	v_cmp_gt_u32_e32 vcc, 60, v33
	v_cndmask_b32_e64 v7, 0, 1, vcc
	v_lshlrev_b32_e32 v7, 2, v7
	v_add_lshl_u32 v37, v7, v25, 2
	ds_bpermute_b32 v7, v37, v3
	v_add_u32_e32 v2, v2, v6
	ds_bpermute_b32 v6, v37, v2
	v_add_u32_e32 v38, 4, v33
	v_cmp_eq_u32_e32 vcc, 0, v2
	s_waitcnt lgkmcnt(1)
	v_cndmask_b32_e32 v7, 0, v7, vcc
	v_cmp_gt_u32_e32 vcc, v38, v5
	v_cndmask_b32_e64 v7, v7, 0, vcc
	s_waitcnt lgkmcnt(0)
	v_cndmask_b32_e64 v6, v6, 0, vcc
	v_cmp_gt_u32_e32 vcc, 56, v33
	v_add_u32_e32 v3, v3, v7
	v_cndmask_b32_e64 v7, 0, 1, vcc
	v_lshlrev_b32_e32 v7, 3, v7
	v_add_lshl_u32 v39, v7, v25, 2
	ds_bpermute_b32 v7, v39, v3
	v_add_u32_e32 v2, v2, v6
	ds_bpermute_b32 v6, v39, v2
	v_add_u32_e32 v40, 8, v33
	v_cmp_eq_u32_e32 vcc, 0, v2
	s_waitcnt lgkmcnt(1)
	v_cndmask_b32_e32 v7, 0, v7, vcc
	v_cmp_gt_u32_e32 vcc, v40, v5
	v_cndmask_b32_e64 v7, v7, 0, vcc
	s_waitcnt lgkmcnt(0)
	v_cndmask_b32_e64 v6, v6, 0, vcc
	v_cmp_gt_u32_e32 vcc, 48, v33
	v_add_u32_e32 v3, v3, v7
	;; [unrolled: 16-line block ×3, first 2 shown]
	v_cndmask_b32_e64 v7, 0, 1, vcc
	v_lshlrev_b32_e32 v7, 5, v7
	v_add_lshl_u32 v43, v7, v25, 2
	ds_bpermute_b32 v7, v43, v3
	v_add_u32_e32 v2, v2, v6
	ds_bpermute_b32 v6, v43, v2
	v_add_u32_e32 v44, 32, v33
	v_cmp_eq_u32_e32 vcc, 0, v2
	s_waitcnt lgkmcnt(1)
	v_cndmask_b32_e32 v7, 0, v7, vcc
	v_cmp_gt_u32_e32 vcc, v44, v5
	v_cndmask_b32_e64 v5, v7, 0, vcc
	v_add_u32_e32 v3, v5, v3
	s_waitcnt lgkmcnt(0)
	v_cndmask_b32_e64 v5, v6, 0, vcc
	v_add_u32_e32 v2, v5, v2
	v_mov_b32_e32 v25, 0
	s_branch .LBB375_73
.LBB375_72:                             ;   in Loop: Header=BB375_73 Depth=1
	s_or_b64 exec, exec, s[30:31]
	v_cmp_eq_u16_sdwa s[30:31], v4, v32 src0_sel:BYTE_0 src1_sel:DWORD
	v_and_b32_e32 v5, s31, v27
	v_or_b32_e32 v5, 0x80000000, v5
	v_and_b32_e32 v28, s30, v26
	v_ffbl_b32_e32 v5, v5
	v_add_u32_e32 v5, 32, v5
	v_ffbl_b32_e32 v28, v28
	v_min_u32_e32 v5, v28, v5
	ds_bpermute_b32 v28, v34, v3
	v_cmp_eq_u32_e32 vcc, 0, v2
	v_cmp_lt_u32_e64 s[30:31], v33, v5
	ds_bpermute_b32 v29, v34, v2
	s_and_b64 vcc, s[30:31], vcc
	s_waitcnt lgkmcnt(1)
	v_cndmask_b32_e32 v28, 0, v28, vcc
	v_add_u32_e32 v3, v28, v3
	ds_bpermute_b32 v28, v35, v3
	s_waitcnt lgkmcnt(1)
	v_cndmask_b32_e64 v29, 0, v29, s[30:31]
	v_add_u32_e32 v2, v29, v2
	v_cmp_eq_u32_e32 vcc, 0, v2
	ds_bpermute_b32 v29, v35, v2
	s_waitcnt lgkmcnt(1)
	v_cndmask_b32_e32 v28, 0, v28, vcc
	v_cmp_gt_u32_e32 vcc, v36, v5
	v_cndmask_b32_e64 v28, v28, 0, vcc
	v_add_u32_e32 v3, v28, v3
	ds_bpermute_b32 v28, v37, v3
	s_waitcnt lgkmcnt(1)
	v_cndmask_b32_e64 v29, v29, 0, vcc
	v_add_u32_e32 v2, v2, v29
	v_cmp_eq_u32_e32 vcc, 0, v2
	ds_bpermute_b32 v29, v37, v2
	s_waitcnt lgkmcnt(1)
	v_cndmask_b32_e32 v28, 0, v28, vcc
	v_cmp_gt_u32_e32 vcc, v38, v5
	v_cndmask_b32_e64 v28, v28, 0, vcc
	v_add_u32_e32 v3, v3, v28
	ds_bpermute_b32 v28, v39, v3
	s_waitcnt lgkmcnt(1)
	v_cndmask_b32_e64 v29, v29, 0, vcc
	v_add_u32_e32 v2, v2, v29
	ds_bpermute_b32 v29, v39, v2
	v_cmp_eq_u32_e32 vcc, 0, v2
	s_waitcnt lgkmcnt(1)
	v_cndmask_b32_e32 v28, 0, v28, vcc
	v_cmp_gt_u32_e32 vcc, v40, v5
	v_cndmask_b32_e64 v28, v28, 0, vcc
	v_add_u32_e32 v3, v3, v28
	ds_bpermute_b32 v28, v41, v3
	s_waitcnt lgkmcnt(1)
	v_cndmask_b32_e64 v29, v29, 0, vcc
	v_add_u32_e32 v2, v2, v29
	ds_bpermute_b32 v29, v41, v2
	v_cmp_eq_u32_e32 vcc, 0, v2
	;; [unrolled: 11-line block ×3, first 2 shown]
	s_waitcnt lgkmcnt(1)
	v_cndmask_b32_e32 v28, 0, v28, vcc
	v_cmp_gt_u32_e32 vcc, v44, v5
	v_cndmask_b32_e64 v5, v28, 0, vcc
	v_add_u32_e32 v3, v5, v3
	s_waitcnt lgkmcnt(0)
	v_cndmask_b32_e64 v5, v29, 0, vcc
	v_cmp_eq_u32_e32 vcc, 0, v6
	v_cndmask_b32_e32 v3, 0, v3, vcc
	v_subrev_u32_e32 v24, 64, v24
	v_add3_u32 v2, v2, v6, v5
	v_add_u32_e32 v3, v3, v7
.LBB375_73:                             ; =>This Loop Header: Depth=1
                                        ;     Child Loop BB375_76 Depth 2
	v_cmp_ne_u16_sdwa s[30:31], v4, v32 src0_sel:BYTE_0 src1_sel:DWORD
	v_mov_b32_e32 v7, v3
	v_cndmask_b32_e64 v3, 0, 1, s[30:31]
	;;#ASMSTART
	;;#ASMEND
	v_cmp_ne_u32_e32 vcc, 0, v3
	s_cmp_lg_u64 vcc, exec
	v_mov_b32_e32 v6, v2
	s_cbranch_scc1 .LBB375_78
; %bb.74:                               ;   in Loop: Header=BB375_73 Depth=1
	v_lshlrev_b64 v[2:3], 4, v[24:25]
	v_mov_b32_e32 v4, s37
	v_add_co_u32_e32 v28, vcc, s36, v2
	v_addc_co_u32_e32 v29, vcc, v4, v3, vcc
	;;#ASMSTART
	global_load_dwordx4 v[2:5], v[28:29] off glc	
s_waitcnt vmcnt(0)
	;;#ASMEND
	v_and_b32_e32 v5, 0xff, v3
	v_and_b32_e32 v45, 0xff00, v3
	v_or3_b32 v5, 0, v5, v45
	v_or3_b32 v2, v2, 0, 0
	v_and_b32_e32 v45, 0xff000000, v3
	v_and_b32_e32 v3, 0xff0000, v3
	v_or3_b32 v3, v5, v3, v45
	v_or3_b32 v2, v2, 0, 0
	v_cmp_eq_u16_sdwa s[54:55], v4, v25 src0_sel:BYTE_0 src1_sel:DWORD
	s_and_saveexec_b64 s[30:31], s[54:55]
	s_cbranch_execz .LBB375_72
; %bb.75:                               ;   in Loop: Header=BB375_73 Depth=1
	s_mov_b64 s[54:55], 0
.LBB375_76:                             ;   Parent Loop BB375_73 Depth=1
                                        ; =>  This Inner Loop Header: Depth=2
	;;#ASMSTART
	global_load_dwordx4 v[2:5], v[28:29] off glc	
s_waitcnt vmcnt(0)
	;;#ASMEND
	v_cmp_ne_u16_sdwa s[58:59], v4, v25 src0_sel:BYTE_0 src1_sel:DWORD
	s_or_b64 s[54:55], s[58:59], s[54:55]
	s_andn2_b64 exec, exec, s[54:55]
	s_cbranch_execnz .LBB375_76
; %bb.77:                               ;   in Loop: Header=BB375_73 Depth=1
	s_or_b64 exec, exec, s[54:55]
	s_branch .LBB375_72
.LBB375_78:                             ;   in Loop: Header=BB375_73 Depth=1
                                        ; implicit-def: $vgpr3
                                        ; implicit-def: $vgpr2
                                        ; implicit-def: $vgpr4
	s_cbranch_execz .LBB375_73
; %bb.79:
	s_and_saveexec_b64 s[30:31], s[26:27]
	s_cbranch_execz .LBB375_81
; %bb.80:
	s_cmp_eq_u32 s7, 0
	s_cselect_b64 vcc, -1, 0
	s_mov_b32 s55, 0
	v_cndmask_b32_e32 v2, 0, v7, vcc
	s_add_i32 s54, s6, 64
	v_add_u32_e32 v2, s56, v2
	s_lshl_b64 s[54:55], s[54:55], 4
	s_add_u32 s54, s36, s54
	v_and_b32_e32 v3, 0xff000000, v2
	v_and_b32_e32 v4, 0xff0000, v2
	s_addc_u32 s55, s37, s55
	v_or_b32_e32 v3, v4, v3
	v_and_b32_e32 v4, 0xff00, v2
	v_and_b32_e32 v2, 0xff, v2
	v_add_u32_e32 v24, s7, v6
	v_mov_b32_e32 v27, 0
	v_or3_b32 v25, v3, v4, v2
	v_mov_b32_e32 v26, 2
	v_pk_mov_b32 v[2:3], s[54:55], s[54:55] op_sel:[0,1]
	;;#ASMSTART
	global_store_dwordx4 v[2:3], v[24:27] off	
s_waitcnt vmcnt(0)
	;;#ASMEND
	v_mov_b32_e32 v4, s7
	v_mov_b32_e32 v5, s56
	ds_write_b128 v27, v[4:7] offset:2048
.LBB375_81:
	s_or_b64 exec, exec, s[30:31]
	v_cmp_eq_u32_e32 vcc, 0, v0
	s_and_b64 exec, exec, vcc
	s_cbranch_execz .LBB375_83
; %bb.82:
	v_mov_b32_e32 v2, 0
	ds_write_b64 v2, v[6:7] offset:2088
.LBB375_83:
	s_or_b64 exec, exec, s[44:45]
	v_mov_b32_e32 v4, 0
	s_waitcnt lgkmcnt(0)
	s_barrier
	ds_read_b64 v[2:3], v4 offset:2088
	v_cndmask_b32_e64 v6, v30, v22, s[26:27]
	v_cmp_eq_u32_e32 vcc, 0, v6
	v_cndmask_b32_e64 v5, v31, v23, s[26:27]
	s_waitcnt lgkmcnt(0)
	v_cndmask_b32_e32 v7, 0, v3, vcc
	v_add_u32_e32 v5, v7, v5
	v_cmp_eq_u32_e32 vcc, 0, v0
	v_cndmask_b32_e32 v51, v5, v3, vcc
	v_cndmask_b32_e64 v3, v6, 0, vcc
	v_cmp_eq_u32_e32 vcc, 0, v68
	v_add_u32_e32 v50, v2, v3
	v_cndmask_b32_e32 v2, 0, v51, vcc
	v_add_u32_e32 v49, v2, v52
	v_cndmask_b32_e64 v2, 0, v49, s[24:25]
	v_add_u32_e32 v47, v2, v52
	v_cndmask_b32_e64 v2, 0, v47, s[22:23]
	;; [unrolled: 2-line block ×8, first 2 shown]
	v_add_u32_e32 v48, v50, v68
	v_add_u32_e32 v33, v2, v52
	v_add_u32_e32 v46, v48, v67
	v_cndmask_b32_e64 v2, 0, v33, s[8:9]
	v_add_u32_e32 v44, v46, v66
	v_add_u32_e32 v31, v2, v52
	v_add_u32_e32 v42, v44, v65
	v_cndmask_b32_e64 v2, 0, v31, s[28:29]
	;; [unrolled: 4-line block ×3, first 2 shown]
	v_add_u32_e32 v36, v38, v62
	v_add_u32_e32 v27, v2, v52
	s_barrier
	ds_read_b128 v[2:5], v4 offset:2048
	v_add_u32_e32 v34, v36, v61
	v_add_u32_e32 v32, v34, v60
	v_add_u32_e32 v30, v32, v59
	v_add_u32_e32 v28, v30, v58
	v_cndmask_b32_e64 v6, 0, v27, s[2:3]
	v_add_u32_e32 v26, v28, v57
	v_add_u32_e32 v23, v6, v52
	s_waitcnt lgkmcnt(0)
	v_cmp_eq_u32_e32 vcc, 0, v2
	v_add_u32_e32 v22, v26, v56
	v_cndmask_b32_e64 v6, 0, v23, s[0:1]
	v_cndmask_b32_e32 v5, 0, v5, vcc
	v_add_u32_e32 v24, v22, v55
	v_add_u32_e32 v25, v6, v52
	;; [unrolled: 1-line block ×3, first 2 shown]
	s_branch .LBB375_96
.LBB375_84:
                                        ; implicit-def: $vgpr2
                                        ; implicit-def: $vgpr6
                                        ; implicit-def: $vgpr24_vgpr25
                                        ; implicit-def: $vgpr22_vgpr23
                                        ; implicit-def: $vgpr26_vgpr27
                                        ; implicit-def: $vgpr28_vgpr29
                                        ; implicit-def: $vgpr50_vgpr51
                                        ; implicit-def: $vgpr48_vgpr49
                                        ; implicit-def: $vgpr46_vgpr47
                                        ; implicit-def: $vgpr44_vgpr45
                                        ; implicit-def: $vgpr42_vgpr43
                                        ; implicit-def: $vgpr40_vgpr41
                                        ; implicit-def: $vgpr38_vgpr39
                                        ; implicit-def: $vgpr36_vgpr37
                                        ; implicit-def: $vgpr34_vgpr35
                                        ; implicit-def: $vgpr32_vgpr33
                                        ; implicit-def: $vgpr30_vgpr31
	s_cbranch_execz .LBB375_96
; %bb.85:
	s_and_b64 s[0:1], s[38:39], exec
	s_cselect_b32 s1, 0, s53
	s_cselect_b32 s0, 0, s52
	s_cmp_eq_u64 s[0:1], 0
	v_mov_b32_e32 v6, v52
	s_cbranch_scc1 .LBB375_87
; %bb.86:
	v_mov_b32_e32 v2, 0
	global_load_dword v6, v2, s[0:1]
.LBB375_87:
	v_cmp_eq_u32_e64 s[0:1], 0, v67
	v_cndmask_b32_e64 v2, 0, v52, s[0:1]
	v_add_u32_e32 v2, v2, v52
	v_cmp_eq_u32_e64 s[2:3], 0, v66
	v_cndmask_b32_e64 v2, 0, v2, s[2:3]
	v_add_u32_e32 v2, v2, v52
	;; [unrolled: 3-line block ×11, first 2 shown]
	v_cmp_eq_u32_e64 s[22:23], 0, v56
	v_cndmask_b32_e64 v2, 0, v2, s[22:23]
	v_add3_u32 v3, v72, v63, v62
	v_add_u32_e32 v2, v2, v52
	v_cmp_eq_u32_e32 vcc, 0, v55
	v_add3_u32 v3, v3, v61, v60
	v_cndmask_b32_e32 v2, 0, v2, vcc
	v_add3_u32 v3, v3, v59, v58
	v_add_u32_e32 v2, v2, v52
	v_cmp_eq_u32_e64 s[24:25], 0, v54
	v_add3_u32 v3, v3, v57, v56
	v_cndmask_b32_e64 v2, 0, v2, s[24:25]
	v_add3_u32 v3, v3, v55, v54
	v_add_u32_e32 v2, v2, v53
	v_mbcnt_hi_u32_b32 v7, -1, v71
	v_and_b32_e32 v4, 15, v7
	v_mov_b32_dpp v22, v2 row_shr:1 row_mask:0xf bank_mask:0xf
	v_cmp_eq_u32_e64 s[24:25], 0, v3
	v_mov_b32_dpp v5, v3 row_shr:1 row_mask:0xf bank_mask:0xf
	v_cndmask_b32_e64 v22, 0, v22, s[24:25]
	v_cmp_eq_u32_e64 s[24:25], 0, v4
	v_cndmask_b32_e64 v5, v5, 0, s[24:25]
	v_add_u32_e32 v3, v5, v3
	v_cndmask_b32_e64 v5, v22, 0, s[24:25]
	v_add_u32_e32 v2, v5, v2
	v_cmp_eq_u32_e64 s[24:25], 0, v3
	v_mov_b32_dpp v5, v3 row_shr:2 row_mask:0xf bank_mask:0xf
	v_cmp_lt_u32_e64 s[26:27], 1, v4
	v_mov_b32_dpp v22, v2 row_shr:2 row_mask:0xf bank_mask:0xf
	v_cndmask_b32_e64 v5, 0, v5, s[26:27]
	s_and_b64 s[24:25], s[26:27], s[24:25]
	v_cndmask_b32_e64 v22, 0, v22, s[24:25]
	v_add_u32_e32 v3, v3, v5
	v_add_u32_e32 v2, v22, v2
	v_cmp_eq_u32_e64 s[24:25], 0, v3
	v_mov_b32_dpp v5, v3 row_shr:4 row_mask:0xf bank_mask:0xf
	v_cmp_lt_u32_e64 s[26:27], 3, v4
	v_mov_b32_dpp v22, v2 row_shr:4 row_mask:0xf bank_mask:0xf
	v_cndmask_b32_e64 v5, 0, v5, s[26:27]
	s_and_b64 s[24:25], s[26:27], s[24:25]
	v_cndmask_b32_e64 v22, 0, v22, s[24:25]
	v_add_u32_e32 v3, v5, v3
	v_add_u32_e32 v2, v2, v22
	v_cmp_eq_u32_e64 s[24:25], 0, v3
	v_cmp_lt_u32_e64 s[26:27], 7, v4
	v_mov_b32_dpp v5, v3 row_shr:8 row_mask:0xf bank_mask:0xf
	v_mov_b32_dpp v22, v2 row_shr:8 row_mask:0xf bank_mask:0xf
	s_and_b64 s[24:25], s[26:27], s[24:25]
	v_cndmask_b32_e64 v4, 0, v5, s[26:27]
	v_cndmask_b32_e64 v5, 0, v22, s[24:25]
	v_add_u32_e32 v2, v5, v2
	v_add_u32_e32 v3, v4, v3
	v_bfe_i32 v22, v7, 4, 1
	v_mov_b32_dpp v5, v2 row_bcast:15 row_mask:0xf bank_mask:0xf
	v_mov_b32_dpp v4, v3 row_bcast:15 row_mask:0xf bank_mask:0xf
	v_cmp_eq_u32_e64 s[24:25], 0, v3
	v_cndmask_b32_e64 v5, 0, v5, s[24:25]
	v_and_b32_e32 v4, v22, v4
	v_add_u32_e32 v3, v4, v3
	v_and_b32_e32 v4, v22, v5
	v_add_u32_e32 v4, v4, v2
	v_mov_b32_dpp v2, v3 row_bcast:31 row_mask:0xf bank_mask:0xf
	v_cmp_eq_u32_e64 s[24:25], 0, v3
	v_cmp_lt_u32_e64 s[26:27], 31, v7
	v_mov_b32_dpp v5, v4 row_bcast:31 row_mask:0xf bank_mask:0xf
	v_cndmask_b32_e64 v2, 0, v2, s[26:27]
	s_and_b64 s[24:25], s[26:27], s[24:25]
	v_add_u32_e32 v2, v2, v3
	v_cndmask_b32_e64 v3, 0, v5, s[24:25]
	v_add_u32_e32 v3, v3, v4
	v_cmp_eq_u32_e64 s[24:25], v70, v0
	v_lshlrev_b32_e32 v5, 3, v69
	s_and_saveexec_b64 s[26:27], s[24:25]
	s_cbranch_execz .LBB375_89
; %bb.88:
	ds_write_b64 v5, v[2:3] offset:2064
.LBB375_89:
	s_or_b64 exec, exec, s[26:27]
	v_cmp_gt_u32_e64 s[24:25], 4, v0
	s_waitcnt lgkmcnt(0)
	s_barrier
	s_and_saveexec_b64 s[28:29], s[24:25]
	s_cbranch_execz .LBB375_91
; %bb.90:
	v_lshlrev_b32_e32 v4, 3, v0
	ds_read_b64 v[22:23], v4 offset:2064
	v_and_b32_e32 v24, 3, v7
	v_cmp_lt_u32_e64 s[26:27], 1, v24
	s_waitcnt lgkmcnt(0)
	v_mov_b32_dpp v26, v23 row_shr:1 row_mask:0xf bank_mask:0xf
	v_cmp_eq_u32_e64 s[24:25], 0, v22
	v_mov_b32_dpp v25, v22 row_shr:1 row_mask:0xf bank_mask:0xf
	v_cndmask_b32_e64 v26, 0, v26, s[24:25]
	v_cmp_eq_u32_e64 s[24:25], 0, v24
	v_cndmask_b32_e64 v25, v25, 0, s[24:25]
	v_add_u32_e32 v22, v25, v22
	v_cndmask_b32_e64 v25, v26, 0, s[24:25]
	v_add_u32_e32 v23, v25, v23
	v_cmp_eq_u32_e64 s[24:25], 0, v22
	v_mov_b32_dpp v25, v22 row_shr:2 row_mask:0xf bank_mask:0xf
	v_mov_b32_dpp v26, v23 row_shr:2 row_mask:0xf bank_mask:0xf
	v_cndmask_b32_e64 v24, 0, v25, s[26:27]
	s_and_b64 s[24:25], s[26:27], s[24:25]
	v_add_u32_e32 v22, v24, v22
	v_cndmask_b32_e64 v24, 0, v26, s[24:25]
	v_add_u32_e32 v23, v24, v23
	ds_write_b64 v4, v[22:23] offset:2064
.LBB375_91:
	s_or_b64 exec, exec, s[28:29]
	v_cmp_lt_u32_e64 s[24:25], 63, v0
	v_mov_b32_e32 v23, 0
	v_mov_b32_e32 v4, 0
	s_waitcnt vmcnt(0)
	v_mov_b32_e32 v22, v6
	s_waitcnt lgkmcnt(0)
	s_barrier
	s_and_saveexec_b64 s[26:27], s[24:25]
	s_cbranch_execz .LBB375_93
; %bb.92:
	ds_read_b64 v[4:5], v5 offset:2056
	s_waitcnt lgkmcnt(0)
	v_cmp_eq_u32_e64 s[24:25], 0, v4
	v_cndmask_b32_e64 v22, 0, v6, s[24:25]
	v_add_u32_e32 v22, v22, v5
.LBB375_93:
	s_or_b64 exec, exec, s[26:27]
	v_cmp_eq_u32_e64 s[24:25], 0, v2
	v_add_u32_e32 v5, v4, v2
	v_cndmask_b32_e64 v2, 0, v22, s[24:25]
	v_add_u32_e32 v2, v2, v3
	v_add_u32_e32 v3, -1, v7
	v_and_b32_e32 v24, 64, v7
	v_cmp_lt_i32_e64 s[24:25], v3, v24
	v_cndmask_b32_e64 v3, v3, v7, s[24:25]
	v_lshlrev_b32_e32 v3, 2, v3
	ds_bpermute_b32 v5, v3, v5
	ds_bpermute_b32 v2, v3, v2
	v_cmp_eq_u32_e64 s[24:25], 0, v7
	v_cmp_eq_u32_e64 s[26:27], 0, v68
	s_waitcnt lgkmcnt(1)
	v_cndmask_b32_e64 v3, v5, v4, s[24:25]
	s_waitcnt lgkmcnt(0)
	v_cndmask_b32_e64 v2, v2, v22, s[24:25]
	v_cmp_eq_u32_e64 s[24:25], 0, v0
	v_cndmask_b32_e64 v51, v2, v6, s[24:25]
	v_cndmask_b32_e64 v2, 0, v51, s[26:27]
	v_add_u32_e32 v49, v2, v52
	v_cndmask_b32_e64 v2, 0, v49, s[0:1]
	v_add_u32_e32 v47, v2, v52
	v_cndmask_b32_e64 v2, 0, v47, s[2:3]
	v_add_u32_e32 v45, v2, v52
	v_cndmask_b32_e64 v2, 0, v45, s[4:5]
	v_add_u32_e32 v43, v2, v52
	v_cndmask_b32_e64 v2, 0, v43, s[6:7]
	v_add_u32_e32 v41, v2, v52
	v_cndmask_b32_e64 v2, 0, v41, s[8:9]
	v_add_u32_e32 v39, v2, v52
	v_cndmask_b32_e64 v2, 0, v39, s[10:11]
	v_add_u32_e32 v37, v2, v52
	v_cndmask_b32_e64 v2, 0, v37, s[12:13]
	v_add_u32_e32 v35, v2, v52
	v_cndmask_b32_e64 v50, v3, 0, s[24:25]
	v_cndmask_b32_e64 v2, 0, v35, s[14:15]
	v_add_u32_e32 v48, v50, v68
	v_add_u32_e32 v33, v2, v52
	v_add_u32_e32 v46, v48, v67
	v_cndmask_b32_e64 v2, 0, v33, s[16:17]
	v_add_u32_e32 v44, v46, v66
	v_add_u32_e32 v31, v2, v52
	v_add_u32_e32 v42, v44, v65
	;; [unrolled: 4-line block ×3, first 2 shown]
	v_cndmask_b32_e64 v2, 0, v29, s[20:21]
	v_add_u32_e32 v36, v38, v62
	v_add_u32_e32 v27, v2, v52
	ds_read_b64 v[2:3], v23 offset:2088
	v_add_u32_e32 v34, v36, v61
	v_add_u32_e32 v32, v34, v60
	;; [unrolled: 1-line block ×3, first 2 shown]
	v_cndmask_b32_e64 v4, 0, v27, s[22:23]
	v_add_u32_e32 v28, v30, v58
	v_add_u32_e32 v23, v4, v52
	;; [unrolled: 1-line block ×3, first 2 shown]
	v_cndmask_b32_e32 v4, 0, v23, vcc
	s_waitcnt lgkmcnt(0)
	v_cmp_eq_u32_e32 vcc, 0, v2
	v_add_u32_e32 v22, v26, v56
	v_add_u32_e32 v25, v4, v52
	v_cndmask_b32_e32 v4, 0, v6, vcc
	v_add_u32_e32 v24, v22, v55
	v_add_u32_e32 v6, v4, v3
	s_and_saveexec_b64 s[0:1], s[24:25]
	s_cbranch_execz .LBB375_95
; %bb.94:
	s_add_u32 s2, s36, 0x400
	v_and_b32_e32 v3, 0xff000000, v6
	v_and_b32_e32 v4, 0xff0000, v6
	s_addc_u32 s3, s37, 0
	v_or_b32_e32 v3, v4, v3
	v_and_b32_e32 v4, 0xff00, v6
	v_and_b32_e32 v7, 0xff, v6
	v_mov_b32_e32 v5, 0
	v_or3_b32 v3, v3, v4, v7
	v_mov_b32_e32 v4, 2
	v_pk_mov_b32 v[52:53], s[2:3], s[2:3] op_sel:[0,1]
	;;#ASMSTART
	global_store_dwordx4 v[52:53], v[2:5] off	
s_waitcnt vmcnt(0)
	;;#ASMEND
.LBB375_95:
	s_or_b64 exec, exec, s[0:1]
	v_mov_b32_e32 v4, 0
.LBB375_96:
	s_and_b64 s[0:1], s[38:39], exec
	s_cselect_b32 s1, 0, s47
	s_cselect_b32 s0, 0, s46
	s_cmp_eq_u64 s[0:1], 0
	v_pk_mov_b32 v[52:53], 0, 0
	s_waitcnt lgkmcnt(0)
	s_barrier
	s_cbranch_scc1 .LBB375_98
; %bb.97:
	v_mov_b32_e32 v3, 0
	global_load_dwordx2 v[52:53], v3, s[0:1]
.LBB375_98:
	s_waitcnt vmcnt(0)
	v_lshlrev_b64 v[70:71], 2, v[52:53]
	v_mov_b32_e32 v3, s41
	v_add_co_u32_e32 v7, vcc, s40, v70
	v_mov_b32_e32 v5, 0
	v_addc_co_u32_e32 v69, vcc, v3, v71, vcc
	v_lshlrev_b64 v[70:71], 2, v[4:5]
	v_add_co_u32_e32 v3, vcc, v7, v70
	v_addc_co_u32_e32 v7, vcc, v69, v71, vcc
	v_cmp_eq_u32_e32 vcc, 0, v68
	v_cndmask_b32_e64 v69, 1, 2, vcc
	v_cmp_eq_u32_e32 vcc, 0, v67
	v_cndmask_b32_e64 v70, 1, 2, vcc
	v_cmp_eq_u32_e32 vcc, 0, v66
	v_and_b32_e32 v69, v70, v69
	v_cndmask_b32_e64 v70, 1, 2, vcc
	v_cmp_eq_u32_e32 vcc, 0, v65
	v_and_b32_e32 v69, v69, v70
	;; [unrolled: 3-line block ×13, first 2 shown]
	v_cndmask_b32_e64 v70, 1, 2, vcc
	s_movk_i32 s30, 0x100
	v_and_b32_e32 v69, v69, v70
	v_cmp_gt_u32_e32 vcc, s30, v2
	v_cmp_ne_u32_e64 s[28:29], 0, v68
	v_cmp_ne_u32_e64 s[26:27], 0, v67
	;; [unrolled: 1-line block ×15, first 2 shown]
	s_mov_b64 s[36:37], -1
	v_cmp_gt_i16_e64 s[30:31], 2, v69
	s_cbranch_vccz .LBB375_105
; %bb.99:
	s_and_saveexec_b64 s[36:37], s[30:31]
	s_cbranch_execz .LBB375_104
; %bb.100:
	v_cmp_ne_u16_e32 vcc, 1, v69
	s_mov_b64 s[38:39], 0
	s_and_saveexec_b64 s[30:31], vcc
	s_xor_b64 s[30:31], exec, s[30:31]
	s_cbranch_execnz .LBB375_149
; %bb.101:
	s_andn2_saveexec_b64 s[30:31], s[30:31]
	s_cbranch_execnz .LBB375_165
.LBB375_102:
	s_or_b64 exec, exec, s[30:31]
	s_and_b64 exec, exec, s[38:39]
	s_cbranch_execz .LBB375_104
.LBB375_103:
	v_sub_u32_e32 v70, v24, v4
	v_mov_b32_e32 v71, 0
	v_lshlrev_b64 v[70:71], 2, v[70:71]
	v_add_co_u32_e32 v70, vcc, v3, v70
	v_addc_co_u32_e32 v71, vcc, v7, v71, vcc
	global_store_dword v[70:71], v1, off
.LBB375_104:
	s_or_b64 exec, exec, s[36:37]
	s_mov_b64 s[36:37], 0
.LBB375_105:
	s_and_b64 vcc, exec, s[36:37]
	s_cbranch_vccz .LBB375_127
; %bb.106:
	v_cmp_gt_i16_e32 vcc, 2, v69
	s_and_saveexec_b64 s[30:31], vcc
	s_cbranch_execz .LBB375_111
; %bb.107:
	v_cmp_ne_u16_e32 vcc, 1, v69
	s_mov_b64 s[38:39], 0
	s_and_saveexec_b64 s[36:37], vcc
	s_xor_b64 s[36:37], exec, s[36:37]
	s_cbranch_execnz .LBB375_166
; %bb.108:
	s_andn2_saveexec_b64 s[0:1], s[36:37]
	s_cbranch_execnz .LBB375_182
.LBB375_109:
	s_or_b64 exec, exec, s[0:1]
	s_and_b64 exec, exec, s[38:39]
	s_cbranch_execz .LBB375_111
.LBB375_110:
	v_sub_u32_e32 v8, v24, v4
	v_lshlrev_b32_e32 v8, 2, v8
	ds_write_b32 v8, v1
.LBB375_111:
	s_or_b64 exec, exec, s[30:31]
	v_cmp_lt_u32_e32 vcc, v0, v2
	s_waitcnt lgkmcnt(0)
	s_barrier
	s_and_saveexec_b64 s[2:3], vcc
	s_cbranch_execz .LBB375_126
; %bb.112:
	v_xad_u32 v1, v0, -1, v2
	s_movk_i32 s0, 0x1700
	v_cmp_gt_u32_e64 s[4:5], s0, v1
	s_movk_i32 s0, 0x16ff
	v_cmp_lt_u32_e32 vcc, s0, v1
	v_mov_b32_e32 v8, v0
	s_and_saveexec_b64 s[6:7], vcc
	s_cbranch_execz .LBB375_123
; %bb.113:
	v_sub_u32_e32 v8, v0, v2
	v_or_b32_e32 v8, 0xff, v8
	v_cmp_ge_u32_e32 vcc, v8, v0
	s_mov_b64 s[0:1], -1
	v_mov_b32_e32 v8, v0
	s_and_saveexec_b64 s[8:9], vcc
	s_cbranch_execz .LBB375_122
; %bb.114:
	v_lshrrev_b32_e32 v12, 8, v1
	v_add_u32_e32 v8, -1, v12
	v_or_b32_e32 v1, 0x100, v0
	v_lshrrev_b32_e32 v9, 1, v8
	v_add_u32_e32 v13, 1, v9
	v_cmp_lt_u32_e32 vcc, 13, v8
	v_mov_b32_e32 v16, 0
	v_pk_mov_b32 v[8:9], v[0:1], v[0:1] op_sel:[0,1]
	s_and_saveexec_b64 s[10:11], vcc
	s_cbranch_execz .LBB375_118
; %bb.115:
	v_and_b32_e32 v14, -8, v13
	v_lshlrev_b32_e32 v15, 2, v0
	s_mov_b32 s14, 0
	s_mov_b64 s[12:13], 0
	v_mov_b32_e32 v11, 0
	v_pk_mov_b32 v[8:9], v[0:1], v[0:1] op_sel:[0,1]
.LBB375_116:                            ; =>This Inner Loop Header: Depth=1
	v_mov_b32_e32 v10, v8
	v_add_u32_e32 v14, -8, v14
	v_lshlrev_b64 v[94:95], 2, v[10:11]
	v_mov_b32_e32 v10, v9
	ds_read2st64_b32 v[18:19], v15 offset1:4
	s_add_i32 s14, s14, 16
	v_cmp_eq_u32_e32 vcc, 0, v14
	v_lshlrev_b64 v[98:99], 2, v[10:11]
	v_add_u32_e32 v10, 0x200, v8
	s_or_b64 s[12:13], vcc, s[12:13]
	v_add_co_u32_e32 v98, vcc, v3, v98
	v_add_u32_e32 v16, 0x200, v9
	ds_read2st64_b32 v[20:21], v15 offset0:8 offset1:12
	v_mov_b32_e32 v17, v11
	ds_read2st64_b32 v[72:73], v15 offset0:16 offset1:20
	v_add_co_u32_e64 v94, s[0:1], v3, v94
	v_addc_co_u32_e32 v99, vcc, v7, v99, vcc
	v_lshlrev_b64 v[100:101], 2, v[10:11]
	v_lshlrev_b64 v[96:97], 2, v[16:17]
	v_addc_co_u32_e64 v95, s[0:1], v7, v95, s[0:1]
	v_add_u32_e32 v10, 0x400, v8
	v_add_co_u32_e32 v100, vcc, v3, v100
	v_add_u32_e32 v70, 0x400, v9
	v_mov_b32_e32 v71, v11
	ds_read2st64_b32 v[76:77], v15 offset0:24 offset1:28
	v_add_co_u32_e64 v96, s[0:1], v3, v96
	v_addc_co_u32_e32 v101, vcc, v7, v101, vcc
	v_lshlrev_b64 v[102:103], 2, v[10:11]
	ds_read2st64_b32 v[80:81], v15 offset0:32 offset1:36
	ds_read2st64_b32 v[84:85], v15 offset0:40 offset1:44
	ds_read2st64_b32 v[88:89], v15 offset0:48 offset1:52
	ds_read2st64_b32 v[92:93], v15 offset0:56 offset1:60
	v_lshlrev_b64 v[70:71], 2, v[70:71]
	v_addc_co_u32_e64 v97, s[0:1], v7, v97, s[0:1]
	v_add_u32_e32 v10, 0x600, v8
	s_waitcnt lgkmcnt(7)
	global_store_dword v[94:95], v18, off
	global_store_dword v[98:99], v19, off
	s_waitcnt lgkmcnt(6)
	global_store_dword v[100:101], v20, off
	global_store_dword v[96:97], v21, off
	v_add_co_u32_e32 v18, vcc, v3, v102
	v_add_u32_e32 v74, 0x600, v9
	v_mov_b32_e32 v75, v11
	v_add_co_u32_e64 v70, s[0:1], v3, v70
	v_addc_co_u32_e32 v19, vcc, v7, v103, vcc
	v_lshlrev_b64 v[20:21], 2, v[10:11]
	v_lshlrev_b64 v[74:75], 2, v[74:75]
	v_addc_co_u32_e64 v71, s[0:1], v7, v71, s[0:1]
	v_add_u32_e32 v10, 0x800, v8
	s_waitcnt lgkmcnt(5)
	global_store_dword v[18:19], v72, off
	global_store_dword v[70:71], v73, off
	v_add_co_u32_e32 v18, vcc, v3, v20
	v_add_u32_e32 v78, 0x800, v9
	v_mov_b32_e32 v79, v11
	v_add_co_u32_e64 v74, s[0:1], v3, v74
	v_addc_co_u32_e32 v19, vcc, v7, v21, vcc
	v_lshlrev_b64 v[20:21], 2, v[10:11]
	v_lshlrev_b64 v[78:79], 2, v[78:79]
	v_addc_co_u32_e64 v75, s[0:1], v7, v75, s[0:1]
	v_add_u32_e32 v10, 0xa00, v8
	;; [unrolled: 12-line block ×4, first 2 shown]
	s_waitcnt lgkmcnt(2)
	global_store_dword v[18:19], v84, off
	global_store_dword v[82:83], v85, off
	v_add_co_u32_e32 v18, vcc, v3, v20
	v_add_u32_e32 v90, 0xe00, v9
	v_mov_b32_e32 v91, v11
	v_add_co_u32_e64 v86, s[0:1], v3, v86
	v_addc_co_u32_e32 v19, vcc, v7, v21, vcc
	v_lshlrev_b64 v[20:21], 2, v[10:11]
	v_lshlrev_b64 v[90:91], 2, v[90:91]
	v_addc_co_u32_e64 v87, s[0:1], v7, v87, s[0:1]
	s_waitcnt lgkmcnt(1)
	global_store_dword v[18:19], v88, off
	global_store_dword v[86:87], v89, off
	v_add_co_u32_e32 v18, vcc, v3, v20
	v_add_u32_e32 v15, 0x4000, v15
	v_add_u32_e32 v9, 0x1000, v9
	v_mov_b32_e32 v16, s14
	v_add_co_u32_e64 v90, s[0:1], v3, v90
	v_add_u32_e32 v8, 0x1000, v8
	v_addc_co_u32_e32 v19, vcc, v7, v21, vcc
	v_addc_co_u32_e64 v91, s[0:1], v7, v91, s[0:1]
	s_waitcnt lgkmcnt(0)
	global_store_dword v[18:19], v92, off
	global_store_dword v[90:91], v93, off
	s_andn2_b64 exec, exec, s[12:13]
	s_cbranch_execnz .LBB375_116
; %bb.117:
	s_or_b64 exec, exec, s[12:13]
.LBB375_118:
	s_or_b64 exec, exec, s[10:11]
	v_and_b32_e32 v1, 7, v13
	v_cmp_ne_u32_e32 vcc, 0, v1
	s_and_saveexec_b64 s[10:11], vcc
	s_cbranch_execz .LBB375_121
; %bb.119:
	v_lshlrev_b32_e32 v10, 2, v0
	v_lshl_or_b32 v13, v16, 10, v10
	s_mov_b64 s[12:13], 0
	v_mov_b32_e32 v11, 0
.LBB375_120:                            ; =>This Inner Loop Header: Depth=1
	ds_read2st64_b32 v[14:15], v13 offset1:4
	v_mov_b32_e32 v10, v8
	v_add_u32_e32 v1, -1, v1
	v_lshlrev_b64 v[16:17], 2, v[10:11]
	v_mov_b32_e32 v10, v9
	v_cmp_eq_u32_e32 vcc, 0, v1
	v_add_co_u32_e64 v16, s[0:1], v3, v16
	v_lshlrev_b64 v[18:19], 2, v[10:11]
	v_add_u32_e32 v8, 0x200, v8
	v_add_u32_e32 v13, 0x800, v13
	;; [unrolled: 1-line block ×3, first 2 shown]
	v_addc_co_u32_e64 v17, s[0:1], v7, v17, s[0:1]
	s_or_b64 s[12:13], vcc, s[12:13]
	v_add_co_u32_e32 v18, vcc, v3, v18
	v_addc_co_u32_e32 v19, vcc, v7, v19, vcc
	s_waitcnt lgkmcnt(0)
	global_store_dword v[16:17], v14, off
	global_store_dword v[18:19], v15, off
	s_andn2_b64 exec, exec, s[12:13]
	s_cbranch_execnz .LBB375_120
.LBB375_121:
	s_or_b64 exec, exec, s[10:11]
	v_add_u32_e32 v1, 1, v12
	v_and_b32_e32 v9, 0x1fffffe, v1
	v_cmp_ne_u32_e32 vcc, v1, v9
	v_lshl_or_b32 v8, v9, 8, v0
	s_orn2_b64 s[0:1], vcc, exec
.LBB375_122:
	s_or_b64 exec, exec, s[8:9]
	s_andn2_b64 s[4:5], s[4:5], exec
	s_and_b64 s[0:1], s[0:1], exec
	s_or_b64 s[4:5], s[4:5], s[0:1]
.LBB375_123:
	s_or_b64 exec, exec, s[6:7]
	s_and_b64 exec, exec, s[4:5]
	s_cbranch_execz .LBB375_126
; %bb.124:
	v_lshlrev_b32_e32 v1, 2, v8
	s_mov_b64 s[0:1], 0
	v_mov_b32_e32 v9, 0
.LBB375_125:                            ; =>This Inner Loop Header: Depth=1
	ds_read_b32 v12, v1
	v_lshlrev_b64 v[10:11], 2, v[8:9]
	v_add_co_u32_e32 v10, vcc, v3, v10
	v_add_u32_e32 v8, 0x100, v8
	v_addc_co_u32_e32 v11, vcc, v7, v11, vcc
	v_cmp_ge_u32_e32 vcc, v8, v2
	v_add_u32_e32 v1, 0x400, v1
	s_or_b64 s[0:1], vcc, s[0:1]
	s_waitcnt lgkmcnt(0)
	global_store_dword v[10:11], v12, off
	s_andn2_b64 exec, exec, s[0:1]
	s_cbranch_execnz .LBB375_125
.LBB375_126:
	s_or_b64 exec, exec, s[2:3]
.LBB375_127:
	s_cmpk_lg_i32 s33, 0xf00
	s_cselect_b64 s[0:1], -1, 0
	v_cndmask_b32_e64 v11, 0, 1, s[50:51]
	s_and_b64 s[0:1], s[48:49], s[0:1]
	v_cmp_eq_u32_e32 vcc, 0, v0
	v_sub_u32_e32 v1, v2, v11
	v_cndmask_b32_e64 v3, 0, 1, s[0:1]
	s_and_b64 s[0:1], vcc, s[50:51]
	v_add_u32_e32 v1, v1, v3
	v_cndmask_b32_e64 v3, v68, 0, s[0:1]
	s_mul_hi_u32 s0, s33, 0x88888889
	s_lshr_b32 s0, s0, 3
	v_mad_i32_i24 v7, v0, -15, s33
	v_cmp_eq_u32_e32 vcc, s0, v0
	v_cmp_ne_u32_e64 s[0:1], 0, v7
	v_cndmask_b32_e64 v8, 1, v3, s[0:1]
	v_cmp_ne_u32_e64 s[0:1], 1, v7
	v_cndmask_b32_e64 v9, 1, v67, s[0:1]
	;; [unrolled: 2-line block ×14, first 2 shown]
	v_cmp_ne_u32_e64 s[0:1], 14, v7
	s_and_b64 vcc, s[48:49], vcc
	v_cndmask_b32_e64 v7, 1, v54, s[0:1]
	v_cndmask_b32_e32 v20, v57, v20, vcc
	v_cndmask_b32_e32 v19, v58, v19, vcc
	;; [unrolled: 1-line block ×4, first 2 shown]
	v_lshlrev_b64 v[8:9], 3, v[52:53]
	v_cndmask_b32_e32 v54, v54, v7, vcc
	v_cndmask_b32_e32 v55, v55, v68, vcc
	;; [unrolled: 1-line block ×11, first 2 shown]
	v_mov_b32_e32 v3, s43
	v_add_co_u32_e32 v7, vcc, s42, v8
	v_addc_co_u32_e32 v3, vcc, v3, v9, vcc
	v_lshlrev_b64 v[8:9], 3, v[4:5]
	v_add_co_u32_e32 v5, vcc, v7, v8
	v_addc_co_u32_e32 v10, vcc, v3, v9, vcc
	v_lshlrev_b32_e32 v3, 3, v11
	v_add_co_u32_e32 v3, vcc, v3, v5
	v_addc_co_u32_e32 v7, vcc, 0, v10, vcc
	v_add_co_u32_e32 v3, vcc, -8, v3
	v_addc_co_u32_e32 v7, vcc, -1, v7, vcc
	v_cmp_eq_u32_e32 vcc, 0, v58
	v_cndmask_b32_e64 v9, 1, 2, vcc
	v_cmp_eq_u32_e32 vcc, 0, v57
	v_add_u32_e32 v8, v4, v11
	v_cndmask_b32_e64 v11, 1, 2, vcc
	v_cmp_eq_u32_e32 vcc, 0, v56
	v_and_b32_e32 v9, v11, v9
	v_cndmask_b32_e64 v11, 1, 2, vcc
	v_cmp_eq_u32_e32 vcc, 0, v12
	v_and_b32_e32 v9, v9, v11
	;; [unrolled: 3-line block ×13, first 2 shown]
	v_cndmask_b32_e64 v11, 1, 2, vcc
	s_movk_i32 s30, 0x100
	v_and_b32_e32 v9, v9, v11
	v_cmp_gt_u32_e32 vcc, s30, v1
	v_cmp_ne_u32_e64 s[28:29], 0, v58
	v_cmp_ne_u32_e64 s[26:27], 0, v57
	;; [unrolled: 1-line block ×15, first 2 shown]
	s_mov_b64 s[36:37], -1
	v_cmp_gt_i16_e64 s[30:31], 2, v9
	s_barrier
	s_cbranch_vccz .LBB375_134
; %bb.128:
	s_and_saveexec_b64 s[36:37], s[30:31]
	s_cbranch_execz .LBB375_133
; %bb.129:
	v_cmp_ne_u16_e32 vcc, 1, v9
	s_mov_b64 s[38:39], 0
	s_and_saveexec_b64 s[30:31], vcc
	s_xor_b64 s[30:31], exec, s[30:31]
	s_cbranch_execnz .LBB375_183
; %bb.130:
	s_andn2_saveexec_b64 s[30:31], s[30:31]
	s_cbranch_execnz .LBB375_199
.LBB375_131:
	s_or_b64 exec, exec, s[30:31]
	s_and_b64 exec, exec, s[38:39]
	s_cbranch_execz .LBB375_133
.LBB375_132:
	v_mov_b32_e32 v13, 0
	v_sub_u32_e32 v14, v24, v8
	v_mov_b32_e32 v15, v13
	v_lshlrev_b64 v[14:15], 3, v[14:15]
	v_add_co_u32_e32 v14, vcc, v3, v14
	v_mov_b32_e32 v12, v25
	v_addc_co_u32_e32 v15, vcc, v7, v15, vcc
	global_store_dwordx2 v[14:15], v[12:13], off
.LBB375_133:
	s_or_b64 exec, exec, s[36:37]
	s_mov_b64 s[36:37], 0
.LBB375_134:
	s_and_b64 vcc, exec, s[36:37]
	s_cbranch_vccz .LBB375_144
; %bb.135:
	v_cmp_gt_i16_e32 vcc, 2, v9
	s_and_saveexec_b64 s[30:31], vcc
	s_cbranch_execz .LBB375_140
; %bb.136:
	v_cmp_ne_u16_e32 vcc, 1, v9
	s_mov_b64 s[38:39], 0
	s_and_saveexec_b64 s[36:37], vcc
	s_xor_b64 s[36:37], exec, s[36:37]
	s_cbranch_execnz .LBB375_200
; %bb.137:
	s_andn2_saveexec_b64 s[0:1], s[36:37]
	s_cbranch_execnz .LBB375_216
.LBB375_138:
	s_or_b64 exec, exec, s[0:1]
	s_and_b64 exec, exec, s[38:39]
	s_cbranch_execz .LBB375_140
.LBB375_139:
	v_sub_u32_e32 v8, v24, v8
	v_lshlrev_b32_e32 v8, 2, v8
	ds_write_b32 v8, v25
.LBB375_140:
	s_or_b64 exec, exec, s[30:31]
	v_cmp_lt_u32_e32 vcc, v0, v1
	s_waitcnt lgkmcnt(0)
	s_barrier
	s_and_saveexec_b64 s[0:1], vcc
	s_cbranch_execz .LBB375_143
; %bb.141:
	v_lshlrev_b32_e32 v11, 2, v0
	s_mov_b64 s[2:3], 0
	v_mov_b32_e32 v9, 0
	v_mov_b32_e32 v8, v0
.LBB375_142:                            ; =>This Inner Loop Header: Depth=1
	ds_read_b32 v12, v11
	v_lshlrev_b64 v[14:15], 3, v[8:9]
	v_add_co_u32_e32 v14, vcc, v3, v14
	v_add_u32_e32 v8, 0x100, v8
	v_addc_co_u32_e32 v15, vcc, v7, v15, vcc
	v_cmp_ge_u32_e32 vcc, v8, v1
	v_mov_b32_e32 v13, v9
	v_add_u32_e32 v11, 0x400, v11
	s_or_b64 s[2:3], vcc, s[2:3]
	s_waitcnt lgkmcnt(0)
	global_store_dwordx2 v[14:15], v[12:13], off
	s_andn2_b64 exec, exec, s[2:3]
	s_cbranch_execnz .LBB375_142
.LBB375_143:
	s_or_b64 exec, exec, s[0:1]
.LBB375_144:
	s_movk_i32 s0, 0xff
	v_cmp_eq_u32_e32 vcc, s0, v0
	s_and_b64 s[0:1], vcc, s[48:49]
	s_and_saveexec_b64 s[2:3], s[0:1]
	s_cbranch_execz .LBB375_147
; %bb.145:
	v_add_co_u32_e32 v0, vcc, v2, v4
	v_addc_co_u32_e64 v1, s[0:1], 0, 0, vcc
	v_add_co_u32_e32 v0, vcc, v0, v52
	v_mov_b32_e32 v3, 0
	v_addc_co_u32_e32 v1, vcc, v1, v53, vcc
	s_cmpk_lg_i32 s33, 0xf00
	global_store_dwordx2 v3, v[0:1], s[34:35]
	s_cbranch_scc1 .LBB375_147
; %bb.146:
	v_lshlrev_b64 v[0:1], 3, v[2:3]
	v_add_co_u32_e32 v0, vcc, v5, v0
	v_mov_b32_e32 v7, v3
	v_addc_co_u32_e32 v1, vcc, v10, v1, vcc
	global_store_dwordx2 v[0:1], v[6:7], off offset:-8
.LBB375_147:
	s_endpgm
.LBB375_148:
	s_or_b64 exec, exec, s[8:9]
	v_mov_b32_e32 v68, s7
	s_and_saveexec_b64 s[0:1], s[42:43]
	s_cbranch_execnz .LBB375_56
	s_branch .LBB375_57
.LBB375_149:
	s_and_saveexec_b64 s[38:39], s[28:29]
	s_cbranch_execnz .LBB375_217
; %bb.150:
	s_or_b64 exec, exec, s[38:39]
	s_and_saveexec_b64 s[38:39], s[26:27]
	s_cbranch_execnz .LBB375_218
.LBB375_151:
	s_or_b64 exec, exec, s[38:39]
	s_and_saveexec_b64 s[38:39], s[24:25]
	s_cbranch_execnz .LBB375_219
.LBB375_152:
	s_or_b64 exec, exec, s[38:39]
	s_and_saveexec_b64 s[38:39], s[22:23]
	s_cbranch_execnz .LBB375_220
.LBB375_153:
	s_or_b64 exec, exec, s[38:39]
	s_and_saveexec_b64 s[38:39], s[20:21]
	s_cbranch_execnz .LBB375_221
.LBB375_154:
	s_or_b64 exec, exec, s[38:39]
	s_and_saveexec_b64 s[38:39], s[18:19]
	s_cbranch_execnz .LBB375_222
.LBB375_155:
	s_or_b64 exec, exec, s[38:39]
	s_and_saveexec_b64 s[38:39], s[16:17]
	s_cbranch_execnz .LBB375_223
.LBB375_156:
	s_or_b64 exec, exec, s[38:39]
	s_and_saveexec_b64 s[38:39], s[14:15]
	s_cbranch_execnz .LBB375_224
.LBB375_157:
	s_or_b64 exec, exec, s[38:39]
	s_and_saveexec_b64 s[38:39], s[12:13]
	s_cbranch_execnz .LBB375_225
.LBB375_158:
	s_or_b64 exec, exec, s[38:39]
	s_and_saveexec_b64 s[38:39], s[10:11]
	s_cbranch_execnz .LBB375_226
.LBB375_159:
	s_or_b64 exec, exec, s[38:39]
	s_and_saveexec_b64 s[38:39], s[8:9]
	s_cbranch_execnz .LBB375_227
.LBB375_160:
	s_or_b64 exec, exec, s[38:39]
	s_and_saveexec_b64 s[38:39], s[6:7]
	s_cbranch_execnz .LBB375_228
.LBB375_161:
	s_or_b64 exec, exec, s[38:39]
	s_and_saveexec_b64 s[38:39], s[4:5]
	s_cbranch_execnz .LBB375_229
.LBB375_162:
	s_or_b64 exec, exec, s[38:39]
	s_and_saveexec_b64 s[38:39], s[2:3]
	s_cbranch_execz .LBB375_164
.LBB375_163:
	v_sub_u32_e32 v70, v22, v4
	v_mov_b32_e32 v71, 0
	v_lshlrev_b64 v[70:71], 2, v[70:71]
	v_add_co_u32_e32 v70, vcc, v3, v70
	v_addc_co_u32_e32 v71, vcc, v7, v71, vcc
	global_store_dword v[70:71], v9, off
.LBB375_164:
	s_or_b64 exec, exec, s[38:39]
	s_and_b64 s[38:39], s[0:1], exec
	s_andn2_saveexec_b64 s[30:31], s[30:31]
	s_cbranch_execz .LBB375_102
.LBB375_165:
	v_sub_u32_e32 v70, v50, v4
	v_mov_b32_e32 v71, 0
	v_lshlrev_b64 v[72:73], 2, v[70:71]
	v_add_co_u32_e32 v72, vcc, v3, v72
	v_addc_co_u32_e32 v73, vcc, v7, v73, vcc
	v_sub_u32_e32 v70, v48, v4
	global_store_dword v[72:73], v20, off
	v_lshlrev_b64 v[72:73], 2, v[70:71]
	v_add_co_u32_e32 v72, vcc, v3, v72
	v_addc_co_u32_e32 v73, vcc, v7, v73, vcc
	v_sub_u32_e32 v70, v46, v4
	global_store_dword v[72:73], v21, off
	;; [unrolled: 5-line block ×12, first 2 shown]
	v_lshlrev_b64 v[72:73], 2, v[70:71]
	v_add_co_u32_e32 v72, vcc, v3, v72
	v_sub_u32_e32 v70, v22, v4
	v_addc_co_u32_e32 v73, vcc, v7, v73, vcc
	v_lshlrev_b64 v[70:71], 2, v[70:71]
	v_add_co_u32_e32 v70, vcc, v3, v70
	v_addc_co_u32_e32 v71, vcc, v7, v71, vcc
	s_or_b64 s[38:39], s[38:39], exec
	global_store_dword v[72:73], v8, off
	global_store_dword v[70:71], v9, off
	s_or_b64 exec, exec, s[30:31]
	s_and_b64 exec, exec, s[38:39]
	s_cbranch_execnz .LBB375_103
	s_branch .LBB375_104
.LBB375_166:
	s_and_saveexec_b64 s[38:39], s[28:29]
	s_cbranch_execnz .LBB375_230
; %bb.167:
	s_or_b64 exec, exec, s[38:39]
	s_and_saveexec_b64 s[28:29], s[26:27]
	s_cbranch_execnz .LBB375_231
.LBB375_168:
	s_or_b64 exec, exec, s[28:29]
	s_and_saveexec_b64 s[26:27], s[24:25]
	s_cbranch_execnz .LBB375_232
.LBB375_169:
	s_or_b64 exec, exec, s[26:27]
	s_and_saveexec_b64 s[24:25], s[22:23]
	s_cbranch_execnz .LBB375_233
.LBB375_170:
	s_or_b64 exec, exec, s[24:25]
	s_and_saveexec_b64 s[22:23], s[20:21]
	s_cbranch_execnz .LBB375_234
.LBB375_171:
	s_or_b64 exec, exec, s[22:23]
	s_and_saveexec_b64 s[20:21], s[18:19]
	s_cbranch_execnz .LBB375_235
.LBB375_172:
	s_or_b64 exec, exec, s[20:21]
	s_and_saveexec_b64 s[18:19], s[16:17]
	s_cbranch_execnz .LBB375_236
.LBB375_173:
	s_or_b64 exec, exec, s[18:19]
	s_and_saveexec_b64 s[16:17], s[14:15]
	s_cbranch_execnz .LBB375_237
.LBB375_174:
	s_or_b64 exec, exec, s[16:17]
	s_and_saveexec_b64 s[14:15], s[12:13]
	s_cbranch_execnz .LBB375_238
.LBB375_175:
	s_or_b64 exec, exec, s[14:15]
	s_and_saveexec_b64 s[12:13], s[10:11]
	s_cbranch_execnz .LBB375_239
.LBB375_176:
	s_or_b64 exec, exec, s[12:13]
	s_and_saveexec_b64 s[10:11], s[8:9]
	s_cbranch_execnz .LBB375_240
.LBB375_177:
	s_or_b64 exec, exec, s[10:11]
	s_and_saveexec_b64 s[8:9], s[6:7]
	s_cbranch_execnz .LBB375_241
.LBB375_178:
	s_or_b64 exec, exec, s[8:9]
	s_and_saveexec_b64 s[6:7], s[4:5]
	s_cbranch_execnz .LBB375_242
.LBB375_179:
	s_or_b64 exec, exec, s[6:7]
	s_and_saveexec_b64 s[4:5], s[2:3]
	s_cbranch_execz .LBB375_181
.LBB375_180:
	v_sub_u32_e32 v8, v22, v4
	v_lshlrev_b32_e32 v8, 2, v8
	ds_write_b32 v8, v9
.LBB375_181:
	s_or_b64 exec, exec, s[4:5]
	s_and_b64 s[38:39], s[0:1], exec
                                        ; implicit-def: $vgpr9
                                        ; implicit-def: $vgpr11
                                        ; implicit-def: $vgpr13
                                        ; implicit-def: $vgpr15
                                        ; implicit-def: $vgpr17
                                        ; implicit-def: $vgpr19
                                        ; implicit-def: $vgpr21
	s_andn2_saveexec_b64 s[0:1], s[36:37]
	s_cbranch_execz .LBB375_109
.LBB375_182:
	v_sub_u32_e32 v69, v50, v4
	v_lshlrev_b32_e32 v69, 2, v69
	ds_write_b32 v69, v20
	v_sub_u32_e32 v20, v48, v4
	v_lshlrev_b32_e32 v20, 2, v20
	ds_write_b32 v20, v21
	;; [unrolled: 3-line block ×13, first 2 shown]
	v_sub_u32_e32 v8, v22, v4
	v_lshlrev_b32_e32 v8, 2, v8
	s_or_b64 s[38:39], s[38:39], exec
	ds_write_b32 v8, v9
	s_or_b64 exec, exec, s[0:1]
	s_and_b64 exec, exec, s[38:39]
	s_cbranch_execnz .LBB375_110
	s_branch .LBB375_111
.LBB375_183:
	s_and_saveexec_b64 s[38:39], s[28:29]
	s_cbranch_execnz .LBB375_243
; %bb.184:
	s_or_b64 exec, exec, s[38:39]
	s_and_saveexec_b64 s[38:39], s[26:27]
	s_cbranch_execnz .LBB375_244
.LBB375_185:
	s_or_b64 exec, exec, s[38:39]
	s_and_saveexec_b64 s[38:39], s[24:25]
	s_cbranch_execnz .LBB375_245
.LBB375_186:
	s_or_b64 exec, exec, s[38:39]
	s_and_saveexec_b64 s[38:39], s[22:23]
	s_cbranch_execnz .LBB375_246
.LBB375_187:
	s_or_b64 exec, exec, s[38:39]
	s_and_saveexec_b64 s[38:39], s[20:21]
	s_cbranch_execnz .LBB375_247
.LBB375_188:
	s_or_b64 exec, exec, s[38:39]
	s_and_saveexec_b64 s[38:39], s[18:19]
	s_cbranch_execnz .LBB375_248
.LBB375_189:
	s_or_b64 exec, exec, s[38:39]
	s_and_saveexec_b64 s[38:39], s[16:17]
	s_cbranch_execnz .LBB375_249
.LBB375_190:
	s_or_b64 exec, exec, s[38:39]
	s_and_saveexec_b64 s[38:39], s[14:15]
	s_cbranch_execnz .LBB375_250
.LBB375_191:
	s_or_b64 exec, exec, s[38:39]
	s_and_saveexec_b64 s[38:39], s[12:13]
	s_cbranch_execnz .LBB375_251
.LBB375_192:
	s_or_b64 exec, exec, s[38:39]
	s_and_saveexec_b64 s[38:39], s[10:11]
	s_cbranch_execnz .LBB375_252
.LBB375_193:
	s_or_b64 exec, exec, s[38:39]
	s_and_saveexec_b64 s[38:39], s[8:9]
	s_cbranch_execnz .LBB375_253
.LBB375_194:
	s_or_b64 exec, exec, s[38:39]
	s_and_saveexec_b64 s[38:39], s[6:7]
	s_cbranch_execnz .LBB375_254
.LBB375_195:
	s_or_b64 exec, exec, s[38:39]
	s_and_saveexec_b64 s[38:39], s[4:5]
	s_cbranch_execnz .LBB375_255
.LBB375_196:
	s_or_b64 exec, exec, s[38:39]
	s_and_saveexec_b64 s[38:39], s[2:3]
	s_cbranch_execz .LBB375_198
.LBB375_197:
	v_sub_u32_e32 v12, v22, v8
	v_mov_b32_e32 v13, 0
	v_lshlrev_b64 v[14:15], 3, v[12:13]
	v_add_co_u32_e32 v14, vcc, v3, v14
	v_addc_co_u32_e32 v15, vcc, v7, v15, vcc
	v_mov_b32_e32 v12, v23
	global_store_dwordx2 v[14:15], v[12:13], off
.LBB375_198:
	s_or_b64 exec, exec, s[38:39]
	s_and_b64 s[38:39], s[0:1], exec
	s_andn2_saveexec_b64 s[30:31], s[30:31]
	s_cbranch_execz .LBB375_131
.LBB375_199:
	v_mov_b32_e32 v13, 0
	v_sub_u32_e32 v14, v50, v8
	v_mov_b32_e32 v15, v13
	v_lshlrev_b64 v[14:15], 3, v[14:15]
	v_add_co_u32_e32 v14, vcc, v3, v14
	v_mov_b32_e32 v12, v51
	v_addc_co_u32_e32 v15, vcc, v7, v15, vcc
	global_store_dwordx2 v[14:15], v[12:13], off
	v_sub_u32_e32 v14, v48, v8
	v_mov_b32_e32 v15, v13
	v_lshlrev_b64 v[14:15], 3, v[14:15]
	v_add_co_u32_e32 v14, vcc, v3, v14
	v_mov_b32_e32 v12, v49
	v_addc_co_u32_e32 v15, vcc, v7, v15, vcc
	global_store_dwordx2 v[14:15], v[12:13], off
	;; [unrolled: 7-line block ×13, first 2 shown]
	v_sub_u32_e32 v14, v22, v8
	v_mov_b32_e32 v15, v13
	v_lshlrev_b64 v[14:15], 3, v[14:15]
	v_add_co_u32_e32 v14, vcc, v3, v14
	v_mov_b32_e32 v12, v23
	v_addc_co_u32_e32 v15, vcc, v7, v15, vcc
	s_or_b64 s[38:39], s[38:39], exec
	global_store_dwordx2 v[14:15], v[12:13], off
	s_or_b64 exec, exec, s[30:31]
	s_and_b64 exec, exec, s[38:39]
	s_cbranch_execnz .LBB375_132
	s_branch .LBB375_133
.LBB375_200:
	s_and_saveexec_b64 s[38:39], s[28:29]
	s_cbranch_execnz .LBB375_256
; %bb.201:
	s_or_b64 exec, exec, s[38:39]
	s_and_saveexec_b64 s[28:29], s[26:27]
	s_cbranch_execnz .LBB375_257
.LBB375_202:
	s_or_b64 exec, exec, s[28:29]
	s_and_saveexec_b64 s[26:27], s[24:25]
	s_cbranch_execnz .LBB375_258
.LBB375_203:
	s_or_b64 exec, exec, s[26:27]
	s_and_saveexec_b64 s[24:25], s[22:23]
	s_cbranch_execnz .LBB375_259
.LBB375_204:
	s_or_b64 exec, exec, s[24:25]
	s_and_saveexec_b64 s[22:23], s[20:21]
	s_cbranch_execnz .LBB375_260
.LBB375_205:
	s_or_b64 exec, exec, s[22:23]
	s_and_saveexec_b64 s[20:21], s[18:19]
	s_cbranch_execnz .LBB375_261
.LBB375_206:
	s_or_b64 exec, exec, s[20:21]
	s_and_saveexec_b64 s[18:19], s[16:17]
	s_cbranch_execnz .LBB375_262
.LBB375_207:
	s_or_b64 exec, exec, s[18:19]
	s_and_saveexec_b64 s[16:17], s[14:15]
	s_cbranch_execnz .LBB375_263
.LBB375_208:
	s_or_b64 exec, exec, s[16:17]
	s_and_saveexec_b64 s[14:15], s[12:13]
	s_cbranch_execnz .LBB375_264
.LBB375_209:
	s_or_b64 exec, exec, s[14:15]
	s_and_saveexec_b64 s[12:13], s[10:11]
	s_cbranch_execnz .LBB375_265
.LBB375_210:
	s_or_b64 exec, exec, s[12:13]
	s_and_saveexec_b64 s[10:11], s[8:9]
	s_cbranch_execnz .LBB375_266
.LBB375_211:
	s_or_b64 exec, exec, s[10:11]
	s_and_saveexec_b64 s[8:9], s[6:7]
	s_cbranch_execnz .LBB375_267
.LBB375_212:
	s_or_b64 exec, exec, s[8:9]
	s_and_saveexec_b64 s[6:7], s[4:5]
	s_cbranch_execnz .LBB375_268
.LBB375_213:
	s_or_b64 exec, exec, s[6:7]
	s_and_saveexec_b64 s[4:5], s[2:3]
	s_cbranch_execz .LBB375_215
.LBB375_214:
	v_sub_u32_e32 v9, v22, v8
	v_lshlrev_b32_e32 v9, 2, v9
	ds_write_b32 v9, v23
.LBB375_215:
	s_or_b64 exec, exec, s[4:5]
	s_and_b64 s[38:39], s[0:1], exec
                                        ; implicit-def: $vgpr22_vgpr23
                                        ; implicit-def: $vgpr26_vgpr27
                                        ; implicit-def: $vgpr28_vgpr29
                                        ; implicit-def: $vgpr50_vgpr51
                                        ; implicit-def: $vgpr48_vgpr49
                                        ; implicit-def: $vgpr46_vgpr47
                                        ; implicit-def: $vgpr44_vgpr45
                                        ; implicit-def: $vgpr42_vgpr43
                                        ; implicit-def: $vgpr40_vgpr41
                                        ; implicit-def: $vgpr38_vgpr39
                                        ; implicit-def: $vgpr36_vgpr37
                                        ; implicit-def: $vgpr34_vgpr35
                                        ; implicit-def: $vgpr32_vgpr33
                                        ; implicit-def: $vgpr30_vgpr31
	s_andn2_saveexec_b64 s[0:1], s[36:37]
	s_cbranch_execz .LBB375_138
.LBB375_216:
	v_sub_u32_e32 v9, v50, v8
	v_lshlrev_b32_e32 v9, 2, v9
	ds_write_b32 v9, v51
	v_sub_u32_e32 v9, v48, v8
	v_lshlrev_b32_e32 v9, 2, v9
	ds_write_b32 v9, v49
	;; [unrolled: 3-line block ×13, first 2 shown]
	v_sub_u32_e32 v9, v22, v8
	v_lshlrev_b32_e32 v9, 2, v9
	s_or_b64 s[38:39], s[38:39], exec
	ds_write_b32 v9, v23
	s_or_b64 exec, exec, s[0:1]
	s_and_b64 exec, exec, s[38:39]
	s_cbranch_execnz .LBB375_139
	s_branch .LBB375_140
.LBB375_217:
	v_sub_u32_e32 v70, v50, v4
	v_mov_b32_e32 v71, 0
	v_lshlrev_b64 v[70:71], 2, v[70:71]
	v_add_co_u32_e32 v70, vcc, v3, v70
	v_addc_co_u32_e32 v71, vcc, v7, v71, vcc
	global_store_dword v[70:71], v20, off
	s_or_b64 exec, exec, s[38:39]
	s_and_saveexec_b64 s[38:39], s[26:27]
	s_cbranch_execz .LBB375_151
.LBB375_218:
	v_sub_u32_e32 v70, v48, v4
	v_mov_b32_e32 v71, 0
	v_lshlrev_b64 v[70:71], 2, v[70:71]
	v_add_co_u32_e32 v70, vcc, v3, v70
	v_addc_co_u32_e32 v71, vcc, v7, v71, vcc
	global_store_dword v[70:71], v21, off
	s_or_b64 exec, exec, s[38:39]
	s_and_saveexec_b64 s[38:39], s[24:25]
	s_cbranch_execz .LBB375_152
.LBB375_219:
	v_sub_u32_e32 v70, v46, v4
	v_mov_b32_e32 v71, 0
	v_lshlrev_b64 v[70:71], 2, v[70:71]
	v_add_co_u32_e32 v70, vcc, v3, v70
	v_addc_co_u32_e32 v71, vcc, v7, v71, vcc
	global_store_dword v[70:71], v18, off
	s_or_b64 exec, exec, s[38:39]
	s_and_saveexec_b64 s[38:39], s[22:23]
	s_cbranch_execz .LBB375_153
.LBB375_220:
	v_sub_u32_e32 v70, v44, v4
	v_mov_b32_e32 v71, 0
	v_lshlrev_b64 v[70:71], 2, v[70:71]
	v_add_co_u32_e32 v70, vcc, v3, v70
	v_addc_co_u32_e32 v71, vcc, v7, v71, vcc
	global_store_dword v[70:71], v19, off
	s_or_b64 exec, exec, s[38:39]
	s_and_saveexec_b64 s[38:39], s[20:21]
	s_cbranch_execz .LBB375_154
.LBB375_221:
	v_sub_u32_e32 v70, v42, v4
	v_mov_b32_e32 v71, 0
	v_lshlrev_b64 v[70:71], 2, v[70:71]
	v_add_co_u32_e32 v70, vcc, v3, v70
	v_addc_co_u32_e32 v71, vcc, v7, v71, vcc
	global_store_dword v[70:71], v16, off
	s_or_b64 exec, exec, s[38:39]
	s_and_saveexec_b64 s[38:39], s[18:19]
	s_cbranch_execz .LBB375_155
.LBB375_222:
	v_sub_u32_e32 v70, v40, v4
	v_mov_b32_e32 v71, 0
	v_lshlrev_b64 v[70:71], 2, v[70:71]
	v_add_co_u32_e32 v70, vcc, v3, v70
	v_addc_co_u32_e32 v71, vcc, v7, v71, vcc
	global_store_dword v[70:71], v17, off
	s_or_b64 exec, exec, s[38:39]
	s_and_saveexec_b64 s[38:39], s[16:17]
	s_cbranch_execz .LBB375_156
.LBB375_223:
	v_sub_u32_e32 v70, v38, v4
	v_mov_b32_e32 v71, 0
	v_lshlrev_b64 v[70:71], 2, v[70:71]
	v_add_co_u32_e32 v70, vcc, v3, v70
	v_addc_co_u32_e32 v71, vcc, v7, v71, vcc
	global_store_dword v[70:71], v14, off
	s_or_b64 exec, exec, s[38:39]
	s_and_saveexec_b64 s[38:39], s[14:15]
	s_cbranch_execz .LBB375_157
.LBB375_224:
	v_sub_u32_e32 v70, v36, v4
	v_mov_b32_e32 v71, 0
	v_lshlrev_b64 v[70:71], 2, v[70:71]
	v_add_co_u32_e32 v70, vcc, v3, v70
	v_addc_co_u32_e32 v71, vcc, v7, v71, vcc
	global_store_dword v[70:71], v15, off
	s_or_b64 exec, exec, s[38:39]
	s_and_saveexec_b64 s[38:39], s[12:13]
	s_cbranch_execz .LBB375_158
.LBB375_225:
	v_sub_u32_e32 v70, v34, v4
	v_mov_b32_e32 v71, 0
	v_lshlrev_b64 v[70:71], 2, v[70:71]
	v_add_co_u32_e32 v70, vcc, v3, v70
	v_addc_co_u32_e32 v71, vcc, v7, v71, vcc
	global_store_dword v[70:71], v12, off
	s_or_b64 exec, exec, s[38:39]
	s_and_saveexec_b64 s[38:39], s[10:11]
	s_cbranch_execz .LBB375_159
.LBB375_226:
	v_sub_u32_e32 v70, v32, v4
	v_mov_b32_e32 v71, 0
	v_lshlrev_b64 v[70:71], 2, v[70:71]
	v_add_co_u32_e32 v70, vcc, v3, v70
	v_addc_co_u32_e32 v71, vcc, v7, v71, vcc
	global_store_dword v[70:71], v13, off
	s_or_b64 exec, exec, s[38:39]
	s_and_saveexec_b64 s[38:39], s[8:9]
	s_cbranch_execz .LBB375_160
.LBB375_227:
	v_sub_u32_e32 v70, v30, v4
	v_mov_b32_e32 v71, 0
	v_lshlrev_b64 v[70:71], 2, v[70:71]
	v_add_co_u32_e32 v70, vcc, v3, v70
	v_addc_co_u32_e32 v71, vcc, v7, v71, vcc
	global_store_dword v[70:71], v10, off
	s_or_b64 exec, exec, s[38:39]
	s_and_saveexec_b64 s[38:39], s[6:7]
	s_cbranch_execz .LBB375_161
.LBB375_228:
	v_sub_u32_e32 v70, v28, v4
	v_mov_b32_e32 v71, 0
	v_lshlrev_b64 v[70:71], 2, v[70:71]
	v_add_co_u32_e32 v70, vcc, v3, v70
	v_addc_co_u32_e32 v71, vcc, v7, v71, vcc
	global_store_dword v[70:71], v11, off
	s_or_b64 exec, exec, s[38:39]
	s_and_saveexec_b64 s[38:39], s[4:5]
	s_cbranch_execz .LBB375_162
.LBB375_229:
	v_sub_u32_e32 v70, v26, v4
	v_mov_b32_e32 v71, 0
	v_lshlrev_b64 v[70:71], 2, v[70:71]
	v_add_co_u32_e32 v70, vcc, v3, v70
	v_addc_co_u32_e32 v71, vcc, v7, v71, vcc
	global_store_dword v[70:71], v8, off
	s_or_b64 exec, exec, s[38:39]
	s_and_saveexec_b64 s[38:39], s[2:3]
	s_cbranch_execnz .LBB375_163
	s_branch .LBB375_164
.LBB375_230:
	v_sub_u32_e32 v69, v50, v4
	v_lshlrev_b32_e32 v69, 2, v69
	ds_write_b32 v69, v20
	s_or_b64 exec, exec, s[38:39]
	s_and_saveexec_b64 s[28:29], s[26:27]
	s_cbranch_execz .LBB375_168
.LBB375_231:
	v_sub_u32_e32 v20, v48, v4
	v_lshlrev_b32_e32 v20, 2, v20
	ds_write_b32 v20, v21
	s_or_b64 exec, exec, s[28:29]
	s_and_saveexec_b64 s[26:27], s[24:25]
	s_cbranch_execz .LBB375_169
.LBB375_232:
	v_sub_u32_e32 v20, v46, v4
	v_lshlrev_b32_e32 v20, 2, v20
	ds_write_b32 v20, v18
	s_or_b64 exec, exec, s[26:27]
	s_and_saveexec_b64 s[24:25], s[22:23]
	s_cbranch_execz .LBB375_170
.LBB375_233:
	v_sub_u32_e32 v18, v44, v4
	v_lshlrev_b32_e32 v18, 2, v18
	ds_write_b32 v18, v19
	s_or_b64 exec, exec, s[24:25]
	s_and_saveexec_b64 s[22:23], s[20:21]
	s_cbranch_execz .LBB375_171
.LBB375_234:
	v_sub_u32_e32 v18, v42, v4
	v_lshlrev_b32_e32 v18, 2, v18
	ds_write_b32 v18, v16
	s_or_b64 exec, exec, s[22:23]
	s_and_saveexec_b64 s[20:21], s[18:19]
	s_cbranch_execz .LBB375_172
.LBB375_235:
	v_sub_u32_e32 v16, v40, v4
	v_lshlrev_b32_e32 v16, 2, v16
	ds_write_b32 v16, v17
	s_or_b64 exec, exec, s[20:21]
	s_and_saveexec_b64 s[18:19], s[16:17]
	s_cbranch_execz .LBB375_173
.LBB375_236:
	v_sub_u32_e32 v16, v38, v4
	v_lshlrev_b32_e32 v16, 2, v16
	ds_write_b32 v16, v14
	s_or_b64 exec, exec, s[18:19]
	s_and_saveexec_b64 s[16:17], s[14:15]
	s_cbranch_execz .LBB375_174
.LBB375_237:
	v_sub_u32_e32 v14, v36, v4
	v_lshlrev_b32_e32 v14, 2, v14
	ds_write_b32 v14, v15
	s_or_b64 exec, exec, s[16:17]
	s_and_saveexec_b64 s[14:15], s[12:13]
	s_cbranch_execz .LBB375_175
.LBB375_238:
	v_sub_u32_e32 v14, v34, v4
	v_lshlrev_b32_e32 v14, 2, v14
	ds_write_b32 v14, v12
	s_or_b64 exec, exec, s[14:15]
	s_and_saveexec_b64 s[12:13], s[10:11]
	s_cbranch_execz .LBB375_176
.LBB375_239:
	v_sub_u32_e32 v12, v32, v4
	v_lshlrev_b32_e32 v12, 2, v12
	ds_write_b32 v12, v13
	s_or_b64 exec, exec, s[12:13]
	s_and_saveexec_b64 s[10:11], s[8:9]
	s_cbranch_execz .LBB375_177
.LBB375_240:
	v_sub_u32_e32 v12, v30, v4
	v_lshlrev_b32_e32 v12, 2, v12
	ds_write_b32 v12, v10
	s_or_b64 exec, exec, s[10:11]
	s_and_saveexec_b64 s[8:9], s[6:7]
	s_cbranch_execz .LBB375_178
.LBB375_241:
	v_sub_u32_e32 v10, v28, v4
	v_lshlrev_b32_e32 v10, 2, v10
	ds_write_b32 v10, v11
	s_or_b64 exec, exec, s[8:9]
	s_and_saveexec_b64 s[6:7], s[4:5]
	s_cbranch_execz .LBB375_179
.LBB375_242:
	v_sub_u32_e32 v10, v26, v4
	v_lshlrev_b32_e32 v10, 2, v10
	ds_write_b32 v10, v8
	s_or_b64 exec, exec, s[6:7]
	s_and_saveexec_b64 s[4:5], s[2:3]
	s_cbranch_execnz .LBB375_180
	s_branch .LBB375_181
.LBB375_243:
	v_sub_u32_e32 v12, v50, v8
	v_mov_b32_e32 v13, 0
	v_lshlrev_b64 v[14:15], 3, v[12:13]
	v_add_co_u32_e32 v14, vcc, v3, v14
	v_addc_co_u32_e32 v15, vcc, v7, v15, vcc
	v_mov_b32_e32 v12, v51
	global_store_dwordx2 v[14:15], v[12:13], off
	s_or_b64 exec, exec, s[38:39]
	s_and_saveexec_b64 s[38:39], s[26:27]
	s_cbranch_execz .LBB375_185
.LBB375_244:
	v_sub_u32_e32 v12, v48, v8
	v_mov_b32_e32 v13, 0
	v_lshlrev_b64 v[14:15], 3, v[12:13]
	v_add_co_u32_e32 v14, vcc, v3, v14
	v_addc_co_u32_e32 v15, vcc, v7, v15, vcc
	v_mov_b32_e32 v12, v49
	global_store_dwordx2 v[14:15], v[12:13], off
	s_or_b64 exec, exec, s[38:39]
	s_and_saveexec_b64 s[38:39], s[24:25]
	s_cbranch_execz .LBB375_186
.LBB375_245:
	v_sub_u32_e32 v12, v46, v8
	v_mov_b32_e32 v13, 0
	v_lshlrev_b64 v[14:15], 3, v[12:13]
	v_add_co_u32_e32 v14, vcc, v3, v14
	v_addc_co_u32_e32 v15, vcc, v7, v15, vcc
	v_mov_b32_e32 v12, v47
	global_store_dwordx2 v[14:15], v[12:13], off
	s_or_b64 exec, exec, s[38:39]
	s_and_saveexec_b64 s[38:39], s[22:23]
	s_cbranch_execz .LBB375_187
.LBB375_246:
	v_sub_u32_e32 v12, v44, v8
	v_mov_b32_e32 v13, 0
	v_lshlrev_b64 v[14:15], 3, v[12:13]
	v_add_co_u32_e32 v14, vcc, v3, v14
	v_addc_co_u32_e32 v15, vcc, v7, v15, vcc
	v_mov_b32_e32 v12, v45
	global_store_dwordx2 v[14:15], v[12:13], off
	s_or_b64 exec, exec, s[38:39]
	s_and_saveexec_b64 s[38:39], s[20:21]
	s_cbranch_execz .LBB375_188
.LBB375_247:
	v_sub_u32_e32 v12, v42, v8
	v_mov_b32_e32 v13, 0
	v_lshlrev_b64 v[14:15], 3, v[12:13]
	v_add_co_u32_e32 v14, vcc, v3, v14
	v_addc_co_u32_e32 v15, vcc, v7, v15, vcc
	v_mov_b32_e32 v12, v43
	global_store_dwordx2 v[14:15], v[12:13], off
	s_or_b64 exec, exec, s[38:39]
	s_and_saveexec_b64 s[38:39], s[18:19]
	s_cbranch_execz .LBB375_189
.LBB375_248:
	v_sub_u32_e32 v12, v40, v8
	v_mov_b32_e32 v13, 0
	v_lshlrev_b64 v[14:15], 3, v[12:13]
	v_add_co_u32_e32 v14, vcc, v3, v14
	v_addc_co_u32_e32 v15, vcc, v7, v15, vcc
	v_mov_b32_e32 v12, v41
	global_store_dwordx2 v[14:15], v[12:13], off
	s_or_b64 exec, exec, s[38:39]
	s_and_saveexec_b64 s[38:39], s[16:17]
	s_cbranch_execz .LBB375_190
.LBB375_249:
	v_sub_u32_e32 v12, v38, v8
	v_mov_b32_e32 v13, 0
	v_lshlrev_b64 v[14:15], 3, v[12:13]
	v_add_co_u32_e32 v14, vcc, v3, v14
	v_addc_co_u32_e32 v15, vcc, v7, v15, vcc
	v_mov_b32_e32 v12, v39
	global_store_dwordx2 v[14:15], v[12:13], off
	s_or_b64 exec, exec, s[38:39]
	s_and_saveexec_b64 s[38:39], s[14:15]
	s_cbranch_execz .LBB375_191
.LBB375_250:
	v_sub_u32_e32 v12, v36, v8
	v_mov_b32_e32 v13, 0
	v_lshlrev_b64 v[14:15], 3, v[12:13]
	v_add_co_u32_e32 v14, vcc, v3, v14
	v_addc_co_u32_e32 v15, vcc, v7, v15, vcc
	v_mov_b32_e32 v12, v37
	global_store_dwordx2 v[14:15], v[12:13], off
	s_or_b64 exec, exec, s[38:39]
	s_and_saveexec_b64 s[38:39], s[12:13]
	s_cbranch_execz .LBB375_192
.LBB375_251:
	v_sub_u32_e32 v12, v34, v8
	v_mov_b32_e32 v13, 0
	v_lshlrev_b64 v[14:15], 3, v[12:13]
	v_add_co_u32_e32 v14, vcc, v3, v14
	v_addc_co_u32_e32 v15, vcc, v7, v15, vcc
	v_mov_b32_e32 v12, v35
	global_store_dwordx2 v[14:15], v[12:13], off
	s_or_b64 exec, exec, s[38:39]
	s_and_saveexec_b64 s[38:39], s[10:11]
	s_cbranch_execz .LBB375_193
.LBB375_252:
	v_sub_u32_e32 v12, v32, v8
	v_mov_b32_e32 v13, 0
	v_lshlrev_b64 v[14:15], 3, v[12:13]
	v_add_co_u32_e32 v14, vcc, v3, v14
	v_addc_co_u32_e32 v15, vcc, v7, v15, vcc
	v_mov_b32_e32 v12, v33
	global_store_dwordx2 v[14:15], v[12:13], off
	s_or_b64 exec, exec, s[38:39]
	s_and_saveexec_b64 s[38:39], s[8:9]
	s_cbranch_execz .LBB375_194
.LBB375_253:
	v_sub_u32_e32 v12, v30, v8
	v_mov_b32_e32 v13, 0
	v_lshlrev_b64 v[14:15], 3, v[12:13]
	v_add_co_u32_e32 v14, vcc, v3, v14
	v_addc_co_u32_e32 v15, vcc, v7, v15, vcc
	v_mov_b32_e32 v12, v31
	global_store_dwordx2 v[14:15], v[12:13], off
	s_or_b64 exec, exec, s[38:39]
	s_and_saveexec_b64 s[38:39], s[6:7]
	s_cbranch_execz .LBB375_195
.LBB375_254:
	v_sub_u32_e32 v12, v28, v8
	v_mov_b32_e32 v13, 0
	v_lshlrev_b64 v[14:15], 3, v[12:13]
	v_add_co_u32_e32 v14, vcc, v3, v14
	v_addc_co_u32_e32 v15, vcc, v7, v15, vcc
	v_mov_b32_e32 v12, v29
	global_store_dwordx2 v[14:15], v[12:13], off
	s_or_b64 exec, exec, s[38:39]
	s_and_saveexec_b64 s[38:39], s[4:5]
	s_cbranch_execz .LBB375_196
.LBB375_255:
	v_sub_u32_e32 v12, v26, v8
	v_mov_b32_e32 v13, 0
	v_lshlrev_b64 v[14:15], 3, v[12:13]
	v_add_co_u32_e32 v14, vcc, v3, v14
	v_addc_co_u32_e32 v15, vcc, v7, v15, vcc
	v_mov_b32_e32 v12, v27
	global_store_dwordx2 v[14:15], v[12:13], off
	s_or_b64 exec, exec, s[38:39]
	s_and_saveexec_b64 s[38:39], s[2:3]
	s_cbranch_execnz .LBB375_197
	s_branch .LBB375_198
.LBB375_256:
	v_sub_u32_e32 v9, v50, v8
	v_lshlrev_b32_e32 v9, 2, v9
	ds_write_b32 v9, v51
	s_or_b64 exec, exec, s[38:39]
	s_and_saveexec_b64 s[28:29], s[26:27]
	s_cbranch_execz .LBB375_202
.LBB375_257:
	v_sub_u32_e32 v9, v48, v8
	v_lshlrev_b32_e32 v9, 2, v9
	ds_write_b32 v9, v49
	s_or_b64 exec, exec, s[28:29]
	s_and_saveexec_b64 s[26:27], s[24:25]
	s_cbranch_execz .LBB375_203
.LBB375_258:
	v_sub_u32_e32 v9, v46, v8
	v_lshlrev_b32_e32 v9, 2, v9
	ds_write_b32 v9, v47
	s_or_b64 exec, exec, s[26:27]
	s_and_saveexec_b64 s[24:25], s[22:23]
	s_cbranch_execz .LBB375_204
.LBB375_259:
	v_sub_u32_e32 v9, v44, v8
	v_lshlrev_b32_e32 v9, 2, v9
	ds_write_b32 v9, v45
	s_or_b64 exec, exec, s[24:25]
	s_and_saveexec_b64 s[22:23], s[20:21]
	s_cbranch_execz .LBB375_205
.LBB375_260:
	v_sub_u32_e32 v9, v42, v8
	v_lshlrev_b32_e32 v9, 2, v9
	ds_write_b32 v9, v43
	s_or_b64 exec, exec, s[22:23]
	s_and_saveexec_b64 s[20:21], s[18:19]
	s_cbranch_execz .LBB375_206
.LBB375_261:
	v_sub_u32_e32 v9, v40, v8
	v_lshlrev_b32_e32 v9, 2, v9
	ds_write_b32 v9, v41
	s_or_b64 exec, exec, s[20:21]
	s_and_saveexec_b64 s[18:19], s[16:17]
	s_cbranch_execz .LBB375_207
.LBB375_262:
	v_sub_u32_e32 v9, v38, v8
	v_lshlrev_b32_e32 v9, 2, v9
	ds_write_b32 v9, v39
	s_or_b64 exec, exec, s[18:19]
	s_and_saveexec_b64 s[16:17], s[14:15]
	s_cbranch_execz .LBB375_208
.LBB375_263:
	v_sub_u32_e32 v9, v36, v8
	v_lshlrev_b32_e32 v9, 2, v9
	ds_write_b32 v9, v37
	s_or_b64 exec, exec, s[16:17]
	s_and_saveexec_b64 s[14:15], s[12:13]
	s_cbranch_execz .LBB375_209
.LBB375_264:
	v_sub_u32_e32 v9, v34, v8
	v_lshlrev_b32_e32 v9, 2, v9
	ds_write_b32 v9, v35
	s_or_b64 exec, exec, s[14:15]
	s_and_saveexec_b64 s[12:13], s[10:11]
	s_cbranch_execz .LBB375_210
.LBB375_265:
	v_sub_u32_e32 v9, v32, v8
	v_lshlrev_b32_e32 v9, 2, v9
	ds_write_b32 v9, v33
	s_or_b64 exec, exec, s[12:13]
	s_and_saveexec_b64 s[10:11], s[8:9]
	s_cbranch_execz .LBB375_211
.LBB375_266:
	v_sub_u32_e32 v9, v30, v8
	v_lshlrev_b32_e32 v9, 2, v9
	ds_write_b32 v9, v31
	s_or_b64 exec, exec, s[10:11]
	s_and_saveexec_b64 s[8:9], s[6:7]
	s_cbranch_execz .LBB375_212
.LBB375_267:
	v_sub_u32_e32 v9, v28, v8
	v_lshlrev_b32_e32 v9, 2, v9
	ds_write_b32 v9, v29
	s_or_b64 exec, exec, s[8:9]
	s_and_saveexec_b64 s[6:7], s[4:5]
	s_cbranch_execz .LBB375_213
.LBB375_268:
	v_sub_u32_e32 v9, v26, v8
	v_lshlrev_b32_e32 v9, 2, v9
	ds_write_b32 v9, v27
	s_or_b64 exec, exec, s[6:7]
	s_and_saveexec_b64 s[4:5], s[2:3]
	s_cbranch_execnz .LBB375_214
	s_branch .LBB375_215
	.section	.rodata,"a",@progbits
	.p2align	6, 0x0
	.amdhsa_kernel _ZN7rocprim17ROCPRIM_400000_NS6detail17trampoline_kernelINS0_14default_configENS1_33run_length_encode_config_selectorIfjNS0_4plusIjEEEEZZNS1_33reduce_by_key_impl_wrapped_configILNS1_25lookback_scan_determinismE0ES3_S7_PKfNS0_17constant_iteratorIjlEEPfPlSF_S6_NS0_8equal_toIfEEEE10hipError_tPvRmT2_T3_mT4_T5_T6_T7_T8_P12ihipStream_tbENKUlT_T0_E_clISt17integral_constantIbLb0EESZ_EEDaSU_SV_EUlSU_E_NS1_11comp_targetILNS1_3genE4ELNS1_11target_archE910ELNS1_3gpuE8ELNS1_3repE0EEENS1_30default_config_static_selectorELNS0_4arch9wavefront6targetE1EEEvT1_
		.amdhsa_group_segment_fixed_size 15360
		.amdhsa_private_segment_fixed_size 0
		.amdhsa_kernarg_size 128
		.amdhsa_user_sgpr_count 6
		.amdhsa_user_sgpr_private_segment_buffer 1
		.amdhsa_user_sgpr_dispatch_ptr 0
		.amdhsa_user_sgpr_queue_ptr 0
		.amdhsa_user_sgpr_kernarg_segment_ptr 1
		.amdhsa_user_sgpr_dispatch_id 0
		.amdhsa_user_sgpr_flat_scratch_init 0
		.amdhsa_user_sgpr_kernarg_preload_length 0
		.amdhsa_user_sgpr_kernarg_preload_offset 0
		.amdhsa_user_sgpr_private_segment_size 0
		.amdhsa_uses_dynamic_stack 0
		.amdhsa_system_sgpr_private_segment_wavefront_offset 0
		.amdhsa_system_sgpr_workgroup_id_x 1
		.amdhsa_system_sgpr_workgroup_id_y 0
		.amdhsa_system_sgpr_workgroup_id_z 0
		.amdhsa_system_sgpr_workgroup_info 0
		.amdhsa_system_vgpr_workitem_id 0
		.amdhsa_next_free_vgpr 104
		.amdhsa_next_free_sgpr 64
		.amdhsa_accum_offset 104
		.amdhsa_reserve_vcc 1
		.amdhsa_reserve_flat_scratch 0
		.amdhsa_float_round_mode_32 0
		.amdhsa_float_round_mode_16_64 0
		.amdhsa_float_denorm_mode_32 3
		.amdhsa_float_denorm_mode_16_64 3
		.amdhsa_dx10_clamp 1
		.amdhsa_ieee_mode 1
		.amdhsa_fp16_overflow 0
		.amdhsa_tg_split 0
		.amdhsa_exception_fp_ieee_invalid_op 0
		.amdhsa_exception_fp_denorm_src 0
		.amdhsa_exception_fp_ieee_div_zero 0
		.amdhsa_exception_fp_ieee_overflow 0
		.amdhsa_exception_fp_ieee_underflow 0
		.amdhsa_exception_fp_ieee_inexact 0
		.amdhsa_exception_int_div_zero 0
	.end_amdhsa_kernel
	.section	.text._ZN7rocprim17ROCPRIM_400000_NS6detail17trampoline_kernelINS0_14default_configENS1_33run_length_encode_config_selectorIfjNS0_4plusIjEEEEZZNS1_33reduce_by_key_impl_wrapped_configILNS1_25lookback_scan_determinismE0ES3_S7_PKfNS0_17constant_iteratorIjlEEPfPlSF_S6_NS0_8equal_toIfEEEE10hipError_tPvRmT2_T3_mT4_T5_T6_T7_T8_P12ihipStream_tbENKUlT_T0_E_clISt17integral_constantIbLb0EESZ_EEDaSU_SV_EUlSU_E_NS1_11comp_targetILNS1_3genE4ELNS1_11target_archE910ELNS1_3gpuE8ELNS1_3repE0EEENS1_30default_config_static_selectorELNS0_4arch9wavefront6targetE1EEEvT1_,"axG",@progbits,_ZN7rocprim17ROCPRIM_400000_NS6detail17trampoline_kernelINS0_14default_configENS1_33run_length_encode_config_selectorIfjNS0_4plusIjEEEEZZNS1_33reduce_by_key_impl_wrapped_configILNS1_25lookback_scan_determinismE0ES3_S7_PKfNS0_17constant_iteratorIjlEEPfPlSF_S6_NS0_8equal_toIfEEEE10hipError_tPvRmT2_T3_mT4_T5_T6_T7_T8_P12ihipStream_tbENKUlT_T0_E_clISt17integral_constantIbLb0EESZ_EEDaSU_SV_EUlSU_E_NS1_11comp_targetILNS1_3genE4ELNS1_11target_archE910ELNS1_3gpuE8ELNS1_3repE0EEENS1_30default_config_static_selectorELNS0_4arch9wavefront6targetE1EEEvT1_,comdat
.Lfunc_end375:
	.size	_ZN7rocprim17ROCPRIM_400000_NS6detail17trampoline_kernelINS0_14default_configENS1_33run_length_encode_config_selectorIfjNS0_4plusIjEEEEZZNS1_33reduce_by_key_impl_wrapped_configILNS1_25lookback_scan_determinismE0ES3_S7_PKfNS0_17constant_iteratorIjlEEPfPlSF_S6_NS0_8equal_toIfEEEE10hipError_tPvRmT2_T3_mT4_T5_T6_T7_T8_P12ihipStream_tbENKUlT_T0_E_clISt17integral_constantIbLb0EESZ_EEDaSU_SV_EUlSU_E_NS1_11comp_targetILNS1_3genE4ELNS1_11target_archE910ELNS1_3gpuE8ELNS1_3repE0EEENS1_30default_config_static_selectorELNS0_4arch9wavefront6targetE1EEEvT1_, .Lfunc_end375-_ZN7rocprim17ROCPRIM_400000_NS6detail17trampoline_kernelINS0_14default_configENS1_33run_length_encode_config_selectorIfjNS0_4plusIjEEEEZZNS1_33reduce_by_key_impl_wrapped_configILNS1_25lookback_scan_determinismE0ES3_S7_PKfNS0_17constant_iteratorIjlEEPfPlSF_S6_NS0_8equal_toIfEEEE10hipError_tPvRmT2_T3_mT4_T5_T6_T7_T8_P12ihipStream_tbENKUlT_T0_E_clISt17integral_constantIbLb0EESZ_EEDaSU_SV_EUlSU_E_NS1_11comp_targetILNS1_3genE4ELNS1_11target_archE910ELNS1_3gpuE8ELNS1_3repE0EEENS1_30default_config_static_selectorELNS0_4arch9wavefront6targetE1EEEvT1_
                                        ; -- End function
	.section	.AMDGPU.csdata,"",@progbits
; Kernel info:
; codeLenInByte = 14916
; NumSgprs: 68
; NumVgprs: 104
; NumAgprs: 0
; TotalNumVgprs: 104
; ScratchSize: 0
; MemoryBound: 0
; FloatMode: 240
; IeeeMode: 1
; LDSByteSize: 15360 bytes/workgroup (compile time only)
; SGPRBlocks: 8
; VGPRBlocks: 12
; NumSGPRsForWavesPerEU: 68
; NumVGPRsForWavesPerEU: 104
; AccumOffset: 104
; Occupancy: 4
; WaveLimiterHint : 1
; COMPUTE_PGM_RSRC2:SCRATCH_EN: 0
; COMPUTE_PGM_RSRC2:USER_SGPR: 6
; COMPUTE_PGM_RSRC2:TRAP_HANDLER: 0
; COMPUTE_PGM_RSRC2:TGID_X_EN: 1
; COMPUTE_PGM_RSRC2:TGID_Y_EN: 0
; COMPUTE_PGM_RSRC2:TGID_Z_EN: 0
; COMPUTE_PGM_RSRC2:TIDIG_COMP_CNT: 0
; COMPUTE_PGM_RSRC3_GFX90A:ACCUM_OFFSET: 25
; COMPUTE_PGM_RSRC3_GFX90A:TG_SPLIT: 0
	.section	.text._ZN7rocprim17ROCPRIM_400000_NS6detail17trampoline_kernelINS0_14default_configENS1_33run_length_encode_config_selectorIfjNS0_4plusIjEEEEZZNS1_33reduce_by_key_impl_wrapped_configILNS1_25lookback_scan_determinismE0ES3_S7_PKfNS0_17constant_iteratorIjlEEPfPlSF_S6_NS0_8equal_toIfEEEE10hipError_tPvRmT2_T3_mT4_T5_T6_T7_T8_P12ihipStream_tbENKUlT_T0_E_clISt17integral_constantIbLb0EESZ_EEDaSU_SV_EUlSU_E_NS1_11comp_targetILNS1_3genE3ELNS1_11target_archE908ELNS1_3gpuE7ELNS1_3repE0EEENS1_30default_config_static_selectorELNS0_4arch9wavefront6targetE1EEEvT1_,"axG",@progbits,_ZN7rocprim17ROCPRIM_400000_NS6detail17trampoline_kernelINS0_14default_configENS1_33run_length_encode_config_selectorIfjNS0_4plusIjEEEEZZNS1_33reduce_by_key_impl_wrapped_configILNS1_25lookback_scan_determinismE0ES3_S7_PKfNS0_17constant_iteratorIjlEEPfPlSF_S6_NS0_8equal_toIfEEEE10hipError_tPvRmT2_T3_mT4_T5_T6_T7_T8_P12ihipStream_tbENKUlT_T0_E_clISt17integral_constantIbLb0EESZ_EEDaSU_SV_EUlSU_E_NS1_11comp_targetILNS1_3genE3ELNS1_11target_archE908ELNS1_3gpuE7ELNS1_3repE0EEENS1_30default_config_static_selectorELNS0_4arch9wavefront6targetE1EEEvT1_,comdat
	.protected	_ZN7rocprim17ROCPRIM_400000_NS6detail17trampoline_kernelINS0_14default_configENS1_33run_length_encode_config_selectorIfjNS0_4plusIjEEEEZZNS1_33reduce_by_key_impl_wrapped_configILNS1_25lookback_scan_determinismE0ES3_S7_PKfNS0_17constant_iteratorIjlEEPfPlSF_S6_NS0_8equal_toIfEEEE10hipError_tPvRmT2_T3_mT4_T5_T6_T7_T8_P12ihipStream_tbENKUlT_T0_E_clISt17integral_constantIbLb0EESZ_EEDaSU_SV_EUlSU_E_NS1_11comp_targetILNS1_3genE3ELNS1_11target_archE908ELNS1_3gpuE7ELNS1_3repE0EEENS1_30default_config_static_selectorELNS0_4arch9wavefront6targetE1EEEvT1_ ; -- Begin function _ZN7rocprim17ROCPRIM_400000_NS6detail17trampoline_kernelINS0_14default_configENS1_33run_length_encode_config_selectorIfjNS0_4plusIjEEEEZZNS1_33reduce_by_key_impl_wrapped_configILNS1_25lookback_scan_determinismE0ES3_S7_PKfNS0_17constant_iteratorIjlEEPfPlSF_S6_NS0_8equal_toIfEEEE10hipError_tPvRmT2_T3_mT4_T5_T6_T7_T8_P12ihipStream_tbENKUlT_T0_E_clISt17integral_constantIbLb0EESZ_EEDaSU_SV_EUlSU_E_NS1_11comp_targetILNS1_3genE3ELNS1_11target_archE908ELNS1_3gpuE7ELNS1_3repE0EEENS1_30default_config_static_selectorELNS0_4arch9wavefront6targetE1EEEvT1_
	.globl	_ZN7rocprim17ROCPRIM_400000_NS6detail17trampoline_kernelINS0_14default_configENS1_33run_length_encode_config_selectorIfjNS0_4plusIjEEEEZZNS1_33reduce_by_key_impl_wrapped_configILNS1_25lookback_scan_determinismE0ES3_S7_PKfNS0_17constant_iteratorIjlEEPfPlSF_S6_NS0_8equal_toIfEEEE10hipError_tPvRmT2_T3_mT4_T5_T6_T7_T8_P12ihipStream_tbENKUlT_T0_E_clISt17integral_constantIbLb0EESZ_EEDaSU_SV_EUlSU_E_NS1_11comp_targetILNS1_3genE3ELNS1_11target_archE908ELNS1_3gpuE7ELNS1_3repE0EEENS1_30default_config_static_selectorELNS0_4arch9wavefront6targetE1EEEvT1_
	.p2align	8
	.type	_ZN7rocprim17ROCPRIM_400000_NS6detail17trampoline_kernelINS0_14default_configENS1_33run_length_encode_config_selectorIfjNS0_4plusIjEEEEZZNS1_33reduce_by_key_impl_wrapped_configILNS1_25lookback_scan_determinismE0ES3_S7_PKfNS0_17constant_iteratorIjlEEPfPlSF_S6_NS0_8equal_toIfEEEE10hipError_tPvRmT2_T3_mT4_T5_T6_T7_T8_P12ihipStream_tbENKUlT_T0_E_clISt17integral_constantIbLb0EESZ_EEDaSU_SV_EUlSU_E_NS1_11comp_targetILNS1_3genE3ELNS1_11target_archE908ELNS1_3gpuE7ELNS1_3repE0EEENS1_30default_config_static_selectorELNS0_4arch9wavefront6targetE1EEEvT1_,@function
_ZN7rocprim17ROCPRIM_400000_NS6detail17trampoline_kernelINS0_14default_configENS1_33run_length_encode_config_selectorIfjNS0_4plusIjEEEEZZNS1_33reduce_by_key_impl_wrapped_configILNS1_25lookback_scan_determinismE0ES3_S7_PKfNS0_17constant_iteratorIjlEEPfPlSF_S6_NS0_8equal_toIfEEEE10hipError_tPvRmT2_T3_mT4_T5_T6_T7_T8_P12ihipStream_tbENKUlT_T0_E_clISt17integral_constantIbLb0EESZ_EEDaSU_SV_EUlSU_E_NS1_11comp_targetILNS1_3genE3ELNS1_11target_archE908ELNS1_3gpuE7ELNS1_3repE0EEENS1_30default_config_static_selectorELNS0_4arch9wavefront6targetE1EEEvT1_: ; @_ZN7rocprim17ROCPRIM_400000_NS6detail17trampoline_kernelINS0_14default_configENS1_33run_length_encode_config_selectorIfjNS0_4plusIjEEEEZZNS1_33reduce_by_key_impl_wrapped_configILNS1_25lookback_scan_determinismE0ES3_S7_PKfNS0_17constant_iteratorIjlEEPfPlSF_S6_NS0_8equal_toIfEEEE10hipError_tPvRmT2_T3_mT4_T5_T6_T7_T8_P12ihipStream_tbENKUlT_T0_E_clISt17integral_constantIbLb0EESZ_EEDaSU_SV_EUlSU_E_NS1_11comp_targetILNS1_3genE3ELNS1_11target_archE908ELNS1_3gpuE7ELNS1_3repE0EEENS1_30default_config_static_selectorELNS0_4arch9wavefront6targetE1EEEvT1_
; %bb.0:
	.section	.rodata,"a",@progbits
	.p2align	6, 0x0
	.amdhsa_kernel _ZN7rocprim17ROCPRIM_400000_NS6detail17trampoline_kernelINS0_14default_configENS1_33run_length_encode_config_selectorIfjNS0_4plusIjEEEEZZNS1_33reduce_by_key_impl_wrapped_configILNS1_25lookback_scan_determinismE0ES3_S7_PKfNS0_17constant_iteratorIjlEEPfPlSF_S6_NS0_8equal_toIfEEEE10hipError_tPvRmT2_T3_mT4_T5_T6_T7_T8_P12ihipStream_tbENKUlT_T0_E_clISt17integral_constantIbLb0EESZ_EEDaSU_SV_EUlSU_E_NS1_11comp_targetILNS1_3genE3ELNS1_11target_archE908ELNS1_3gpuE7ELNS1_3repE0EEENS1_30default_config_static_selectorELNS0_4arch9wavefront6targetE1EEEvT1_
		.amdhsa_group_segment_fixed_size 0
		.amdhsa_private_segment_fixed_size 0
		.amdhsa_kernarg_size 128
		.amdhsa_user_sgpr_count 6
		.amdhsa_user_sgpr_private_segment_buffer 1
		.amdhsa_user_sgpr_dispatch_ptr 0
		.amdhsa_user_sgpr_queue_ptr 0
		.amdhsa_user_sgpr_kernarg_segment_ptr 1
		.amdhsa_user_sgpr_dispatch_id 0
		.amdhsa_user_sgpr_flat_scratch_init 0
		.amdhsa_user_sgpr_kernarg_preload_length 0
		.amdhsa_user_sgpr_kernarg_preload_offset 0
		.amdhsa_user_sgpr_private_segment_size 0
		.amdhsa_uses_dynamic_stack 0
		.amdhsa_system_sgpr_private_segment_wavefront_offset 0
		.amdhsa_system_sgpr_workgroup_id_x 1
		.amdhsa_system_sgpr_workgroup_id_y 0
		.amdhsa_system_sgpr_workgroup_id_z 0
		.amdhsa_system_sgpr_workgroup_info 0
		.amdhsa_system_vgpr_workitem_id 0
		.amdhsa_next_free_vgpr 1
		.amdhsa_next_free_sgpr 0
		.amdhsa_accum_offset 4
		.amdhsa_reserve_vcc 0
		.amdhsa_reserve_flat_scratch 0
		.amdhsa_float_round_mode_32 0
		.amdhsa_float_round_mode_16_64 0
		.amdhsa_float_denorm_mode_32 3
		.amdhsa_float_denorm_mode_16_64 3
		.amdhsa_dx10_clamp 1
		.amdhsa_ieee_mode 1
		.amdhsa_fp16_overflow 0
		.amdhsa_tg_split 0
		.amdhsa_exception_fp_ieee_invalid_op 0
		.amdhsa_exception_fp_denorm_src 0
		.amdhsa_exception_fp_ieee_div_zero 0
		.amdhsa_exception_fp_ieee_overflow 0
		.amdhsa_exception_fp_ieee_underflow 0
		.amdhsa_exception_fp_ieee_inexact 0
		.amdhsa_exception_int_div_zero 0
	.end_amdhsa_kernel
	.section	.text._ZN7rocprim17ROCPRIM_400000_NS6detail17trampoline_kernelINS0_14default_configENS1_33run_length_encode_config_selectorIfjNS0_4plusIjEEEEZZNS1_33reduce_by_key_impl_wrapped_configILNS1_25lookback_scan_determinismE0ES3_S7_PKfNS0_17constant_iteratorIjlEEPfPlSF_S6_NS0_8equal_toIfEEEE10hipError_tPvRmT2_T3_mT4_T5_T6_T7_T8_P12ihipStream_tbENKUlT_T0_E_clISt17integral_constantIbLb0EESZ_EEDaSU_SV_EUlSU_E_NS1_11comp_targetILNS1_3genE3ELNS1_11target_archE908ELNS1_3gpuE7ELNS1_3repE0EEENS1_30default_config_static_selectorELNS0_4arch9wavefront6targetE1EEEvT1_,"axG",@progbits,_ZN7rocprim17ROCPRIM_400000_NS6detail17trampoline_kernelINS0_14default_configENS1_33run_length_encode_config_selectorIfjNS0_4plusIjEEEEZZNS1_33reduce_by_key_impl_wrapped_configILNS1_25lookback_scan_determinismE0ES3_S7_PKfNS0_17constant_iteratorIjlEEPfPlSF_S6_NS0_8equal_toIfEEEE10hipError_tPvRmT2_T3_mT4_T5_T6_T7_T8_P12ihipStream_tbENKUlT_T0_E_clISt17integral_constantIbLb0EESZ_EEDaSU_SV_EUlSU_E_NS1_11comp_targetILNS1_3genE3ELNS1_11target_archE908ELNS1_3gpuE7ELNS1_3repE0EEENS1_30default_config_static_selectorELNS0_4arch9wavefront6targetE1EEEvT1_,comdat
.Lfunc_end376:
	.size	_ZN7rocprim17ROCPRIM_400000_NS6detail17trampoline_kernelINS0_14default_configENS1_33run_length_encode_config_selectorIfjNS0_4plusIjEEEEZZNS1_33reduce_by_key_impl_wrapped_configILNS1_25lookback_scan_determinismE0ES3_S7_PKfNS0_17constant_iteratorIjlEEPfPlSF_S6_NS0_8equal_toIfEEEE10hipError_tPvRmT2_T3_mT4_T5_T6_T7_T8_P12ihipStream_tbENKUlT_T0_E_clISt17integral_constantIbLb0EESZ_EEDaSU_SV_EUlSU_E_NS1_11comp_targetILNS1_3genE3ELNS1_11target_archE908ELNS1_3gpuE7ELNS1_3repE0EEENS1_30default_config_static_selectorELNS0_4arch9wavefront6targetE1EEEvT1_, .Lfunc_end376-_ZN7rocprim17ROCPRIM_400000_NS6detail17trampoline_kernelINS0_14default_configENS1_33run_length_encode_config_selectorIfjNS0_4plusIjEEEEZZNS1_33reduce_by_key_impl_wrapped_configILNS1_25lookback_scan_determinismE0ES3_S7_PKfNS0_17constant_iteratorIjlEEPfPlSF_S6_NS0_8equal_toIfEEEE10hipError_tPvRmT2_T3_mT4_T5_T6_T7_T8_P12ihipStream_tbENKUlT_T0_E_clISt17integral_constantIbLb0EESZ_EEDaSU_SV_EUlSU_E_NS1_11comp_targetILNS1_3genE3ELNS1_11target_archE908ELNS1_3gpuE7ELNS1_3repE0EEENS1_30default_config_static_selectorELNS0_4arch9wavefront6targetE1EEEvT1_
                                        ; -- End function
	.section	.AMDGPU.csdata,"",@progbits
; Kernel info:
; codeLenInByte = 0
; NumSgprs: 4
; NumVgprs: 0
; NumAgprs: 0
; TotalNumVgprs: 0
; ScratchSize: 0
; MemoryBound: 0
; FloatMode: 240
; IeeeMode: 1
; LDSByteSize: 0 bytes/workgroup (compile time only)
; SGPRBlocks: 0
; VGPRBlocks: 0
; NumSGPRsForWavesPerEU: 4
; NumVGPRsForWavesPerEU: 1
; AccumOffset: 4
; Occupancy: 8
; WaveLimiterHint : 0
; COMPUTE_PGM_RSRC2:SCRATCH_EN: 0
; COMPUTE_PGM_RSRC2:USER_SGPR: 6
; COMPUTE_PGM_RSRC2:TRAP_HANDLER: 0
; COMPUTE_PGM_RSRC2:TGID_X_EN: 1
; COMPUTE_PGM_RSRC2:TGID_Y_EN: 0
; COMPUTE_PGM_RSRC2:TGID_Z_EN: 0
; COMPUTE_PGM_RSRC2:TIDIG_COMP_CNT: 0
; COMPUTE_PGM_RSRC3_GFX90A:ACCUM_OFFSET: 0
; COMPUTE_PGM_RSRC3_GFX90A:TG_SPLIT: 0
	.section	.text._ZN7rocprim17ROCPRIM_400000_NS6detail17trampoline_kernelINS0_14default_configENS1_33run_length_encode_config_selectorIfjNS0_4plusIjEEEEZZNS1_33reduce_by_key_impl_wrapped_configILNS1_25lookback_scan_determinismE0ES3_S7_PKfNS0_17constant_iteratorIjlEEPfPlSF_S6_NS0_8equal_toIfEEEE10hipError_tPvRmT2_T3_mT4_T5_T6_T7_T8_P12ihipStream_tbENKUlT_T0_E_clISt17integral_constantIbLb0EESZ_EEDaSU_SV_EUlSU_E_NS1_11comp_targetILNS1_3genE2ELNS1_11target_archE906ELNS1_3gpuE6ELNS1_3repE0EEENS1_30default_config_static_selectorELNS0_4arch9wavefront6targetE1EEEvT1_,"axG",@progbits,_ZN7rocprim17ROCPRIM_400000_NS6detail17trampoline_kernelINS0_14default_configENS1_33run_length_encode_config_selectorIfjNS0_4plusIjEEEEZZNS1_33reduce_by_key_impl_wrapped_configILNS1_25lookback_scan_determinismE0ES3_S7_PKfNS0_17constant_iteratorIjlEEPfPlSF_S6_NS0_8equal_toIfEEEE10hipError_tPvRmT2_T3_mT4_T5_T6_T7_T8_P12ihipStream_tbENKUlT_T0_E_clISt17integral_constantIbLb0EESZ_EEDaSU_SV_EUlSU_E_NS1_11comp_targetILNS1_3genE2ELNS1_11target_archE906ELNS1_3gpuE6ELNS1_3repE0EEENS1_30default_config_static_selectorELNS0_4arch9wavefront6targetE1EEEvT1_,comdat
	.protected	_ZN7rocprim17ROCPRIM_400000_NS6detail17trampoline_kernelINS0_14default_configENS1_33run_length_encode_config_selectorIfjNS0_4plusIjEEEEZZNS1_33reduce_by_key_impl_wrapped_configILNS1_25lookback_scan_determinismE0ES3_S7_PKfNS0_17constant_iteratorIjlEEPfPlSF_S6_NS0_8equal_toIfEEEE10hipError_tPvRmT2_T3_mT4_T5_T6_T7_T8_P12ihipStream_tbENKUlT_T0_E_clISt17integral_constantIbLb0EESZ_EEDaSU_SV_EUlSU_E_NS1_11comp_targetILNS1_3genE2ELNS1_11target_archE906ELNS1_3gpuE6ELNS1_3repE0EEENS1_30default_config_static_selectorELNS0_4arch9wavefront6targetE1EEEvT1_ ; -- Begin function _ZN7rocprim17ROCPRIM_400000_NS6detail17trampoline_kernelINS0_14default_configENS1_33run_length_encode_config_selectorIfjNS0_4plusIjEEEEZZNS1_33reduce_by_key_impl_wrapped_configILNS1_25lookback_scan_determinismE0ES3_S7_PKfNS0_17constant_iteratorIjlEEPfPlSF_S6_NS0_8equal_toIfEEEE10hipError_tPvRmT2_T3_mT4_T5_T6_T7_T8_P12ihipStream_tbENKUlT_T0_E_clISt17integral_constantIbLb0EESZ_EEDaSU_SV_EUlSU_E_NS1_11comp_targetILNS1_3genE2ELNS1_11target_archE906ELNS1_3gpuE6ELNS1_3repE0EEENS1_30default_config_static_selectorELNS0_4arch9wavefront6targetE1EEEvT1_
	.globl	_ZN7rocprim17ROCPRIM_400000_NS6detail17trampoline_kernelINS0_14default_configENS1_33run_length_encode_config_selectorIfjNS0_4plusIjEEEEZZNS1_33reduce_by_key_impl_wrapped_configILNS1_25lookback_scan_determinismE0ES3_S7_PKfNS0_17constant_iteratorIjlEEPfPlSF_S6_NS0_8equal_toIfEEEE10hipError_tPvRmT2_T3_mT4_T5_T6_T7_T8_P12ihipStream_tbENKUlT_T0_E_clISt17integral_constantIbLb0EESZ_EEDaSU_SV_EUlSU_E_NS1_11comp_targetILNS1_3genE2ELNS1_11target_archE906ELNS1_3gpuE6ELNS1_3repE0EEENS1_30default_config_static_selectorELNS0_4arch9wavefront6targetE1EEEvT1_
	.p2align	8
	.type	_ZN7rocprim17ROCPRIM_400000_NS6detail17trampoline_kernelINS0_14default_configENS1_33run_length_encode_config_selectorIfjNS0_4plusIjEEEEZZNS1_33reduce_by_key_impl_wrapped_configILNS1_25lookback_scan_determinismE0ES3_S7_PKfNS0_17constant_iteratorIjlEEPfPlSF_S6_NS0_8equal_toIfEEEE10hipError_tPvRmT2_T3_mT4_T5_T6_T7_T8_P12ihipStream_tbENKUlT_T0_E_clISt17integral_constantIbLb0EESZ_EEDaSU_SV_EUlSU_E_NS1_11comp_targetILNS1_3genE2ELNS1_11target_archE906ELNS1_3gpuE6ELNS1_3repE0EEENS1_30default_config_static_selectorELNS0_4arch9wavefront6targetE1EEEvT1_,@function
_ZN7rocprim17ROCPRIM_400000_NS6detail17trampoline_kernelINS0_14default_configENS1_33run_length_encode_config_selectorIfjNS0_4plusIjEEEEZZNS1_33reduce_by_key_impl_wrapped_configILNS1_25lookback_scan_determinismE0ES3_S7_PKfNS0_17constant_iteratorIjlEEPfPlSF_S6_NS0_8equal_toIfEEEE10hipError_tPvRmT2_T3_mT4_T5_T6_T7_T8_P12ihipStream_tbENKUlT_T0_E_clISt17integral_constantIbLb0EESZ_EEDaSU_SV_EUlSU_E_NS1_11comp_targetILNS1_3genE2ELNS1_11target_archE906ELNS1_3gpuE6ELNS1_3repE0EEENS1_30default_config_static_selectorELNS0_4arch9wavefront6targetE1EEEvT1_: ; @_ZN7rocprim17ROCPRIM_400000_NS6detail17trampoline_kernelINS0_14default_configENS1_33run_length_encode_config_selectorIfjNS0_4plusIjEEEEZZNS1_33reduce_by_key_impl_wrapped_configILNS1_25lookback_scan_determinismE0ES3_S7_PKfNS0_17constant_iteratorIjlEEPfPlSF_S6_NS0_8equal_toIfEEEE10hipError_tPvRmT2_T3_mT4_T5_T6_T7_T8_P12ihipStream_tbENKUlT_T0_E_clISt17integral_constantIbLb0EESZ_EEDaSU_SV_EUlSU_E_NS1_11comp_targetILNS1_3genE2ELNS1_11target_archE906ELNS1_3gpuE6ELNS1_3repE0EEENS1_30default_config_static_selectorELNS0_4arch9wavefront6targetE1EEEvT1_
; %bb.0:
	.section	.rodata,"a",@progbits
	.p2align	6, 0x0
	.amdhsa_kernel _ZN7rocprim17ROCPRIM_400000_NS6detail17trampoline_kernelINS0_14default_configENS1_33run_length_encode_config_selectorIfjNS0_4plusIjEEEEZZNS1_33reduce_by_key_impl_wrapped_configILNS1_25lookback_scan_determinismE0ES3_S7_PKfNS0_17constant_iteratorIjlEEPfPlSF_S6_NS0_8equal_toIfEEEE10hipError_tPvRmT2_T3_mT4_T5_T6_T7_T8_P12ihipStream_tbENKUlT_T0_E_clISt17integral_constantIbLb0EESZ_EEDaSU_SV_EUlSU_E_NS1_11comp_targetILNS1_3genE2ELNS1_11target_archE906ELNS1_3gpuE6ELNS1_3repE0EEENS1_30default_config_static_selectorELNS0_4arch9wavefront6targetE1EEEvT1_
		.amdhsa_group_segment_fixed_size 0
		.amdhsa_private_segment_fixed_size 0
		.amdhsa_kernarg_size 128
		.amdhsa_user_sgpr_count 6
		.amdhsa_user_sgpr_private_segment_buffer 1
		.amdhsa_user_sgpr_dispatch_ptr 0
		.amdhsa_user_sgpr_queue_ptr 0
		.amdhsa_user_sgpr_kernarg_segment_ptr 1
		.amdhsa_user_sgpr_dispatch_id 0
		.amdhsa_user_sgpr_flat_scratch_init 0
		.amdhsa_user_sgpr_kernarg_preload_length 0
		.amdhsa_user_sgpr_kernarg_preload_offset 0
		.amdhsa_user_sgpr_private_segment_size 0
		.amdhsa_uses_dynamic_stack 0
		.amdhsa_system_sgpr_private_segment_wavefront_offset 0
		.amdhsa_system_sgpr_workgroup_id_x 1
		.amdhsa_system_sgpr_workgroup_id_y 0
		.amdhsa_system_sgpr_workgroup_id_z 0
		.amdhsa_system_sgpr_workgroup_info 0
		.amdhsa_system_vgpr_workitem_id 0
		.amdhsa_next_free_vgpr 1
		.amdhsa_next_free_sgpr 0
		.amdhsa_accum_offset 4
		.amdhsa_reserve_vcc 0
		.amdhsa_reserve_flat_scratch 0
		.amdhsa_float_round_mode_32 0
		.amdhsa_float_round_mode_16_64 0
		.amdhsa_float_denorm_mode_32 3
		.amdhsa_float_denorm_mode_16_64 3
		.amdhsa_dx10_clamp 1
		.amdhsa_ieee_mode 1
		.amdhsa_fp16_overflow 0
		.amdhsa_tg_split 0
		.amdhsa_exception_fp_ieee_invalid_op 0
		.amdhsa_exception_fp_denorm_src 0
		.amdhsa_exception_fp_ieee_div_zero 0
		.amdhsa_exception_fp_ieee_overflow 0
		.amdhsa_exception_fp_ieee_underflow 0
		.amdhsa_exception_fp_ieee_inexact 0
		.amdhsa_exception_int_div_zero 0
	.end_amdhsa_kernel
	.section	.text._ZN7rocprim17ROCPRIM_400000_NS6detail17trampoline_kernelINS0_14default_configENS1_33run_length_encode_config_selectorIfjNS0_4plusIjEEEEZZNS1_33reduce_by_key_impl_wrapped_configILNS1_25lookback_scan_determinismE0ES3_S7_PKfNS0_17constant_iteratorIjlEEPfPlSF_S6_NS0_8equal_toIfEEEE10hipError_tPvRmT2_T3_mT4_T5_T6_T7_T8_P12ihipStream_tbENKUlT_T0_E_clISt17integral_constantIbLb0EESZ_EEDaSU_SV_EUlSU_E_NS1_11comp_targetILNS1_3genE2ELNS1_11target_archE906ELNS1_3gpuE6ELNS1_3repE0EEENS1_30default_config_static_selectorELNS0_4arch9wavefront6targetE1EEEvT1_,"axG",@progbits,_ZN7rocprim17ROCPRIM_400000_NS6detail17trampoline_kernelINS0_14default_configENS1_33run_length_encode_config_selectorIfjNS0_4plusIjEEEEZZNS1_33reduce_by_key_impl_wrapped_configILNS1_25lookback_scan_determinismE0ES3_S7_PKfNS0_17constant_iteratorIjlEEPfPlSF_S6_NS0_8equal_toIfEEEE10hipError_tPvRmT2_T3_mT4_T5_T6_T7_T8_P12ihipStream_tbENKUlT_T0_E_clISt17integral_constantIbLb0EESZ_EEDaSU_SV_EUlSU_E_NS1_11comp_targetILNS1_3genE2ELNS1_11target_archE906ELNS1_3gpuE6ELNS1_3repE0EEENS1_30default_config_static_selectorELNS0_4arch9wavefront6targetE1EEEvT1_,comdat
.Lfunc_end377:
	.size	_ZN7rocprim17ROCPRIM_400000_NS6detail17trampoline_kernelINS0_14default_configENS1_33run_length_encode_config_selectorIfjNS0_4plusIjEEEEZZNS1_33reduce_by_key_impl_wrapped_configILNS1_25lookback_scan_determinismE0ES3_S7_PKfNS0_17constant_iteratorIjlEEPfPlSF_S6_NS0_8equal_toIfEEEE10hipError_tPvRmT2_T3_mT4_T5_T6_T7_T8_P12ihipStream_tbENKUlT_T0_E_clISt17integral_constantIbLb0EESZ_EEDaSU_SV_EUlSU_E_NS1_11comp_targetILNS1_3genE2ELNS1_11target_archE906ELNS1_3gpuE6ELNS1_3repE0EEENS1_30default_config_static_selectorELNS0_4arch9wavefront6targetE1EEEvT1_, .Lfunc_end377-_ZN7rocprim17ROCPRIM_400000_NS6detail17trampoline_kernelINS0_14default_configENS1_33run_length_encode_config_selectorIfjNS0_4plusIjEEEEZZNS1_33reduce_by_key_impl_wrapped_configILNS1_25lookback_scan_determinismE0ES3_S7_PKfNS0_17constant_iteratorIjlEEPfPlSF_S6_NS0_8equal_toIfEEEE10hipError_tPvRmT2_T3_mT4_T5_T6_T7_T8_P12ihipStream_tbENKUlT_T0_E_clISt17integral_constantIbLb0EESZ_EEDaSU_SV_EUlSU_E_NS1_11comp_targetILNS1_3genE2ELNS1_11target_archE906ELNS1_3gpuE6ELNS1_3repE0EEENS1_30default_config_static_selectorELNS0_4arch9wavefront6targetE1EEEvT1_
                                        ; -- End function
	.section	.AMDGPU.csdata,"",@progbits
; Kernel info:
; codeLenInByte = 0
; NumSgprs: 4
; NumVgprs: 0
; NumAgprs: 0
; TotalNumVgprs: 0
; ScratchSize: 0
; MemoryBound: 0
; FloatMode: 240
; IeeeMode: 1
; LDSByteSize: 0 bytes/workgroup (compile time only)
; SGPRBlocks: 0
; VGPRBlocks: 0
; NumSGPRsForWavesPerEU: 4
; NumVGPRsForWavesPerEU: 1
; AccumOffset: 4
; Occupancy: 8
; WaveLimiterHint : 0
; COMPUTE_PGM_RSRC2:SCRATCH_EN: 0
; COMPUTE_PGM_RSRC2:USER_SGPR: 6
; COMPUTE_PGM_RSRC2:TRAP_HANDLER: 0
; COMPUTE_PGM_RSRC2:TGID_X_EN: 1
; COMPUTE_PGM_RSRC2:TGID_Y_EN: 0
; COMPUTE_PGM_RSRC2:TGID_Z_EN: 0
; COMPUTE_PGM_RSRC2:TIDIG_COMP_CNT: 0
; COMPUTE_PGM_RSRC3_GFX90A:ACCUM_OFFSET: 0
; COMPUTE_PGM_RSRC3_GFX90A:TG_SPLIT: 0
	.section	.text._ZN7rocprim17ROCPRIM_400000_NS6detail17trampoline_kernelINS0_14default_configENS1_33run_length_encode_config_selectorIfjNS0_4plusIjEEEEZZNS1_33reduce_by_key_impl_wrapped_configILNS1_25lookback_scan_determinismE0ES3_S7_PKfNS0_17constant_iteratorIjlEEPfPlSF_S6_NS0_8equal_toIfEEEE10hipError_tPvRmT2_T3_mT4_T5_T6_T7_T8_P12ihipStream_tbENKUlT_T0_E_clISt17integral_constantIbLb0EESZ_EEDaSU_SV_EUlSU_E_NS1_11comp_targetILNS1_3genE10ELNS1_11target_archE1201ELNS1_3gpuE5ELNS1_3repE0EEENS1_30default_config_static_selectorELNS0_4arch9wavefront6targetE1EEEvT1_,"axG",@progbits,_ZN7rocprim17ROCPRIM_400000_NS6detail17trampoline_kernelINS0_14default_configENS1_33run_length_encode_config_selectorIfjNS0_4plusIjEEEEZZNS1_33reduce_by_key_impl_wrapped_configILNS1_25lookback_scan_determinismE0ES3_S7_PKfNS0_17constant_iteratorIjlEEPfPlSF_S6_NS0_8equal_toIfEEEE10hipError_tPvRmT2_T3_mT4_T5_T6_T7_T8_P12ihipStream_tbENKUlT_T0_E_clISt17integral_constantIbLb0EESZ_EEDaSU_SV_EUlSU_E_NS1_11comp_targetILNS1_3genE10ELNS1_11target_archE1201ELNS1_3gpuE5ELNS1_3repE0EEENS1_30default_config_static_selectorELNS0_4arch9wavefront6targetE1EEEvT1_,comdat
	.protected	_ZN7rocprim17ROCPRIM_400000_NS6detail17trampoline_kernelINS0_14default_configENS1_33run_length_encode_config_selectorIfjNS0_4plusIjEEEEZZNS1_33reduce_by_key_impl_wrapped_configILNS1_25lookback_scan_determinismE0ES3_S7_PKfNS0_17constant_iteratorIjlEEPfPlSF_S6_NS0_8equal_toIfEEEE10hipError_tPvRmT2_T3_mT4_T5_T6_T7_T8_P12ihipStream_tbENKUlT_T0_E_clISt17integral_constantIbLb0EESZ_EEDaSU_SV_EUlSU_E_NS1_11comp_targetILNS1_3genE10ELNS1_11target_archE1201ELNS1_3gpuE5ELNS1_3repE0EEENS1_30default_config_static_selectorELNS0_4arch9wavefront6targetE1EEEvT1_ ; -- Begin function _ZN7rocprim17ROCPRIM_400000_NS6detail17trampoline_kernelINS0_14default_configENS1_33run_length_encode_config_selectorIfjNS0_4plusIjEEEEZZNS1_33reduce_by_key_impl_wrapped_configILNS1_25lookback_scan_determinismE0ES3_S7_PKfNS0_17constant_iteratorIjlEEPfPlSF_S6_NS0_8equal_toIfEEEE10hipError_tPvRmT2_T3_mT4_T5_T6_T7_T8_P12ihipStream_tbENKUlT_T0_E_clISt17integral_constantIbLb0EESZ_EEDaSU_SV_EUlSU_E_NS1_11comp_targetILNS1_3genE10ELNS1_11target_archE1201ELNS1_3gpuE5ELNS1_3repE0EEENS1_30default_config_static_selectorELNS0_4arch9wavefront6targetE1EEEvT1_
	.globl	_ZN7rocprim17ROCPRIM_400000_NS6detail17trampoline_kernelINS0_14default_configENS1_33run_length_encode_config_selectorIfjNS0_4plusIjEEEEZZNS1_33reduce_by_key_impl_wrapped_configILNS1_25lookback_scan_determinismE0ES3_S7_PKfNS0_17constant_iteratorIjlEEPfPlSF_S6_NS0_8equal_toIfEEEE10hipError_tPvRmT2_T3_mT4_T5_T6_T7_T8_P12ihipStream_tbENKUlT_T0_E_clISt17integral_constantIbLb0EESZ_EEDaSU_SV_EUlSU_E_NS1_11comp_targetILNS1_3genE10ELNS1_11target_archE1201ELNS1_3gpuE5ELNS1_3repE0EEENS1_30default_config_static_selectorELNS0_4arch9wavefront6targetE1EEEvT1_
	.p2align	8
	.type	_ZN7rocprim17ROCPRIM_400000_NS6detail17trampoline_kernelINS0_14default_configENS1_33run_length_encode_config_selectorIfjNS0_4plusIjEEEEZZNS1_33reduce_by_key_impl_wrapped_configILNS1_25lookback_scan_determinismE0ES3_S7_PKfNS0_17constant_iteratorIjlEEPfPlSF_S6_NS0_8equal_toIfEEEE10hipError_tPvRmT2_T3_mT4_T5_T6_T7_T8_P12ihipStream_tbENKUlT_T0_E_clISt17integral_constantIbLb0EESZ_EEDaSU_SV_EUlSU_E_NS1_11comp_targetILNS1_3genE10ELNS1_11target_archE1201ELNS1_3gpuE5ELNS1_3repE0EEENS1_30default_config_static_selectorELNS0_4arch9wavefront6targetE1EEEvT1_,@function
_ZN7rocprim17ROCPRIM_400000_NS6detail17trampoline_kernelINS0_14default_configENS1_33run_length_encode_config_selectorIfjNS0_4plusIjEEEEZZNS1_33reduce_by_key_impl_wrapped_configILNS1_25lookback_scan_determinismE0ES3_S7_PKfNS0_17constant_iteratorIjlEEPfPlSF_S6_NS0_8equal_toIfEEEE10hipError_tPvRmT2_T3_mT4_T5_T6_T7_T8_P12ihipStream_tbENKUlT_T0_E_clISt17integral_constantIbLb0EESZ_EEDaSU_SV_EUlSU_E_NS1_11comp_targetILNS1_3genE10ELNS1_11target_archE1201ELNS1_3gpuE5ELNS1_3repE0EEENS1_30default_config_static_selectorELNS0_4arch9wavefront6targetE1EEEvT1_: ; @_ZN7rocprim17ROCPRIM_400000_NS6detail17trampoline_kernelINS0_14default_configENS1_33run_length_encode_config_selectorIfjNS0_4plusIjEEEEZZNS1_33reduce_by_key_impl_wrapped_configILNS1_25lookback_scan_determinismE0ES3_S7_PKfNS0_17constant_iteratorIjlEEPfPlSF_S6_NS0_8equal_toIfEEEE10hipError_tPvRmT2_T3_mT4_T5_T6_T7_T8_P12ihipStream_tbENKUlT_T0_E_clISt17integral_constantIbLb0EESZ_EEDaSU_SV_EUlSU_E_NS1_11comp_targetILNS1_3genE10ELNS1_11target_archE1201ELNS1_3gpuE5ELNS1_3repE0EEENS1_30default_config_static_selectorELNS0_4arch9wavefront6targetE1EEEvT1_
; %bb.0:
	.section	.rodata,"a",@progbits
	.p2align	6, 0x0
	.amdhsa_kernel _ZN7rocprim17ROCPRIM_400000_NS6detail17trampoline_kernelINS0_14default_configENS1_33run_length_encode_config_selectorIfjNS0_4plusIjEEEEZZNS1_33reduce_by_key_impl_wrapped_configILNS1_25lookback_scan_determinismE0ES3_S7_PKfNS0_17constant_iteratorIjlEEPfPlSF_S6_NS0_8equal_toIfEEEE10hipError_tPvRmT2_T3_mT4_T5_T6_T7_T8_P12ihipStream_tbENKUlT_T0_E_clISt17integral_constantIbLb0EESZ_EEDaSU_SV_EUlSU_E_NS1_11comp_targetILNS1_3genE10ELNS1_11target_archE1201ELNS1_3gpuE5ELNS1_3repE0EEENS1_30default_config_static_selectorELNS0_4arch9wavefront6targetE1EEEvT1_
		.amdhsa_group_segment_fixed_size 0
		.amdhsa_private_segment_fixed_size 0
		.amdhsa_kernarg_size 128
		.amdhsa_user_sgpr_count 6
		.amdhsa_user_sgpr_private_segment_buffer 1
		.amdhsa_user_sgpr_dispatch_ptr 0
		.amdhsa_user_sgpr_queue_ptr 0
		.amdhsa_user_sgpr_kernarg_segment_ptr 1
		.amdhsa_user_sgpr_dispatch_id 0
		.amdhsa_user_sgpr_flat_scratch_init 0
		.amdhsa_user_sgpr_kernarg_preload_length 0
		.amdhsa_user_sgpr_kernarg_preload_offset 0
		.amdhsa_user_sgpr_private_segment_size 0
		.amdhsa_uses_dynamic_stack 0
		.amdhsa_system_sgpr_private_segment_wavefront_offset 0
		.amdhsa_system_sgpr_workgroup_id_x 1
		.amdhsa_system_sgpr_workgroup_id_y 0
		.amdhsa_system_sgpr_workgroup_id_z 0
		.amdhsa_system_sgpr_workgroup_info 0
		.amdhsa_system_vgpr_workitem_id 0
		.amdhsa_next_free_vgpr 1
		.amdhsa_next_free_sgpr 0
		.amdhsa_accum_offset 4
		.amdhsa_reserve_vcc 0
		.amdhsa_reserve_flat_scratch 0
		.amdhsa_float_round_mode_32 0
		.amdhsa_float_round_mode_16_64 0
		.amdhsa_float_denorm_mode_32 3
		.amdhsa_float_denorm_mode_16_64 3
		.amdhsa_dx10_clamp 1
		.amdhsa_ieee_mode 1
		.amdhsa_fp16_overflow 0
		.amdhsa_tg_split 0
		.amdhsa_exception_fp_ieee_invalid_op 0
		.amdhsa_exception_fp_denorm_src 0
		.amdhsa_exception_fp_ieee_div_zero 0
		.amdhsa_exception_fp_ieee_overflow 0
		.amdhsa_exception_fp_ieee_underflow 0
		.amdhsa_exception_fp_ieee_inexact 0
		.amdhsa_exception_int_div_zero 0
	.end_amdhsa_kernel
	.section	.text._ZN7rocprim17ROCPRIM_400000_NS6detail17trampoline_kernelINS0_14default_configENS1_33run_length_encode_config_selectorIfjNS0_4plusIjEEEEZZNS1_33reduce_by_key_impl_wrapped_configILNS1_25lookback_scan_determinismE0ES3_S7_PKfNS0_17constant_iteratorIjlEEPfPlSF_S6_NS0_8equal_toIfEEEE10hipError_tPvRmT2_T3_mT4_T5_T6_T7_T8_P12ihipStream_tbENKUlT_T0_E_clISt17integral_constantIbLb0EESZ_EEDaSU_SV_EUlSU_E_NS1_11comp_targetILNS1_3genE10ELNS1_11target_archE1201ELNS1_3gpuE5ELNS1_3repE0EEENS1_30default_config_static_selectorELNS0_4arch9wavefront6targetE1EEEvT1_,"axG",@progbits,_ZN7rocprim17ROCPRIM_400000_NS6detail17trampoline_kernelINS0_14default_configENS1_33run_length_encode_config_selectorIfjNS0_4plusIjEEEEZZNS1_33reduce_by_key_impl_wrapped_configILNS1_25lookback_scan_determinismE0ES3_S7_PKfNS0_17constant_iteratorIjlEEPfPlSF_S6_NS0_8equal_toIfEEEE10hipError_tPvRmT2_T3_mT4_T5_T6_T7_T8_P12ihipStream_tbENKUlT_T0_E_clISt17integral_constantIbLb0EESZ_EEDaSU_SV_EUlSU_E_NS1_11comp_targetILNS1_3genE10ELNS1_11target_archE1201ELNS1_3gpuE5ELNS1_3repE0EEENS1_30default_config_static_selectorELNS0_4arch9wavefront6targetE1EEEvT1_,comdat
.Lfunc_end378:
	.size	_ZN7rocprim17ROCPRIM_400000_NS6detail17trampoline_kernelINS0_14default_configENS1_33run_length_encode_config_selectorIfjNS0_4plusIjEEEEZZNS1_33reduce_by_key_impl_wrapped_configILNS1_25lookback_scan_determinismE0ES3_S7_PKfNS0_17constant_iteratorIjlEEPfPlSF_S6_NS0_8equal_toIfEEEE10hipError_tPvRmT2_T3_mT4_T5_T6_T7_T8_P12ihipStream_tbENKUlT_T0_E_clISt17integral_constantIbLb0EESZ_EEDaSU_SV_EUlSU_E_NS1_11comp_targetILNS1_3genE10ELNS1_11target_archE1201ELNS1_3gpuE5ELNS1_3repE0EEENS1_30default_config_static_selectorELNS0_4arch9wavefront6targetE1EEEvT1_, .Lfunc_end378-_ZN7rocprim17ROCPRIM_400000_NS6detail17trampoline_kernelINS0_14default_configENS1_33run_length_encode_config_selectorIfjNS0_4plusIjEEEEZZNS1_33reduce_by_key_impl_wrapped_configILNS1_25lookback_scan_determinismE0ES3_S7_PKfNS0_17constant_iteratorIjlEEPfPlSF_S6_NS0_8equal_toIfEEEE10hipError_tPvRmT2_T3_mT4_T5_T6_T7_T8_P12ihipStream_tbENKUlT_T0_E_clISt17integral_constantIbLb0EESZ_EEDaSU_SV_EUlSU_E_NS1_11comp_targetILNS1_3genE10ELNS1_11target_archE1201ELNS1_3gpuE5ELNS1_3repE0EEENS1_30default_config_static_selectorELNS0_4arch9wavefront6targetE1EEEvT1_
                                        ; -- End function
	.section	.AMDGPU.csdata,"",@progbits
; Kernel info:
; codeLenInByte = 0
; NumSgprs: 4
; NumVgprs: 0
; NumAgprs: 0
; TotalNumVgprs: 0
; ScratchSize: 0
; MemoryBound: 0
; FloatMode: 240
; IeeeMode: 1
; LDSByteSize: 0 bytes/workgroup (compile time only)
; SGPRBlocks: 0
; VGPRBlocks: 0
; NumSGPRsForWavesPerEU: 4
; NumVGPRsForWavesPerEU: 1
; AccumOffset: 4
; Occupancy: 8
; WaveLimiterHint : 0
; COMPUTE_PGM_RSRC2:SCRATCH_EN: 0
; COMPUTE_PGM_RSRC2:USER_SGPR: 6
; COMPUTE_PGM_RSRC2:TRAP_HANDLER: 0
; COMPUTE_PGM_RSRC2:TGID_X_EN: 1
; COMPUTE_PGM_RSRC2:TGID_Y_EN: 0
; COMPUTE_PGM_RSRC2:TGID_Z_EN: 0
; COMPUTE_PGM_RSRC2:TIDIG_COMP_CNT: 0
; COMPUTE_PGM_RSRC3_GFX90A:ACCUM_OFFSET: 0
; COMPUTE_PGM_RSRC3_GFX90A:TG_SPLIT: 0
	.section	.text._ZN7rocprim17ROCPRIM_400000_NS6detail17trampoline_kernelINS0_14default_configENS1_33run_length_encode_config_selectorIfjNS0_4plusIjEEEEZZNS1_33reduce_by_key_impl_wrapped_configILNS1_25lookback_scan_determinismE0ES3_S7_PKfNS0_17constant_iteratorIjlEEPfPlSF_S6_NS0_8equal_toIfEEEE10hipError_tPvRmT2_T3_mT4_T5_T6_T7_T8_P12ihipStream_tbENKUlT_T0_E_clISt17integral_constantIbLb0EESZ_EEDaSU_SV_EUlSU_E_NS1_11comp_targetILNS1_3genE10ELNS1_11target_archE1200ELNS1_3gpuE4ELNS1_3repE0EEENS1_30default_config_static_selectorELNS0_4arch9wavefront6targetE1EEEvT1_,"axG",@progbits,_ZN7rocprim17ROCPRIM_400000_NS6detail17trampoline_kernelINS0_14default_configENS1_33run_length_encode_config_selectorIfjNS0_4plusIjEEEEZZNS1_33reduce_by_key_impl_wrapped_configILNS1_25lookback_scan_determinismE0ES3_S7_PKfNS0_17constant_iteratorIjlEEPfPlSF_S6_NS0_8equal_toIfEEEE10hipError_tPvRmT2_T3_mT4_T5_T6_T7_T8_P12ihipStream_tbENKUlT_T0_E_clISt17integral_constantIbLb0EESZ_EEDaSU_SV_EUlSU_E_NS1_11comp_targetILNS1_3genE10ELNS1_11target_archE1200ELNS1_3gpuE4ELNS1_3repE0EEENS1_30default_config_static_selectorELNS0_4arch9wavefront6targetE1EEEvT1_,comdat
	.protected	_ZN7rocprim17ROCPRIM_400000_NS6detail17trampoline_kernelINS0_14default_configENS1_33run_length_encode_config_selectorIfjNS0_4plusIjEEEEZZNS1_33reduce_by_key_impl_wrapped_configILNS1_25lookback_scan_determinismE0ES3_S7_PKfNS0_17constant_iteratorIjlEEPfPlSF_S6_NS0_8equal_toIfEEEE10hipError_tPvRmT2_T3_mT4_T5_T6_T7_T8_P12ihipStream_tbENKUlT_T0_E_clISt17integral_constantIbLb0EESZ_EEDaSU_SV_EUlSU_E_NS1_11comp_targetILNS1_3genE10ELNS1_11target_archE1200ELNS1_3gpuE4ELNS1_3repE0EEENS1_30default_config_static_selectorELNS0_4arch9wavefront6targetE1EEEvT1_ ; -- Begin function _ZN7rocprim17ROCPRIM_400000_NS6detail17trampoline_kernelINS0_14default_configENS1_33run_length_encode_config_selectorIfjNS0_4plusIjEEEEZZNS1_33reduce_by_key_impl_wrapped_configILNS1_25lookback_scan_determinismE0ES3_S7_PKfNS0_17constant_iteratorIjlEEPfPlSF_S6_NS0_8equal_toIfEEEE10hipError_tPvRmT2_T3_mT4_T5_T6_T7_T8_P12ihipStream_tbENKUlT_T0_E_clISt17integral_constantIbLb0EESZ_EEDaSU_SV_EUlSU_E_NS1_11comp_targetILNS1_3genE10ELNS1_11target_archE1200ELNS1_3gpuE4ELNS1_3repE0EEENS1_30default_config_static_selectorELNS0_4arch9wavefront6targetE1EEEvT1_
	.globl	_ZN7rocprim17ROCPRIM_400000_NS6detail17trampoline_kernelINS0_14default_configENS1_33run_length_encode_config_selectorIfjNS0_4plusIjEEEEZZNS1_33reduce_by_key_impl_wrapped_configILNS1_25lookback_scan_determinismE0ES3_S7_PKfNS0_17constant_iteratorIjlEEPfPlSF_S6_NS0_8equal_toIfEEEE10hipError_tPvRmT2_T3_mT4_T5_T6_T7_T8_P12ihipStream_tbENKUlT_T0_E_clISt17integral_constantIbLb0EESZ_EEDaSU_SV_EUlSU_E_NS1_11comp_targetILNS1_3genE10ELNS1_11target_archE1200ELNS1_3gpuE4ELNS1_3repE0EEENS1_30default_config_static_selectorELNS0_4arch9wavefront6targetE1EEEvT1_
	.p2align	8
	.type	_ZN7rocprim17ROCPRIM_400000_NS6detail17trampoline_kernelINS0_14default_configENS1_33run_length_encode_config_selectorIfjNS0_4plusIjEEEEZZNS1_33reduce_by_key_impl_wrapped_configILNS1_25lookback_scan_determinismE0ES3_S7_PKfNS0_17constant_iteratorIjlEEPfPlSF_S6_NS0_8equal_toIfEEEE10hipError_tPvRmT2_T3_mT4_T5_T6_T7_T8_P12ihipStream_tbENKUlT_T0_E_clISt17integral_constantIbLb0EESZ_EEDaSU_SV_EUlSU_E_NS1_11comp_targetILNS1_3genE10ELNS1_11target_archE1200ELNS1_3gpuE4ELNS1_3repE0EEENS1_30default_config_static_selectorELNS0_4arch9wavefront6targetE1EEEvT1_,@function
_ZN7rocprim17ROCPRIM_400000_NS6detail17trampoline_kernelINS0_14default_configENS1_33run_length_encode_config_selectorIfjNS0_4plusIjEEEEZZNS1_33reduce_by_key_impl_wrapped_configILNS1_25lookback_scan_determinismE0ES3_S7_PKfNS0_17constant_iteratorIjlEEPfPlSF_S6_NS0_8equal_toIfEEEE10hipError_tPvRmT2_T3_mT4_T5_T6_T7_T8_P12ihipStream_tbENKUlT_T0_E_clISt17integral_constantIbLb0EESZ_EEDaSU_SV_EUlSU_E_NS1_11comp_targetILNS1_3genE10ELNS1_11target_archE1200ELNS1_3gpuE4ELNS1_3repE0EEENS1_30default_config_static_selectorELNS0_4arch9wavefront6targetE1EEEvT1_: ; @_ZN7rocprim17ROCPRIM_400000_NS6detail17trampoline_kernelINS0_14default_configENS1_33run_length_encode_config_selectorIfjNS0_4plusIjEEEEZZNS1_33reduce_by_key_impl_wrapped_configILNS1_25lookback_scan_determinismE0ES3_S7_PKfNS0_17constant_iteratorIjlEEPfPlSF_S6_NS0_8equal_toIfEEEE10hipError_tPvRmT2_T3_mT4_T5_T6_T7_T8_P12ihipStream_tbENKUlT_T0_E_clISt17integral_constantIbLb0EESZ_EEDaSU_SV_EUlSU_E_NS1_11comp_targetILNS1_3genE10ELNS1_11target_archE1200ELNS1_3gpuE4ELNS1_3repE0EEENS1_30default_config_static_selectorELNS0_4arch9wavefront6targetE1EEEvT1_
; %bb.0:
	.section	.rodata,"a",@progbits
	.p2align	6, 0x0
	.amdhsa_kernel _ZN7rocprim17ROCPRIM_400000_NS6detail17trampoline_kernelINS0_14default_configENS1_33run_length_encode_config_selectorIfjNS0_4plusIjEEEEZZNS1_33reduce_by_key_impl_wrapped_configILNS1_25lookback_scan_determinismE0ES3_S7_PKfNS0_17constant_iteratorIjlEEPfPlSF_S6_NS0_8equal_toIfEEEE10hipError_tPvRmT2_T3_mT4_T5_T6_T7_T8_P12ihipStream_tbENKUlT_T0_E_clISt17integral_constantIbLb0EESZ_EEDaSU_SV_EUlSU_E_NS1_11comp_targetILNS1_3genE10ELNS1_11target_archE1200ELNS1_3gpuE4ELNS1_3repE0EEENS1_30default_config_static_selectorELNS0_4arch9wavefront6targetE1EEEvT1_
		.amdhsa_group_segment_fixed_size 0
		.amdhsa_private_segment_fixed_size 0
		.amdhsa_kernarg_size 128
		.amdhsa_user_sgpr_count 6
		.amdhsa_user_sgpr_private_segment_buffer 1
		.amdhsa_user_sgpr_dispatch_ptr 0
		.amdhsa_user_sgpr_queue_ptr 0
		.amdhsa_user_sgpr_kernarg_segment_ptr 1
		.amdhsa_user_sgpr_dispatch_id 0
		.amdhsa_user_sgpr_flat_scratch_init 0
		.amdhsa_user_sgpr_kernarg_preload_length 0
		.amdhsa_user_sgpr_kernarg_preload_offset 0
		.amdhsa_user_sgpr_private_segment_size 0
		.amdhsa_uses_dynamic_stack 0
		.amdhsa_system_sgpr_private_segment_wavefront_offset 0
		.amdhsa_system_sgpr_workgroup_id_x 1
		.amdhsa_system_sgpr_workgroup_id_y 0
		.amdhsa_system_sgpr_workgroup_id_z 0
		.amdhsa_system_sgpr_workgroup_info 0
		.amdhsa_system_vgpr_workitem_id 0
		.amdhsa_next_free_vgpr 1
		.amdhsa_next_free_sgpr 0
		.amdhsa_accum_offset 4
		.amdhsa_reserve_vcc 0
		.amdhsa_reserve_flat_scratch 0
		.amdhsa_float_round_mode_32 0
		.amdhsa_float_round_mode_16_64 0
		.amdhsa_float_denorm_mode_32 3
		.amdhsa_float_denorm_mode_16_64 3
		.amdhsa_dx10_clamp 1
		.amdhsa_ieee_mode 1
		.amdhsa_fp16_overflow 0
		.amdhsa_tg_split 0
		.amdhsa_exception_fp_ieee_invalid_op 0
		.amdhsa_exception_fp_denorm_src 0
		.amdhsa_exception_fp_ieee_div_zero 0
		.amdhsa_exception_fp_ieee_overflow 0
		.amdhsa_exception_fp_ieee_underflow 0
		.amdhsa_exception_fp_ieee_inexact 0
		.amdhsa_exception_int_div_zero 0
	.end_amdhsa_kernel
	.section	.text._ZN7rocprim17ROCPRIM_400000_NS6detail17trampoline_kernelINS0_14default_configENS1_33run_length_encode_config_selectorIfjNS0_4plusIjEEEEZZNS1_33reduce_by_key_impl_wrapped_configILNS1_25lookback_scan_determinismE0ES3_S7_PKfNS0_17constant_iteratorIjlEEPfPlSF_S6_NS0_8equal_toIfEEEE10hipError_tPvRmT2_T3_mT4_T5_T6_T7_T8_P12ihipStream_tbENKUlT_T0_E_clISt17integral_constantIbLb0EESZ_EEDaSU_SV_EUlSU_E_NS1_11comp_targetILNS1_3genE10ELNS1_11target_archE1200ELNS1_3gpuE4ELNS1_3repE0EEENS1_30default_config_static_selectorELNS0_4arch9wavefront6targetE1EEEvT1_,"axG",@progbits,_ZN7rocprim17ROCPRIM_400000_NS6detail17trampoline_kernelINS0_14default_configENS1_33run_length_encode_config_selectorIfjNS0_4plusIjEEEEZZNS1_33reduce_by_key_impl_wrapped_configILNS1_25lookback_scan_determinismE0ES3_S7_PKfNS0_17constant_iteratorIjlEEPfPlSF_S6_NS0_8equal_toIfEEEE10hipError_tPvRmT2_T3_mT4_T5_T6_T7_T8_P12ihipStream_tbENKUlT_T0_E_clISt17integral_constantIbLb0EESZ_EEDaSU_SV_EUlSU_E_NS1_11comp_targetILNS1_3genE10ELNS1_11target_archE1200ELNS1_3gpuE4ELNS1_3repE0EEENS1_30default_config_static_selectorELNS0_4arch9wavefront6targetE1EEEvT1_,comdat
.Lfunc_end379:
	.size	_ZN7rocprim17ROCPRIM_400000_NS6detail17trampoline_kernelINS0_14default_configENS1_33run_length_encode_config_selectorIfjNS0_4plusIjEEEEZZNS1_33reduce_by_key_impl_wrapped_configILNS1_25lookback_scan_determinismE0ES3_S7_PKfNS0_17constant_iteratorIjlEEPfPlSF_S6_NS0_8equal_toIfEEEE10hipError_tPvRmT2_T3_mT4_T5_T6_T7_T8_P12ihipStream_tbENKUlT_T0_E_clISt17integral_constantIbLb0EESZ_EEDaSU_SV_EUlSU_E_NS1_11comp_targetILNS1_3genE10ELNS1_11target_archE1200ELNS1_3gpuE4ELNS1_3repE0EEENS1_30default_config_static_selectorELNS0_4arch9wavefront6targetE1EEEvT1_, .Lfunc_end379-_ZN7rocprim17ROCPRIM_400000_NS6detail17trampoline_kernelINS0_14default_configENS1_33run_length_encode_config_selectorIfjNS0_4plusIjEEEEZZNS1_33reduce_by_key_impl_wrapped_configILNS1_25lookback_scan_determinismE0ES3_S7_PKfNS0_17constant_iteratorIjlEEPfPlSF_S6_NS0_8equal_toIfEEEE10hipError_tPvRmT2_T3_mT4_T5_T6_T7_T8_P12ihipStream_tbENKUlT_T0_E_clISt17integral_constantIbLb0EESZ_EEDaSU_SV_EUlSU_E_NS1_11comp_targetILNS1_3genE10ELNS1_11target_archE1200ELNS1_3gpuE4ELNS1_3repE0EEENS1_30default_config_static_selectorELNS0_4arch9wavefront6targetE1EEEvT1_
                                        ; -- End function
	.section	.AMDGPU.csdata,"",@progbits
; Kernel info:
; codeLenInByte = 0
; NumSgprs: 4
; NumVgprs: 0
; NumAgprs: 0
; TotalNumVgprs: 0
; ScratchSize: 0
; MemoryBound: 0
; FloatMode: 240
; IeeeMode: 1
; LDSByteSize: 0 bytes/workgroup (compile time only)
; SGPRBlocks: 0
; VGPRBlocks: 0
; NumSGPRsForWavesPerEU: 4
; NumVGPRsForWavesPerEU: 1
; AccumOffset: 4
; Occupancy: 8
; WaveLimiterHint : 0
; COMPUTE_PGM_RSRC2:SCRATCH_EN: 0
; COMPUTE_PGM_RSRC2:USER_SGPR: 6
; COMPUTE_PGM_RSRC2:TRAP_HANDLER: 0
; COMPUTE_PGM_RSRC2:TGID_X_EN: 1
; COMPUTE_PGM_RSRC2:TGID_Y_EN: 0
; COMPUTE_PGM_RSRC2:TGID_Z_EN: 0
; COMPUTE_PGM_RSRC2:TIDIG_COMP_CNT: 0
; COMPUTE_PGM_RSRC3_GFX90A:ACCUM_OFFSET: 0
; COMPUTE_PGM_RSRC3_GFX90A:TG_SPLIT: 0
	.section	.text._ZN7rocprim17ROCPRIM_400000_NS6detail17trampoline_kernelINS0_14default_configENS1_33run_length_encode_config_selectorIfjNS0_4plusIjEEEEZZNS1_33reduce_by_key_impl_wrapped_configILNS1_25lookback_scan_determinismE0ES3_S7_PKfNS0_17constant_iteratorIjlEEPfPlSF_S6_NS0_8equal_toIfEEEE10hipError_tPvRmT2_T3_mT4_T5_T6_T7_T8_P12ihipStream_tbENKUlT_T0_E_clISt17integral_constantIbLb0EESZ_EEDaSU_SV_EUlSU_E_NS1_11comp_targetILNS1_3genE9ELNS1_11target_archE1100ELNS1_3gpuE3ELNS1_3repE0EEENS1_30default_config_static_selectorELNS0_4arch9wavefront6targetE1EEEvT1_,"axG",@progbits,_ZN7rocprim17ROCPRIM_400000_NS6detail17trampoline_kernelINS0_14default_configENS1_33run_length_encode_config_selectorIfjNS0_4plusIjEEEEZZNS1_33reduce_by_key_impl_wrapped_configILNS1_25lookback_scan_determinismE0ES3_S7_PKfNS0_17constant_iteratorIjlEEPfPlSF_S6_NS0_8equal_toIfEEEE10hipError_tPvRmT2_T3_mT4_T5_T6_T7_T8_P12ihipStream_tbENKUlT_T0_E_clISt17integral_constantIbLb0EESZ_EEDaSU_SV_EUlSU_E_NS1_11comp_targetILNS1_3genE9ELNS1_11target_archE1100ELNS1_3gpuE3ELNS1_3repE0EEENS1_30default_config_static_selectorELNS0_4arch9wavefront6targetE1EEEvT1_,comdat
	.protected	_ZN7rocprim17ROCPRIM_400000_NS6detail17trampoline_kernelINS0_14default_configENS1_33run_length_encode_config_selectorIfjNS0_4plusIjEEEEZZNS1_33reduce_by_key_impl_wrapped_configILNS1_25lookback_scan_determinismE0ES3_S7_PKfNS0_17constant_iteratorIjlEEPfPlSF_S6_NS0_8equal_toIfEEEE10hipError_tPvRmT2_T3_mT4_T5_T6_T7_T8_P12ihipStream_tbENKUlT_T0_E_clISt17integral_constantIbLb0EESZ_EEDaSU_SV_EUlSU_E_NS1_11comp_targetILNS1_3genE9ELNS1_11target_archE1100ELNS1_3gpuE3ELNS1_3repE0EEENS1_30default_config_static_selectorELNS0_4arch9wavefront6targetE1EEEvT1_ ; -- Begin function _ZN7rocprim17ROCPRIM_400000_NS6detail17trampoline_kernelINS0_14default_configENS1_33run_length_encode_config_selectorIfjNS0_4plusIjEEEEZZNS1_33reduce_by_key_impl_wrapped_configILNS1_25lookback_scan_determinismE0ES3_S7_PKfNS0_17constant_iteratorIjlEEPfPlSF_S6_NS0_8equal_toIfEEEE10hipError_tPvRmT2_T3_mT4_T5_T6_T7_T8_P12ihipStream_tbENKUlT_T0_E_clISt17integral_constantIbLb0EESZ_EEDaSU_SV_EUlSU_E_NS1_11comp_targetILNS1_3genE9ELNS1_11target_archE1100ELNS1_3gpuE3ELNS1_3repE0EEENS1_30default_config_static_selectorELNS0_4arch9wavefront6targetE1EEEvT1_
	.globl	_ZN7rocprim17ROCPRIM_400000_NS6detail17trampoline_kernelINS0_14default_configENS1_33run_length_encode_config_selectorIfjNS0_4plusIjEEEEZZNS1_33reduce_by_key_impl_wrapped_configILNS1_25lookback_scan_determinismE0ES3_S7_PKfNS0_17constant_iteratorIjlEEPfPlSF_S6_NS0_8equal_toIfEEEE10hipError_tPvRmT2_T3_mT4_T5_T6_T7_T8_P12ihipStream_tbENKUlT_T0_E_clISt17integral_constantIbLb0EESZ_EEDaSU_SV_EUlSU_E_NS1_11comp_targetILNS1_3genE9ELNS1_11target_archE1100ELNS1_3gpuE3ELNS1_3repE0EEENS1_30default_config_static_selectorELNS0_4arch9wavefront6targetE1EEEvT1_
	.p2align	8
	.type	_ZN7rocprim17ROCPRIM_400000_NS6detail17trampoline_kernelINS0_14default_configENS1_33run_length_encode_config_selectorIfjNS0_4plusIjEEEEZZNS1_33reduce_by_key_impl_wrapped_configILNS1_25lookback_scan_determinismE0ES3_S7_PKfNS0_17constant_iteratorIjlEEPfPlSF_S6_NS0_8equal_toIfEEEE10hipError_tPvRmT2_T3_mT4_T5_T6_T7_T8_P12ihipStream_tbENKUlT_T0_E_clISt17integral_constantIbLb0EESZ_EEDaSU_SV_EUlSU_E_NS1_11comp_targetILNS1_3genE9ELNS1_11target_archE1100ELNS1_3gpuE3ELNS1_3repE0EEENS1_30default_config_static_selectorELNS0_4arch9wavefront6targetE1EEEvT1_,@function
_ZN7rocprim17ROCPRIM_400000_NS6detail17trampoline_kernelINS0_14default_configENS1_33run_length_encode_config_selectorIfjNS0_4plusIjEEEEZZNS1_33reduce_by_key_impl_wrapped_configILNS1_25lookback_scan_determinismE0ES3_S7_PKfNS0_17constant_iteratorIjlEEPfPlSF_S6_NS0_8equal_toIfEEEE10hipError_tPvRmT2_T3_mT4_T5_T6_T7_T8_P12ihipStream_tbENKUlT_T0_E_clISt17integral_constantIbLb0EESZ_EEDaSU_SV_EUlSU_E_NS1_11comp_targetILNS1_3genE9ELNS1_11target_archE1100ELNS1_3gpuE3ELNS1_3repE0EEENS1_30default_config_static_selectorELNS0_4arch9wavefront6targetE1EEEvT1_: ; @_ZN7rocprim17ROCPRIM_400000_NS6detail17trampoline_kernelINS0_14default_configENS1_33run_length_encode_config_selectorIfjNS0_4plusIjEEEEZZNS1_33reduce_by_key_impl_wrapped_configILNS1_25lookback_scan_determinismE0ES3_S7_PKfNS0_17constant_iteratorIjlEEPfPlSF_S6_NS0_8equal_toIfEEEE10hipError_tPvRmT2_T3_mT4_T5_T6_T7_T8_P12ihipStream_tbENKUlT_T0_E_clISt17integral_constantIbLb0EESZ_EEDaSU_SV_EUlSU_E_NS1_11comp_targetILNS1_3genE9ELNS1_11target_archE1100ELNS1_3gpuE3ELNS1_3repE0EEENS1_30default_config_static_selectorELNS0_4arch9wavefront6targetE1EEEvT1_
; %bb.0:
	.section	.rodata,"a",@progbits
	.p2align	6, 0x0
	.amdhsa_kernel _ZN7rocprim17ROCPRIM_400000_NS6detail17trampoline_kernelINS0_14default_configENS1_33run_length_encode_config_selectorIfjNS0_4plusIjEEEEZZNS1_33reduce_by_key_impl_wrapped_configILNS1_25lookback_scan_determinismE0ES3_S7_PKfNS0_17constant_iteratorIjlEEPfPlSF_S6_NS0_8equal_toIfEEEE10hipError_tPvRmT2_T3_mT4_T5_T6_T7_T8_P12ihipStream_tbENKUlT_T0_E_clISt17integral_constantIbLb0EESZ_EEDaSU_SV_EUlSU_E_NS1_11comp_targetILNS1_3genE9ELNS1_11target_archE1100ELNS1_3gpuE3ELNS1_3repE0EEENS1_30default_config_static_selectorELNS0_4arch9wavefront6targetE1EEEvT1_
		.amdhsa_group_segment_fixed_size 0
		.amdhsa_private_segment_fixed_size 0
		.amdhsa_kernarg_size 128
		.amdhsa_user_sgpr_count 6
		.amdhsa_user_sgpr_private_segment_buffer 1
		.amdhsa_user_sgpr_dispatch_ptr 0
		.amdhsa_user_sgpr_queue_ptr 0
		.amdhsa_user_sgpr_kernarg_segment_ptr 1
		.amdhsa_user_sgpr_dispatch_id 0
		.amdhsa_user_sgpr_flat_scratch_init 0
		.amdhsa_user_sgpr_kernarg_preload_length 0
		.amdhsa_user_sgpr_kernarg_preload_offset 0
		.amdhsa_user_sgpr_private_segment_size 0
		.amdhsa_uses_dynamic_stack 0
		.amdhsa_system_sgpr_private_segment_wavefront_offset 0
		.amdhsa_system_sgpr_workgroup_id_x 1
		.amdhsa_system_sgpr_workgroup_id_y 0
		.amdhsa_system_sgpr_workgroup_id_z 0
		.amdhsa_system_sgpr_workgroup_info 0
		.amdhsa_system_vgpr_workitem_id 0
		.amdhsa_next_free_vgpr 1
		.amdhsa_next_free_sgpr 0
		.amdhsa_accum_offset 4
		.amdhsa_reserve_vcc 0
		.amdhsa_reserve_flat_scratch 0
		.amdhsa_float_round_mode_32 0
		.amdhsa_float_round_mode_16_64 0
		.amdhsa_float_denorm_mode_32 3
		.amdhsa_float_denorm_mode_16_64 3
		.amdhsa_dx10_clamp 1
		.amdhsa_ieee_mode 1
		.amdhsa_fp16_overflow 0
		.amdhsa_tg_split 0
		.amdhsa_exception_fp_ieee_invalid_op 0
		.amdhsa_exception_fp_denorm_src 0
		.amdhsa_exception_fp_ieee_div_zero 0
		.amdhsa_exception_fp_ieee_overflow 0
		.amdhsa_exception_fp_ieee_underflow 0
		.amdhsa_exception_fp_ieee_inexact 0
		.amdhsa_exception_int_div_zero 0
	.end_amdhsa_kernel
	.section	.text._ZN7rocprim17ROCPRIM_400000_NS6detail17trampoline_kernelINS0_14default_configENS1_33run_length_encode_config_selectorIfjNS0_4plusIjEEEEZZNS1_33reduce_by_key_impl_wrapped_configILNS1_25lookback_scan_determinismE0ES3_S7_PKfNS0_17constant_iteratorIjlEEPfPlSF_S6_NS0_8equal_toIfEEEE10hipError_tPvRmT2_T3_mT4_T5_T6_T7_T8_P12ihipStream_tbENKUlT_T0_E_clISt17integral_constantIbLb0EESZ_EEDaSU_SV_EUlSU_E_NS1_11comp_targetILNS1_3genE9ELNS1_11target_archE1100ELNS1_3gpuE3ELNS1_3repE0EEENS1_30default_config_static_selectorELNS0_4arch9wavefront6targetE1EEEvT1_,"axG",@progbits,_ZN7rocprim17ROCPRIM_400000_NS6detail17trampoline_kernelINS0_14default_configENS1_33run_length_encode_config_selectorIfjNS0_4plusIjEEEEZZNS1_33reduce_by_key_impl_wrapped_configILNS1_25lookback_scan_determinismE0ES3_S7_PKfNS0_17constant_iteratorIjlEEPfPlSF_S6_NS0_8equal_toIfEEEE10hipError_tPvRmT2_T3_mT4_T5_T6_T7_T8_P12ihipStream_tbENKUlT_T0_E_clISt17integral_constantIbLb0EESZ_EEDaSU_SV_EUlSU_E_NS1_11comp_targetILNS1_3genE9ELNS1_11target_archE1100ELNS1_3gpuE3ELNS1_3repE0EEENS1_30default_config_static_selectorELNS0_4arch9wavefront6targetE1EEEvT1_,comdat
.Lfunc_end380:
	.size	_ZN7rocprim17ROCPRIM_400000_NS6detail17trampoline_kernelINS0_14default_configENS1_33run_length_encode_config_selectorIfjNS0_4plusIjEEEEZZNS1_33reduce_by_key_impl_wrapped_configILNS1_25lookback_scan_determinismE0ES3_S7_PKfNS0_17constant_iteratorIjlEEPfPlSF_S6_NS0_8equal_toIfEEEE10hipError_tPvRmT2_T3_mT4_T5_T6_T7_T8_P12ihipStream_tbENKUlT_T0_E_clISt17integral_constantIbLb0EESZ_EEDaSU_SV_EUlSU_E_NS1_11comp_targetILNS1_3genE9ELNS1_11target_archE1100ELNS1_3gpuE3ELNS1_3repE0EEENS1_30default_config_static_selectorELNS0_4arch9wavefront6targetE1EEEvT1_, .Lfunc_end380-_ZN7rocprim17ROCPRIM_400000_NS6detail17trampoline_kernelINS0_14default_configENS1_33run_length_encode_config_selectorIfjNS0_4plusIjEEEEZZNS1_33reduce_by_key_impl_wrapped_configILNS1_25lookback_scan_determinismE0ES3_S7_PKfNS0_17constant_iteratorIjlEEPfPlSF_S6_NS0_8equal_toIfEEEE10hipError_tPvRmT2_T3_mT4_T5_T6_T7_T8_P12ihipStream_tbENKUlT_T0_E_clISt17integral_constantIbLb0EESZ_EEDaSU_SV_EUlSU_E_NS1_11comp_targetILNS1_3genE9ELNS1_11target_archE1100ELNS1_3gpuE3ELNS1_3repE0EEENS1_30default_config_static_selectorELNS0_4arch9wavefront6targetE1EEEvT1_
                                        ; -- End function
	.section	.AMDGPU.csdata,"",@progbits
; Kernel info:
; codeLenInByte = 0
; NumSgprs: 4
; NumVgprs: 0
; NumAgprs: 0
; TotalNumVgprs: 0
; ScratchSize: 0
; MemoryBound: 0
; FloatMode: 240
; IeeeMode: 1
; LDSByteSize: 0 bytes/workgroup (compile time only)
; SGPRBlocks: 0
; VGPRBlocks: 0
; NumSGPRsForWavesPerEU: 4
; NumVGPRsForWavesPerEU: 1
; AccumOffset: 4
; Occupancy: 8
; WaveLimiterHint : 0
; COMPUTE_PGM_RSRC2:SCRATCH_EN: 0
; COMPUTE_PGM_RSRC2:USER_SGPR: 6
; COMPUTE_PGM_RSRC2:TRAP_HANDLER: 0
; COMPUTE_PGM_RSRC2:TGID_X_EN: 1
; COMPUTE_PGM_RSRC2:TGID_Y_EN: 0
; COMPUTE_PGM_RSRC2:TGID_Z_EN: 0
; COMPUTE_PGM_RSRC2:TIDIG_COMP_CNT: 0
; COMPUTE_PGM_RSRC3_GFX90A:ACCUM_OFFSET: 0
; COMPUTE_PGM_RSRC3_GFX90A:TG_SPLIT: 0
	.section	.text._ZN7rocprim17ROCPRIM_400000_NS6detail17trampoline_kernelINS0_14default_configENS1_33run_length_encode_config_selectorIfjNS0_4plusIjEEEEZZNS1_33reduce_by_key_impl_wrapped_configILNS1_25lookback_scan_determinismE0ES3_S7_PKfNS0_17constant_iteratorIjlEEPfPlSF_S6_NS0_8equal_toIfEEEE10hipError_tPvRmT2_T3_mT4_T5_T6_T7_T8_P12ihipStream_tbENKUlT_T0_E_clISt17integral_constantIbLb0EESZ_EEDaSU_SV_EUlSU_E_NS1_11comp_targetILNS1_3genE8ELNS1_11target_archE1030ELNS1_3gpuE2ELNS1_3repE0EEENS1_30default_config_static_selectorELNS0_4arch9wavefront6targetE1EEEvT1_,"axG",@progbits,_ZN7rocprim17ROCPRIM_400000_NS6detail17trampoline_kernelINS0_14default_configENS1_33run_length_encode_config_selectorIfjNS0_4plusIjEEEEZZNS1_33reduce_by_key_impl_wrapped_configILNS1_25lookback_scan_determinismE0ES3_S7_PKfNS0_17constant_iteratorIjlEEPfPlSF_S6_NS0_8equal_toIfEEEE10hipError_tPvRmT2_T3_mT4_T5_T6_T7_T8_P12ihipStream_tbENKUlT_T0_E_clISt17integral_constantIbLb0EESZ_EEDaSU_SV_EUlSU_E_NS1_11comp_targetILNS1_3genE8ELNS1_11target_archE1030ELNS1_3gpuE2ELNS1_3repE0EEENS1_30default_config_static_selectorELNS0_4arch9wavefront6targetE1EEEvT1_,comdat
	.protected	_ZN7rocprim17ROCPRIM_400000_NS6detail17trampoline_kernelINS0_14default_configENS1_33run_length_encode_config_selectorIfjNS0_4plusIjEEEEZZNS1_33reduce_by_key_impl_wrapped_configILNS1_25lookback_scan_determinismE0ES3_S7_PKfNS0_17constant_iteratorIjlEEPfPlSF_S6_NS0_8equal_toIfEEEE10hipError_tPvRmT2_T3_mT4_T5_T6_T7_T8_P12ihipStream_tbENKUlT_T0_E_clISt17integral_constantIbLb0EESZ_EEDaSU_SV_EUlSU_E_NS1_11comp_targetILNS1_3genE8ELNS1_11target_archE1030ELNS1_3gpuE2ELNS1_3repE0EEENS1_30default_config_static_selectorELNS0_4arch9wavefront6targetE1EEEvT1_ ; -- Begin function _ZN7rocprim17ROCPRIM_400000_NS6detail17trampoline_kernelINS0_14default_configENS1_33run_length_encode_config_selectorIfjNS0_4plusIjEEEEZZNS1_33reduce_by_key_impl_wrapped_configILNS1_25lookback_scan_determinismE0ES3_S7_PKfNS0_17constant_iteratorIjlEEPfPlSF_S6_NS0_8equal_toIfEEEE10hipError_tPvRmT2_T3_mT4_T5_T6_T7_T8_P12ihipStream_tbENKUlT_T0_E_clISt17integral_constantIbLb0EESZ_EEDaSU_SV_EUlSU_E_NS1_11comp_targetILNS1_3genE8ELNS1_11target_archE1030ELNS1_3gpuE2ELNS1_3repE0EEENS1_30default_config_static_selectorELNS0_4arch9wavefront6targetE1EEEvT1_
	.globl	_ZN7rocprim17ROCPRIM_400000_NS6detail17trampoline_kernelINS0_14default_configENS1_33run_length_encode_config_selectorIfjNS0_4plusIjEEEEZZNS1_33reduce_by_key_impl_wrapped_configILNS1_25lookback_scan_determinismE0ES3_S7_PKfNS0_17constant_iteratorIjlEEPfPlSF_S6_NS0_8equal_toIfEEEE10hipError_tPvRmT2_T3_mT4_T5_T6_T7_T8_P12ihipStream_tbENKUlT_T0_E_clISt17integral_constantIbLb0EESZ_EEDaSU_SV_EUlSU_E_NS1_11comp_targetILNS1_3genE8ELNS1_11target_archE1030ELNS1_3gpuE2ELNS1_3repE0EEENS1_30default_config_static_selectorELNS0_4arch9wavefront6targetE1EEEvT1_
	.p2align	8
	.type	_ZN7rocprim17ROCPRIM_400000_NS6detail17trampoline_kernelINS0_14default_configENS1_33run_length_encode_config_selectorIfjNS0_4plusIjEEEEZZNS1_33reduce_by_key_impl_wrapped_configILNS1_25lookback_scan_determinismE0ES3_S7_PKfNS0_17constant_iteratorIjlEEPfPlSF_S6_NS0_8equal_toIfEEEE10hipError_tPvRmT2_T3_mT4_T5_T6_T7_T8_P12ihipStream_tbENKUlT_T0_E_clISt17integral_constantIbLb0EESZ_EEDaSU_SV_EUlSU_E_NS1_11comp_targetILNS1_3genE8ELNS1_11target_archE1030ELNS1_3gpuE2ELNS1_3repE0EEENS1_30default_config_static_selectorELNS0_4arch9wavefront6targetE1EEEvT1_,@function
_ZN7rocprim17ROCPRIM_400000_NS6detail17trampoline_kernelINS0_14default_configENS1_33run_length_encode_config_selectorIfjNS0_4plusIjEEEEZZNS1_33reduce_by_key_impl_wrapped_configILNS1_25lookback_scan_determinismE0ES3_S7_PKfNS0_17constant_iteratorIjlEEPfPlSF_S6_NS0_8equal_toIfEEEE10hipError_tPvRmT2_T3_mT4_T5_T6_T7_T8_P12ihipStream_tbENKUlT_T0_E_clISt17integral_constantIbLb0EESZ_EEDaSU_SV_EUlSU_E_NS1_11comp_targetILNS1_3genE8ELNS1_11target_archE1030ELNS1_3gpuE2ELNS1_3repE0EEENS1_30default_config_static_selectorELNS0_4arch9wavefront6targetE1EEEvT1_: ; @_ZN7rocprim17ROCPRIM_400000_NS6detail17trampoline_kernelINS0_14default_configENS1_33run_length_encode_config_selectorIfjNS0_4plusIjEEEEZZNS1_33reduce_by_key_impl_wrapped_configILNS1_25lookback_scan_determinismE0ES3_S7_PKfNS0_17constant_iteratorIjlEEPfPlSF_S6_NS0_8equal_toIfEEEE10hipError_tPvRmT2_T3_mT4_T5_T6_T7_T8_P12ihipStream_tbENKUlT_T0_E_clISt17integral_constantIbLb0EESZ_EEDaSU_SV_EUlSU_E_NS1_11comp_targetILNS1_3genE8ELNS1_11target_archE1030ELNS1_3gpuE2ELNS1_3repE0EEENS1_30default_config_static_selectorELNS0_4arch9wavefront6targetE1EEEvT1_
; %bb.0:
	.section	.rodata,"a",@progbits
	.p2align	6, 0x0
	.amdhsa_kernel _ZN7rocprim17ROCPRIM_400000_NS6detail17trampoline_kernelINS0_14default_configENS1_33run_length_encode_config_selectorIfjNS0_4plusIjEEEEZZNS1_33reduce_by_key_impl_wrapped_configILNS1_25lookback_scan_determinismE0ES3_S7_PKfNS0_17constant_iteratorIjlEEPfPlSF_S6_NS0_8equal_toIfEEEE10hipError_tPvRmT2_T3_mT4_T5_T6_T7_T8_P12ihipStream_tbENKUlT_T0_E_clISt17integral_constantIbLb0EESZ_EEDaSU_SV_EUlSU_E_NS1_11comp_targetILNS1_3genE8ELNS1_11target_archE1030ELNS1_3gpuE2ELNS1_3repE0EEENS1_30default_config_static_selectorELNS0_4arch9wavefront6targetE1EEEvT1_
		.amdhsa_group_segment_fixed_size 0
		.amdhsa_private_segment_fixed_size 0
		.amdhsa_kernarg_size 128
		.amdhsa_user_sgpr_count 6
		.amdhsa_user_sgpr_private_segment_buffer 1
		.amdhsa_user_sgpr_dispatch_ptr 0
		.amdhsa_user_sgpr_queue_ptr 0
		.amdhsa_user_sgpr_kernarg_segment_ptr 1
		.amdhsa_user_sgpr_dispatch_id 0
		.amdhsa_user_sgpr_flat_scratch_init 0
		.amdhsa_user_sgpr_kernarg_preload_length 0
		.amdhsa_user_sgpr_kernarg_preload_offset 0
		.amdhsa_user_sgpr_private_segment_size 0
		.amdhsa_uses_dynamic_stack 0
		.amdhsa_system_sgpr_private_segment_wavefront_offset 0
		.amdhsa_system_sgpr_workgroup_id_x 1
		.amdhsa_system_sgpr_workgroup_id_y 0
		.amdhsa_system_sgpr_workgroup_id_z 0
		.amdhsa_system_sgpr_workgroup_info 0
		.amdhsa_system_vgpr_workitem_id 0
		.amdhsa_next_free_vgpr 1
		.amdhsa_next_free_sgpr 0
		.amdhsa_accum_offset 4
		.amdhsa_reserve_vcc 0
		.amdhsa_reserve_flat_scratch 0
		.amdhsa_float_round_mode_32 0
		.amdhsa_float_round_mode_16_64 0
		.amdhsa_float_denorm_mode_32 3
		.amdhsa_float_denorm_mode_16_64 3
		.amdhsa_dx10_clamp 1
		.amdhsa_ieee_mode 1
		.amdhsa_fp16_overflow 0
		.amdhsa_tg_split 0
		.amdhsa_exception_fp_ieee_invalid_op 0
		.amdhsa_exception_fp_denorm_src 0
		.amdhsa_exception_fp_ieee_div_zero 0
		.amdhsa_exception_fp_ieee_overflow 0
		.amdhsa_exception_fp_ieee_underflow 0
		.amdhsa_exception_fp_ieee_inexact 0
		.amdhsa_exception_int_div_zero 0
	.end_amdhsa_kernel
	.section	.text._ZN7rocprim17ROCPRIM_400000_NS6detail17trampoline_kernelINS0_14default_configENS1_33run_length_encode_config_selectorIfjNS0_4plusIjEEEEZZNS1_33reduce_by_key_impl_wrapped_configILNS1_25lookback_scan_determinismE0ES3_S7_PKfNS0_17constant_iteratorIjlEEPfPlSF_S6_NS0_8equal_toIfEEEE10hipError_tPvRmT2_T3_mT4_T5_T6_T7_T8_P12ihipStream_tbENKUlT_T0_E_clISt17integral_constantIbLb0EESZ_EEDaSU_SV_EUlSU_E_NS1_11comp_targetILNS1_3genE8ELNS1_11target_archE1030ELNS1_3gpuE2ELNS1_3repE0EEENS1_30default_config_static_selectorELNS0_4arch9wavefront6targetE1EEEvT1_,"axG",@progbits,_ZN7rocprim17ROCPRIM_400000_NS6detail17trampoline_kernelINS0_14default_configENS1_33run_length_encode_config_selectorIfjNS0_4plusIjEEEEZZNS1_33reduce_by_key_impl_wrapped_configILNS1_25lookback_scan_determinismE0ES3_S7_PKfNS0_17constant_iteratorIjlEEPfPlSF_S6_NS0_8equal_toIfEEEE10hipError_tPvRmT2_T3_mT4_T5_T6_T7_T8_P12ihipStream_tbENKUlT_T0_E_clISt17integral_constantIbLb0EESZ_EEDaSU_SV_EUlSU_E_NS1_11comp_targetILNS1_3genE8ELNS1_11target_archE1030ELNS1_3gpuE2ELNS1_3repE0EEENS1_30default_config_static_selectorELNS0_4arch9wavefront6targetE1EEEvT1_,comdat
.Lfunc_end381:
	.size	_ZN7rocprim17ROCPRIM_400000_NS6detail17trampoline_kernelINS0_14default_configENS1_33run_length_encode_config_selectorIfjNS0_4plusIjEEEEZZNS1_33reduce_by_key_impl_wrapped_configILNS1_25lookback_scan_determinismE0ES3_S7_PKfNS0_17constant_iteratorIjlEEPfPlSF_S6_NS0_8equal_toIfEEEE10hipError_tPvRmT2_T3_mT4_T5_T6_T7_T8_P12ihipStream_tbENKUlT_T0_E_clISt17integral_constantIbLb0EESZ_EEDaSU_SV_EUlSU_E_NS1_11comp_targetILNS1_3genE8ELNS1_11target_archE1030ELNS1_3gpuE2ELNS1_3repE0EEENS1_30default_config_static_selectorELNS0_4arch9wavefront6targetE1EEEvT1_, .Lfunc_end381-_ZN7rocprim17ROCPRIM_400000_NS6detail17trampoline_kernelINS0_14default_configENS1_33run_length_encode_config_selectorIfjNS0_4plusIjEEEEZZNS1_33reduce_by_key_impl_wrapped_configILNS1_25lookback_scan_determinismE0ES3_S7_PKfNS0_17constant_iteratorIjlEEPfPlSF_S6_NS0_8equal_toIfEEEE10hipError_tPvRmT2_T3_mT4_T5_T6_T7_T8_P12ihipStream_tbENKUlT_T0_E_clISt17integral_constantIbLb0EESZ_EEDaSU_SV_EUlSU_E_NS1_11comp_targetILNS1_3genE8ELNS1_11target_archE1030ELNS1_3gpuE2ELNS1_3repE0EEENS1_30default_config_static_selectorELNS0_4arch9wavefront6targetE1EEEvT1_
                                        ; -- End function
	.section	.AMDGPU.csdata,"",@progbits
; Kernel info:
; codeLenInByte = 0
; NumSgprs: 4
; NumVgprs: 0
; NumAgprs: 0
; TotalNumVgprs: 0
; ScratchSize: 0
; MemoryBound: 0
; FloatMode: 240
; IeeeMode: 1
; LDSByteSize: 0 bytes/workgroup (compile time only)
; SGPRBlocks: 0
; VGPRBlocks: 0
; NumSGPRsForWavesPerEU: 4
; NumVGPRsForWavesPerEU: 1
; AccumOffset: 4
; Occupancy: 8
; WaveLimiterHint : 0
; COMPUTE_PGM_RSRC2:SCRATCH_EN: 0
; COMPUTE_PGM_RSRC2:USER_SGPR: 6
; COMPUTE_PGM_RSRC2:TRAP_HANDLER: 0
; COMPUTE_PGM_RSRC2:TGID_X_EN: 1
; COMPUTE_PGM_RSRC2:TGID_Y_EN: 0
; COMPUTE_PGM_RSRC2:TGID_Z_EN: 0
; COMPUTE_PGM_RSRC2:TIDIG_COMP_CNT: 0
; COMPUTE_PGM_RSRC3_GFX90A:ACCUM_OFFSET: 0
; COMPUTE_PGM_RSRC3_GFX90A:TG_SPLIT: 0
	.section	.text._ZN7rocprim17ROCPRIM_400000_NS6detail17trampoline_kernelINS0_14default_configENS1_33run_length_encode_config_selectorIfjNS0_4plusIjEEEEZZNS1_33reduce_by_key_impl_wrapped_configILNS1_25lookback_scan_determinismE0ES3_S7_PKfNS0_17constant_iteratorIjlEEPfPlSF_S6_NS0_8equal_toIfEEEE10hipError_tPvRmT2_T3_mT4_T5_T6_T7_T8_P12ihipStream_tbENKUlT_T0_E_clISt17integral_constantIbLb1EESZ_EEDaSU_SV_EUlSU_E_NS1_11comp_targetILNS1_3genE0ELNS1_11target_archE4294967295ELNS1_3gpuE0ELNS1_3repE0EEENS1_30default_config_static_selectorELNS0_4arch9wavefront6targetE1EEEvT1_,"axG",@progbits,_ZN7rocprim17ROCPRIM_400000_NS6detail17trampoline_kernelINS0_14default_configENS1_33run_length_encode_config_selectorIfjNS0_4plusIjEEEEZZNS1_33reduce_by_key_impl_wrapped_configILNS1_25lookback_scan_determinismE0ES3_S7_PKfNS0_17constant_iteratorIjlEEPfPlSF_S6_NS0_8equal_toIfEEEE10hipError_tPvRmT2_T3_mT4_T5_T6_T7_T8_P12ihipStream_tbENKUlT_T0_E_clISt17integral_constantIbLb1EESZ_EEDaSU_SV_EUlSU_E_NS1_11comp_targetILNS1_3genE0ELNS1_11target_archE4294967295ELNS1_3gpuE0ELNS1_3repE0EEENS1_30default_config_static_selectorELNS0_4arch9wavefront6targetE1EEEvT1_,comdat
	.protected	_ZN7rocprim17ROCPRIM_400000_NS6detail17trampoline_kernelINS0_14default_configENS1_33run_length_encode_config_selectorIfjNS0_4plusIjEEEEZZNS1_33reduce_by_key_impl_wrapped_configILNS1_25lookback_scan_determinismE0ES3_S7_PKfNS0_17constant_iteratorIjlEEPfPlSF_S6_NS0_8equal_toIfEEEE10hipError_tPvRmT2_T3_mT4_T5_T6_T7_T8_P12ihipStream_tbENKUlT_T0_E_clISt17integral_constantIbLb1EESZ_EEDaSU_SV_EUlSU_E_NS1_11comp_targetILNS1_3genE0ELNS1_11target_archE4294967295ELNS1_3gpuE0ELNS1_3repE0EEENS1_30default_config_static_selectorELNS0_4arch9wavefront6targetE1EEEvT1_ ; -- Begin function _ZN7rocprim17ROCPRIM_400000_NS6detail17trampoline_kernelINS0_14default_configENS1_33run_length_encode_config_selectorIfjNS0_4plusIjEEEEZZNS1_33reduce_by_key_impl_wrapped_configILNS1_25lookback_scan_determinismE0ES3_S7_PKfNS0_17constant_iteratorIjlEEPfPlSF_S6_NS0_8equal_toIfEEEE10hipError_tPvRmT2_T3_mT4_T5_T6_T7_T8_P12ihipStream_tbENKUlT_T0_E_clISt17integral_constantIbLb1EESZ_EEDaSU_SV_EUlSU_E_NS1_11comp_targetILNS1_3genE0ELNS1_11target_archE4294967295ELNS1_3gpuE0ELNS1_3repE0EEENS1_30default_config_static_selectorELNS0_4arch9wavefront6targetE1EEEvT1_
	.globl	_ZN7rocprim17ROCPRIM_400000_NS6detail17trampoline_kernelINS0_14default_configENS1_33run_length_encode_config_selectorIfjNS0_4plusIjEEEEZZNS1_33reduce_by_key_impl_wrapped_configILNS1_25lookback_scan_determinismE0ES3_S7_PKfNS0_17constant_iteratorIjlEEPfPlSF_S6_NS0_8equal_toIfEEEE10hipError_tPvRmT2_T3_mT4_T5_T6_T7_T8_P12ihipStream_tbENKUlT_T0_E_clISt17integral_constantIbLb1EESZ_EEDaSU_SV_EUlSU_E_NS1_11comp_targetILNS1_3genE0ELNS1_11target_archE4294967295ELNS1_3gpuE0ELNS1_3repE0EEENS1_30default_config_static_selectorELNS0_4arch9wavefront6targetE1EEEvT1_
	.p2align	8
	.type	_ZN7rocprim17ROCPRIM_400000_NS6detail17trampoline_kernelINS0_14default_configENS1_33run_length_encode_config_selectorIfjNS0_4plusIjEEEEZZNS1_33reduce_by_key_impl_wrapped_configILNS1_25lookback_scan_determinismE0ES3_S7_PKfNS0_17constant_iteratorIjlEEPfPlSF_S6_NS0_8equal_toIfEEEE10hipError_tPvRmT2_T3_mT4_T5_T6_T7_T8_P12ihipStream_tbENKUlT_T0_E_clISt17integral_constantIbLb1EESZ_EEDaSU_SV_EUlSU_E_NS1_11comp_targetILNS1_3genE0ELNS1_11target_archE4294967295ELNS1_3gpuE0ELNS1_3repE0EEENS1_30default_config_static_selectorELNS0_4arch9wavefront6targetE1EEEvT1_,@function
_ZN7rocprim17ROCPRIM_400000_NS6detail17trampoline_kernelINS0_14default_configENS1_33run_length_encode_config_selectorIfjNS0_4plusIjEEEEZZNS1_33reduce_by_key_impl_wrapped_configILNS1_25lookback_scan_determinismE0ES3_S7_PKfNS0_17constant_iteratorIjlEEPfPlSF_S6_NS0_8equal_toIfEEEE10hipError_tPvRmT2_T3_mT4_T5_T6_T7_T8_P12ihipStream_tbENKUlT_T0_E_clISt17integral_constantIbLb1EESZ_EEDaSU_SV_EUlSU_E_NS1_11comp_targetILNS1_3genE0ELNS1_11target_archE4294967295ELNS1_3gpuE0ELNS1_3repE0EEENS1_30default_config_static_selectorELNS0_4arch9wavefront6targetE1EEEvT1_: ; @_ZN7rocprim17ROCPRIM_400000_NS6detail17trampoline_kernelINS0_14default_configENS1_33run_length_encode_config_selectorIfjNS0_4plusIjEEEEZZNS1_33reduce_by_key_impl_wrapped_configILNS1_25lookback_scan_determinismE0ES3_S7_PKfNS0_17constant_iteratorIjlEEPfPlSF_S6_NS0_8equal_toIfEEEE10hipError_tPvRmT2_T3_mT4_T5_T6_T7_T8_P12ihipStream_tbENKUlT_T0_E_clISt17integral_constantIbLb1EESZ_EEDaSU_SV_EUlSU_E_NS1_11comp_targetILNS1_3genE0ELNS1_11target_archE4294967295ELNS1_3gpuE0ELNS1_3repE0EEENS1_30default_config_static_selectorELNS0_4arch9wavefront6targetE1EEEvT1_
; %bb.0:
	.section	.rodata,"a",@progbits
	.p2align	6, 0x0
	.amdhsa_kernel _ZN7rocprim17ROCPRIM_400000_NS6detail17trampoline_kernelINS0_14default_configENS1_33run_length_encode_config_selectorIfjNS0_4plusIjEEEEZZNS1_33reduce_by_key_impl_wrapped_configILNS1_25lookback_scan_determinismE0ES3_S7_PKfNS0_17constant_iteratorIjlEEPfPlSF_S6_NS0_8equal_toIfEEEE10hipError_tPvRmT2_T3_mT4_T5_T6_T7_T8_P12ihipStream_tbENKUlT_T0_E_clISt17integral_constantIbLb1EESZ_EEDaSU_SV_EUlSU_E_NS1_11comp_targetILNS1_3genE0ELNS1_11target_archE4294967295ELNS1_3gpuE0ELNS1_3repE0EEENS1_30default_config_static_selectorELNS0_4arch9wavefront6targetE1EEEvT1_
		.amdhsa_group_segment_fixed_size 0
		.amdhsa_private_segment_fixed_size 0
		.amdhsa_kernarg_size 128
		.amdhsa_user_sgpr_count 6
		.amdhsa_user_sgpr_private_segment_buffer 1
		.amdhsa_user_sgpr_dispatch_ptr 0
		.amdhsa_user_sgpr_queue_ptr 0
		.amdhsa_user_sgpr_kernarg_segment_ptr 1
		.amdhsa_user_sgpr_dispatch_id 0
		.amdhsa_user_sgpr_flat_scratch_init 0
		.amdhsa_user_sgpr_kernarg_preload_length 0
		.amdhsa_user_sgpr_kernarg_preload_offset 0
		.amdhsa_user_sgpr_private_segment_size 0
		.amdhsa_uses_dynamic_stack 0
		.amdhsa_system_sgpr_private_segment_wavefront_offset 0
		.amdhsa_system_sgpr_workgroup_id_x 1
		.amdhsa_system_sgpr_workgroup_id_y 0
		.amdhsa_system_sgpr_workgroup_id_z 0
		.amdhsa_system_sgpr_workgroup_info 0
		.amdhsa_system_vgpr_workitem_id 0
		.amdhsa_next_free_vgpr 1
		.amdhsa_next_free_sgpr 0
		.amdhsa_accum_offset 4
		.amdhsa_reserve_vcc 0
		.amdhsa_reserve_flat_scratch 0
		.amdhsa_float_round_mode_32 0
		.amdhsa_float_round_mode_16_64 0
		.amdhsa_float_denorm_mode_32 3
		.amdhsa_float_denorm_mode_16_64 3
		.amdhsa_dx10_clamp 1
		.amdhsa_ieee_mode 1
		.amdhsa_fp16_overflow 0
		.amdhsa_tg_split 0
		.amdhsa_exception_fp_ieee_invalid_op 0
		.amdhsa_exception_fp_denorm_src 0
		.amdhsa_exception_fp_ieee_div_zero 0
		.amdhsa_exception_fp_ieee_overflow 0
		.amdhsa_exception_fp_ieee_underflow 0
		.amdhsa_exception_fp_ieee_inexact 0
		.amdhsa_exception_int_div_zero 0
	.end_amdhsa_kernel
	.section	.text._ZN7rocprim17ROCPRIM_400000_NS6detail17trampoline_kernelINS0_14default_configENS1_33run_length_encode_config_selectorIfjNS0_4plusIjEEEEZZNS1_33reduce_by_key_impl_wrapped_configILNS1_25lookback_scan_determinismE0ES3_S7_PKfNS0_17constant_iteratorIjlEEPfPlSF_S6_NS0_8equal_toIfEEEE10hipError_tPvRmT2_T3_mT4_T5_T6_T7_T8_P12ihipStream_tbENKUlT_T0_E_clISt17integral_constantIbLb1EESZ_EEDaSU_SV_EUlSU_E_NS1_11comp_targetILNS1_3genE0ELNS1_11target_archE4294967295ELNS1_3gpuE0ELNS1_3repE0EEENS1_30default_config_static_selectorELNS0_4arch9wavefront6targetE1EEEvT1_,"axG",@progbits,_ZN7rocprim17ROCPRIM_400000_NS6detail17trampoline_kernelINS0_14default_configENS1_33run_length_encode_config_selectorIfjNS0_4plusIjEEEEZZNS1_33reduce_by_key_impl_wrapped_configILNS1_25lookback_scan_determinismE0ES3_S7_PKfNS0_17constant_iteratorIjlEEPfPlSF_S6_NS0_8equal_toIfEEEE10hipError_tPvRmT2_T3_mT4_T5_T6_T7_T8_P12ihipStream_tbENKUlT_T0_E_clISt17integral_constantIbLb1EESZ_EEDaSU_SV_EUlSU_E_NS1_11comp_targetILNS1_3genE0ELNS1_11target_archE4294967295ELNS1_3gpuE0ELNS1_3repE0EEENS1_30default_config_static_selectorELNS0_4arch9wavefront6targetE1EEEvT1_,comdat
.Lfunc_end382:
	.size	_ZN7rocprim17ROCPRIM_400000_NS6detail17trampoline_kernelINS0_14default_configENS1_33run_length_encode_config_selectorIfjNS0_4plusIjEEEEZZNS1_33reduce_by_key_impl_wrapped_configILNS1_25lookback_scan_determinismE0ES3_S7_PKfNS0_17constant_iteratorIjlEEPfPlSF_S6_NS0_8equal_toIfEEEE10hipError_tPvRmT2_T3_mT4_T5_T6_T7_T8_P12ihipStream_tbENKUlT_T0_E_clISt17integral_constantIbLb1EESZ_EEDaSU_SV_EUlSU_E_NS1_11comp_targetILNS1_3genE0ELNS1_11target_archE4294967295ELNS1_3gpuE0ELNS1_3repE0EEENS1_30default_config_static_selectorELNS0_4arch9wavefront6targetE1EEEvT1_, .Lfunc_end382-_ZN7rocprim17ROCPRIM_400000_NS6detail17trampoline_kernelINS0_14default_configENS1_33run_length_encode_config_selectorIfjNS0_4plusIjEEEEZZNS1_33reduce_by_key_impl_wrapped_configILNS1_25lookback_scan_determinismE0ES3_S7_PKfNS0_17constant_iteratorIjlEEPfPlSF_S6_NS0_8equal_toIfEEEE10hipError_tPvRmT2_T3_mT4_T5_T6_T7_T8_P12ihipStream_tbENKUlT_T0_E_clISt17integral_constantIbLb1EESZ_EEDaSU_SV_EUlSU_E_NS1_11comp_targetILNS1_3genE0ELNS1_11target_archE4294967295ELNS1_3gpuE0ELNS1_3repE0EEENS1_30default_config_static_selectorELNS0_4arch9wavefront6targetE1EEEvT1_
                                        ; -- End function
	.section	.AMDGPU.csdata,"",@progbits
; Kernel info:
; codeLenInByte = 0
; NumSgprs: 4
; NumVgprs: 0
; NumAgprs: 0
; TotalNumVgprs: 0
; ScratchSize: 0
; MemoryBound: 0
; FloatMode: 240
; IeeeMode: 1
; LDSByteSize: 0 bytes/workgroup (compile time only)
; SGPRBlocks: 0
; VGPRBlocks: 0
; NumSGPRsForWavesPerEU: 4
; NumVGPRsForWavesPerEU: 1
; AccumOffset: 4
; Occupancy: 8
; WaveLimiterHint : 0
; COMPUTE_PGM_RSRC2:SCRATCH_EN: 0
; COMPUTE_PGM_RSRC2:USER_SGPR: 6
; COMPUTE_PGM_RSRC2:TRAP_HANDLER: 0
; COMPUTE_PGM_RSRC2:TGID_X_EN: 1
; COMPUTE_PGM_RSRC2:TGID_Y_EN: 0
; COMPUTE_PGM_RSRC2:TGID_Z_EN: 0
; COMPUTE_PGM_RSRC2:TIDIG_COMP_CNT: 0
; COMPUTE_PGM_RSRC3_GFX90A:ACCUM_OFFSET: 0
; COMPUTE_PGM_RSRC3_GFX90A:TG_SPLIT: 0
	.section	.text._ZN7rocprim17ROCPRIM_400000_NS6detail17trampoline_kernelINS0_14default_configENS1_33run_length_encode_config_selectorIfjNS0_4plusIjEEEEZZNS1_33reduce_by_key_impl_wrapped_configILNS1_25lookback_scan_determinismE0ES3_S7_PKfNS0_17constant_iteratorIjlEEPfPlSF_S6_NS0_8equal_toIfEEEE10hipError_tPvRmT2_T3_mT4_T5_T6_T7_T8_P12ihipStream_tbENKUlT_T0_E_clISt17integral_constantIbLb1EESZ_EEDaSU_SV_EUlSU_E_NS1_11comp_targetILNS1_3genE5ELNS1_11target_archE942ELNS1_3gpuE9ELNS1_3repE0EEENS1_30default_config_static_selectorELNS0_4arch9wavefront6targetE1EEEvT1_,"axG",@progbits,_ZN7rocprim17ROCPRIM_400000_NS6detail17trampoline_kernelINS0_14default_configENS1_33run_length_encode_config_selectorIfjNS0_4plusIjEEEEZZNS1_33reduce_by_key_impl_wrapped_configILNS1_25lookback_scan_determinismE0ES3_S7_PKfNS0_17constant_iteratorIjlEEPfPlSF_S6_NS0_8equal_toIfEEEE10hipError_tPvRmT2_T3_mT4_T5_T6_T7_T8_P12ihipStream_tbENKUlT_T0_E_clISt17integral_constantIbLb1EESZ_EEDaSU_SV_EUlSU_E_NS1_11comp_targetILNS1_3genE5ELNS1_11target_archE942ELNS1_3gpuE9ELNS1_3repE0EEENS1_30default_config_static_selectorELNS0_4arch9wavefront6targetE1EEEvT1_,comdat
	.protected	_ZN7rocprim17ROCPRIM_400000_NS6detail17trampoline_kernelINS0_14default_configENS1_33run_length_encode_config_selectorIfjNS0_4plusIjEEEEZZNS1_33reduce_by_key_impl_wrapped_configILNS1_25lookback_scan_determinismE0ES3_S7_PKfNS0_17constant_iteratorIjlEEPfPlSF_S6_NS0_8equal_toIfEEEE10hipError_tPvRmT2_T3_mT4_T5_T6_T7_T8_P12ihipStream_tbENKUlT_T0_E_clISt17integral_constantIbLb1EESZ_EEDaSU_SV_EUlSU_E_NS1_11comp_targetILNS1_3genE5ELNS1_11target_archE942ELNS1_3gpuE9ELNS1_3repE0EEENS1_30default_config_static_selectorELNS0_4arch9wavefront6targetE1EEEvT1_ ; -- Begin function _ZN7rocprim17ROCPRIM_400000_NS6detail17trampoline_kernelINS0_14default_configENS1_33run_length_encode_config_selectorIfjNS0_4plusIjEEEEZZNS1_33reduce_by_key_impl_wrapped_configILNS1_25lookback_scan_determinismE0ES3_S7_PKfNS0_17constant_iteratorIjlEEPfPlSF_S6_NS0_8equal_toIfEEEE10hipError_tPvRmT2_T3_mT4_T5_T6_T7_T8_P12ihipStream_tbENKUlT_T0_E_clISt17integral_constantIbLb1EESZ_EEDaSU_SV_EUlSU_E_NS1_11comp_targetILNS1_3genE5ELNS1_11target_archE942ELNS1_3gpuE9ELNS1_3repE0EEENS1_30default_config_static_selectorELNS0_4arch9wavefront6targetE1EEEvT1_
	.globl	_ZN7rocprim17ROCPRIM_400000_NS6detail17trampoline_kernelINS0_14default_configENS1_33run_length_encode_config_selectorIfjNS0_4plusIjEEEEZZNS1_33reduce_by_key_impl_wrapped_configILNS1_25lookback_scan_determinismE0ES3_S7_PKfNS0_17constant_iteratorIjlEEPfPlSF_S6_NS0_8equal_toIfEEEE10hipError_tPvRmT2_T3_mT4_T5_T6_T7_T8_P12ihipStream_tbENKUlT_T0_E_clISt17integral_constantIbLb1EESZ_EEDaSU_SV_EUlSU_E_NS1_11comp_targetILNS1_3genE5ELNS1_11target_archE942ELNS1_3gpuE9ELNS1_3repE0EEENS1_30default_config_static_selectorELNS0_4arch9wavefront6targetE1EEEvT1_
	.p2align	8
	.type	_ZN7rocprim17ROCPRIM_400000_NS6detail17trampoline_kernelINS0_14default_configENS1_33run_length_encode_config_selectorIfjNS0_4plusIjEEEEZZNS1_33reduce_by_key_impl_wrapped_configILNS1_25lookback_scan_determinismE0ES3_S7_PKfNS0_17constant_iteratorIjlEEPfPlSF_S6_NS0_8equal_toIfEEEE10hipError_tPvRmT2_T3_mT4_T5_T6_T7_T8_P12ihipStream_tbENKUlT_T0_E_clISt17integral_constantIbLb1EESZ_EEDaSU_SV_EUlSU_E_NS1_11comp_targetILNS1_3genE5ELNS1_11target_archE942ELNS1_3gpuE9ELNS1_3repE0EEENS1_30default_config_static_selectorELNS0_4arch9wavefront6targetE1EEEvT1_,@function
_ZN7rocprim17ROCPRIM_400000_NS6detail17trampoline_kernelINS0_14default_configENS1_33run_length_encode_config_selectorIfjNS0_4plusIjEEEEZZNS1_33reduce_by_key_impl_wrapped_configILNS1_25lookback_scan_determinismE0ES3_S7_PKfNS0_17constant_iteratorIjlEEPfPlSF_S6_NS0_8equal_toIfEEEE10hipError_tPvRmT2_T3_mT4_T5_T6_T7_T8_P12ihipStream_tbENKUlT_T0_E_clISt17integral_constantIbLb1EESZ_EEDaSU_SV_EUlSU_E_NS1_11comp_targetILNS1_3genE5ELNS1_11target_archE942ELNS1_3gpuE9ELNS1_3repE0EEENS1_30default_config_static_selectorELNS0_4arch9wavefront6targetE1EEEvT1_: ; @_ZN7rocprim17ROCPRIM_400000_NS6detail17trampoline_kernelINS0_14default_configENS1_33run_length_encode_config_selectorIfjNS0_4plusIjEEEEZZNS1_33reduce_by_key_impl_wrapped_configILNS1_25lookback_scan_determinismE0ES3_S7_PKfNS0_17constant_iteratorIjlEEPfPlSF_S6_NS0_8equal_toIfEEEE10hipError_tPvRmT2_T3_mT4_T5_T6_T7_T8_P12ihipStream_tbENKUlT_T0_E_clISt17integral_constantIbLb1EESZ_EEDaSU_SV_EUlSU_E_NS1_11comp_targetILNS1_3genE5ELNS1_11target_archE942ELNS1_3gpuE9ELNS1_3repE0EEENS1_30default_config_static_selectorELNS0_4arch9wavefront6targetE1EEEvT1_
; %bb.0:
	.section	.rodata,"a",@progbits
	.p2align	6, 0x0
	.amdhsa_kernel _ZN7rocprim17ROCPRIM_400000_NS6detail17trampoline_kernelINS0_14default_configENS1_33run_length_encode_config_selectorIfjNS0_4plusIjEEEEZZNS1_33reduce_by_key_impl_wrapped_configILNS1_25lookback_scan_determinismE0ES3_S7_PKfNS0_17constant_iteratorIjlEEPfPlSF_S6_NS0_8equal_toIfEEEE10hipError_tPvRmT2_T3_mT4_T5_T6_T7_T8_P12ihipStream_tbENKUlT_T0_E_clISt17integral_constantIbLb1EESZ_EEDaSU_SV_EUlSU_E_NS1_11comp_targetILNS1_3genE5ELNS1_11target_archE942ELNS1_3gpuE9ELNS1_3repE0EEENS1_30default_config_static_selectorELNS0_4arch9wavefront6targetE1EEEvT1_
		.amdhsa_group_segment_fixed_size 0
		.amdhsa_private_segment_fixed_size 0
		.amdhsa_kernarg_size 128
		.amdhsa_user_sgpr_count 6
		.amdhsa_user_sgpr_private_segment_buffer 1
		.amdhsa_user_sgpr_dispatch_ptr 0
		.amdhsa_user_sgpr_queue_ptr 0
		.amdhsa_user_sgpr_kernarg_segment_ptr 1
		.amdhsa_user_sgpr_dispatch_id 0
		.amdhsa_user_sgpr_flat_scratch_init 0
		.amdhsa_user_sgpr_kernarg_preload_length 0
		.amdhsa_user_sgpr_kernarg_preload_offset 0
		.amdhsa_user_sgpr_private_segment_size 0
		.amdhsa_uses_dynamic_stack 0
		.amdhsa_system_sgpr_private_segment_wavefront_offset 0
		.amdhsa_system_sgpr_workgroup_id_x 1
		.amdhsa_system_sgpr_workgroup_id_y 0
		.amdhsa_system_sgpr_workgroup_id_z 0
		.amdhsa_system_sgpr_workgroup_info 0
		.amdhsa_system_vgpr_workitem_id 0
		.amdhsa_next_free_vgpr 1
		.amdhsa_next_free_sgpr 0
		.amdhsa_accum_offset 4
		.amdhsa_reserve_vcc 0
		.amdhsa_reserve_flat_scratch 0
		.amdhsa_float_round_mode_32 0
		.amdhsa_float_round_mode_16_64 0
		.amdhsa_float_denorm_mode_32 3
		.amdhsa_float_denorm_mode_16_64 3
		.amdhsa_dx10_clamp 1
		.amdhsa_ieee_mode 1
		.amdhsa_fp16_overflow 0
		.amdhsa_tg_split 0
		.amdhsa_exception_fp_ieee_invalid_op 0
		.amdhsa_exception_fp_denorm_src 0
		.amdhsa_exception_fp_ieee_div_zero 0
		.amdhsa_exception_fp_ieee_overflow 0
		.amdhsa_exception_fp_ieee_underflow 0
		.amdhsa_exception_fp_ieee_inexact 0
		.amdhsa_exception_int_div_zero 0
	.end_amdhsa_kernel
	.section	.text._ZN7rocprim17ROCPRIM_400000_NS6detail17trampoline_kernelINS0_14default_configENS1_33run_length_encode_config_selectorIfjNS0_4plusIjEEEEZZNS1_33reduce_by_key_impl_wrapped_configILNS1_25lookback_scan_determinismE0ES3_S7_PKfNS0_17constant_iteratorIjlEEPfPlSF_S6_NS0_8equal_toIfEEEE10hipError_tPvRmT2_T3_mT4_T5_T6_T7_T8_P12ihipStream_tbENKUlT_T0_E_clISt17integral_constantIbLb1EESZ_EEDaSU_SV_EUlSU_E_NS1_11comp_targetILNS1_3genE5ELNS1_11target_archE942ELNS1_3gpuE9ELNS1_3repE0EEENS1_30default_config_static_selectorELNS0_4arch9wavefront6targetE1EEEvT1_,"axG",@progbits,_ZN7rocprim17ROCPRIM_400000_NS6detail17trampoline_kernelINS0_14default_configENS1_33run_length_encode_config_selectorIfjNS0_4plusIjEEEEZZNS1_33reduce_by_key_impl_wrapped_configILNS1_25lookback_scan_determinismE0ES3_S7_PKfNS0_17constant_iteratorIjlEEPfPlSF_S6_NS0_8equal_toIfEEEE10hipError_tPvRmT2_T3_mT4_T5_T6_T7_T8_P12ihipStream_tbENKUlT_T0_E_clISt17integral_constantIbLb1EESZ_EEDaSU_SV_EUlSU_E_NS1_11comp_targetILNS1_3genE5ELNS1_11target_archE942ELNS1_3gpuE9ELNS1_3repE0EEENS1_30default_config_static_selectorELNS0_4arch9wavefront6targetE1EEEvT1_,comdat
.Lfunc_end383:
	.size	_ZN7rocprim17ROCPRIM_400000_NS6detail17trampoline_kernelINS0_14default_configENS1_33run_length_encode_config_selectorIfjNS0_4plusIjEEEEZZNS1_33reduce_by_key_impl_wrapped_configILNS1_25lookback_scan_determinismE0ES3_S7_PKfNS0_17constant_iteratorIjlEEPfPlSF_S6_NS0_8equal_toIfEEEE10hipError_tPvRmT2_T3_mT4_T5_T6_T7_T8_P12ihipStream_tbENKUlT_T0_E_clISt17integral_constantIbLb1EESZ_EEDaSU_SV_EUlSU_E_NS1_11comp_targetILNS1_3genE5ELNS1_11target_archE942ELNS1_3gpuE9ELNS1_3repE0EEENS1_30default_config_static_selectorELNS0_4arch9wavefront6targetE1EEEvT1_, .Lfunc_end383-_ZN7rocprim17ROCPRIM_400000_NS6detail17trampoline_kernelINS0_14default_configENS1_33run_length_encode_config_selectorIfjNS0_4plusIjEEEEZZNS1_33reduce_by_key_impl_wrapped_configILNS1_25lookback_scan_determinismE0ES3_S7_PKfNS0_17constant_iteratorIjlEEPfPlSF_S6_NS0_8equal_toIfEEEE10hipError_tPvRmT2_T3_mT4_T5_T6_T7_T8_P12ihipStream_tbENKUlT_T0_E_clISt17integral_constantIbLb1EESZ_EEDaSU_SV_EUlSU_E_NS1_11comp_targetILNS1_3genE5ELNS1_11target_archE942ELNS1_3gpuE9ELNS1_3repE0EEENS1_30default_config_static_selectorELNS0_4arch9wavefront6targetE1EEEvT1_
                                        ; -- End function
	.section	.AMDGPU.csdata,"",@progbits
; Kernel info:
; codeLenInByte = 0
; NumSgprs: 4
; NumVgprs: 0
; NumAgprs: 0
; TotalNumVgprs: 0
; ScratchSize: 0
; MemoryBound: 0
; FloatMode: 240
; IeeeMode: 1
; LDSByteSize: 0 bytes/workgroup (compile time only)
; SGPRBlocks: 0
; VGPRBlocks: 0
; NumSGPRsForWavesPerEU: 4
; NumVGPRsForWavesPerEU: 1
; AccumOffset: 4
; Occupancy: 8
; WaveLimiterHint : 0
; COMPUTE_PGM_RSRC2:SCRATCH_EN: 0
; COMPUTE_PGM_RSRC2:USER_SGPR: 6
; COMPUTE_PGM_RSRC2:TRAP_HANDLER: 0
; COMPUTE_PGM_RSRC2:TGID_X_EN: 1
; COMPUTE_PGM_RSRC2:TGID_Y_EN: 0
; COMPUTE_PGM_RSRC2:TGID_Z_EN: 0
; COMPUTE_PGM_RSRC2:TIDIG_COMP_CNT: 0
; COMPUTE_PGM_RSRC3_GFX90A:ACCUM_OFFSET: 0
; COMPUTE_PGM_RSRC3_GFX90A:TG_SPLIT: 0
	.section	.text._ZN7rocprim17ROCPRIM_400000_NS6detail17trampoline_kernelINS0_14default_configENS1_33run_length_encode_config_selectorIfjNS0_4plusIjEEEEZZNS1_33reduce_by_key_impl_wrapped_configILNS1_25lookback_scan_determinismE0ES3_S7_PKfNS0_17constant_iteratorIjlEEPfPlSF_S6_NS0_8equal_toIfEEEE10hipError_tPvRmT2_T3_mT4_T5_T6_T7_T8_P12ihipStream_tbENKUlT_T0_E_clISt17integral_constantIbLb1EESZ_EEDaSU_SV_EUlSU_E_NS1_11comp_targetILNS1_3genE4ELNS1_11target_archE910ELNS1_3gpuE8ELNS1_3repE0EEENS1_30default_config_static_selectorELNS0_4arch9wavefront6targetE1EEEvT1_,"axG",@progbits,_ZN7rocprim17ROCPRIM_400000_NS6detail17trampoline_kernelINS0_14default_configENS1_33run_length_encode_config_selectorIfjNS0_4plusIjEEEEZZNS1_33reduce_by_key_impl_wrapped_configILNS1_25lookback_scan_determinismE0ES3_S7_PKfNS0_17constant_iteratorIjlEEPfPlSF_S6_NS0_8equal_toIfEEEE10hipError_tPvRmT2_T3_mT4_T5_T6_T7_T8_P12ihipStream_tbENKUlT_T0_E_clISt17integral_constantIbLb1EESZ_EEDaSU_SV_EUlSU_E_NS1_11comp_targetILNS1_3genE4ELNS1_11target_archE910ELNS1_3gpuE8ELNS1_3repE0EEENS1_30default_config_static_selectorELNS0_4arch9wavefront6targetE1EEEvT1_,comdat
	.protected	_ZN7rocprim17ROCPRIM_400000_NS6detail17trampoline_kernelINS0_14default_configENS1_33run_length_encode_config_selectorIfjNS0_4plusIjEEEEZZNS1_33reduce_by_key_impl_wrapped_configILNS1_25lookback_scan_determinismE0ES3_S7_PKfNS0_17constant_iteratorIjlEEPfPlSF_S6_NS0_8equal_toIfEEEE10hipError_tPvRmT2_T3_mT4_T5_T6_T7_T8_P12ihipStream_tbENKUlT_T0_E_clISt17integral_constantIbLb1EESZ_EEDaSU_SV_EUlSU_E_NS1_11comp_targetILNS1_3genE4ELNS1_11target_archE910ELNS1_3gpuE8ELNS1_3repE0EEENS1_30default_config_static_selectorELNS0_4arch9wavefront6targetE1EEEvT1_ ; -- Begin function _ZN7rocprim17ROCPRIM_400000_NS6detail17trampoline_kernelINS0_14default_configENS1_33run_length_encode_config_selectorIfjNS0_4plusIjEEEEZZNS1_33reduce_by_key_impl_wrapped_configILNS1_25lookback_scan_determinismE0ES3_S7_PKfNS0_17constant_iteratorIjlEEPfPlSF_S6_NS0_8equal_toIfEEEE10hipError_tPvRmT2_T3_mT4_T5_T6_T7_T8_P12ihipStream_tbENKUlT_T0_E_clISt17integral_constantIbLb1EESZ_EEDaSU_SV_EUlSU_E_NS1_11comp_targetILNS1_3genE4ELNS1_11target_archE910ELNS1_3gpuE8ELNS1_3repE0EEENS1_30default_config_static_selectorELNS0_4arch9wavefront6targetE1EEEvT1_
	.globl	_ZN7rocprim17ROCPRIM_400000_NS6detail17trampoline_kernelINS0_14default_configENS1_33run_length_encode_config_selectorIfjNS0_4plusIjEEEEZZNS1_33reduce_by_key_impl_wrapped_configILNS1_25lookback_scan_determinismE0ES3_S7_PKfNS0_17constant_iteratorIjlEEPfPlSF_S6_NS0_8equal_toIfEEEE10hipError_tPvRmT2_T3_mT4_T5_T6_T7_T8_P12ihipStream_tbENKUlT_T0_E_clISt17integral_constantIbLb1EESZ_EEDaSU_SV_EUlSU_E_NS1_11comp_targetILNS1_3genE4ELNS1_11target_archE910ELNS1_3gpuE8ELNS1_3repE0EEENS1_30default_config_static_selectorELNS0_4arch9wavefront6targetE1EEEvT1_
	.p2align	8
	.type	_ZN7rocprim17ROCPRIM_400000_NS6detail17trampoline_kernelINS0_14default_configENS1_33run_length_encode_config_selectorIfjNS0_4plusIjEEEEZZNS1_33reduce_by_key_impl_wrapped_configILNS1_25lookback_scan_determinismE0ES3_S7_PKfNS0_17constant_iteratorIjlEEPfPlSF_S6_NS0_8equal_toIfEEEE10hipError_tPvRmT2_T3_mT4_T5_T6_T7_T8_P12ihipStream_tbENKUlT_T0_E_clISt17integral_constantIbLb1EESZ_EEDaSU_SV_EUlSU_E_NS1_11comp_targetILNS1_3genE4ELNS1_11target_archE910ELNS1_3gpuE8ELNS1_3repE0EEENS1_30default_config_static_selectorELNS0_4arch9wavefront6targetE1EEEvT1_,@function
_ZN7rocprim17ROCPRIM_400000_NS6detail17trampoline_kernelINS0_14default_configENS1_33run_length_encode_config_selectorIfjNS0_4plusIjEEEEZZNS1_33reduce_by_key_impl_wrapped_configILNS1_25lookback_scan_determinismE0ES3_S7_PKfNS0_17constant_iteratorIjlEEPfPlSF_S6_NS0_8equal_toIfEEEE10hipError_tPvRmT2_T3_mT4_T5_T6_T7_T8_P12ihipStream_tbENKUlT_T0_E_clISt17integral_constantIbLb1EESZ_EEDaSU_SV_EUlSU_E_NS1_11comp_targetILNS1_3genE4ELNS1_11target_archE910ELNS1_3gpuE8ELNS1_3repE0EEENS1_30default_config_static_selectorELNS0_4arch9wavefront6targetE1EEEvT1_: ; @_ZN7rocprim17ROCPRIM_400000_NS6detail17trampoline_kernelINS0_14default_configENS1_33run_length_encode_config_selectorIfjNS0_4plusIjEEEEZZNS1_33reduce_by_key_impl_wrapped_configILNS1_25lookback_scan_determinismE0ES3_S7_PKfNS0_17constant_iteratorIjlEEPfPlSF_S6_NS0_8equal_toIfEEEE10hipError_tPvRmT2_T3_mT4_T5_T6_T7_T8_P12ihipStream_tbENKUlT_T0_E_clISt17integral_constantIbLb1EESZ_EEDaSU_SV_EUlSU_E_NS1_11comp_targetILNS1_3genE4ELNS1_11target_archE910ELNS1_3gpuE8ELNS1_3repE0EEENS1_30default_config_static_selectorELNS0_4arch9wavefront6targetE1EEEvT1_
; %bb.0:
	s_load_dword s12, s[4:5], 0x10
	s_load_dwordx4 s[44:47], s[4:5], 0x20
	s_load_dwordx2 s[52:53], s[4:5], 0x30
	s_load_dwordx2 s[34:35], s[4:5], 0x70
	s_load_dwordx4 s[48:51], s[4:5], 0x60
	s_load_dwordx8 s[36:43], s[4:5], 0x40
	v_cmp_ne_u32_e64 s[2:3], 0, v0
	v_cmp_eq_u32_e64 s[0:1], 0, v0
	s_and_saveexec_b64 s[6:7], s[0:1]
	s_cbranch_execz .LBB384_4
; %bb.1:
	s_mov_b64 s[10:11], exec
	v_mbcnt_lo_u32_b32 v1, s10, 0
	v_mbcnt_hi_u32_b32 v1, s11, v1
	v_cmp_eq_u32_e32 vcc, 0, v1
                                        ; implicit-def: $vgpr2
	s_and_saveexec_b64 s[8:9], vcc
	s_cbranch_execz .LBB384_3
; %bb.2:
	s_load_dwordx2 s[14:15], s[4:5], 0x78
	s_bcnt1_i32_b64 s10, s[10:11]
	v_mov_b32_e32 v2, 0
	v_mov_b32_e32 v3, s10
	s_waitcnt lgkmcnt(0)
	global_atomic_add v2, v2, v3, s[14:15] glc
.LBB384_3:
	s_or_b64 exec, exec, s[8:9]
	s_waitcnt vmcnt(0)
	v_readfirstlane_b32 s8, v2
	v_add_u32_e32 v1, s8, v1
	v_mov_b32_e32 v2, 0
	ds_write_b32 v2, v1
.LBB384_4:
	s_or_b64 exec, exec, s[6:7]
	s_load_dwordx4 s[4:7], s[4:5], 0x0
	v_mov_b32_e32 v3, 0
	s_waitcnt lgkmcnt(0)
	s_barrier
	ds_read_b32 v1, v3
	s_mul_i32 s8, s40, s39
	s_mul_hi_u32 s9, s40, s38
	s_add_i32 s8, s9, s8
	s_mul_i32 s9, s41, s38
	s_add_i32 s8, s8, s9
	s_lshl_b64 s[6:7], s[6:7], 2
	s_add_u32 s4, s4, s6
	s_movk_i32 s6, 0xf00
	s_waitcnt lgkmcnt(0)
	v_mul_lo_u32 v2, v1, s6
	s_mul_i32 s9, s40, s38
	s_addc_u32 s5, s5, s7
	v_readfirstlane_b32 s56, v1
	v_lshlrev_b64 v[2:3], 2, v[2:3]
	v_add_co_u32_e32 v2, vcc, s4, v2
	s_add_u32 s4, s9, s56
	v_mov_b32_e32 v1, s5
	s_addc_u32 s5, s8, 0
	s_add_u32 s6, s42, -1
	s_addc_u32 s7, s43, -1
	s_cmp_eq_u64 s[4:5], s[6:7]
	v_addc_co_u32_e32 v3, vcc, v1, v3, vcc
	s_cselect_b64 s[40:41], -1, 0
	s_cmp_lg_u64 s[4:5], s[6:7]
	s_mov_b64 s[10:11], -1
	s_cselect_b64 s[8:9], -1, 0
	s_mul_i32 s33, s6, 0xfffff100
	s_and_b64 vcc, exec, s[40:41]
	s_barrier
	s_cbranch_vccnz .LBB384_6
; %bb.5:
	v_lshlrev_b32_e32 v1, 2, v0
	v_add_co_u32_e32 v6, vcc, v2, v1
	v_addc_co_u32_e32 v7, vcc, 0, v3, vcc
	v_add_co_u32_e32 v4, vcc, 0x1000, v6
	v_readfirstlane_b32 s6, v2
	v_readfirstlane_b32 s7, v3
	v_addc_co_u32_e32 v5, vcc, 0, v7, vcc
	s_nop 3
	global_load_dword v8, v1, s[6:7]
	global_load_dword v9, v1, s[6:7] offset:1024
	global_load_dword v10, v1, s[6:7] offset:2048
	;; [unrolled: 1-line block ×3, first 2 shown]
	global_load_dword v12, v[4:5], off
	global_load_dword v13, v[4:5], off offset:1024
	global_load_dword v14, v[4:5], off offset:2048
	;; [unrolled: 1-line block ×3, first 2 shown]
	v_add_co_u32_e32 v4, vcc, 0x2000, v6
	v_addc_co_u32_e32 v5, vcc, 0, v7, vcc
	v_add_co_u32_e32 v6, vcc, 0x3000, v6
	v_addc_co_u32_e32 v7, vcc, 0, v7, vcc
	global_load_dword v16, v[4:5], off
	global_load_dword v17, v[4:5], off offset:1024
	global_load_dword v18, v[4:5], off offset:2048
	;; [unrolled: 1-line block ×3, first 2 shown]
	global_load_dword v20, v[6:7], off
	global_load_dword v21, v[6:7], off offset:1024
	global_load_dword v22, v[6:7], off offset:2048
	v_mad_u32_u24 v4, v0, 56, v1
	s_mov_b64 s[6:7], -1
	s_waitcnt vmcnt(13)
	ds_write2st64_b32 v1, v8, v9 offset1:4
	s_waitcnt vmcnt(11)
	ds_write2st64_b32 v1, v10, v11 offset0:8 offset1:12
	s_waitcnt vmcnt(9)
	ds_write2st64_b32 v1, v12, v13 offset0:16 offset1:20
	;; [unrolled: 2-line block ×6, first 2 shown]
	s_waitcnt vmcnt(0)
	ds_write_b32 v1, v22 offset:14336
	s_waitcnt lgkmcnt(0)
	s_barrier
	ds_read2_b32 v[20:21], v4 offset1:1
	ds_read2_b32 v[18:19], v4 offset0:2 offset1:3
	ds_read2_b32 v[16:17], v4 offset0:4 offset1:5
	;; [unrolled: 1-line block ×6, first 2 shown]
	ds_read_b32 v1, v4 offset:56
	s_waitcnt lgkmcnt(7)
	v_mov_b32_e32 v24, v20
	s_waitcnt lgkmcnt(6)
	v_mov_b32_e32 v25, v18
	s_waitcnt lgkmcnt(5)
	v_mov_b32_e32 v6, v16
	s_waitcnt lgkmcnt(4)
	v_mov_b32_e32 v7, v14
	s_waitcnt lgkmcnt(3)
	v_mov_b32_e32 v4, v12
	s_waitcnt lgkmcnt(2)
	v_mov_b32_e32 v5, v10
	s_waitcnt lgkmcnt(1)
	v_mov_b32_e32 v22, v8
	s_add_i32 s33, s33, s48
	s_cbranch_execz .LBB384_7
	s_branch .LBB384_38
.LBB384_6:
	s_mov_b64 s[6:7], 0
                                        ; implicit-def: $vgpr1
                                        ; implicit-def: $vgpr8
                                        ; implicit-def: $vgpr10
                                        ; implicit-def: $vgpr12
                                        ; implicit-def: $vgpr14
                                        ; implicit-def: $vgpr16
                                        ; implicit-def: $vgpr18
                                        ; implicit-def: $vgpr20
                                        ; implicit-def: $vgpr4_vgpr5
                                        ; implicit-def: $vgpr6_vgpr7
                                        ; implicit-def: $vgpr24_vgpr25
                                        ; implicit-def: $vgpr22_vgpr23
	s_add_i32 s33, s33, s48
	s_andn2_b64 vcc, exec, s[10:11]
	s_cbranch_vccnz .LBB384_38
.LBB384_7:
	v_cmp_gt_u32_e32 vcc, s33, v0
                                        ; implicit-def: $vgpr1
	s_and_saveexec_b64 s[6:7], vcc
	s_cbranch_execz .LBB384_9
; %bb.8:
	s_waitcnt lgkmcnt(0)
	v_lshlrev_b32_e32 v1, 2, v0
	v_readfirstlane_b32 s10, v2
	v_readfirstlane_b32 s11, v3
	s_nop 4
	global_load_dword v1, v1, s[10:11]
.LBB384_9:
	s_or_b64 exec, exec, s[6:7]
	v_or_b32_e32 v4, 0x100, v0
	v_cmp_gt_u32_e32 vcc, s33, v4
                                        ; implicit-def: $vgpr4
	s_and_saveexec_b64 s[6:7], vcc
	s_cbranch_execz .LBB384_11
; %bb.10:
	v_lshlrev_b32_e32 v4, 2, v0
	v_readfirstlane_b32 s10, v2
	v_readfirstlane_b32 s11, v3
	s_nop 4
	global_load_dword v4, v4, s[10:11] offset:1024
.LBB384_11:
	s_or_b64 exec, exec, s[6:7]
	v_or_b32_e32 v5, 0x200, v0
	v_cmp_gt_u32_e32 vcc, s33, v5
                                        ; implicit-def: $vgpr5
	s_and_saveexec_b64 s[6:7], vcc
	s_cbranch_execz .LBB384_13
; %bb.12:
	v_lshlrev_b32_e32 v5, 2, v0
	v_readfirstlane_b32 s10, v2
	v_readfirstlane_b32 s11, v3
	s_nop 4
	global_load_dword v5, v5, s[10:11] offset:2048
.LBB384_13:
	s_or_b64 exec, exec, s[6:7]
	v_or_b32_e32 v6, 0x300, v0
	v_cmp_gt_u32_e32 vcc, s33, v6
                                        ; implicit-def: $vgpr6
	s_and_saveexec_b64 s[6:7], vcc
	s_cbranch_execz .LBB384_15
; %bb.14:
	v_lshlrev_b32_e32 v6, 2, v0
	v_readfirstlane_b32 s10, v2
	v_readfirstlane_b32 s11, v3
	s_nop 4
	global_load_dword v6, v6, s[10:11] offset:3072
.LBB384_15:
	s_or_b64 exec, exec, s[6:7]
	v_or_b32_e32 v8, 0x400, v0
	v_cmp_gt_u32_e32 vcc, s33, v8
                                        ; implicit-def: $vgpr7
	s_and_saveexec_b64 s[6:7], vcc
	s_cbranch_execz .LBB384_17
; %bb.16:
	v_lshlrev_b32_e32 v7, 2, v8
	v_readfirstlane_b32 s10, v2
	v_readfirstlane_b32 s11, v3
	s_nop 4
	global_load_dword v7, v7, s[10:11]
.LBB384_17:
	s_or_b64 exec, exec, s[6:7]
	v_or_b32_e32 v9, 0x500, v0
	v_cmp_gt_u32_e32 vcc, s33, v9
                                        ; implicit-def: $vgpr8
	s_and_saveexec_b64 s[6:7], vcc
	s_cbranch_execz .LBB384_19
; %bb.18:
	v_lshlrev_b32_e32 v8, 2, v9
	v_readfirstlane_b32 s10, v2
	v_readfirstlane_b32 s11, v3
	s_nop 4
	global_load_dword v8, v8, s[10:11]
.LBB384_19:
	s_or_b64 exec, exec, s[6:7]
	v_or_b32_e32 v10, 0x600, v0
	v_cmp_gt_u32_e32 vcc, s33, v10
                                        ; implicit-def: $vgpr9
	s_and_saveexec_b64 s[6:7], vcc
	s_cbranch_execz .LBB384_21
; %bb.20:
	v_lshlrev_b32_e32 v9, 2, v10
	v_readfirstlane_b32 s10, v2
	v_readfirstlane_b32 s11, v3
	s_nop 4
	global_load_dword v9, v9, s[10:11]
.LBB384_21:
	s_or_b64 exec, exec, s[6:7]
	v_or_b32_e32 v11, 0x700, v0
	v_cmp_gt_u32_e32 vcc, s33, v11
                                        ; implicit-def: $vgpr10
	s_and_saveexec_b64 s[6:7], vcc
	s_cbranch_execz .LBB384_23
; %bb.22:
	v_lshlrev_b32_e32 v10, 2, v11
	v_readfirstlane_b32 s10, v2
	v_readfirstlane_b32 s11, v3
	s_nop 4
	global_load_dword v10, v10, s[10:11]
.LBB384_23:
	s_or_b64 exec, exec, s[6:7]
	v_or_b32_e32 v12, 0x800, v0
	v_cmp_gt_u32_e32 vcc, s33, v12
                                        ; implicit-def: $vgpr11
	s_and_saveexec_b64 s[6:7], vcc
	s_cbranch_execz .LBB384_25
; %bb.24:
	v_lshlrev_b32_e32 v11, 2, v12
	v_readfirstlane_b32 s10, v2
	v_readfirstlane_b32 s11, v3
	s_nop 4
	global_load_dword v11, v11, s[10:11]
.LBB384_25:
	s_or_b64 exec, exec, s[6:7]
	v_or_b32_e32 v13, 0x900, v0
	v_cmp_gt_u32_e32 vcc, s33, v13
                                        ; implicit-def: $vgpr12
	s_and_saveexec_b64 s[6:7], vcc
	s_cbranch_execz .LBB384_27
; %bb.26:
	v_lshlrev_b32_e32 v12, 2, v13
	v_readfirstlane_b32 s10, v2
	v_readfirstlane_b32 s11, v3
	s_nop 4
	global_load_dword v12, v12, s[10:11]
.LBB384_27:
	s_or_b64 exec, exec, s[6:7]
	v_or_b32_e32 v14, 0xa00, v0
	v_cmp_gt_u32_e32 vcc, s33, v14
                                        ; implicit-def: $vgpr13
	s_and_saveexec_b64 s[6:7], vcc
	s_cbranch_execz .LBB384_29
; %bb.28:
	v_lshlrev_b32_e32 v13, 2, v14
	v_readfirstlane_b32 s10, v2
	v_readfirstlane_b32 s11, v3
	s_nop 4
	global_load_dword v13, v13, s[10:11]
.LBB384_29:
	s_or_b64 exec, exec, s[6:7]
	v_or_b32_e32 v15, 0xb00, v0
	v_cmp_gt_u32_e32 vcc, s33, v15
                                        ; implicit-def: $vgpr14
	s_and_saveexec_b64 s[6:7], vcc
	s_cbranch_execz .LBB384_31
; %bb.30:
	v_lshlrev_b32_e32 v14, 2, v15
	v_readfirstlane_b32 s10, v2
	v_readfirstlane_b32 s11, v3
	s_nop 4
	global_load_dword v14, v14, s[10:11]
.LBB384_31:
	s_or_b64 exec, exec, s[6:7]
	v_or_b32_e32 v16, 0xc00, v0
	v_cmp_gt_u32_e32 vcc, s33, v16
                                        ; implicit-def: $vgpr15
	s_and_saveexec_b64 s[6:7], vcc
	s_cbranch_execz .LBB384_33
; %bb.32:
	v_lshlrev_b32_e32 v15, 2, v16
	v_readfirstlane_b32 s10, v2
	v_readfirstlane_b32 s11, v3
	s_nop 4
	global_load_dword v15, v15, s[10:11]
.LBB384_33:
	s_or_b64 exec, exec, s[6:7]
	v_or_b32_e32 v17, 0xd00, v0
	v_cmp_gt_u32_e32 vcc, s33, v17
                                        ; implicit-def: $vgpr16
	s_and_saveexec_b64 s[6:7], vcc
	s_cbranch_execz .LBB384_35
; %bb.34:
	v_lshlrev_b32_e32 v16, 2, v17
	v_readfirstlane_b32 s10, v2
	v_readfirstlane_b32 s11, v3
	s_nop 4
	global_load_dword v16, v16, s[10:11]
.LBB384_35:
	s_or_b64 exec, exec, s[6:7]
	v_or_b32_e32 v18, 0xe00, v0
	v_cmp_gt_u32_e32 vcc, s33, v18
                                        ; implicit-def: $vgpr17
	s_and_saveexec_b64 s[6:7], vcc
	s_cbranch_execz .LBB384_37
; %bb.36:
	v_lshlrev_b32_e32 v17, 2, v18
	v_readfirstlane_b32 s10, v2
	v_readfirstlane_b32 s11, v3
	s_nop 4
	global_load_dword v17, v17, s[10:11]
.LBB384_37:
	s_or_b64 exec, exec, s[6:7]
	v_lshlrev_b32_e32 v18, 2, v0
	s_waitcnt vmcnt(0) lgkmcnt(0)
	ds_write2st64_b32 v18, v1, v4 offset1:4
	ds_write2st64_b32 v18, v5, v6 offset0:8 offset1:12
	ds_write2st64_b32 v18, v7, v8 offset0:16 offset1:20
	;; [unrolled: 1-line block ×6, first 2 shown]
	ds_write_b32 v18, v17 offset:14336
	v_mad_u32_u24 v1, v0, 56, v18
	s_waitcnt lgkmcnt(0)
	s_barrier
	ds_read2_b32 v[20:21], v1 offset1:1
	ds_read2_b32 v[18:19], v1 offset0:2 offset1:3
	ds_read2_b32 v[16:17], v1 offset0:4 offset1:5
	;; [unrolled: 1-line block ×6, first 2 shown]
	ds_read_b32 v1, v1 offset:56
	v_mad_u32_u24 v4, v0, 15, 14
	v_cmp_gt_u32_e64 s[6:7], s33, v4
	s_waitcnt lgkmcnt(7)
	v_mov_b32_e32 v24, v20
	s_waitcnt lgkmcnt(6)
	v_mov_b32_e32 v25, v18
	s_waitcnt lgkmcnt(5)
	v_mov_b32_e32 v6, v16
	s_waitcnt lgkmcnt(4)
	v_mov_b32_e32 v7, v14
	s_waitcnt lgkmcnt(3)
	v_mov_b32_e32 v4, v12
	s_waitcnt lgkmcnt(2)
	v_mov_b32_e32 v5, v10
	s_waitcnt lgkmcnt(1)
	v_mov_b32_e32 v22, v8
.LBB384_38:
	v_mov_b32_e32 v52, s12
                                        ; implicit-def: $vgpr53
	s_and_saveexec_b64 s[10:11], s[6:7]
; %bb.39:
	v_mov_b32_e32 v53, s12
; %bb.40:
	s_or_b64 exec, exec, s[10:11]
	s_cmp_eq_u64 s[4:5], 0
	s_cselect_b64 s[42:43], -1, 0
	s_cmp_lg_u64 s[4:5], 0
	s_mov_b64 s[6:7], 0
	s_cselect_b64 s[10:11], -1, 0
	s_and_b64 vcc, exec, s[8:9]
	s_waitcnt lgkmcnt(0)
	s_barrier
	s_cbranch_vccz .LBB384_46
; %bb.41:
	s_and_b64 vcc, exec, s[10:11]
	s_cbranch_vccz .LBB384_47
; %bb.42:
	global_load_dword v23, v[2:3], off offset:-4
	v_lshlrev_b32_e32 v26, 2, v0
	ds_write_b32 v26, v1
	s_waitcnt lgkmcnt(0)
	s_barrier
	s_and_saveexec_b64 s[6:7], s[2:3]
	s_cbranch_execz .LBB384_44
; %bb.43:
	s_waitcnt vmcnt(0)
	v_add_u32_e32 v23, -4, v26
	ds_read_b32 v23, v23
.LBB384_44:
	s_or_b64 exec, exec, s[6:7]
	v_cmp_neq_f32_e32 vcc, v24, v21
	v_cndmask_b32_e64 v67, 0, 1, vcc
	v_cmp_neq_f32_e32 vcc, v25, v21
	v_cndmask_b32_e64 v66, 0, 1, vcc
	;; [unrolled: 2-line block ×14, first 2 shown]
	s_waitcnt vmcnt(0) lgkmcnt(0)
	v_cmp_neq_f32_e64 s[8:9], v23, v20
	s_mov_b64 s[6:7], -1
.LBB384_45:
                                        ; implicit-def: $sgpr14
	s_branch .LBB384_59
.LBB384_46:
                                        ; implicit-def: $sgpr8_sgpr9
                                        ; implicit-def: $vgpr54
                                        ; implicit-def: $vgpr55
                                        ; implicit-def: $vgpr56
                                        ; implicit-def: $vgpr57
                                        ; implicit-def: $vgpr58
                                        ; implicit-def: $vgpr59
                                        ; implicit-def: $vgpr60
                                        ; implicit-def: $vgpr61
                                        ; implicit-def: $vgpr62
                                        ; implicit-def: $vgpr63
                                        ; implicit-def: $vgpr64
                                        ; implicit-def: $vgpr65
                                        ; implicit-def: $vgpr66
                                        ; implicit-def: $vgpr67
                                        ; implicit-def: $sgpr14
	s_cbranch_execnz .LBB384_51
	s_branch .LBB384_59
.LBB384_47:
                                        ; implicit-def: $sgpr8_sgpr9
                                        ; implicit-def: $vgpr54
                                        ; implicit-def: $vgpr55
                                        ; implicit-def: $vgpr56
                                        ; implicit-def: $vgpr57
                                        ; implicit-def: $vgpr58
                                        ; implicit-def: $vgpr59
                                        ; implicit-def: $vgpr60
                                        ; implicit-def: $vgpr61
                                        ; implicit-def: $vgpr62
                                        ; implicit-def: $vgpr63
                                        ; implicit-def: $vgpr64
                                        ; implicit-def: $vgpr65
                                        ; implicit-def: $vgpr66
                                        ; implicit-def: $vgpr67
	s_cbranch_execz .LBB384_45
; %bb.48:
	v_cmp_neq_f32_e32 vcc, v21, v24
	v_cndmask_b32_e64 v67, 0, 1, vcc
	v_cmp_neq_f32_e32 vcc, v21, v25
	v_cndmask_b32_e64 v66, 0, 1, vcc
	v_cmp_neq_f32_e32 vcc, v25, v19
	v_cndmask_b32_e64 v65, 0, 1, vcc
	v_cmp_neq_f32_e32 vcc, v6, v19
	v_cndmask_b32_e64 v64, 0, 1, vcc
	v_cmp_neq_f32_e32 vcc, v17, v6
	v_cndmask_b32_e64 v63, 0, 1, vcc
	v_cmp_neq_f32_e32 vcc, v17, v7
	v_cndmask_b32_e64 v62, 0, 1, vcc
	v_cmp_neq_f32_e32 vcc, v7, v15
	v_cndmask_b32_e64 v61, 0, 1, vcc
	v_cmp_neq_f32_e32 vcc, v4, v15
	v_cndmask_b32_e64 v60, 0, 1, vcc
	v_cmp_neq_f32_e32 vcc, v13, v4
	v_cndmask_b32_e64 v59, 0, 1, vcc
	v_cmp_neq_f32_e32 vcc, v13, v5
	v_cndmask_b32_e64 v58, 0, 1, vcc
	v_cmp_neq_f32_e32 vcc, v5, v11
	v_cndmask_b32_e64 v57, 0, 1, vcc
	v_cmp_neq_f32_e32 vcc, v22, v11
	v_cndmask_b32_e64 v56, 0, 1, vcc
	v_cmp_neq_f32_e32 vcc, v9, v22
	v_cndmask_b32_e64 v55, 0, 1, vcc
	v_cmp_neq_f32_e32 vcc, v9, v1
	v_lshlrev_b32_e32 v23, 2, v0
	v_cndmask_b32_e64 v54, 0, 1, vcc
	ds_write_b32 v23, v1
	s_waitcnt lgkmcnt(0)
	s_barrier
	s_waitcnt lgkmcnt(0)
                                        ; implicit-def: $sgpr8_sgpr9
	s_and_saveexec_b64 s[12:13], s[2:3]
	s_xor_b64 s[12:13], exec, s[12:13]
	s_cbranch_execz .LBB384_50
; %bb.49:
	v_add_u32_e32 v4, -4, v23
	ds_read_b32 v4, v4
	s_or_b64 s[6:7], s[6:7], exec
	s_waitcnt lgkmcnt(0)
	v_cmp_neq_f32_e32 vcc, v4, v20
	s_and_b64 s[8:9], vcc, exec
.LBB384_50:
	s_or_b64 exec, exec, s[12:13]
	s_mov_b32 s14, 1
	s_branch .LBB384_59
.LBB384_51:
	s_mul_hi_u32 s8, s4, 0xfffff100
	s_mulk_i32 s5, 0xf100
	s_sub_i32 s8, s8, s4
	s_add_i32 s8, s8, s5
	s_mulk_i32 s4, 0xf100
	s_add_u32 s12, s4, s48
	s_addc_u32 s13, s8, s49
	s_and_b64 vcc, exec, s[10:11]
	s_cbranch_vccz .LBB384_56
; %bb.52:
	global_load_dword v6, v[2:3], off offset:-4
	v_mad_u32_u24 v4, v0, 15, 14
	v_mov_b32_e32 v5, 0
	v_cmp_gt_u64_e32 vcc, s[12:13], v[4:5]
	v_cmp_neq_f32_e64 s[4:5], v9, v1
	v_mad_u32_u24 v4, v0, 15, 13
	s_and_b64 s[6:7], vcc, s[4:5]
	v_cmp_gt_u64_e32 vcc, s[12:13], v[4:5]
	v_cmp_neq_f32_e64 s[4:5], v8, v9
	v_mad_u32_u24 v4, v0, 15, 12
	s_and_b64 s[8:9], vcc, s[4:5]
	;; [unrolled: 4-line block ×13, first 2 shown]
	v_cmp_gt_u64_e32 vcc, s[12:13], v[4:5]
	v_cmp_neq_f32_e64 s[4:5], v20, v21
	v_lshlrev_b32_e32 v3, 2, v0
	v_mul_u32_u24_e32 v2, 15, v0
	s_and_b64 s[4:5], vcc, s[4:5]
	ds_write_b32 v3, v1
	s_waitcnt lgkmcnt(0)
	s_barrier
	s_and_saveexec_b64 s[54:55], s[2:3]
	s_cbranch_execz .LBB384_54
; %bb.53:
	v_add_u32_e32 v3, -4, v3
	s_waitcnt vmcnt(0)
	ds_read_b32 v6, v3
.LBB384_54:
	s_or_b64 exec, exec, s[54:55]
	v_mov_b32_e32 v3, v5
	v_cndmask_b32_e64 v67, 0, 1, s[4:5]
	v_cmp_gt_u64_e32 vcc, s[12:13], v[2:3]
	s_waitcnt vmcnt(0) lgkmcnt(0)
	v_cmp_neq_f32_e64 s[4:5], v6, v20
	v_cndmask_b32_e64 v54, 0, 1, s[6:7]
	v_cndmask_b32_e64 v55, 0, 1, s[8:9]
	;; [unrolled: 1-line block ×13, first 2 shown]
	s_and_b64 s[8:9], vcc, s[4:5]
	s_mov_b64 s[6:7], -1
.LBB384_55:
                                        ; implicit-def: $sgpr14
	v_mov_b32_e32 v68, s14
	s_and_saveexec_b64 s[2:3], s[6:7]
	s_cbranch_execnz .LBB384_60
	s_branch .LBB384_61
.LBB384_56:
                                        ; implicit-def: $sgpr8_sgpr9
                                        ; implicit-def: $vgpr54
                                        ; implicit-def: $vgpr55
                                        ; implicit-def: $vgpr56
                                        ; implicit-def: $vgpr57
                                        ; implicit-def: $vgpr58
                                        ; implicit-def: $vgpr59
                                        ; implicit-def: $vgpr60
                                        ; implicit-def: $vgpr61
                                        ; implicit-def: $vgpr62
                                        ; implicit-def: $vgpr63
                                        ; implicit-def: $vgpr64
                                        ; implicit-def: $vgpr65
                                        ; implicit-def: $vgpr66
                                        ; implicit-def: $vgpr67
	s_cbranch_execz .LBB384_55
; %bb.57:
	v_mad_u32_u24 v2, v0, 15, 14
	v_mov_b32_e32 v3, 0
	v_cmp_gt_u64_e32 vcc, s[12:13], v[2:3]
	v_cmp_neq_f32_e64 s[4:5], v9, v1
	s_and_b64 s[4:5], vcc, s[4:5]
	v_mad_u32_u24 v2, v0, 15, 13
	v_cndmask_b32_e64 v54, 0, 1, s[4:5]
	v_cmp_gt_u64_e32 vcc, s[12:13], v[2:3]
	v_cmp_neq_f32_e64 s[4:5], v8, v9
	s_and_b64 s[4:5], vcc, s[4:5]
	v_mad_u32_u24 v2, v0, 15, 12
	v_cndmask_b32_e64 v55, 0, 1, s[4:5]
	v_cmp_gt_u64_e32 vcc, s[12:13], v[2:3]
	v_cmp_neq_f32_e64 s[4:5], v11, v8
	s_and_b64 s[4:5], vcc, s[4:5]
	v_mad_u32_u24 v2, v0, 15, 11
	v_cndmask_b32_e64 v56, 0, 1, s[4:5]
	v_cmp_gt_u64_e32 vcc, s[12:13], v[2:3]
	v_cmp_neq_f32_e64 s[4:5], v10, v11
	s_and_b64 s[4:5], vcc, s[4:5]
	v_mad_u32_u24 v2, v0, 15, 10
	v_cndmask_b32_e64 v57, 0, 1, s[4:5]
	v_cmp_gt_u64_e32 vcc, s[12:13], v[2:3]
	v_cmp_neq_f32_e64 s[4:5], v13, v10
	s_and_b64 s[4:5], vcc, s[4:5]
	v_mad_u32_u24 v2, v0, 15, 9
	v_cndmask_b32_e64 v58, 0, 1, s[4:5]
	v_cmp_gt_u64_e32 vcc, s[12:13], v[2:3]
	v_cmp_neq_f32_e64 s[4:5], v12, v13
	s_and_b64 s[4:5], vcc, s[4:5]
	v_mad_u32_u24 v2, v0, 15, 8
	v_cndmask_b32_e64 v59, 0, 1, s[4:5]
	v_cmp_gt_u64_e32 vcc, s[12:13], v[2:3]
	v_cmp_neq_f32_e64 s[4:5], v15, v12
	s_and_b64 s[4:5], vcc, s[4:5]
	v_mad_u32_u24 v2, v0, 15, 7
	v_cndmask_b32_e64 v60, 0, 1, s[4:5]
	v_cmp_gt_u64_e32 vcc, s[12:13], v[2:3]
	v_cmp_neq_f32_e64 s[4:5], v14, v15
	s_and_b64 s[4:5], vcc, s[4:5]
	v_mad_u32_u24 v2, v0, 15, 6
	v_cndmask_b32_e64 v61, 0, 1, s[4:5]
	v_cmp_gt_u64_e32 vcc, s[12:13], v[2:3]
	v_cmp_neq_f32_e64 s[4:5], v17, v14
	s_and_b64 s[4:5], vcc, s[4:5]
	v_mad_u32_u24 v2, v0, 15, 5
	v_cndmask_b32_e64 v62, 0, 1, s[4:5]
	v_cmp_gt_u64_e32 vcc, s[12:13], v[2:3]
	v_cmp_neq_f32_e64 s[4:5], v16, v17
	s_and_b64 s[4:5], vcc, s[4:5]
	v_mad_u32_u24 v2, v0, 15, 4
	v_cndmask_b32_e64 v63, 0, 1, s[4:5]
	v_cmp_gt_u64_e32 vcc, s[12:13], v[2:3]
	v_cmp_neq_f32_e64 s[4:5], v19, v16
	s_and_b64 s[4:5], vcc, s[4:5]
	v_mad_u32_u24 v2, v0, 15, 3
	v_cndmask_b32_e64 v64, 0, 1, s[4:5]
	v_cmp_gt_u64_e32 vcc, s[12:13], v[2:3]
	v_cmp_neq_f32_e64 s[4:5], v18, v19
	s_and_b64 s[4:5], vcc, s[4:5]
	v_mad_u32_u24 v2, v0, 15, 2
	v_cndmask_b32_e64 v65, 0, 1, s[4:5]
	v_cmp_gt_u64_e32 vcc, s[12:13], v[2:3]
	v_cmp_neq_f32_e64 s[4:5], v21, v18
	s_and_b64 s[4:5], vcc, s[4:5]
	v_mad_u32_u24 v2, v0, 15, 1
	v_cndmask_b32_e64 v66, 0, 1, s[4:5]
	v_cmp_gt_u64_e32 vcc, s[12:13], v[2:3]
	v_cmp_neq_f32_e64 s[4:5], v20, v21
	s_and_b64 s[4:5], vcc, s[4:5]
	v_lshlrev_b32_e32 v4, 2, v0
	s_mov_b32 s14, 1
	v_cndmask_b32_e64 v67, 0, 1, s[4:5]
	ds_write_b32 v4, v1
	s_waitcnt lgkmcnt(0)
	s_barrier
	s_waitcnt lgkmcnt(0)
                                        ; implicit-def: $sgpr8_sgpr9
	s_and_saveexec_b64 s[4:5], s[2:3]
	s_cbranch_execz .LBB384_156
; %bb.58:
	v_add_u32_e32 v2, -4, v4
	ds_read_b32 v4, v2
	v_mul_u32_u24_e32 v2, 15, v0
	v_cmp_gt_u64_e32 vcc, s[12:13], v[2:3]
	s_or_b64 s[6:7], s[6:7], exec
	s_waitcnt lgkmcnt(0)
	v_cmp_neq_f32_e64 s[2:3], v4, v20
	s_and_b64 s[2:3], vcc, s[2:3]
	s_and_b64 s[8:9], s[2:3], exec
	s_or_b64 exec, exec, s[4:5]
.LBB384_59:
	v_mov_b32_e32 v68, s14
	s_and_saveexec_b64 s[2:3], s[6:7]
.LBB384_60:
	v_cndmask_b32_e64 v68, 0, 1, s[8:9]
.LBB384_61:
	s_or_b64 exec, exec, s[2:3]
	s_cmp_eq_u64 s[38:39], 0
	v_add3_u32 v2, v67, v68, v66
	s_cselect_b64 s[38:39], -1, 0
	s_cmp_lg_u32 s56, 0
	v_cmp_eq_u32_e64 s[26:27], 0, v67
	v_cmp_eq_u32_e64 s[24:25], 0, v66
	;; [unrolled: 1-line block ×3, first 2 shown]
	v_add3_u32 v72, v2, v65, v64
	v_cmp_eq_u32_e64 s[20:21], 0, v64
	v_cmp_eq_u32_e64 s[18:19], 0, v63
	;; [unrolled: 1-line block ×10, first 2 shown]
	v_cmp_eq_u32_e32 vcc, 0, v54
	v_mbcnt_lo_u32_b32 v71, -1, 0
	v_lshrrev_b32_e32 v69, 6, v0
	v_or_b32_e32 v70, 63, v0
	s_cbranch_scc0 .LBB384_92
; %bb.62:
	v_cndmask_b32_e64 v2, 0, v52, s[26:27]
	v_add_u32_e32 v2, v2, v52
	v_cndmask_b32_e64 v2, 0, v2, s[24:25]
	v_add_u32_e32 v2, v2, v52
	;; [unrolled: 2-line block ×11, first 2 shown]
	v_cndmask_b32_e64 v2, 0, v2, s[4:5]
	v_add3_u32 v3, v72, v63, v62
	v_add_u32_e32 v2, v2, v52
	v_add3_u32 v3, v3, v61, v60
	v_cndmask_b32_e64 v2, 0, v2, s[2:3]
	v_add3_u32 v3, v3, v59, v58
	v_add_u32_e32 v2, v2, v52
	v_add3_u32 v3, v3, v57, v56
	v_cndmask_b32_e32 v2, 0, v2, vcc
	v_add3_u32 v3, v3, v55, v54
	v_add_u32_e32 v2, v2, v53
	v_mbcnt_hi_u32_b32 v25, -1, v71
	v_and_b32_e32 v4, 15, v25
	v_mov_b32_dpp v6, v2 row_shr:1 row_mask:0xf bank_mask:0xf
	v_cmp_eq_u32_e32 vcc, 0, v3
	v_mov_b32_dpp v5, v3 row_shr:1 row_mask:0xf bank_mask:0xf
	v_cndmask_b32_e32 v6, 0, v6, vcc
	v_cmp_eq_u32_e32 vcc, 0, v4
	v_cndmask_b32_e64 v5, v5, 0, vcc
	v_add_u32_e32 v3, v5, v3
	v_cndmask_b32_e64 v5, v6, 0, vcc
	v_add_u32_e32 v2, v5, v2
	v_cmp_eq_u32_e32 vcc, 0, v3
	v_mov_b32_dpp v5, v3 row_shr:2 row_mask:0xf bank_mask:0xf
	v_cmp_lt_u32_e64 s[28:29], 1, v4
	v_mov_b32_dpp v6, v2 row_shr:2 row_mask:0xf bank_mask:0xf
	v_cndmask_b32_e64 v5, 0, v5, s[28:29]
	s_and_b64 vcc, s[28:29], vcc
	v_cndmask_b32_e32 v6, 0, v6, vcc
	v_add_u32_e32 v3, v3, v5
	v_add_u32_e32 v2, v6, v2
	v_cmp_eq_u32_e32 vcc, 0, v3
	v_mov_b32_dpp v5, v3 row_shr:4 row_mask:0xf bank_mask:0xf
	v_cmp_lt_u32_e64 s[28:29], 3, v4
	v_mov_b32_dpp v6, v2 row_shr:4 row_mask:0xf bank_mask:0xf
	v_cndmask_b32_e64 v5, 0, v5, s[28:29]
	s_and_b64 vcc, s[28:29], vcc
	v_cndmask_b32_e32 v6, 0, v6, vcc
	v_add_u32_e32 v3, v5, v3
	v_add_u32_e32 v2, v2, v6
	v_cmp_eq_u32_e32 vcc, 0, v3
	v_cmp_lt_u32_e64 s[28:29], 7, v4
	v_mov_b32_dpp v5, v3 row_shr:8 row_mask:0xf bank_mask:0xf
	v_mov_b32_dpp v6, v2 row_shr:8 row_mask:0xf bank_mask:0xf
	s_and_b64 vcc, s[28:29], vcc
	v_cndmask_b32_e64 v4, 0, v5, s[28:29]
	v_cndmask_b32_e32 v5, 0, v6, vcc
	v_add_u32_e32 v2, v5, v2
	v_add_u32_e32 v3, v4, v3
	v_bfe_i32 v6, v25, 4, 1
	v_mov_b32_dpp v5, v2 row_bcast:15 row_mask:0xf bank_mask:0xf
	v_mov_b32_dpp v4, v3 row_bcast:15 row_mask:0xf bank_mask:0xf
	v_cmp_eq_u32_e32 vcc, 0, v3
	v_cndmask_b32_e32 v5, 0, v5, vcc
	v_and_b32_e32 v4, v6, v4
	v_add_u32_e32 v3, v4, v3
	v_and_b32_e32 v4, v6, v5
	v_add_u32_e32 v4, v4, v2
	v_mov_b32_dpp v2, v3 row_bcast:31 row_mask:0xf bank_mask:0xf
	v_cmp_eq_u32_e32 vcc, 0, v3
	v_cmp_lt_u32_e64 s[28:29], 31, v25
	v_mov_b32_dpp v5, v4 row_bcast:31 row_mask:0xf bank_mask:0xf
	v_cndmask_b32_e64 v2, 0, v2, s[28:29]
	s_and_b64 vcc, s[28:29], vcc
	v_add_u32_e32 v2, v2, v3
	v_cndmask_b32_e32 v3, 0, v5, vcc
	v_add_u32_e32 v3, v3, v4
	v_cmp_eq_u32_e32 vcc, v70, v0
	v_lshlrev_b32_e32 v4, 3, v69
	s_and_saveexec_b64 s[28:29], vcc
	s_cbranch_execz .LBB384_64
; %bb.63:
	ds_write_b64 v4, v[2:3] offset:2064
.LBB384_64:
	s_or_b64 exec, exec, s[28:29]
	v_cmp_gt_u32_e32 vcc, 4, v0
	s_waitcnt lgkmcnt(0)
	s_barrier
	s_and_saveexec_b64 s[30:31], vcc
	s_cbranch_execz .LBB384_66
; %bb.65:
	v_lshlrev_b32_e32 v5, 3, v0
	ds_read_b64 v[6:7], v5 offset:2064
	v_and_b32_e32 v22, 3, v25
	v_cmp_lt_u32_e64 s[28:29], 1, v22
	s_waitcnt lgkmcnt(0)
	v_mov_b32_dpp v24, v7 row_shr:1 row_mask:0xf bank_mask:0xf
	v_cmp_eq_u32_e32 vcc, 0, v6
	v_mov_b32_dpp v23, v6 row_shr:1 row_mask:0xf bank_mask:0xf
	v_cndmask_b32_e32 v24, 0, v24, vcc
	v_cmp_eq_u32_e32 vcc, 0, v22
	v_cndmask_b32_e64 v23, v23, 0, vcc
	v_add_u32_e32 v6, v23, v6
	v_cndmask_b32_e64 v23, v24, 0, vcc
	v_add_u32_e32 v7, v23, v7
	v_cmp_eq_u32_e32 vcc, 0, v6
	v_mov_b32_dpp v23, v6 row_shr:2 row_mask:0xf bank_mask:0xf
	v_mov_b32_dpp v24, v7 row_shr:2 row_mask:0xf bank_mask:0xf
	v_cndmask_b32_e64 v22, 0, v23, s[28:29]
	s_and_b64 vcc, s[28:29], vcc
	v_add_u32_e32 v6, v22, v6
	v_cndmask_b32_e32 v22, 0, v24, vcc
	v_add_u32_e32 v7, v22, v7
	ds_write_b64 v5, v[6:7] offset:2064
.LBB384_66:
	s_or_b64 exec, exec, s[30:31]
	v_cmp_gt_u32_e32 vcc, 64, v0
	v_cmp_lt_u32_e64 s[28:29], 63, v0
	v_mov_b32_e32 v22, 0
	v_mov_b32_e32 v23, 0
	s_waitcnt lgkmcnt(0)
	s_barrier
	s_and_saveexec_b64 s[30:31], s[28:29]
	s_cbranch_execz .LBB384_68
; %bb.67:
	ds_read_b64 v[22:23], v4 offset:2056
	v_cmp_eq_u32_e64 s[28:29], 0, v2
	s_waitcnt lgkmcnt(0)
	v_add_u32_e32 v4, v22, v2
	v_cndmask_b32_e64 v2, 0, v23, s[28:29]
	v_add_u32_e32 v3, v2, v3
	v_mov_b32_e32 v2, v4
.LBB384_68:
	s_or_b64 exec, exec, s[30:31]
	v_add_u32_e32 v4, -1, v25
	v_and_b32_e32 v5, 64, v25
	v_cmp_lt_i32_e64 s[28:29], v4, v5
	v_cndmask_b32_e64 v4, v4, v25, s[28:29]
	v_lshlrev_b32_e32 v4, 2, v4
	ds_bpermute_b32 v30, v4, v2
	ds_bpermute_b32 v31, v4, v3
	v_cmp_eq_u32_e64 s[28:29], 0, v25
	s_and_saveexec_b64 s[48:49], vcc
	s_cbranch_execz .LBB384_91
; %bb.69:
	v_mov_b32_e32 v7, 0
	ds_read_b64 v[2:3], v7 offset:2088
	s_waitcnt lgkmcnt(0)
	v_readfirstlane_b32 s57, v2
	v_readfirstlane_b32 s58, v3
	s_and_saveexec_b64 s[30:31], s[28:29]
	s_cbranch_execz .LBB384_71
; %bb.70:
	s_add_i32 s54, s56, 64
	s_mov_b32 s55, 0
	s_lshl_b64 s[60:61], s[54:55], 4
	s_add_u32 s60, s36, s60
	s_addc_u32 s61, s37, s61
	s_and_b32 s63, s58, 0xff000000
	s_mov_b32 s62, s55
	s_and_b32 s65, s58, 0xff0000
	s_mov_b32 s64, s55
	s_or_b64 s[62:63], s[64:65], s[62:63]
	s_and_b32 s65, s58, 0xff00
	s_or_b64 s[62:63], s[62:63], s[64:65]
	s_and_b32 s65, s58, 0xff
	s_or_b64 s[54:55], s[62:63], s[64:65]
	v_mov_b32_e32 v4, s57
	v_mov_b32_e32 v5, s55
	;; [unrolled: 1-line block ×3, first 2 shown]
	v_pk_mov_b32 v[2:3], s[60:61], s[60:61] op_sel:[0,1]
	;;#ASMSTART
	global_store_dwordx4 v[2:3], v[4:7] off	
s_waitcnt vmcnt(0)
	;;#ASMEND
.LBB384_71:
	s_or_b64 exec, exec, s[30:31]
	v_xad_u32 v24, v25, -1, s56
	v_add_u32_e32 v6, 64, v24
	v_lshlrev_b64 v[2:3], 4, v[6:7]
	v_mov_b32_e32 v4, s37
	v_add_co_u32_e32 v26, vcc, s36, v2
	v_addc_co_u32_e32 v27, vcc, v4, v3, vcc
	;;#ASMSTART
	global_load_dwordx4 v[2:5], v[26:27] off glc	
s_waitcnt vmcnt(0)
	;;#ASMEND
	v_and_b32_e32 v5, 0xff, v3
	v_and_b32_e32 v6, 0xff00, v3
	v_or3_b32 v5, 0, v5, v6
	v_or3_b32 v2, v2, 0, 0
	v_and_b32_e32 v6, 0xff000000, v3
	v_and_b32_e32 v3, 0xff0000, v3
	v_or3_b32 v3, v5, v3, v6
	v_or3_b32 v2, v2, 0, 0
	v_cmp_eq_u16_sdwa s[54:55], v4, v7 src0_sel:BYTE_0 src1_sel:DWORD
	s_and_saveexec_b64 s[30:31], s[54:55]
	s_cbranch_execz .LBB384_77
; %bb.72:
	s_mov_b32 s59, 1
	s_mov_b64 s[54:55], 0
	v_mov_b32_e32 v6, 0
.LBB384_73:                             ; =>This Loop Header: Depth=1
                                        ;     Child Loop BB384_74 Depth 2
	s_max_u32 s60, s59, 1
.LBB384_74:                             ;   Parent Loop BB384_73 Depth=1
                                        ; =>  This Inner Loop Header: Depth=2
	s_add_i32 s60, s60, -1
	s_cmp_eq_u32 s60, 0
	s_sleep 1
	s_cbranch_scc0 .LBB384_74
; %bb.75:                               ;   in Loop: Header=BB384_73 Depth=1
	s_cmp_lt_u32 s59, 32
	s_cselect_b64 s[60:61], -1, 0
	s_cmp_lg_u64 s[60:61], 0
	s_addc_u32 s59, s59, 0
	;;#ASMSTART
	global_load_dwordx4 v[2:5], v[26:27] off glc	
s_waitcnt vmcnt(0)
	;;#ASMEND
	v_cmp_ne_u16_sdwa s[60:61], v4, v6 src0_sel:BYTE_0 src1_sel:DWORD
	s_or_b64 s[54:55], s[60:61], s[54:55]
	s_andn2_b64 exec, exec, s[54:55]
	s_cbranch_execnz .LBB384_73
; %bb.76:
	s_or_b64 exec, exec, s[54:55]
.LBB384_77:
	s_or_b64 exec, exec, s[30:31]
	v_mov_b32_e32 v32, 2
	v_cmp_eq_u16_sdwa s[30:31], v4, v32 src0_sel:BYTE_0 src1_sel:DWORD
	v_lshlrev_b64 v[26:27], v25, -1
	v_and_b32_e32 v5, s31, v27
	v_and_b32_e32 v33, 63, v25
	v_or_b32_e32 v5, 0x80000000, v5
	v_cmp_ne_u32_e32 vcc, 63, v33
	v_and_b32_e32 v6, s30, v26
	v_ffbl_b32_e32 v5, v5
	v_addc_co_u32_e32 v7, vcc, 0, v25, vcc
	v_add_u32_e32 v5, 32, v5
	v_ffbl_b32_e32 v6, v6
	v_lshlrev_b32_e32 v34, 2, v7
	v_min_u32_e32 v5, v6, v5
	ds_bpermute_b32 v6, v34, v3
	v_cmp_eq_u32_e32 vcc, 0, v2
	v_cmp_lt_u32_e64 s[30:31], v33, v5
	ds_bpermute_b32 v7, v34, v2
	s_and_b64 vcc, s[30:31], vcc
	s_waitcnt lgkmcnt(1)
	v_cndmask_b32_e32 v6, 0, v6, vcc
	v_cmp_gt_u32_e32 vcc, 62, v33
	v_add_u32_e32 v3, v6, v3
	v_cndmask_b32_e64 v6, 0, 1, vcc
	v_lshlrev_b32_e32 v6, 1, v6
	v_add_lshl_u32 v35, v6, v25, 2
	s_waitcnt lgkmcnt(0)
	v_cndmask_b32_e64 v7, 0, v7, s[30:31]
	ds_bpermute_b32 v6, v35, v3
	v_add_u32_e32 v2, v7, v2
	ds_bpermute_b32 v7, v35, v2
	v_add_u32_e32 v36, 2, v33
	v_cmp_eq_u32_e32 vcc, 0, v2
	s_waitcnt lgkmcnt(1)
	v_cndmask_b32_e32 v6, 0, v6, vcc
	v_cmp_gt_u32_e32 vcc, v36, v5
	v_cndmask_b32_e64 v6, v6, 0, vcc
	v_add_u32_e32 v3, v6, v3
	s_waitcnt lgkmcnt(0)
	v_cndmask_b32_e64 v6, v7, 0, vcc
	v_cmp_gt_u32_e32 vcc, 60, v33
	v_cndmask_b32_e64 v7, 0, 1, vcc
	v_lshlrev_b32_e32 v7, 2, v7
	v_add_lshl_u32 v37, v7, v25, 2
	ds_bpermute_b32 v7, v37, v3
	v_add_u32_e32 v2, v2, v6
	ds_bpermute_b32 v6, v37, v2
	v_add_u32_e32 v38, 4, v33
	v_cmp_eq_u32_e32 vcc, 0, v2
	s_waitcnt lgkmcnt(1)
	v_cndmask_b32_e32 v7, 0, v7, vcc
	v_cmp_gt_u32_e32 vcc, v38, v5
	v_cndmask_b32_e64 v7, v7, 0, vcc
	s_waitcnt lgkmcnt(0)
	v_cndmask_b32_e64 v6, v6, 0, vcc
	v_cmp_gt_u32_e32 vcc, 56, v33
	v_add_u32_e32 v3, v3, v7
	v_cndmask_b32_e64 v7, 0, 1, vcc
	v_lshlrev_b32_e32 v7, 3, v7
	v_add_lshl_u32 v39, v7, v25, 2
	ds_bpermute_b32 v7, v39, v3
	v_add_u32_e32 v2, v2, v6
	ds_bpermute_b32 v6, v39, v2
	v_add_u32_e32 v40, 8, v33
	v_cmp_eq_u32_e32 vcc, 0, v2
	s_waitcnt lgkmcnt(1)
	v_cndmask_b32_e32 v7, 0, v7, vcc
	v_cmp_gt_u32_e32 vcc, v40, v5
	v_cndmask_b32_e64 v7, v7, 0, vcc
	s_waitcnt lgkmcnt(0)
	v_cndmask_b32_e64 v6, v6, 0, vcc
	v_cmp_gt_u32_e32 vcc, 48, v33
	v_add_u32_e32 v3, v3, v7
	;; [unrolled: 16-line block ×3, first 2 shown]
	v_cndmask_b32_e64 v7, 0, 1, vcc
	v_lshlrev_b32_e32 v7, 5, v7
	v_add_lshl_u32 v43, v7, v25, 2
	ds_bpermute_b32 v7, v43, v3
	v_add_u32_e32 v2, v2, v6
	ds_bpermute_b32 v6, v43, v2
	v_add_u32_e32 v44, 32, v33
	v_cmp_eq_u32_e32 vcc, 0, v2
	s_waitcnt lgkmcnt(1)
	v_cndmask_b32_e32 v7, 0, v7, vcc
	v_cmp_gt_u32_e32 vcc, v44, v5
	v_cndmask_b32_e64 v5, v7, 0, vcc
	v_add_u32_e32 v3, v5, v3
	s_waitcnt lgkmcnt(0)
	v_cndmask_b32_e64 v5, v6, 0, vcc
	v_add_u32_e32 v2, v5, v2
	v_mov_b32_e32 v25, 0
	s_branch .LBB384_79
.LBB384_78:                             ;   in Loop: Header=BB384_79 Depth=1
	s_or_b64 exec, exec, s[30:31]
	v_cmp_eq_u16_sdwa s[30:31], v4, v32 src0_sel:BYTE_0 src1_sel:DWORD
	v_and_b32_e32 v5, s31, v27
	v_or_b32_e32 v5, 0x80000000, v5
	v_and_b32_e32 v28, s30, v26
	v_ffbl_b32_e32 v5, v5
	v_add_u32_e32 v5, 32, v5
	v_ffbl_b32_e32 v28, v28
	v_min_u32_e32 v5, v28, v5
	ds_bpermute_b32 v28, v34, v3
	v_cmp_eq_u32_e32 vcc, 0, v2
	v_cmp_lt_u32_e64 s[30:31], v33, v5
	ds_bpermute_b32 v29, v34, v2
	s_and_b64 vcc, s[30:31], vcc
	s_waitcnt lgkmcnt(1)
	v_cndmask_b32_e32 v28, 0, v28, vcc
	v_add_u32_e32 v3, v28, v3
	ds_bpermute_b32 v28, v35, v3
	s_waitcnt lgkmcnt(1)
	v_cndmask_b32_e64 v29, 0, v29, s[30:31]
	v_add_u32_e32 v2, v29, v2
	v_cmp_eq_u32_e32 vcc, 0, v2
	ds_bpermute_b32 v29, v35, v2
	s_waitcnt lgkmcnt(1)
	v_cndmask_b32_e32 v28, 0, v28, vcc
	v_cmp_gt_u32_e32 vcc, v36, v5
	v_cndmask_b32_e64 v28, v28, 0, vcc
	v_add_u32_e32 v3, v28, v3
	ds_bpermute_b32 v28, v37, v3
	s_waitcnt lgkmcnt(1)
	v_cndmask_b32_e64 v29, v29, 0, vcc
	v_add_u32_e32 v2, v2, v29
	v_cmp_eq_u32_e32 vcc, 0, v2
	ds_bpermute_b32 v29, v37, v2
	s_waitcnt lgkmcnt(1)
	v_cndmask_b32_e32 v28, 0, v28, vcc
	v_cmp_gt_u32_e32 vcc, v38, v5
	v_cndmask_b32_e64 v28, v28, 0, vcc
	v_add_u32_e32 v3, v3, v28
	ds_bpermute_b32 v28, v39, v3
	s_waitcnt lgkmcnt(1)
	v_cndmask_b32_e64 v29, v29, 0, vcc
	v_add_u32_e32 v2, v2, v29
	ds_bpermute_b32 v29, v39, v2
	v_cmp_eq_u32_e32 vcc, 0, v2
	s_waitcnt lgkmcnt(1)
	v_cndmask_b32_e32 v28, 0, v28, vcc
	v_cmp_gt_u32_e32 vcc, v40, v5
	v_cndmask_b32_e64 v28, v28, 0, vcc
	v_add_u32_e32 v3, v3, v28
	ds_bpermute_b32 v28, v41, v3
	s_waitcnt lgkmcnt(1)
	v_cndmask_b32_e64 v29, v29, 0, vcc
	v_add_u32_e32 v2, v2, v29
	ds_bpermute_b32 v29, v41, v2
	v_cmp_eq_u32_e32 vcc, 0, v2
	;; [unrolled: 11-line block ×3, first 2 shown]
	s_waitcnt lgkmcnt(1)
	v_cndmask_b32_e32 v28, 0, v28, vcc
	v_cmp_gt_u32_e32 vcc, v44, v5
	v_cndmask_b32_e64 v5, v28, 0, vcc
	v_add_u32_e32 v3, v5, v3
	s_waitcnt lgkmcnt(0)
	v_cndmask_b32_e64 v5, v29, 0, vcc
	v_cmp_eq_u32_e32 vcc, 0, v6
	v_cndmask_b32_e32 v3, 0, v3, vcc
	v_subrev_u32_e32 v24, 64, v24
	v_add3_u32 v2, v2, v6, v5
	v_add_u32_e32 v3, v3, v7
.LBB384_79:                             ; =>This Loop Header: Depth=1
                                        ;     Child Loop BB384_82 Depth 2
                                        ;       Child Loop BB384_83 Depth 3
	v_cmp_ne_u16_sdwa s[30:31], v4, v32 src0_sel:BYTE_0 src1_sel:DWORD
	v_mov_b32_e32 v7, v3
	v_cndmask_b32_e64 v3, 0, 1, s[30:31]
	;;#ASMSTART
	;;#ASMEND
	v_cmp_ne_u32_e32 vcc, 0, v3
	s_cmp_lg_u64 vcc, exec
	v_mov_b32_e32 v6, v2
	s_cbranch_scc1 .LBB384_86
; %bb.80:                               ;   in Loop: Header=BB384_79 Depth=1
	v_lshlrev_b64 v[2:3], 4, v[24:25]
	v_mov_b32_e32 v4, s37
	v_add_co_u32_e32 v28, vcc, s36, v2
	v_addc_co_u32_e32 v29, vcc, v4, v3, vcc
	;;#ASMSTART
	global_load_dwordx4 v[2:5], v[28:29] off glc	
s_waitcnt vmcnt(0)
	;;#ASMEND
	v_and_b32_e32 v5, 0xff, v3
	v_and_b32_e32 v45, 0xff00, v3
	v_or3_b32 v5, 0, v5, v45
	v_or3_b32 v2, v2, 0, 0
	v_and_b32_e32 v45, 0xff000000, v3
	v_and_b32_e32 v3, 0xff0000, v3
	v_or3_b32 v3, v5, v3, v45
	v_or3_b32 v2, v2, 0, 0
	v_cmp_eq_u16_sdwa s[54:55], v4, v25 src0_sel:BYTE_0 src1_sel:DWORD
	s_and_saveexec_b64 s[30:31], s[54:55]
	s_cbranch_execz .LBB384_78
; %bb.81:                               ;   in Loop: Header=BB384_79 Depth=1
	s_mov_b32 s59, 1
	s_mov_b64 s[54:55], 0
.LBB384_82:                             ;   Parent Loop BB384_79 Depth=1
                                        ; =>  This Loop Header: Depth=2
                                        ;       Child Loop BB384_83 Depth 3
	s_max_u32 s60, s59, 1
.LBB384_83:                             ;   Parent Loop BB384_79 Depth=1
                                        ;     Parent Loop BB384_82 Depth=2
                                        ; =>    This Inner Loop Header: Depth=3
	s_add_i32 s60, s60, -1
	s_cmp_eq_u32 s60, 0
	s_sleep 1
	s_cbranch_scc0 .LBB384_83
; %bb.84:                               ;   in Loop: Header=BB384_82 Depth=2
	s_cmp_lt_u32 s59, 32
	s_cselect_b64 s[60:61], -1, 0
	s_cmp_lg_u64 s[60:61], 0
	s_addc_u32 s59, s59, 0
	;;#ASMSTART
	global_load_dwordx4 v[2:5], v[28:29] off glc	
s_waitcnt vmcnt(0)
	;;#ASMEND
	v_cmp_ne_u16_sdwa s[60:61], v4, v25 src0_sel:BYTE_0 src1_sel:DWORD
	s_or_b64 s[54:55], s[60:61], s[54:55]
	s_andn2_b64 exec, exec, s[54:55]
	s_cbranch_execnz .LBB384_82
; %bb.85:                               ;   in Loop: Header=BB384_79 Depth=1
	s_or_b64 exec, exec, s[54:55]
	s_branch .LBB384_78
.LBB384_86:                             ;   in Loop: Header=BB384_79 Depth=1
                                        ; implicit-def: $vgpr3
                                        ; implicit-def: $vgpr2
                                        ; implicit-def: $vgpr4
	s_cbranch_execz .LBB384_79
; %bb.87:
	s_and_saveexec_b64 s[30:31], s[28:29]
	s_cbranch_execz .LBB384_89
; %bb.88:
	s_cmp_eq_u32 s57, 0
	s_cselect_b64 vcc, -1, 0
	s_mov_b32 s55, 0
	v_cndmask_b32_e32 v2, 0, v7, vcc
	s_add_i32 s54, s56, 64
	v_add_u32_e32 v2, s58, v2
	s_lshl_b64 s[54:55], s[54:55], 4
	s_add_u32 s54, s36, s54
	v_and_b32_e32 v3, 0xff000000, v2
	v_and_b32_e32 v4, 0xff0000, v2
	s_addc_u32 s55, s37, s55
	v_or_b32_e32 v3, v4, v3
	v_and_b32_e32 v4, 0xff00, v2
	v_and_b32_e32 v2, 0xff, v2
	v_add_u32_e32 v24, s57, v6
	v_mov_b32_e32 v27, 0
	v_or3_b32 v25, v3, v4, v2
	v_mov_b32_e32 v26, 2
	v_pk_mov_b32 v[2:3], s[54:55], s[54:55] op_sel:[0,1]
	;;#ASMSTART
	global_store_dwordx4 v[2:3], v[24:27] off	
s_waitcnt vmcnt(0)
	;;#ASMEND
	v_mov_b32_e32 v4, s57
	v_mov_b32_e32 v5, s58
	ds_write_b128 v27, v[4:7] offset:2048
.LBB384_89:
	s_or_b64 exec, exec, s[30:31]
	s_and_b64 exec, exec, s[0:1]
	s_cbranch_execz .LBB384_91
; %bb.90:
	v_mov_b32_e32 v2, 0
	ds_write_b64 v2, v[6:7] offset:2088
.LBB384_91:
	s_or_b64 exec, exec, s[48:49]
	v_mov_b32_e32 v4, 0
	s_waitcnt lgkmcnt(0)
	s_barrier
	ds_read_b64 v[2:3], v4 offset:2088
	v_cndmask_b32_e64 v6, v30, v22, s[28:29]
	v_cmp_eq_u32_e32 vcc, 0, v6
	v_cndmask_b32_e64 v5, v31, v23, s[28:29]
	s_waitcnt lgkmcnt(0)
	v_cndmask_b32_e32 v7, 0, v3, vcc
	v_add_u32_e32 v5, v7, v5
	v_cndmask_b32_e64 v51, v5, v3, s[0:1]
	v_cndmask_b32_e64 v3, v6, 0, s[0:1]
	v_cmp_eq_u32_e32 vcc, 0, v68
	v_add_u32_e32 v50, v2, v3
	v_cndmask_b32_e32 v2, 0, v51, vcc
	v_add_u32_e32 v49, v2, v52
	v_cndmask_b32_e64 v2, 0, v49, s[26:27]
	v_add_u32_e32 v47, v2, v52
	v_cndmask_b32_e64 v2, 0, v47, s[24:25]
	;; [unrolled: 2-line block ×8, first 2 shown]
	v_add_u32_e32 v48, v50, v68
	v_add_u32_e32 v33, v2, v52
	v_add_u32_e32 v46, v48, v67
	v_cndmask_b32_e64 v2, 0, v33, s[10:11]
	v_add_u32_e32 v44, v46, v66
	v_add_u32_e32 v31, v2, v52
	v_add_u32_e32 v42, v44, v65
	v_cndmask_b32_e64 v2, 0, v31, s[8:9]
	;; [unrolled: 4-line block ×3, first 2 shown]
	v_add_u32_e32 v36, v38, v62
	v_add_u32_e32 v27, v2, v52
	s_barrier
	ds_read_b128 v[2:5], v4 offset:2048
	v_add_u32_e32 v34, v36, v61
	v_add_u32_e32 v32, v34, v60
	;; [unrolled: 1-line block ×4, first 2 shown]
	v_cndmask_b32_e64 v6, 0, v27, s[4:5]
	v_add_u32_e32 v26, v28, v57
	v_add_u32_e32 v23, v6, v52
	s_waitcnt lgkmcnt(0)
	v_cmp_eq_u32_e32 vcc, 0, v2
	v_add_u32_e32 v22, v26, v56
	v_cndmask_b32_e64 v6, 0, v23, s[2:3]
	v_cndmask_b32_e32 v5, 0, v5, vcc
	v_add_u32_e32 v24, v22, v55
	v_add_u32_e32 v25, v6, v52
	;; [unrolled: 1-line block ×3, first 2 shown]
	s_branch .LBB384_104
.LBB384_92:
                                        ; implicit-def: $vgpr2
                                        ; implicit-def: $vgpr6
                                        ; implicit-def: $vgpr24_vgpr25
                                        ; implicit-def: $vgpr22_vgpr23
                                        ; implicit-def: $vgpr26_vgpr27
                                        ; implicit-def: $vgpr28_vgpr29
                                        ; implicit-def: $vgpr50_vgpr51
                                        ; implicit-def: $vgpr48_vgpr49
                                        ; implicit-def: $vgpr46_vgpr47
                                        ; implicit-def: $vgpr44_vgpr45
                                        ; implicit-def: $vgpr42_vgpr43
                                        ; implicit-def: $vgpr40_vgpr41
                                        ; implicit-def: $vgpr38_vgpr39
                                        ; implicit-def: $vgpr36_vgpr37
                                        ; implicit-def: $vgpr34_vgpr35
                                        ; implicit-def: $vgpr32_vgpr33
                                        ; implicit-def: $vgpr30_vgpr31
	s_cbranch_execz .LBB384_104
; %bb.93:
	s_and_b64 s[2:3], s[38:39], exec
	s_cselect_b32 s3, 0, s35
	s_cselect_b32 s2, 0, s34
	s_cmp_eq_u64 s[2:3], 0
	v_mov_b32_e32 v6, v52
	s_cbranch_scc1 .LBB384_95
; %bb.94:
	v_mov_b32_e32 v2, 0
	global_load_dword v6, v2, s[2:3]
.LBB384_95:
	v_cmp_eq_u32_e64 s[2:3], 0, v67
	v_cndmask_b32_e64 v2, 0, v52, s[2:3]
	v_add_u32_e32 v2, v2, v52
	v_cmp_eq_u32_e64 s[4:5], 0, v66
	v_cndmask_b32_e64 v2, 0, v2, s[4:5]
	v_add_u32_e32 v2, v2, v52
	;; [unrolled: 3-line block ×11, first 2 shown]
	v_cmp_eq_u32_e64 s[24:25], 0, v56
	v_cndmask_b32_e64 v2, 0, v2, s[24:25]
	v_add3_u32 v3, v72, v63, v62
	v_add_u32_e32 v2, v2, v52
	v_cmp_eq_u32_e32 vcc, 0, v55
	v_add3_u32 v3, v3, v61, v60
	v_cndmask_b32_e32 v2, 0, v2, vcc
	v_add3_u32 v3, v3, v59, v58
	v_add_u32_e32 v2, v2, v52
	v_cmp_eq_u32_e64 s[26:27], 0, v54
	v_add3_u32 v3, v3, v57, v56
	v_cndmask_b32_e64 v2, 0, v2, s[26:27]
	v_add3_u32 v3, v3, v55, v54
	v_add_u32_e32 v2, v2, v53
	v_mbcnt_hi_u32_b32 v7, -1, v71
	v_and_b32_e32 v4, 15, v7
	v_mov_b32_dpp v22, v2 row_shr:1 row_mask:0xf bank_mask:0xf
	v_cmp_eq_u32_e64 s[26:27], 0, v3
	v_mov_b32_dpp v5, v3 row_shr:1 row_mask:0xf bank_mask:0xf
	v_cndmask_b32_e64 v22, 0, v22, s[26:27]
	v_cmp_eq_u32_e64 s[26:27], 0, v4
	v_cndmask_b32_e64 v5, v5, 0, s[26:27]
	v_add_u32_e32 v3, v5, v3
	v_cndmask_b32_e64 v5, v22, 0, s[26:27]
	v_add_u32_e32 v2, v5, v2
	v_cmp_eq_u32_e64 s[26:27], 0, v3
	v_mov_b32_dpp v5, v3 row_shr:2 row_mask:0xf bank_mask:0xf
	v_cmp_lt_u32_e64 s[28:29], 1, v4
	v_mov_b32_dpp v22, v2 row_shr:2 row_mask:0xf bank_mask:0xf
	v_cndmask_b32_e64 v5, 0, v5, s[28:29]
	s_and_b64 s[26:27], s[28:29], s[26:27]
	v_cndmask_b32_e64 v22, 0, v22, s[26:27]
	v_add_u32_e32 v3, v3, v5
	v_add_u32_e32 v2, v22, v2
	v_cmp_eq_u32_e64 s[26:27], 0, v3
	v_mov_b32_dpp v5, v3 row_shr:4 row_mask:0xf bank_mask:0xf
	v_cmp_lt_u32_e64 s[28:29], 3, v4
	v_mov_b32_dpp v22, v2 row_shr:4 row_mask:0xf bank_mask:0xf
	v_cndmask_b32_e64 v5, 0, v5, s[28:29]
	s_and_b64 s[26:27], s[28:29], s[26:27]
	v_cndmask_b32_e64 v22, 0, v22, s[26:27]
	v_add_u32_e32 v3, v5, v3
	v_add_u32_e32 v2, v2, v22
	v_cmp_eq_u32_e64 s[26:27], 0, v3
	v_cmp_lt_u32_e64 s[28:29], 7, v4
	v_mov_b32_dpp v5, v3 row_shr:8 row_mask:0xf bank_mask:0xf
	v_mov_b32_dpp v22, v2 row_shr:8 row_mask:0xf bank_mask:0xf
	s_and_b64 s[26:27], s[28:29], s[26:27]
	v_cndmask_b32_e64 v4, 0, v5, s[28:29]
	v_cndmask_b32_e64 v5, 0, v22, s[26:27]
	v_add_u32_e32 v2, v5, v2
	v_add_u32_e32 v3, v4, v3
	v_bfe_i32 v22, v7, 4, 1
	v_mov_b32_dpp v5, v2 row_bcast:15 row_mask:0xf bank_mask:0xf
	v_mov_b32_dpp v4, v3 row_bcast:15 row_mask:0xf bank_mask:0xf
	v_cmp_eq_u32_e64 s[26:27], 0, v3
	v_cndmask_b32_e64 v5, 0, v5, s[26:27]
	v_and_b32_e32 v4, v22, v4
	v_add_u32_e32 v3, v4, v3
	v_and_b32_e32 v4, v22, v5
	v_add_u32_e32 v4, v4, v2
	v_mov_b32_dpp v2, v3 row_bcast:31 row_mask:0xf bank_mask:0xf
	v_cmp_eq_u32_e64 s[26:27], 0, v3
	v_cmp_lt_u32_e64 s[28:29], 31, v7
	v_mov_b32_dpp v5, v4 row_bcast:31 row_mask:0xf bank_mask:0xf
	v_cndmask_b32_e64 v2, 0, v2, s[28:29]
	s_and_b64 s[26:27], s[28:29], s[26:27]
	v_add_u32_e32 v2, v2, v3
	v_cndmask_b32_e64 v3, 0, v5, s[26:27]
	v_add_u32_e32 v3, v3, v4
	v_cmp_eq_u32_e64 s[26:27], v70, v0
	s_and_saveexec_b64 s[28:29], s[26:27]
	s_cbranch_execz .LBB384_97
; %bb.96:
	v_lshlrev_b32_e32 v4, 3, v69
	ds_write_b64 v4, v[2:3] offset:2064
.LBB384_97:
	s_or_b64 exec, exec, s[28:29]
	v_cmp_gt_u32_e64 s[26:27], 4, v0
	s_waitcnt lgkmcnt(0)
	s_barrier
	s_and_saveexec_b64 s[30:31], s[26:27]
	s_cbranch_execz .LBB384_99
; %bb.98:
	v_lshlrev_b32_e32 v22, 3, v0
	ds_read_b64 v[4:5], v22 offset:2064
	v_and_b32_e32 v23, 3, v7
	v_cmp_lt_u32_e64 s[28:29], 1, v23
	s_waitcnt lgkmcnt(0)
	v_mov_b32_dpp v25, v5 row_shr:1 row_mask:0xf bank_mask:0xf
	v_cmp_eq_u32_e64 s[26:27], 0, v4
	v_mov_b32_dpp v24, v4 row_shr:1 row_mask:0xf bank_mask:0xf
	v_cndmask_b32_e64 v25, 0, v25, s[26:27]
	v_cmp_eq_u32_e64 s[26:27], 0, v23
	v_cndmask_b32_e64 v24, v24, 0, s[26:27]
	v_add_u32_e32 v4, v24, v4
	v_cndmask_b32_e64 v24, v25, 0, s[26:27]
	v_add_u32_e32 v5, v24, v5
	v_cmp_eq_u32_e64 s[26:27], 0, v4
	v_mov_b32_dpp v24, v4 row_shr:2 row_mask:0xf bank_mask:0xf
	v_mov_b32_dpp v25, v5 row_shr:2 row_mask:0xf bank_mask:0xf
	v_cndmask_b32_e64 v23, 0, v24, s[28:29]
	s_and_b64 s[26:27], s[28:29], s[26:27]
	v_add_u32_e32 v4, v23, v4
	v_cndmask_b32_e64 v23, 0, v25, s[26:27]
	v_add_u32_e32 v5, v23, v5
	ds_write_b64 v22, v[4:5] offset:2064
.LBB384_99:
	s_or_b64 exec, exec, s[30:31]
	v_cmp_lt_u32_e64 s[26:27], 63, v0
	v_mov_b32_e32 v23, 0
	v_mov_b32_e32 v4, 0
	s_waitcnt vmcnt(0)
	v_mov_b32_e32 v5, v6
	s_waitcnt lgkmcnt(0)
	s_barrier
	s_and_saveexec_b64 s[28:29], s[26:27]
	s_cbranch_execz .LBB384_101
; %bb.100:
	v_lshlrev_b32_e32 v4, 3, v69
	ds_read_b64 v[4:5], v4 offset:2056
	s_waitcnt lgkmcnt(0)
	v_cmp_eq_u32_e64 s[26:27], 0, v4
	v_cndmask_b32_e64 v22, 0, v6, s[26:27]
	v_add_u32_e32 v5, v22, v5
.LBB384_101:
	s_or_b64 exec, exec, s[28:29]
	v_cmp_eq_u32_e64 s[26:27], 0, v2
	v_add_u32_e32 v22, v4, v2
	v_cndmask_b32_e64 v2, 0, v5, s[26:27]
	v_add_u32_e32 v2, v2, v3
	v_add_u32_e32 v3, -1, v7
	v_and_b32_e32 v24, 64, v7
	v_cmp_lt_i32_e64 s[26:27], v3, v24
	v_cndmask_b32_e64 v3, v3, v7, s[26:27]
	v_lshlrev_b32_e32 v3, 2, v3
	ds_bpermute_b32 v2, v3, v2
	ds_bpermute_b32 v22, v3, v22
	v_cmp_eq_u32_e64 s[26:27], 0, v7
	s_waitcnt lgkmcnt(1)
	v_cndmask_b32_e64 v2, v2, v5, s[26:27]
	s_waitcnt lgkmcnt(0)
	v_cndmask_b32_e64 v3, v22, v4, s[26:27]
	v_cndmask_b32_e64 v51, v2, v6, s[0:1]
	v_cmp_eq_u32_e64 s[26:27], 0, v68
	v_cndmask_b32_e64 v2, 0, v51, s[26:27]
	v_add_u32_e32 v49, v2, v52
	v_cndmask_b32_e64 v2, 0, v49, s[2:3]
	v_add_u32_e32 v47, v2, v52
	;; [unrolled: 2-line block ×8, first 2 shown]
	v_cndmask_b32_e64 v50, v3, 0, s[0:1]
	v_cndmask_b32_e64 v2, 0, v35, s[16:17]
	v_add_u32_e32 v48, v50, v68
	v_add_u32_e32 v33, v2, v52
	v_add_u32_e32 v46, v48, v67
	v_cndmask_b32_e64 v2, 0, v33, s[18:19]
	v_add_u32_e32 v44, v46, v66
	v_add_u32_e32 v31, v2, v52
	v_add_u32_e32 v42, v44, v65
	;; [unrolled: 4-line block ×3, first 2 shown]
	v_cndmask_b32_e64 v2, 0, v29, s[22:23]
	v_add_u32_e32 v36, v38, v62
	v_add_u32_e32 v27, v2, v52
	ds_read_b64 v[2:3], v23 offset:2088
	v_add_u32_e32 v34, v36, v61
	v_add_u32_e32 v32, v34, v60
	v_add_u32_e32 v30, v32, v59
	v_cndmask_b32_e64 v4, 0, v27, s[24:25]
	v_add_u32_e32 v28, v30, v58
	v_add_u32_e32 v23, v4, v52
	;; [unrolled: 1-line block ×3, first 2 shown]
	v_cndmask_b32_e32 v4, 0, v23, vcc
	s_waitcnt lgkmcnt(0)
	v_cmp_eq_u32_e32 vcc, 0, v2
	v_add_u32_e32 v22, v26, v56
	v_add_u32_e32 v25, v4, v52
	v_cndmask_b32_e32 v4, 0, v6, vcc
	v_add_u32_e32 v24, v22, v55
	v_add_u32_e32 v6, v4, v3
	s_and_saveexec_b64 s[2:3], s[0:1]
	s_cbranch_execz .LBB384_103
; %bb.102:
	s_add_u32 s4, s36, 0x400
	v_and_b32_e32 v3, 0xff000000, v6
	v_and_b32_e32 v4, 0xff0000, v6
	s_addc_u32 s5, s37, 0
	v_or_b32_e32 v3, v4, v3
	v_and_b32_e32 v4, 0xff00, v6
	v_and_b32_e32 v7, 0xff, v6
	v_mov_b32_e32 v5, 0
	v_or3_b32 v3, v3, v4, v7
	v_mov_b32_e32 v4, 2
	v_pk_mov_b32 v[52:53], s[4:5], s[4:5] op_sel:[0,1]
	;;#ASMSTART
	global_store_dwordx4 v[52:53], v[2:5] off	
s_waitcnt vmcnt(0)
	;;#ASMEND
.LBB384_103:
	s_or_b64 exec, exec, s[2:3]
	v_mov_b32_e32 v4, 0
.LBB384_104:
	s_and_b64 s[2:3], s[38:39], exec
	s_cselect_b32 s3, 0, s51
	s_cselect_b32 s2, 0, s50
	s_cmp_eq_u64 s[2:3], 0
	v_pk_mov_b32 v[52:53], 0, 0
	s_barrier
	s_cbranch_scc1 .LBB384_106
; %bb.105:
	v_mov_b32_e32 v3, 0
	global_load_dwordx2 v[52:53], v3, s[2:3]
.LBB384_106:
	s_waitcnt vmcnt(0)
	v_lshlrev_b64 v[70:71], 2, v[52:53]
	v_mov_b32_e32 v3, s45
	v_add_co_u32_e32 v7, vcc, s44, v70
	v_mov_b32_e32 v5, 0
	v_addc_co_u32_e32 v69, vcc, v3, v71, vcc
	v_lshlrev_b64 v[70:71], 2, v[4:5]
	v_add_co_u32_e32 v3, vcc, v7, v70
	v_addc_co_u32_e32 v7, vcc, v69, v71, vcc
	v_cmp_eq_u32_e32 vcc, 0, v68
	v_cndmask_b32_e64 v69, 1, 2, vcc
	v_cmp_eq_u32_e32 vcc, 0, v67
	v_cndmask_b32_e64 v70, 1, 2, vcc
	v_cmp_eq_u32_e32 vcc, 0, v66
	v_and_b32_e32 v69, v70, v69
	v_cndmask_b32_e64 v70, 1, 2, vcc
	v_cmp_eq_u32_e32 vcc, 0, v65
	v_and_b32_e32 v69, v69, v70
	;; [unrolled: 3-line block ×13, first 2 shown]
	v_cndmask_b32_e64 v70, 1, 2, vcc
	s_movk_i32 s34, 0x100
	v_and_b32_e32 v69, v69, v70
	v_cmp_gt_u32_e32 vcc, s34, v2
	v_cmp_ne_u32_e64 s[30:31], 0, v68
	v_cmp_ne_u32_e64 s[28:29], 0, v67
	v_cmp_ne_u32_e64 s[26:27], 0, v66
	v_cmp_ne_u32_e64 s[24:25], 0, v65
	v_cmp_ne_u32_e64 s[22:23], 0, v64
	v_cmp_ne_u32_e64 s[20:21], 0, v63
	v_cmp_ne_u32_e64 s[18:19], 0, v62
	v_cmp_ne_u32_e64 s[16:17], 0, v61
	v_cmp_ne_u32_e64 s[14:15], 0, v60
	v_cmp_ne_u32_e64 s[12:13], 0, v59
	v_cmp_ne_u32_e64 s[10:11], 0, v58
	v_cmp_ne_u32_e64 s[8:9], 0, v57
	v_cmp_ne_u32_e64 s[6:7], 0, v56
	v_cmp_ne_u32_e64 s[4:5], 0, v55
	v_cmp_ne_u32_e64 s[2:3], 0, v54
	s_mov_b64 s[36:37], -1
	v_cmp_gt_i16_e64 s[34:35], 2, v69
	s_cbranch_vccz .LBB384_113
; %bb.107:
	s_and_saveexec_b64 s[36:37], s[34:35]
	s_cbranch_execz .LBB384_112
; %bb.108:
	v_cmp_ne_u16_e32 vcc, 1, v69
	s_mov_b64 s[38:39], 0
	s_and_saveexec_b64 s[34:35], vcc
	s_xor_b64 s[34:35], exec, s[34:35]
	s_cbranch_execnz .LBB384_157
; %bb.109:
	s_andn2_saveexec_b64 s[34:35], s[34:35]
	s_cbranch_execnz .LBB384_173
.LBB384_110:
	s_or_b64 exec, exec, s[34:35]
	s_and_b64 exec, exec, s[38:39]
	s_cbranch_execz .LBB384_112
.LBB384_111:
	v_sub_u32_e32 v70, v24, v4
	v_mov_b32_e32 v71, 0
	v_lshlrev_b64 v[70:71], 2, v[70:71]
	v_add_co_u32_e32 v70, vcc, v3, v70
	v_addc_co_u32_e32 v71, vcc, v7, v71, vcc
	global_store_dword v[70:71], v1, off
.LBB384_112:
	s_or_b64 exec, exec, s[36:37]
	s_mov_b64 s[36:37], 0
.LBB384_113:
	s_and_b64 vcc, exec, s[36:37]
	s_cbranch_vccz .LBB384_135
; %bb.114:
	v_cmp_gt_i16_e32 vcc, 2, v69
	s_and_saveexec_b64 s[34:35], vcc
	s_cbranch_execz .LBB384_119
; %bb.115:
	v_cmp_ne_u16_e32 vcc, 1, v69
	s_mov_b64 s[38:39], 0
	s_and_saveexec_b64 s[36:37], vcc
	s_xor_b64 s[36:37], exec, s[36:37]
	s_cbranch_execnz .LBB384_174
; %bb.116:
	s_andn2_saveexec_b64 s[2:3], s[36:37]
	s_cbranch_execnz .LBB384_190
.LBB384_117:
	s_or_b64 exec, exec, s[2:3]
	s_and_b64 exec, exec, s[38:39]
	s_cbranch_execz .LBB384_119
.LBB384_118:
	v_sub_u32_e32 v8, v24, v4
	v_lshlrev_b32_e32 v8, 2, v8
	ds_write_b32 v8, v1
.LBB384_119:
	s_or_b64 exec, exec, s[34:35]
	v_cmp_lt_u32_e32 vcc, v0, v2
	s_waitcnt lgkmcnt(0)
	s_barrier
	s_and_saveexec_b64 s[4:5], vcc
	s_cbranch_execz .LBB384_134
; %bb.120:
	v_xad_u32 v1, v0, -1, v2
	s_movk_i32 s2, 0x1700
	v_cmp_gt_u32_e64 s[6:7], s2, v1
	s_movk_i32 s2, 0x16ff
	v_cmp_lt_u32_e32 vcc, s2, v1
	v_mov_b32_e32 v8, v0
	s_and_saveexec_b64 s[8:9], vcc
	s_cbranch_execz .LBB384_131
; %bb.121:
	v_sub_u32_e32 v8, v0, v2
	v_or_b32_e32 v8, 0xff, v8
	v_cmp_ge_u32_e32 vcc, v8, v0
	s_mov_b64 s[2:3], -1
	v_mov_b32_e32 v8, v0
	s_and_saveexec_b64 s[10:11], vcc
	s_cbranch_execz .LBB384_130
; %bb.122:
	v_lshrrev_b32_e32 v12, 8, v1
	v_add_u32_e32 v8, -1, v12
	v_or_b32_e32 v1, 0x100, v0
	v_lshrrev_b32_e32 v9, 1, v8
	v_add_u32_e32 v13, 1, v9
	v_cmp_lt_u32_e32 vcc, 13, v8
	v_mov_b32_e32 v16, 0
	v_pk_mov_b32 v[8:9], v[0:1], v[0:1] op_sel:[0,1]
	s_and_saveexec_b64 s[12:13], vcc
	s_cbranch_execz .LBB384_126
; %bb.123:
	v_and_b32_e32 v14, -8, v13
	v_lshlrev_b32_e32 v15, 2, v0
	s_mov_b32 s16, 0
	s_mov_b64 s[14:15], 0
	v_mov_b32_e32 v11, 0
	v_pk_mov_b32 v[8:9], v[0:1], v[0:1] op_sel:[0,1]
.LBB384_124:                            ; =>This Inner Loop Header: Depth=1
	v_mov_b32_e32 v10, v8
	v_add_u32_e32 v14, -8, v14
	v_lshlrev_b64 v[94:95], 2, v[10:11]
	v_mov_b32_e32 v10, v9
	ds_read2st64_b32 v[18:19], v15 offset1:4
	s_add_i32 s16, s16, 16
	v_cmp_eq_u32_e32 vcc, 0, v14
	v_lshlrev_b64 v[98:99], 2, v[10:11]
	v_add_u32_e32 v10, 0x200, v8
	s_or_b64 s[14:15], vcc, s[14:15]
	v_add_co_u32_e32 v98, vcc, v3, v98
	v_add_u32_e32 v16, 0x200, v9
	ds_read2st64_b32 v[20:21], v15 offset0:8 offset1:12
	v_mov_b32_e32 v17, v11
	ds_read2st64_b32 v[72:73], v15 offset0:16 offset1:20
	v_add_co_u32_e64 v94, s[2:3], v3, v94
	v_addc_co_u32_e32 v99, vcc, v7, v99, vcc
	v_lshlrev_b64 v[100:101], 2, v[10:11]
	v_lshlrev_b64 v[96:97], 2, v[16:17]
	v_addc_co_u32_e64 v95, s[2:3], v7, v95, s[2:3]
	v_add_u32_e32 v10, 0x400, v8
	v_add_co_u32_e32 v100, vcc, v3, v100
	v_add_u32_e32 v70, 0x400, v9
	v_mov_b32_e32 v71, v11
	ds_read2st64_b32 v[76:77], v15 offset0:24 offset1:28
	v_add_co_u32_e64 v96, s[2:3], v3, v96
	v_addc_co_u32_e32 v101, vcc, v7, v101, vcc
	v_lshlrev_b64 v[102:103], 2, v[10:11]
	ds_read2st64_b32 v[80:81], v15 offset0:32 offset1:36
	ds_read2st64_b32 v[84:85], v15 offset0:40 offset1:44
	;; [unrolled: 1-line block ×4, first 2 shown]
	v_lshlrev_b64 v[70:71], 2, v[70:71]
	v_addc_co_u32_e64 v97, s[2:3], v7, v97, s[2:3]
	v_add_u32_e32 v10, 0x600, v8
	s_waitcnt lgkmcnt(7)
	global_store_dword v[94:95], v18, off
	global_store_dword v[98:99], v19, off
	s_waitcnt lgkmcnt(6)
	global_store_dword v[100:101], v20, off
	global_store_dword v[96:97], v21, off
	v_add_co_u32_e32 v18, vcc, v3, v102
	v_add_u32_e32 v74, 0x600, v9
	v_mov_b32_e32 v75, v11
	v_add_co_u32_e64 v70, s[2:3], v3, v70
	v_addc_co_u32_e32 v19, vcc, v7, v103, vcc
	v_lshlrev_b64 v[20:21], 2, v[10:11]
	v_lshlrev_b64 v[74:75], 2, v[74:75]
	v_addc_co_u32_e64 v71, s[2:3], v7, v71, s[2:3]
	v_add_u32_e32 v10, 0x800, v8
	s_waitcnt lgkmcnt(5)
	global_store_dword v[18:19], v72, off
	global_store_dword v[70:71], v73, off
	v_add_co_u32_e32 v18, vcc, v3, v20
	v_add_u32_e32 v78, 0x800, v9
	v_mov_b32_e32 v79, v11
	v_add_co_u32_e64 v74, s[2:3], v3, v74
	v_addc_co_u32_e32 v19, vcc, v7, v21, vcc
	v_lshlrev_b64 v[20:21], 2, v[10:11]
	v_lshlrev_b64 v[78:79], 2, v[78:79]
	v_addc_co_u32_e64 v75, s[2:3], v7, v75, s[2:3]
	v_add_u32_e32 v10, 0xa00, v8
	;; [unrolled: 12-line block ×4, first 2 shown]
	s_waitcnt lgkmcnt(2)
	global_store_dword v[18:19], v84, off
	global_store_dword v[82:83], v85, off
	v_add_co_u32_e32 v18, vcc, v3, v20
	v_add_u32_e32 v90, 0xe00, v9
	v_mov_b32_e32 v91, v11
	v_add_co_u32_e64 v86, s[2:3], v3, v86
	v_addc_co_u32_e32 v19, vcc, v7, v21, vcc
	v_lshlrev_b64 v[20:21], 2, v[10:11]
	v_lshlrev_b64 v[90:91], 2, v[90:91]
	v_addc_co_u32_e64 v87, s[2:3], v7, v87, s[2:3]
	s_waitcnt lgkmcnt(1)
	global_store_dword v[18:19], v88, off
	global_store_dword v[86:87], v89, off
	v_add_co_u32_e32 v18, vcc, v3, v20
	v_add_u32_e32 v15, 0x4000, v15
	v_add_u32_e32 v9, 0x1000, v9
	v_mov_b32_e32 v16, s16
	v_add_co_u32_e64 v90, s[2:3], v3, v90
	v_add_u32_e32 v8, 0x1000, v8
	v_addc_co_u32_e32 v19, vcc, v7, v21, vcc
	v_addc_co_u32_e64 v91, s[2:3], v7, v91, s[2:3]
	s_waitcnt lgkmcnt(0)
	global_store_dword v[18:19], v92, off
	global_store_dword v[90:91], v93, off
	s_andn2_b64 exec, exec, s[14:15]
	s_cbranch_execnz .LBB384_124
; %bb.125:
	s_or_b64 exec, exec, s[14:15]
.LBB384_126:
	s_or_b64 exec, exec, s[12:13]
	v_and_b32_e32 v1, 7, v13
	v_cmp_ne_u32_e32 vcc, 0, v1
	s_and_saveexec_b64 s[12:13], vcc
	s_cbranch_execz .LBB384_129
; %bb.127:
	v_lshlrev_b32_e32 v10, 2, v0
	v_lshl_or_b32 v13, v16, 10, v10
	s_mov_b64 s[14:15], 0
	v_mov_b32_e32 v11, 0
.LBB384_128:                            ; =>This Inner Loop Header: Depth=1
	ds_read2st64_b32 v[14:15], v13 offset1:4
	v_mov_b32_e32 v10, v8
	v_add_u32_e32 v1, -1, v1
	v_lshlrev_b64 v[16:17], 2, v[10:11]
	v_mov_b32_e32 v10, v9
	v_cmp_eq_u32_e32 vcc, 0, v1
	v_add_co_u32_e64 v16, s[2:3], v3, v16
	v_lshlrev_b64 v[18:19], 2, v[10:11]
	v_add_u32_e32 v8, 0x200, v8
	v_add_u32_e32 v13, 0x800, v13
	;; [unrolled: 1-line block ×3, first 2 shown]
	v_addc_co_u32_e64 v17, s[2:3], v7, v17, s[2:3]
	s_or_b64 s[14:15], vcc, s[14:15]
	v_add_co_u32_e32 v18, vcc, v3, v18
	v_addc_co_u32_e32 v19, vcc, v7, v19, vcc
	s_waitcnt lgkmcnt(0)
	global_store_dword v[16:17], v14, off
	global_store_dword v[18:19], v15, off
	s_andn2_b64 exec, exec, s[14:15]
	s_cbranch_execnz .LBB384_128
.LBB384_129:
	s_or_b64 exec, exec, s[12:13]
	v_add_u32_e32 v1, 1, v12
	v_and_b32_e32 v9, 0x1fffffe, v1
	v_cmp_ne_u32_e32 vcc, v1, v9
	v_lshl_or_b32 v8, v9, 8, v0
	s_orn2_b64 s[2:3], vcc, exec
.LBB384_130:
	s_or_b64 exec, exec, s[10:11]
	s_andn2_b64 s[6:7], s[6:7], exec
	s_and_b64 s[2:3], s[2:3], exec
	s_or_b64 s[6:7], s[6:7], s[2:3]
.LBB384_131:
	s_or_b64 exec, exec, s[8:9]
	s_and_b64 exec, exec, s[6:7]
	s_cbranch_execz .LBB384_134
; %bb.132:
	v_lshlrev_b32_e32 v1, 2, v8
	s_mov_b64 s[2:3], 0
	v_mov_b32_e32 v9, 0
.LBB384_133:                            ; =>This Inner Loop Header: Depth=1
	ds_read_b32 v12, v1
	v_lshlrev_b64 v[10:11], 2, v[8:9]
	v_add_co_u32_e32 v10, vcc, v3, v10
	v_add_u32_e32 v8, 0x100, v8
	v_addc_co_u32_e32 v11, vcc, v7, v11, vcc
	v_cmp_ge_u32_e32 vcc, v8, v2
	v_add_u32_e32 v1, 0x400, v1
	s_or_b64 s[2:3], vcc, s[2:3]
	s_waitcnt lgkmcnt(0)
	global_store_dword v[10:11], v12, off
	s_andn2_b64 exec, exec, s[2:3]
	s_cbranch_execnz .LBB384_133
.LBB384_134:
	s_or_b64 exec, exec, s[4:5]
.LBB384_135:
	s_cmpk_lg_i32 s33, 0xf00
	s_cselect_b64 s[2:3], -1, 0
	v_cndmask_b32_e64 v11, 0, 1, s[42:43]
	s_and_b64 s[2:3], s[2:3], s[40:41]
	v_sub_u32_e32 v1, v2, v11
	v_cndmask_b32_e64 v3, 0, 1, s[2:3]
	s_and_b64 s[0:1], s[0:1], s[42:43]
	v_add_u32_e32 v1, v1, v3
	v_cndmask_b32_e64 v3, v68, 0, s[0:1]
	s_mul_hi_u32 s0, s33, 0x88888889
	s_lshr_b32 s0, s0, 3
	v_mad_i32_i24 v7, v0, -15, s33
	v_cmp_eq_u32_e32 vcc, s0, v0
	v_cmp_ne_u32_e64 s[0:1], 0, v7
	v_cndmask_b32_e64 v8, 1, v3, s[0:1]
	v_cmp_ne_u32_e64 s[0:1], 1, v7
	v_cndmask_b32_e64 v9, 1, v67, s[0:1]
	;; [unrolled: 2-line block ×14, first 2 shown]
	v_cmp_ne_u32_e64 s[0:1], 14, v7
	s_and_b64 vcc, vcc, s[40:41]
	v_cndmask_b32_e64 v7, 1, v54, s[0:1]
	v_cndmask_b32_e32 v20, v57, v20, vcc
	v_cndmask_b32_e32 v19, v58, v19, vcc
	;; [unrolled: 1-line block ×4, first 2 shown]
	v_lshlrev_b64 v[8:9], 3, v[52:53]
	v_cndmask_b32_e32 v54, v54, v7, vcc
	v_cndmask_b32_e32 v55, v55, v68, vcc
	;; [unrolled: 1-line block ×11, first 2 shown]
	v_mov_b32_e32 v3, s47
	v_add_co_u32_e32 v7, vcc, s46, v8
	v_addc_co_u32_e32 v3, vcc, v3, v9, vcc
	v_lshlrev_b64 v[8:9], 3, v[4:5]
	v_add_co_u32_e32 v5, vcc, v7, v8
	v_addc_co_u32_e32 v10, vcc, v3, v9, vcc
	v_lshlrev_b32_e32 v3, 3, v11
	v_add_co_u32_e32 v3, vcc, v3, v5
	v_addc_co_u32_e32 v7, vcc, 0, v10, vcc
	v_add_co_u32_e32 v3, vcc, -8, v3
	v_addc_co_u32_e32 v7, vcc, -1, v7, vcc
	v_cmp_eq_u32_e32 vcc, 0, v58
	v_cndmask_b32_e64 v9, 1, 2, vcc
	v_cmp_eq_u32_e32 vcc, 0, v57
	v_add_u32_e32 v8, v4, v11
	v_cndmask_b32_e64 v11, 1, 2, vcc
	v_cmp_eq_u32_e32 vcc, 0, v56
	v_and_b32_e32 v9, v11, v9
	v_cndmask_b32_e64 v11, 1, 2, vcc
	v_cmp_eq_u32_e32 vcc, 0, v12
	v_and_b32_e32 v9, v9, v11
	;; [unrolled: 3-line block ×13, first 2 shown]
	v_cndmask_b32_e64 v11, 1, 2, vcc
	s_movk_i32 s30, 0x100
	v_and_b32_e32 v9, v9, v11
	v_cmp_gt_u32_e32 vcc, s30, v1
	v_cmp_ne_u32_e64 s[28:29], 0, v58
	v_cmp_ne_u32_e64 s[26:27], 0, v57
	;; [unrolled: 1-line block ×15, first 2 shown]
	s_mov_b64 s[34:35], -1
	v_cmp_gt_i16_e64 s[30:31], 2, v9
	s_barrier
	s_cbranch_vccz .LBB384_142
; %bb.136:
	s_and_saveexec_b64 s[34:35], s[30:31]
	s_cbranch_execz .LBB384_141
; %bb.137:
	v_cmp_ne_u16_e32 vcc, 1, v9
	s_mov_b64 s[36:37], 0
	s_and_saveexec_b64 s[30:31], vcc
	s_xor_b64 s[30:31], exec, s[30:31]
	s_cbranch_execnz .LBB384_191
; %bb.138:
	s_andn2_saveexec_b64 s[30:31], s[30:31]
	s_cbranch_execnz .LBB384_207
.LBB384_139:
	s_or_b64 exec, exec, s[30:31]
	s_and_b64 exec, exec, s[36:37]
	s_cbranch_execz .LBB384_141
.LBB384_140:
	v_mov_b32_e32 v13, 0
	v_sub_u32_e32 v14, v24, v8
	v_mov_b32_e32 v15, v13
	v_lshlrev_b64 v[14:15], 3, v[14:15]
	v_add_co_u32_e32 v14, vcc, v3, v14
	v_mov_b32_e32 v12, v25
	v_addc_co_u32_e32 v15, vcc, v7, v15, vcc
	global_store_dwordx2 v[14:15], v[12:13], off
.LBB384_141:
	s_or_b64 exec, exec, s[34:35]
	s_mov_b64 s[34:35], 0
.LBB384_142:
	s_and_b64 vcc, exec, s[34:35]
	s_cbranch_vccz .LBB384_152
; %bb.143:
	v_cmp_gt_i16_e32 vcc, 2, v9
	s_and_saveexec_b64 s[30:31], vcc
	s_cbranch_execz .LBB384_148
; %bb.144:
	v_cmp_ne_u16_e32 vcc, 1, v9
	s_mov_b64 s[36:37], 0
	s_and_saveexec_b64 s[34:35], vcc
	s_xor_b64 s[34:35], exec, s[34:35]
	s_cbranch_execnz .LBB384_208
; %bb.145:
	s_andn2_saveexec_b64 s[0:1], s[34:35]
	s_cbranch_execnz .LBB384_224
.LBB384_146:
	s_or_b64 exec, exec, s[0:1]
	s_and_b64 exec, exec, s[36:37]
	s_cbranch_execz .LBB384_148
.LBB384_147:
	v_sub_u32_e32 v8, v24, v8
	v_lshlrev_b32_e32 v8, 2, v8
	ds_write_b32 v8, v25
.LBB384_148:
	s_or_b64 exec, exec, s[30:31]
	v_cmp_lt_u32_e32 vcc, v0, v1
	s_waitcnt lgkmcnt(0)
	s_barrier
	s_and_saveexec_b64 s[0:1], vcc
	s_cbranch_execz .LBB384_151
; %bb.149:
	v_lshlrev_b32_e32 v11, 2, v0
	s_mov_b64 s[2:3], 0
	v_mov_b32_e32 v9, 0
	v_mov_b32_e32 v8, v0
.LBB384_150:                            ; =>This Inner Loop Header: Depth=1
	ds_read_b32 v12, v11
	v_lshlrev_b64 v[14:15], 3, v[8:9]
	v_add_co_u32_e32 v14, vcc, v3, v14
	v_add_u32_e32 v8, 0x100, v8
	v_addc_co_u32_e32 v15, vcc, v7, v15, vcc
	v_cmp_ge_u32_e32 vcc, v8, v1
	v_mov_b32_e32 v13, v9
	v_add_u32_e32 v11, 0x400, v11
	s_or_b64 s[2:3], vcc, s[2:3]
	s_waitcnt lgkmcnt(0)
	global_store_dwordx2 v[14:15], v[12:13], off
	s_andn2_b64 exec, exec, s[2:3]
	s_cbranch_execnz .LBB384_150
.LBB384_151:
	s_or_b64 exec, exec, s[0:1]
.LBB384_152:
	s_movk_i32 s0, 0xff
	v_cmp_eq_u32_e32 vcc, s0, v0
	s_and_b64 s[0:1], vcc, s[40:41]
	s_and_saveexec_b64 s[2:3], s[0:1]
	s_cbranch_execz .LBB384_155
; %bb.153:
	v_add_co_u32_e32 v0, vcc, v2, v4
	v_addc_co_u32_e64 v1, s[0:1], 0, 0, vcc
	v_add_co_u32_e32 v0, vcc, v0, v52
	v_mov_b32_e32 v3, 0
	v_addc_co_u32_e32 v1, vcc, v1, v53, vcc
	s_cmpk_lg_i32 s33, 0xf00
	global_store_dwordx2 v3, v[0:1], s[52:53]
	s_cbranch_scc1 .LBB384_155
; %bb.154:
	v_lshlrev_b64 v[0:1], 3, v[2:3]
	v_add_co_u32_e32 v0, vcc, v5, v0
	v_mov_b32_e32 v7, v3
	v_addc_co_u32_e32 v1, vcc, v10, v1, vcc
	global_store_dwordx2 v[0:1], v[6:7], off offset:-8
.LBB384_155:
	s_endpgm
.LBB384_156:
	s_or_b64 exec, exec, s[4:5]
	v_mov_b32_e32 v68, s14
	s_and_saveexec_b64 s[2:3], s[6:7]
	s_cbranch_execnz .LBB384_60
	s_branch .LBB384_61
.LBB384_157:
	s_and_saveexec_b64 s[38:39], s[30:31]
	s_cbranch_execnz .LBB384_225
; %bb.158:
	s_or_b64 exec, exec, s[38:39]
	s_and_saveexec_b64 s[38:39], s[28:29]
	s_cbranch_execnz .LBB384_226
.LBB384_159:
	s_or_b64 exec, exec, s[38:39]
	s_and_saveexec_b64 s[38:39], s[26:27]
	s_cbranch_execnz .LBB384_227
.LBB384_160:
	s_or_b64 exec, exec, s[38:39]
	s_and_saveexec_b64 s[38:39], s[24:25]
	s_cbranch_execnz .LBB384_228
.LBB384_161:
	s_or_b64 exec, exec, s[38:39]
	s_and_saveexec_b64 s[38:39], s[22:23]
	s_cbranch_execnz .LBB384_229
.LBB384_162:
	s_or_b64 exec, exec, s[38:39]
	s_and_saveexec_b64 s[38:39], s[20:21]
	s_cbranch_execnz .LBB384_230
.LBB384_163:
	s_or_b64 exec, exec, s[38:39]
	s_and_saveexec_b64 s[38:39], s[18:19]
	s_cbranch_execnz .LBB384_231
.LBB384_164:
	s_or_b64 exec, exec, s[38:39]
	s_and_saveexec_b64 s[38:39], s[16:17]
	s_cbranch_execnz .LBB384_232
.LBB384_165:
	s_or_b64 exec, exec, s[38:39]
	s_and_saveexec_b64 s[38:39], s[14:15]
	s_cbranch_execnz .LBB384_233
.LBB384_166:
	s_or_b64 exec, exec, s[38:39]
	s_and_saveexec_b64 s[38:39], s[12:13]
	s_cbranch_execnz .LBB384_234
.LBB384_167:
	s_or_b64 exec, exec, s[38:39]
	s_and_saveexec_b64 s[38:39], s[10:11]
	s_cbranch_execnz .LBB384_235
.LBB384_168:
	s_or_b64 exec, exec, s[38:39]
	s_and_saveexec_b64 s[38:39], s[8:9]
	s_cbranch_execnz .LBB384_236
.LBB384_169:
	s_or_b64 exec, exec, s[38:39]
	s_and_saveexec_b64 s[38:39], s[6:7]
	s_cbranch_execnz .LBB384_237
.LBB384_170:
	s_or_b64 exec, exec, s[38:39]
	s_and_saveexec_b64 s[38:39], s[4:5]
	s_cbranch_execz .LBB384_172
.LBB384_171:
	v_sub_u32_e32 v70, v22, v4
	v_mov_b32_e32 v71, 0
	v_lshlrev_b64 v[70:71], 2, v[70:71]
	v_add_co_u32_e32 v70, vcc, v3, v70
	v_addc_co_u32_e32 v71, vcc, v7, v71, vcc
	global_store_dword v[70:71], v9, off
.LBB384_172:
	s_or_b64 exec, exec, s[38:39]
	s_and_b64 s[38:39], s[2:3], exec
	s_andn2_saveexec_b64 s[34:35], s[34:35]
	s_cbranch_execz .LBB384_110
.LBB384_173:
	v_sub_u32_e32 v70, v50, v4
	v_mov_b32_e32 v71, 0
	v_lshlrev_b64 v[72:73], 2, v[70:71]
	v_add_co_u32_e32 v72, vcc, v3, v72
	v_addc_co_u32_e32 v73, vcc, v7, v73, vcc
	v_sub_u32_e32 v70, v48, v4
	global_store_dword v[72:73], v20, off
	v_lshlrev_b64 v[72:73], 2, v[70:71]
	v_add_co_u32_e32 v72, vcc, v3, v72
	v_addc_co_u32_e32 v73, vcc, v7, v73, vcc
	v_sub_u32_e32 v70, v46, v4
	global_store_dword v[72:73], v21, off
	;; [unrolled: 5-line block ×12, first 2 shown]
	v_lshlrev_b64 v[72:73], 2, v[70:71]
	v_add_co_u32_e32 v72, vcc, v3, v72
	v_sub_u32_e32 v70, v22, v4
	v_addc_co_u32_e32 v73, vcc, v7, v73, vcc
	v_lshlrev_b64 v[70:71], 2, v[70:71]
	v_add_co_u32_e32 v70, vcc, v3, v70
	v_addc_co_u32_e32 v71, vcc, v7, v71, vcc
	s_or_b64 s[38:39], s[38:39], exec
	global_store_dword v[72:73], v8, off
	global_store_dword v[70:71], v9, off
	s_or_b64 exec, exec, s[34:35]
	s_and_b64 exec, exec, s[38:39]
	s_cbranch_execnz .LBB384_111
	s_branch .LBB384_112
.LBB384_174:
	s_and_saveexec_b64 s[38:39], s[30:31]
	s_cbranch_execnz .LBB384_238
; %bb.175:
	s_or_b64 exec, exec, s[38:39]
	s_and_saveexec_b64 s[30:31], s[28:29]
	s_cbranch_execnz .LBB384_239
.LBB384_176:
	s_or_b64 exec, exec, s[30:31]
	s_and_saveexec_b64 s[28:29], s[26:27]
	s_cbranch_execnz .LBB384_240
.LBB384_177:
	s_or_b64 exec, exec, s[28:29]
	s_and_saveexec_b64 s[26:27], s[24:25]
	s_cbranch_execnz .LBB384_241
.LBB384_178:
	s_or_b64 exec, exec, s[26:27]
	s_and_saveexec_b64 s[24:25], s[22:23]
	s_cbranch_execnz .LBB384_242
.LBB384_179:
	s_or_b64 exec, exec, s[24:25]
	s_and_saveexec_b64 s[22:23], s[20:21]
	s_cbranch_execnz .LBB384_243
.LBB384_180:
	s_or_b64 exec, exec, s[22:23]
	s_and_saveexec_b64 s[20:21], s[18:19]
	s_cbranch_execnz .LBB384_244
.LBB384_181:
	s_or_b64 exec, exec, s[20:21]
	s_and_saveexec_b64 s[18:19], s[16:17]
	s_cbranch_execnz .LBB384_245
.LBB384_182:
	s_or_b64 exec, exec, s[18:19]
	s_and_saveexec_b64 s[16:17], s[14:15]
	s_cbranch_execnz .LBB384_246
.LBB384_183:
	s_or_b64 exec, exec, s[16:17]
	s_and_saveexec_b64 s[14:15], s[12:13]
	s_cbranch_execnz .LBB384_247
.LBB384_184:
	s_or_b64 exec, exec, s[14:15]
	s_and_saveexec_b64 s[12:13], s[10:11]
	s_cbranch_execnz .LBB384_248
.LBB384_185:
	s_or_b64 exec, exec, s[12:13]
	s_and_saveexec_b64 s[10:11], s[8:9]
	s_cbranch_execnz .LBB384_249
.LBB384_186:
	s_or_b64 exec, exec, s[10:11]
	s_and_saveexec_b64 s[8:9], s[6:7]
	s_cbranch_execnz .LBB384_250
.LBB384_187:
	s_or_b64 exec, exec, s[8:9]
	s_and_saveexec_b64 s[6:7], s[4:5]
	s_cbranch_execz .LBB384_189
.LBB384_188:
	v_sub_u32_e32 v8, v22, v4
	v_lshlrev_b32_e32 v8, 2, v8
	ds_write_b32 v8, v9
.LBB384_189:
	s_or_b64 exec, exec, s[6:7]
	s_and_b64 s[38:39], s[2:3], exec
                                        ; implicit-def: $vgpr9
                                        ; implicit-def: $vgpr11
                                        ; implicit-def: $vgpr13
                                        ; implicit-def: $vgpr15
                                        ; implicit-def: $vgpr17
                                        ; implicit-def: $vgpr19
                                        ; implicit-def: $vgpr21
	s_andn2_saveexec_b64 s[2:3], s[36:37]
	s_cbranch_execz .LBB384_117
.LBB384_190:
	v_sub_u32_e32 v69, v50, v4
	v_lshlrev_b32_e32 v69, 2, v69
	ds_write_b32 v69, v20
	v_sub_u32_e32 v20, v48, v4
	v_lshlrev_b32_e32 v20, 2, v20
	ds_write_b32 v20, v21
	;; [unrolled: 3-line block ×13, first 2 shown]
	v_sub_u32_e32 v8, v22, v4
	v_lshlrev_b32_e32 v8, 2, v8
	s_or_b64 s[38:39], s[38:39], exec
	ds_write_b32 v8, v9
	s_or_b64 exec, exec, s[2:3]
	s_and_b64 exec, exec, s[38:39]
	s_cbranch_execnz .LBB384_118
	s_branch .LBB384_119
.LBB384_191:
	s_and_saveexec_b64 s[36:37], s[28:29]
	s_cbranch_execnz .LBB384_251
; %bb.192:
	s_or_b64 exec, exec, s[36:37]
	s_and_saveexec_b64 s[36:37], s[26:27]
	s_cbranch_execnz .LBB384_252
.LBB384_193:
	s_or_b64 exec, exec, s[36:37]
	s_and_saveexec_b64 s[36:37], s[24:25]
	s_cbranch_execnz .LBB384_253
.LBB384_194:
	s_or_b64 exec, exec, s[36:37]
	s_and_saveexec_b64 s[36:37], s[22:23]
	s_cbranch_execnz .LBB384_254
.LBB384_195:
	s_or_b64 exec, exec, s[36:37]
	s_and_saveexec_b64 s[36:37], s[20:21]
	s_cbranch_execnz .LBB384_255
.LBB384_196:
	s_or_b64 exec, exec, s[36:37]
	s_and_saveexec_b64 s[36:37], s[18:19]
	s_cbranch_execnz .LBB384_256
.LBB384_197:
	s_or_b64 exec, exec, s[36:37]
	s_and_saveexec_b64 s[36:37], s[16:17]
	s_cbranch_execnz .LBB384_257
.LBB384_198:
	s_or_b64 exec, exec, s[36:37]
	s_and_saveexec_b64 s[36:37], s[14:15]
	s_cbranch_execnz .LBB384_258
.LBB384_199:
	s_or_b64 exec, exec, s[36:37]
	s_and_saveexec_b64 s[36:37], s[12:13]
	s_cbranch_execnz .LBB384_259
.LBB384_200:
	s_or_b64 exec, exec, s[36:37]
	s_and_saveexec_b64 s[36:37], s[10:11]
	s_cbranch_execnz .LBB384_260
.LBB384_201:
	s_or_b64 exec, exec, s[36:37]
	s_and_saveexec_b64 s[36:37], s[8:9]
	s_cbranch_execnz .LBB384_261
.LBB384_202:
	s_or_b64 exec, exec, s[36:37]
	s_and_saveexec_b64 s[36:37], s[6:7]
	s_cbranch_execnz .LBB384_262
.LBB384_203:
	s_or_b64 exec, exec, s[36:37]
	s_and_saveexec_b64 s[36:37], s[4:5]
	s_cbranch_execnz .LBB384_263
.LBB384_204:
	s_or_b64 exec, exec, s[36:37]
	s_and_saveexec_b64 s[36:37], s[2:3]
	s_cbranch_execz .LBB384_206
.LBB384_205:
	v_sub_u32_e32 v12, v22, v8
	v_mov_b32_e32 v13, 0
	v_lshlrev_b64 v[14:15], 3, v[12:13]
	v_add_co_u32_e32 v14, vcc, v3, v14
	v_addc_co_u32_e32 v15, vcc, v7, v15, vcc
	v_mov_b32_e32 v12, v23
	global_store_dwordx2 v[14:15], v[12:13], off
.LBB384_206:
	s_or_b64 exec, exec, s[36:37]
	s_and_b64 s[36:37], s[0:1], exec
	s_andn2_saveexec_b64 s[30:31], s[30:31]
	s_cbranch_execz .LBB384_139
.LBB384_207:
	v_mov_b32_e32 v13, 0
	v_sub_u32_e32 v14, v50, v8
	v_mov_b32_e32 v15, v13
	v_lshlrev_b64 v[14:15], 3, v[14:15]
	v_add_co_u32_e32 v14, vcc, v3, v14
	v_mov_b32_e32 v12, v51
	v_addc_co_u32_e32 v15, vcc, v7, v15, vcc
	global_store_dwordx2 v[14:15], v[12:13], off
	v_sub_u32_e32 v14, v48, v8
	v_mov_b32_e32 v15, v13
	v_lshlrev_b64 v[14:15], 3, v[14:15]
	v_add_co_u32_e32 v14, vcc, v3, v14
	v_mov_b32_e32 v12, v49
	v_addc_co_u32_e32 v15, vcc, v7, v15, vcc
	global_store_dwordx2 v[14:15], v[12:13], off
	;; [unrolled: 7-line block ×13, first 2 shown]
	v_sub_u32_e32 v14, v22, v8
	v_mov_b32_e32 v15, v13
	v_lshlrev_b64 v[14:15], 3, v[14:15]
	v_add_co_u32_e32 v14, vcc, v3, v14
	v_mov_b32_e32 v12, v23
	v_addc_co_u32_e32 v15, vcc, v7, v15, vcc
	s_or_b64 s[36:37], s[36:37], exec
	global_store_dwordx2 v[14:15], v[12:13], off
	s_or_b64 exec, exec, s[30:31]
	s_and_b64 exec, exec, s[36:37]
	s_cbranch_execnz .LBB384_140
	s_branch .LBB384_141
.LBB384_208:
	s_and_saveexec_b64 s[36:37], s[28:29]
	s_cbranch_execnz .LBB384_264
; %bb.209:
	s_or_b64 exec, exec, s[36:37]
	s_and_saveexec_b64 s[28:29], s[26:27]
	s_cbranch_execnz .LBB384_265
.LBB384_210:
	s_or_b64 exec, exec, s[28:29]
	s_and_saveexec_b64 s[26:27], s[24:25]
	s_cbranch_execnz .LBB384_266
.LBB384_211:
	s_or_b64 exec, exec, s[26:27]
	s_and_saveexec_b64 s[24:25], s[22:23]
	s_cbranch_execnz .LBB384_267
.LBB384_212:
	s_or_b64 exec, exec, s[24:25]
	s_and_saveexec_b64 s[22:23], s[20:21]
	s_cbranch_execnz .LBB384_268
.LBB384_213:
	s_or_b64 exec, exec, s[22:23]
	s_and_saveexec_b64 s[20:21], s[18:19]
	s_cbranch_execnz .LBB384_269
.LBB384_214:
	s_or_b64 exec, exec, s[20:21]
	s_and_saveexec_b64 s[18:19], s[16:17]
	s_cbranch_execnz .LBB384_270
.LBB384_215:
	s_or_b64 exec, exec, s[18:19]
	s_and_saveexec_b64 s[16:17], s[14:15]
	s_cbranch_execnz .LBB384_271
.LBB384_216:
	s_or_b64 exec, exec, s[16:17]
	s_and_saveexec_b64 s[14:15], s[12:13]
	s_cbranch_execnz .LBB384_272
.LBB384_217:
	s_or_b64 exec, exec, s[14:15]
	s_and_saveexec_b64 s[12:13], s[10:11]
	s_cbranch_execnz .LBB384_273
.LBB384_218:
	s_or_b64 exec, exec, s[12:13]
	s_and_saveexec_b64 s[10:11], s[8:9]
	s_cbranch_execnz .LBB384_274
.LBB384_219:
	s_or_b64 exec, exec, s[10:11]
	s_and_saveexec_b64 s[8:9], s[6:7]
	s_cbranch_execnz .LBB384_275
.LBB384_220:
	s_or_b64 exec, exec, s[8:9]
	s_and_saveexec_b64 s[6:7], s[4:5]
	s_cbranch_execnz .LBB384_276
.LBB384_221:
	s_or_b64 exec, exec, s[6:7]
	s_and_saveexec_b64 s[4:5], s[2:3]
	s_cbranch_execz .LBB384_223
.LBB384_222:
	v_sub_u32_e32 v9, v22, v8
	v_lshlrev_b32_e32 v9, 2, v9
	ds_write_b32 v9, v23
.LBB384_223:
	s_or_b64 exec, exec, s[4:5]
	s_and_b64 s[36:37], s[0:1], exec
                                        ; implicit-def: $vgpr22_vgpr23
                                        ; implicit-def: $vgpr26_vgpr27
                                        ; implicit-def: $vgpr28_vgpr29
                                        ; implicit-def: $vgpr50_vgpr51
                                        ; implicit-def: $vgpr48_vgpr49
                                        ; implicit-def: $vgpr46_vgpr47
                                        ; implicit-def: $vgpr44_vgpr45
                                        ; implicit-def: $vgpr42_vgpr43
                                        ; implicit-def: $vgpr40_vgpr41
                                        ; implicit-def: $vgpr38_vgpr39
                                        ; implicit-def: $vgpr36_vgpr37
                                        ; implicit-def: $vgpr34_vgpr35
                                        ; implicit-def: $vgpr32_vgpr33
                                        ; implicit-def: $vgpr30_vgpr31
	s_andn2_saveexec_b64 s[0:1], s[34:35]
	s_cbranch_execz .LBB384_146
.LBB384_224:
	v_sub_u32_e32 v9, v50, v8
	v_lshlrev_b32_e32 v9, 2, v9
	ds_write_b32 v9, v51
	v_sub_u32_e32 v9, v48, v8
	v_lshlrev_b32_e32 v9, 2, v9
	ds_write_b32 v9, v49
	;; [unrolled: 3-line block ×13, first 2 shown]
	v_sub_u32_e32 v9, v22, v8
	v_lshlrev_b32_e32 v9, 2, v9
	s_or_b64 s[36:37], s[36:37], exec
	ds_write_b32 v9, v23
	s_or_b64 exec, exec, s[0:1]
	s_and_b64 exec, exec, s[36:37]
	s_cbranch_execnz .LBB384_147
	s_branch .LBB384_148
.LBB384_225:
	v_sub_u32_e32 v70, v50, v4
	v_mov_b32_e32 v71, 0
	v_lshlrev_b64 v[70:71], 2, v[70:71]
	v_add_co_u32_e32 v70, vcc, v3, v70
	v_addc_co_u32_e32 v71, vcc, v7, v71, vcc
	global_store_dword v[70:71], v20, off
	s_or_b64 exec, exec, s[38:39]
	s_and_saveexec_b64 s[38:39], s[28:29]
	s_cbranch_execz .LBB384_159
.LBB384_226:
	v_sub_u32_e32 v70, v48, v4
	v_mov_b32_e32 v71, 0
	v_lshlrev_b64 v[70:71], 2, v[70:71]
	v_add_co_u32_e32 v70, vcc, v3, v70
	v_addc_co_u32_e32 v71, vcc, v7, v71, vcc
	global_store_dword v[70:71], v21, off
	s_or_b64 exec, exec, s[38:39]
	s_and_saveexec_b64 s[38:39], s[26:27]
	s_cbranch_execz .LBB384_160
.LBB384_227:
	v_sub_u32_e32 v70, v46, v4
	v_mov_b32_e32 v71, 0
	v_lshlrev_b64 v[70:71], 2, v[70:71]
	v_add_co_u32_e32 v70, vcc, v3, v70
	v_addc_co_u32_e32 v71, vcc, v7, v71, vcc
	global_store_dword v[70:71], v18, off
	s_or_b64 exec, exec, s[38:39]
	s_and_saveexec_b64 s[38:39], s[24:25]
	s_cbranch_execz .LBB384_161
.LBB384_228:
	v_sub_u32_e32 v70, v44, v4
	v_mov_b32_e32 v71, 0
	v_lshlrev_b64 v[70:71], 2, v[70:71]
	v_add_co_u32_e32 v70, vcc, v3, v70
	v_addc_co_u32_e32 v71, vcc, v7, v71, vcc
	global_store_dword v[70:71], v19, off
	s_or_b64 exec, exec, s[38:39]
	s_and_saveexec_b64 s[38:39], s[22:23]
	s_cbranch_execz .LBB384_162
.LBB384_229:
	v_sub_u32_e32 v70, v42, v4
	v_mov_b32_e32 v71, 0
	v_lshlrev_b64 v[70:71], 2, v[70:71]
	v_add_co_u32_e32 v70, vcc, v3, v70
	v_addc_co_u32_e32 v71, vcc, v7, v71, vcc
	global_store_dword v[70:71], v16, off
	s_or_b64 exec, exec, s[38:39]
	s_and_saveexec_b64 s[38:39], s[20:21]
	s_cbranch_execz .LBB384_163
.LBB384_230:
	v_sub_u32_e32 v70, v40, v4
	v_mov_b32_e32 v71, 0
	v_lshlrev_b64 v[70:71], 2, v[70:71]
	v_add_co_u32_e32 v70, vcc, v3, v70
	v_addc_co_u32_e32 v71, vcc, v7, v71, vcc
	global_store_dword v[70:71], v17, off
	s_or_b64 exec, exec, s[38:39]
	s_and_saveexec_b64 s[38:39], s[18:19]
	s_cbranch_execz .LBB384_164
.LBB384_231:
	v_sub_u32_e32 v70, v38, v4
	v_mov_b32_e32 v71, 0
	v_lshlrev_b64 v[70:71], 2, v[70:71]
	v_add_co_u32_e32 v70, vcc, v3, v70
	v_addc_co_u32_e32 v71, vcc, v7, v71, vcc
	global_store_dword v[70:71], v14, off
	s_or_b64 exec, exec, s[38:39]
	s_and_saveexec_b64 s[38:39], s[16:17]
	s_cbranch_execz .LBB384_165
.LBB384_232:
	v_sub_u32_e32 v70, v36, v4
	v_mov_b32_e32 v71, 0
	v_lshlrev_b64 v[70:71], 2, v[70:71]
	v_add_co_u32_e32 v70, vcc, v3, v70
	v_addc_co_u32_e32 v71, vcc, v7, v71, vcc
	global_store_dword v[70:71], v15, off
	s_or_b64 exec, exec, s[38:39]
	s_and_saveexec_b64 s[38:39], s[14:15]
	s_cbranch_execz .LBB384_166
.LBB384_233:
	v_sub_u32_e32 v70, v34, v4
	v_mov_b32_e32 v71, 0
	v_lshlrev_b64 v[70:71], 2, v[70:71]
	v_add_co_u32_e32 v70, vcc, v3, v70
	v_addc_co_u32_e32 v71, vcc, v7, v71, vcc
	global_store_dword v[70:71], v12, off
	s_or_b64 exec, exec, s[38:39]
	s_and_saveexec_b64 s[38:39], s[12:13]
	s_cbranch_execz .LBB384_167
.LBB384_234:
	v_sub_u32_e32 v70, v32, v4
	v_mov_b32_e32 v71, 0
	v_lshlrev_b64 v[70:71], 2, v[70:71]
	v_add_co_u32_e32 v70, vcc, v3, v70
	v_addc_co_u32_e32 v71, vcc, v7, v71, vcc
	global_store_dword v[70:71], v13, off
	s_or_b64 exec, exec, s[38:39]
	s_and_saveexec_b64 s[38:39], s[10:11]
	s_cbranch_execz .LBB384_168
.LBB384_235:
	v_sub_u32_e32 v70, v30, v4
	v_mov_b32_e32 v71, 0
	v_lshlrev_b64 v[70:71], 2, v[70:71]
	v_add_co_u32_e32 v70, vcc, v3, v70
	v_addc_co_u32_e32 v71, vcc, v7, v71, vcc
	global_store_dword v[70:71], v10, off
	s_or_b64 exec, exec, s[38:39]
	s_and_saveexec_b64 s[38:39], s[8:9]
	s_cbranch_execz .LBB384_169
.LBB384_236:
	v_sub_u32_e32 v70, v28, v4
	v_mov_b32_e32 v71, 0
	v_lshlrev_b64 v[70:71], 2, v[70:71]
	v_add_co_u32_e32 v70, vcc, v3, v70
	v_addc_co_u32_e32 v71, vcc, v7, v71, vcc
	global_store_dword v[70:71], v11, off
	s_or_b64 exec, exec, s[38:39]
	s_and_saveexec_b64 s[38:39], s[6:7]
	s_cbranch_execz .LBB384_170
.LBB384_237:
	v_sub_u32_e32 v70, v26, v4
	v_mov_b32_e32 v71, 0
	v_lshlrev_b64 v[70:71], 2, v[70:71]
	v_add_co_u32_e32 v70, vcc, v3, v70
	v_addc_co_u32_e32 v71, vcc, v7, v71, vcc
	global_store_dword v[70:71], v8, off
	s_or_b64 exec, exec, s[38:39]
	s_and_saveexec_b64 s[38:39], s[4:5]
	s_cbranch_execnz .LBB384_171
	s_branch .LBB384_172
.LBB384_238:
	v_sub_u32_e32 v69, v50, v4
	v_lshlrev_b32_e32 v69, 2, v69
	ds_write_b32 v69, v20
	s_or_b64 exec, exec, s[38:39]
	s_and_saveexec_b64 s[30:31], s[28:29]
	s_cbranch_execz .LBB384_176
.LBB384_239:
	v_sub_u32_e32 v20, v48, v4
	v_lshlrev_b32_e32 v20, 2, v20
	ds_write_b32 v20, v21
	s_or_b64 exec, exec, s[30:31]
	s_and_saveexec_b64 s[28:29], s[26:27]
	s_cbranch_execz .LBB384_177
.LBB384_240:
	v_sub_u32_e32 v20, v46, v4
	v_lshlrev_b32_e32 v20, 2, v20
	ds_write_b32 v20, v18
	s_or_b64 exec, exec, s[28:29]
	s_and_saveexec_b64 s[26:27], s[24:25]
	s_cbranch_execz .LBB384_178
.LBB384_241:
	v_sub_u32_e32 v18, v44, v4
	v_lshlrev_b32_e32 v18, 2, v18
	ds_write_b32 v18, v19
	s_or_b64 exec, exec, s[26:27]
	s_and_saveexec_b64 s[24:25], s[22:23]
	s_cbranch_execz .LBB384_179
.LBB384_242:
	v_sub_u32_e32 v18, v42, v4
	v_lshlrev_b32_e32 v18, 2, v18
	ds_write_b32 v18, v16
	s_or_b64 exec, exec, s[24:25]
	s_and_saveexec_b64 s[22:23], s[20:21]
	s_cbranch_execz .LBB384_180
.LBB384_243:
	v_sub_u32_e32 v16, v40, v4
	v_lshlrev_b32_e32 v16, 2, v16
	ds_write_b32 v16, v17
	s_or_b64 exec, exec, s[22:23]
	s_and_saveexec_b64 s[20:21], s[18:19]
	s_cbranch_execz .LBB384_181
.LBB384_244:
	v_sub_u32_e32 v16, v38, v4
	v_lshlrev_b32_e32 v16, 2, v16
	ds_write_b32 v16, v14
	s_or_b64 exec, exec, s[20:21]
	s_and_saveexec_b64 s[18:19], s[16:17]
	s_cbranch_execz .LBB384_182
.LBB384_245:
	v_sub_u32_e32 v14, v36, v4
	v_lshlrev_b32_e32 v14, 2, v14
	ds_write_b32 v14, v15
	s_or_b64 exec, exec, s[18:19]
	s_and_saveexec_b64 s[16:17], s[14:15]
	s_cbranch_execz .LBB384_183
.LBB384_246:
	v_sub_u32_e32 v14, v34, v4
	v_lshlrev_b32_e32 v14, 2, v14
	ds_write_b32 v14, v12
	s_or_b64 exec, exec, s[16:17]
	s_and_saveexec_b64 s[14:15], s[12:13]
	s_cbranch_execz .LBB384_184
.LBB384_247:
	v_sub_u32_e32 v12, v32, v4
	v_lshlrev_b32_e32 v12, 2, v12
	ds_write_b32 v12, v13
	s_or_b64 exec, exec, s[14:15]
	s_and_saveexec_b64 s[12:13], s[10:11]
	s_cbranch_execz .LBB384_185
.LBB384_248:
	v_sub_u32_e32 v12, v30, v4
	v_lshlrev_b32_e32 v12, 2, v12
	ds_write_b32 v12, v10
	s_or_b64 exec, exec, s[12:13]
	s_and_saveexec_b64 s[10:11], s[8:9]
	s_cbranch_execz .LBB384_186
.LBB384_249:
	v_sub_u32_e32 v10, v28, v4
	v_lshlrev_b32_e32 v10, 2, v10
	ds_write_b32 v10, v11
	s_or_b64 exec, exec, s[10:11]
	s_and_saveexec_b64 s[8:9], s[6:7]
	s_cbranch_execz .LBB384_187
.LBB384_250:
	v_sub_u32_e32 v10, v26, v4
	v_lshlrev_b32_e32 v10, 2, v10
	ds_write_b32 v10, v8
	s_or_b64 exec, exec, s[8:9]
	s_and_saveexec_b64 s[6:7], s[4:5]
	s_cbranch_execnz .LBB384_188
	s_branch .LBB384_189
.LBB384_251:
	v_sub_u32_e32 v12, v50, v8
	v_mov_b32_e32 v13, 0
	v_lshlrev_b64 v[14:15], 3, v[12:13]
	v_add_co_u32_e32 v14, vcc, v3, v14
	v_addc_co_u32_e32 v15, vcc, v7, v15, vcc
	v_mov_b32_e32 v12, v51
	global_store_dwordx2 v[14:15], v[12:13], off
	s_or_b64 exec, exec, s[36:37]
	s_and_saveexec_b64 s[36:37], s[26:27]
	s_cbranch_execz .LBB384_193
.LBB384_252:
	v_sub_u32_e32 v12, v48, v8
	v_mov_b32_e32 v13, 0
	v_lshlrev_b64 v[14:15], 3, v[12:13]
	v_add_co_u32_e32 v14, vcc, v3, v14
	v_addc_co_u32_e32 v15, vcc, v7, v15, vcc
	v_mov_b32_e32 v12, v49
	global_store_dwordx2 v[14:15], v[12:13], off
	s_or_b64 exec, exec, s[36:37]
	s_and_saveexec_b64 s[36:37], s[24:25]
	s_cbranch_execz .LBB384_194
.LBB384_253:
	v_sub_u32_e32 v12, v46, v8
	v_mov_b32_e32 v13, 0
	v_lshlrev_b64 v[14:15], 3, v[12:13]
	v_add_co_u32_e32 v14, vcc, v3, v14
	v_addc_co_u32_e32 v15, vcc, v7, v15, vcc
	v_mov_b32_e32 v12, v47
	global_store_dwordx2 v[14:15], v[12:13], off
	s_or_b64 exec, exec, s[36:37]
	s_and_saveexec_b64 s[36:37], s[22:23]
	s_cbranch_execz .LBB384_195
.LBB384_254:
	v_sub_u32_e32 v12, v44, v8
	v_mov_b32_e32 v13, 0
	v_lshlrev_b64 v[14:15], 3, v[12:13]
	v_add_co_u32_e32 v14, vcc, v3, v14
	v_addc_co_u32_e32 v15, vcc, v7, v15, vcc
	v_mov_b32_e32 v12, v45
	global_store_dwordx2 v[14:15], v[12:13], off
	s_or_b64 exec, exec, s[36:37]
	s_and_saveexec_b64 s[36:37], s[20:21]
	s_cbranch_execz .LBB384_196
.LBB384_255:
	v_sub_u32_e32 v12, v42, v8
	v_mov_b32_e32 v13, 0
	v_lshlrev_b64 v[14:15], 3, v[12:13]
	v_add_co_u32_e32 v14, vcc, v3, v14
	v_addc_co_u32_e32 v15, vcc, v7, v15, vcc
	v_mov_b32_e32 v12, v43
	global_store_dwordx2 v[14:15], v[12:13], off
	s_or_b64 exec, exec, s[36:37]
	s_and_saveexec_b64 s[36:37], s[18:19]
	s_cbranch_execz .LBB384_197
.LBB384_256:
	v_sub_u32_e32 v12, v40, v8
	v_mov_b32_e32 v13, 0
	v_lshlrev_b64 v[14:15], 3, v[12:13]
	v_add_co_u32_e32 v14, vcc, v3, v14
	v_addc_co_u32_e32 v15, vcc, v7, v15, vcc
	v_mov_b32_e32 v12, v41
	global_store_dwordx2 v[14:15], v[12:13], off
	s_or_b64 exec, exec, s[36:37]
	s_and_saveexec_b64 s[36:37], s[16:17]
	s_cbranch_execz .LBB384_198
.LBB384_257:
	v_sub_u32_e32 v12, v38, v8
	v_mov_b32_e32 v13, 0
	v_lshlrev_b64 v[14:15], 3, v[12:13]
	v_add_co_u32_e32 v14, vcc, v3, v14
	v_addc_co_u32_e32 v15, vcc, v7, v15, vcc
	v_mov_b32_e32 v12, v39
	global_store_dwordx2 v[14:15], v[12:13], off
	s_or_b64 exec, exec, s[36:37]
	s_and_saveexec_b64 s[36:37], s[14:15]
	s_cbranch_execz .LBB384_199
.LBB384_258:
	v_sub_u32_e32 v12, v36, v8
	v_mov_b32_e32 v13, 0
	v_lshlrev_b64 v[14:15], 3, v[12:13]
	v_add_co_u32_e32 v14, vcc, v3, v14
	v_addc_co_u32_e32 v15, vcc, v7, v15, vcc
	v_mov_b32_e32 v12, v37
	global_store_dwordx2 v[14:15], v[12:13], off
	s_or_b64 exec, exec, s[36:37]
	s_and_saveexec_b64 s[36:37], s[12:13]
	s_cbranch_execz .LBB384_200
.LBB384_259:
	v_sub_u32_e32 v12, v34, v8
	v_mov_b32_e32 v13, 0
	v_lshlrev_b64 v[14:15], 3, v[12:13]
	v_add_co_u32_e32 v14, vcc, v3, v14
	v_addc_co_u32_e32 v15, vcc, v7, v15, vcc
	v_mov_b32_e32 v12, v35
	global_store_dwordx2 v[14:15], v[12:13], off
	s_or_b64 exec, exec, s[36:37]
	s_and_saveexec_b64 s[36:37], s[10:11]
	s_cbranch_execz .LBB384_201
.LBB384_260:
	v_sub_u32_e32 v12, v32, v8
	v_mov_b32_e32 v13, 0
	v_lshlrev_b64 v[14:15], 3, v[12:13]
	v_add_co_u32_e32 v14, vcc, v3, v14
	v_addc_co_u32_e32 v15, vcc, v7, v15, vcc
	v_mov_b32_e32 v12, v33
	global_store_dwordx2 v[14:15], v[12:13], off
	s_or_b64 exec, exec, s[36:37]
	s_and_saveexec_b64 s[36:37], s[8:9]
	s_cbranch_execz .LBB384_202
.LBB384_261:
	v_sub_u32_e32 v12, v30, v8
	v_mov_b32_e32 v13, 0
	v_lshlrev_b64 v[14:15], 3, v[12:13]
	v_add_co_u32_e32 v14, vcc, v3, v14
	v_addc_co_u32_e32 v15, vcc, v7, v15, vcc
	v_mov_b32_e32 v12, v31
	global_store_dwordx2 v[14:15], v[12:13], off
	s_or_b64 exec, exec, s[36:37]
	s_and_saveexec_b64 s[36:37], s[6:7]
	s_cbranch_execz .LBB384_203
.LBB384_262:
	v_sub_u32_e32 v12, v28, v8
	v_mov_b32_e32 v13, 0
	v_lshlrev_b64 v[14:15], 3, v[12:13]
	v_add_co_u32_e32 v14, vcc, v3, v14
	v_addc_co_u32_e32 v15, vcc, v7, v15, vcc
	v_mov_b32_e32 v12, v29
	global_store_dwordx2 v[14:15], v[12:13], off
	s_or_b64 exec, exec, s[36:37]
	s_and_saveexec_b64 s[36:37], s[4:5]
	s_cbranch_execz .LBB384_204
.LBB384_263:
	v_sub_u32_e32 v12, v26, v8
	v_mov_b32_e32 v13, 0
	v_lshlrev_b64 v[14:15], 3, v[12:13]
	v_add_co_u32_e32 v14, vcc, v3, v14
	v_addc_co_u32_e32 v15, vcc, v7, v15, vcc
	v_mov_b32_e32 v12, v27
	global_store_dwordx2 v[14:15], v[12:13], off
	s_or_b64 exec, exec, s[36:37]
	s_and_saveexec_b64 s[36:37], s[2:3]
	s_cbranch_execnz .LBB384_205
	s_branch .LBB384_206
.LBB384_264:
	v_sub_u32_e32 v9, v50, v8
	v_lshlrev_b32_e32 v9, 2, v9
	ds_write_b32 v9, v51
	s_or_b64 exec, exec, s[36:37]
	s_and_saveexec_b64 s[28:29], s[26:27]
	s_cbranch_execz .LBB384_210
.LBB384_265:
	v_sub_u32_e32 v9, v48, v8
	v_lshlrev_b32_e32 v9, 2, v9
	ds_write_b32 v9, v49
	s_or_b64 exec, exec, s[28:29]
	s_and_saveexec_b64 s[26:27], s[24:25]
	s_cbranch_execz .LBB384_211
.LBB384_266:
	v_sub_u32_e32 v9, v46, v8
	v_lshlrev_b32_e32 v9, 2, v9
	ds_write_b32 v9, v47
	s_or_b64 exec, exec, s[26:27]
	s_and_saveexec_b64 s[24:25], s[22:23]
	s_cbranch_execz .LBB384_212
.LBB384_267:
	v_sub_u32_e32 v9, v44, v8
	v_lshlrev_b32_e32 v9, 2, v9
	ds_write_b32 v9, v45
	s_or_b64 exec, exec, s[24:25]
	s_and_saveexec_b64 s[22:23], s[20:21]
	s_cbranch_execz .LBB384_213
.LBB384_268:
	v_sub_u32_e32 v9, v42, v8
	v_lshlrev_b32_e32 v9, 2, v9
	ds_write_b32 v9, v43
	s_or_b64 exec, exec, s[22:23]
	s_and_saveexec_b64 s[20:21], s[18:19]
	s_cbranch_execz .LBB384_214
.LBB384_269:
	v_sub_u32_e32 v9, v40, v8
	v_lshlrev_b32_e32 v9, 2, v9
	ds_write_b32 v9, v41
	s_or_b64 exec, exec, s[20:21]
	s_and_saveexec_b64 s[18:19], s[16:17]
	s_cbranch_execz .LBB384_215
.LBB384_270:
	v_sub_u32_e32 v9, v38, v8
	v_lshlrev_b32_e32 v9, 2, v9
	ds_write_b32 v9, v39
	s_or_b64 exec, exec, s[18:19]
	s_and_saveexec_b64 s[16:17], s[14:15]
	s_cbranch_execz .LBB384_216
.LBB384_271:
	v_sub_u32_e32 v9, v36, v8
	v_lshlrev_b32_e32 v9, 2, v9
	ds_write_b32 v9, v37
	s_or_b64 exec, exec, s[16:17]
	s_and_saveexec_b64 s[14:15], s[12:13]
	s_cbranch_execz .LBB384_217
.LBB384_272:
	v_sub_u32_e32 v9, v34, v8
	v_lshlrev_b32_e32 v9, 2, v9
	ds_write_b32 v9, v35
	s_or_b64 exec, exec, s[14:15]
	s_and_saveexec_b64 s[12:13], s[10:11]
	s_cbranch_execz .LBB384_218
.LBB384_273:
	v_sub_u32_e32 v9, v32, v8
	v_lshlrev_b32_e32 v9, 2, v9
	ds_write_b32 v9, v33
	s_or_b64 exec, exec, s[12:13]
	s_and_saveexec_b64 s[10:11], s[8:9]
	s_cbranch_execz .LBB384_219
.LBB384_274:
	v_sub_u32_e32 v9, v30, v8
	v_lshlrev_b32_e32 v9, 2, v9
	ds_write_b32 v9, v31
	s_or_b64 exec, exec, s[10:11]
	s_and_saveexec_b64 s[8:9], s[6:7]
	s_cbranch_execz .LBB384_220
.LBB384_275:
	v_sub_u32_e32 v9, v28, v8
	v_lshlrev_b32_e32 v9, 2, v9
	ds_write_b32 v9, v29
	s_or_b64 exec, exec, s[8:9]
	s_and_saveexec_b64 s[6:7], s[4:5]
	s_cbranch_execz .LBB384_221
.LBB384_276:
	v_sub_u32_e32 v9, v26, v8
	v_lshlrev_b32_e32 v9, 2, v9
	ds_write_b32 v9, v27
	s_or_b64 exec, exec, s[6:7]
	s_and_saveexec_b64 s[4:5], s[2:3]
	s_cbranch_execnz .LBB384_222
	s_branch .LBB384_223
	.section	.rodata,"a",@progbits
	.p2align	6, 0x0
	.amdhsa_kernel _ZN7rocprim17ROCPRIM_400000_NS6detail17trampoline_kernelINS0_14default_configENS1_33run_length_encode_config_selectorIfjNS0_4plusIjEEEEZZNS1_33reduce_by_key_impl_wrapped_configILNS1_25lookback_scan_determinismE0ES3_S7_PKfNS0_17constant_iteratorIjlEEPfPlSF_S6_NS0_8equal_toIfEEEE10hipError_tPvRmT2_T3_mT4_T5_T6_T7_T8_P12ihipStream_tbENKUlT_T0_E_clISt17integral_constantIbLb1EESZ_EEDaSU_SV_EUlSU_E_NS1_11comp_targetILNS1_3genE4ELNS1_11target_archE910ELNS1_3gpuE8ELNS1_3repE0EEENS1_30default_config_static_selectorELNS0_4arch9wavefront6targetE1EEEvT1_
		.amdhsa_group_segment_fixed_size 15360
		.amdhsa_private_segment_fixed_size 0
		.amdhsa_kernarg_size 128
		.amdhsa_user_sgpr_count 6
		.amdhsa_user_sgpr_private_segment_buffer 1
		.amdhsa_user_sgpr_dispatch_ptr 0
		.amdhsa_user_sgpr_queue_ptr 0
		.amdhsa_user_sgpr_kernarg_segment_ptr 1
		.amdhsa_user_sgpr_dispatch_id 0
		.amdhsa_user_sgpr_flat_scratch_init 0
		.amdhsa_user_sgpr_kernarg_preload_length 0
		.amdhsa_user_sgpr_kernarg_preload_offset 0
		.amdhsa_user_sgpr_private_segment_size 0
		.amdhsa_uses_dynamic_stack 0
		.amdhsa_system_sgpr_private_segment_wavefront_offset 0
		.amdhsa_system_sgpr_workgroup_id_x 1
		.amdhsa_system_sgpr_workgroup_id_y 0
		.amdhsa_system_sgpr_workgroup_id_z 0
		.amdhsa_system_sgpr_workgroup_info 0
		.amdhsa_system_vgpr_workitem_id 0
		.amdhsa_next_free_vgpr 104
		.amdhsa_next_free_sgpr 66
		.amdhsa_accum_offset 104
		.amdhsa_reserve_vcc 1
		.amdhsa_reserve_flat_scratch 0
		.amdhsa_float_round_mode_32 0
		.amdhsa_float_round_mode_16_64 0
		.amdhsa_float_denorm_mode_32 3
		.amdhsa_float_denorm_mode_16_64 3
		.amdhsa_dx10_clamp 1
		.amdhsa_ieee_mode 1
		.amdhsa_fp16_overflow 0
		.amdhsa_tg_split 0
		.amdhsa_exception_fp_ieee_invalid_op 0
		.amdhsa_exception_fp_denorm_src 0
		.amdhsa_exception_fp_ieee_div_zero 0
		.amdhsa_exception_fp_ieee_overflow 0
		.amdhsa_exception_fp_ieee_underflow 0
		.amdhsa_exception_fp_ieee_inexact 0
		.amdhsa_exception_int_div_zero 0
	.end_amdhsa_kernel
	.section	.text._ZN7rocprim17ROCPRIM_400000_NS6detail17trampoline_kernelINS0_14default_configENS1_33run_length_encode_config_selectorIfjNS0_4plusIjEEEEZZNS1_33reduce_by_key_impl_wrapped_configILNS1_25lookback_scan_determinismE0ES3_S7_PKfNS0_17constant_iteratorIjlEEPfPlSF_S6_NS0_8equal_toIfEEEE10hipError_tPvRmT2_T3_mT4_T5_T6_T7_T8_P12ihipStream_tbENKUlT_T0_E_clISt17integral_constantIbLb1EESZ_EEDaSU_SV_EUlSU_E_NS1_11comp_targetILNS1_3genE4ELNS1_11target_archE910ELNS1_3gpuE8ELNS1_3repE0EEENS1_30default_config_static_selectorELNS0_4arch9wavefront6targetE1EEEvT1_,"axG",@progbits,_ZN7rocprim17ROCPRIM_400000_NS6detail17trampoline_kernelINS0_14default_configENS1_33run_length_encode_config_selectorIfjNS0_4plusIjEEEEZZNS1_33reduce_by_key_impl_wrapped_configILNS1_25lookback_scan_determinismE0ES3_S7_PKfNS0_17constant_iteratorIjlEEPfPlSF_S6_NS0_8equal_toIfEEEE10hipError_tPvRmT2_T3_mT4_T5_T6_T7_T8_P12ihipStream_tbENKUlT_T0_E_clISt17integral_constantIbLb1EESZ_EEDaSU_SV_EUlSU_E_NS1_11comp_targetILNS1_3genE4ELNS1_11target_archE910ELNS1_3gpuE8ELNS1_3repE0EEENS1_30default_config_static_selectorELNS0_4arch9wavefront6targetE1EEEvT1_,comdat
.Lfunc_end384:
	.size	_ZN7rocprim17ROCPRIM_400000_NS6detail17trampoline_kernelINS0_14default_configENS1_33run_length_encode_config_selectorIfjNS0_4plusIjEEEEZZNS1_33reduce_by_key_impl_wrapped_configILNS1_25lookback_scan_determinismE0ES3_S7_PKfNS0_17constant_iteratorIjlEEPfPlSF_S6_NS0_8equal_toIfEEEE10hipError_tPvRmT2_T3_mT4_T5_T6_T7_T8_P12ihipStream_tbENKUlT_T0_E_clISt17integral_constantIbLb1EESZ_EEDaSU_SV_EUlSU_E_NS1_11comp_targetILNS1_3genE4ELNS1_11target_archE910ELNS1_3gpuE8ELNS1_3repE0EEENS1_30default_config_static_selectorELNS0_4arch9wavefront6targetE1EEEvT1_, .Lfunc_end384-_ZN7rocprim17ROCPRIM_400000_NS6detail17trampoline_kernelINS0_14default_configENS1_33run_length_encode_config_selectorIfjNS0_4plusIjEEEEZZNS1_33reduce_by_key_impl_wrapped_configILNS1_25lookback_scan_determinismE0ES3_S7_PKfNS0_17constant_iteratorIjlEEPfPlSF_S6_NS0_8equal_toIfEEEE10hipError_tPvRmT2_T3_mT4_T5_T6_T7_T8_P12ihipStream_tbENKUlT_T0_E_clISt17integral_constantIbLb1EESZ_EEDaSU_SV_EUlSU_E_NS1_11comp_targetILNS1_3genE4ELNS1_11target_archE910ELNS1_3gpuE8ELNS1_3repE0EEENS1_30default_config_static_selectorELNS0_4arch9wavefront6targetE1EEEvT1_
                                        ; -- End function
	.section	.AMDGPU.csdata,"",@progbits
; Kernel info:
; codeLenInByte = 15292
; NumSgprs: 70
; NumVgprs: 104
; NumAgprs: 0
; TotalNumVgprs: 104
; ScratchSize: 0
; MemoryBound: 0
; FloatMode: 240
; IeeeMode: 1
; LDSByteSize: 15360 bytes/workgroup (compile time only)
; SGPRBlocks: 8
; VGPRBlocks: 12
; NumSGPRsForWavesPerEU: 70
; NumVGPRsForWavesPerEU: 104
; AccumOffset: 104
; Occupancy: 4
; WaveLimiterHint : 1
; COMPUTE_PGM_RSRC2:SCRATCH_EN: 0
; COMPUTE_PGM_RSRC2:USER_SGPR: 6
; COMPUTE_PGM_RSRC2:TRAP_HANDLER: 0
; COMPUTE_PGM_RSRC2:TGID_X_EN: 1
; COMPUTE_PGM_RSRC2:TGID_Y_EN: 0
; COMPUTE_PGM_RSRC2:TGID_Z_EN: 0
; COMPUTE_PGM_RSRC2:TIDIG_COMP_CNT: 0
; COMPUTE_PGM_RSRC3_GFX90A:ACCUM_OFFSET: 25
; COMPUTE_PGM_RSRC3_GFX90A:TG_SPLIT: 0
	.section	.text._ZN7rocprim17ROCPRIM_400000_NS6detail17trampoline_kernelINS0_14default_configENS1_33run_length_encode_config_selectorIfjNS0_4plusIjEEEEZZNS1_33reduce_by_key_impl_wrapped_configILNS1_25lookback_scan_determinismE0ES3_S7_PKfNS0_17constant_iteratorIjlEEPfPlSF_S6_NS0_8equal_toIfEEEE10hipError_tPvRmT2_T3_mT4_T5_T6_T7_T8_P12ihipStream_tbENKUlT_T0_E_clISt17integral_constantIbLb1EESZ_EEDaSU_SV_EUlSU_E_NS1_11comp_targetILNS1_3genE3ELNS1_11target_archE908ELNS1_3gpuE7ELNS1_3repE0EEENS1_30default_config_static_selectorELNS0_4arch9wavefront6targetE1EEEvT1_,"axG",@progbits,_ZN7rocprim17ROCPRIM_400000_NS6detail17trampoline_kernelINS0_14default_configENS1_33run_length_encode_config_selectorIfjNS0_4plusIjEEEEZZNS1_33reduce_by_key_impl_wrapped_configILNS1_25lookback_scan_determinismE0ES3_S7_PKfNS0_17constant_iteratorIjlEEPfPlSF_S6_NS0_8equal_toIfEEEE10hipError_tPvRmT2_T3_mT4_T5_T6_T7_T8_P12ihipStream_tbENKUlT_T0_E_clISt17integral_constantIbLb1EESZ_EEDaSU_SV_EUlSU_E_NS1_11comp_targetILNS1_3genE3ELNS1_11target_archE908ELNS1_3gpuE7ELNS1_3repE0EEENS1_30default_config_static_selectorELNS0_4arch9wavefront6targetE1EEEvT1_,comdat
	.protected	_ZN7rocprim17ROCPRIM_400000_NS6detail17trampoline_kernelINS0_14default_configENS1_33run_length_encode_config_selectorIfjNS0_4plusIjEEEEZZNS1_33reduce_by_key_impl_wrapped_configILNS1_25lookback_scan_determinismE0ES3_S7_PKfNS0_17constant_iteratorIjlEEPfPlSF_S6_NS0_8equal_toIfEEEE10hipError_tPvRmT2_T3_mT4_T5_T6_T7_T8_P12ihipStream_tbENKUlT_T0_E_clISt17integral_constantIbLb1EESZ_EEDaSU_SV_EUlSU_E_NS1_11comp_targetILNS1_3genE3ELNS1_11target_archE908ELNS1_3gpuE7ELNS1_3repE0EEENS1_30default_config_static_selectorELNS0_4arch9wavefront6targetE1EEEvT1_ ; -- Begin function _ZN7rocprim17ROCPRIM_400000_NS6detail17trampoline_kernelINS0_14default_configENS1_33run_length_encode_config_selectorIfjNS0_4plusIjEEEEZZNS1_33reduce_by_key_impl_wrapped_configILNS1_25lookback_scan_determinismE0ES3_S7_PKfNS0_17constant_iteratorIjlEEPfPlSF_S6_NS0_8equal_toIfEEEE10hipError_tPvRmT2_T3_mT4_T5_T6_T7_T8_P12ihipStream_tbENKUlT_T0_E_clISt17integral_constantIbLb1EESZ_EEDaSU_SV_EUlSU_E_NS1_11comp_targetILNS1_3genE3ELNS1_11target_archE908ELNS1_3gpuE7ELNS1_3repE0EEENS1_30default_config_static_selectorELNS0_4arch9wavefront6targetE1EEEvT1_
	.globl	_ZN7rocprim17ROCPRIM_400000_NS6detail17trampoline_kernelINS0_14default_configENS1_33run_length_encode_config_selectorIfjNS0_4plusIjEEEEZZNS1_33reduce_by_key_impl_wrapped_configILNS1_25lookback_scan_determinismE0ES3_S7_PKfNS0_17constant_iteratorIjlEEPfPlSF_S6_NS0_8equal_toIfEEEE10hipError_tPvRmT2_T3_mT4_T5_T6_T7_T8_P12ihipStream_tbENKUlT_T0_E_clISt17integral_constantIbLb1EESZ_EEDaSU_SV_EUlSU_E_NS1_11comp_targetILNS1_3genE3ELNS1_11target_archE908ELNS1_3gpuE7ELNS1_3repE0EEENS1_30default_config_static_selectorELNS0_4arch9wavefront6targetE1EEEvT1_
	.p2align	8
	.type	_ZN7rocprim17ROCPRIM_400000_NS6detail17trampoline_kernelINS0_14default_configENS1_33run_length_encode_config_selectorIfjNS0_4plusIjEEEEZZNS1_33reduce_by_key_impl_wrapped_configILNS1_25lookback_scan_determinismE0ES3_S7_PKfNS0_17constant_iteratorIjlEEPfPlSF_S6_NS0_8equal_toIfEEEE10hipError_tPvRmT2_T3_mT4_T5_T6_T7_T8_P12ihipStream_tbENKUlT_T0_E_clISt17integral_constantIbLb1EESZ_EEDaSU_SV_EUlSU_E_NS1_11comp_targetILNS1_3genE3ELNS1_11target_archE908ELNS1_3gpuE7ELNS1_3repE0EEENS1_30default_config_static_selectorELNS0_4arch9wavefront6targetE1EEEvT1_,@function
_ZN7rocprim17ROCPRIM_400000_NS6detail17trampoline_kernelINS0_14default_configENS1_33run_length_encode_config_selectorIfjNS0_4plusIjEEEEZZNS1_33reduce_by_key_impl_wrapped_configILNS1_25lookback_scan_determinismE0ES3_S7_PKfNS0_17constant_iteratorIjlEEPfPlSF_S6_NS0_8equal_toIfEEEE10hipError_tPvRmT2_T3_mT4_T5_T6_T7_T8_P12ihipStream_tbENKUlT_T0_E_clISt17integral_constantIbLb1EESZ_EEDaSU_SV_EUlSU_E_NS1_11comp_targetILNS1_3genE3ELNS1_11target_archE908ELNS1_3gpuE7ELNS1_3repE0EEENS1_30default_config_static_selectorELNS0_4arch9wavefront6targetE1EEEvT1_: ; @_ZN7rocprim17ROCPRIM_400000_NS6detail17trampoline_kernelINS0_14default_configENS1_33run_length_encode_config_selectorIfjNS0_4plusIjEEEEZZNS1_33reduce_by_key_impl_wrapped_configILNS1_25lookback_scan_determinismE0ES3_S7_PKfNS0_17constant_iteratorIjlEEPfPlSF_S6_NS0_8equal_toIfEEEE10hipError_tPvRmT2_T3_mT4_T5_T6_T7_T8_P12ihipStream_tbENKUlT_T0_E_clISt17integral_constantIbLb1EESZ_EEDaSU_SV_EUlSU_E_NS1_11comp_targetILNS1_3genE3ELNS1_11target_archE908ELNS1_3gpuE7ELNS1_3repE0EEENS1_30default_config_static_selectorELNS0_4arch9wavefront6targetE1EEEvT1_
; %bb.0:
	.section	.rodata,"a",@progbits
	.p2align	6, 0x0
	.amdhsa_kernel _ZN7rocprim17ROCPRIM_400000_NS6detail17trampoline_kernelINS0_14default_configENS1_33run_length_encode_config_selectorIfjNS0_4plusIjEEEEZZNS1_33reduce_by_key_impl_wrapped_configILNS1_25lookback_scan_determinismE0ES3_S7_PKfNS0_17constant_iteratorIjlEEPfPlSF_S6_NS0_8equal_toIfEEEE10hipError_tPvRmT2_T3_mT4_T5_T6_T7_T8_P12ihipStream_tbENKUlT_T0_E_clISt17integral_constantIbLb1EESZ_EEDaSU_SV_EUlSU_E_NS1_11comp_targetILNS1_3genE3ELNS1_11target_archE908ELNS1_3gpuE7ELNS1_3repE0EEENS1_30default_config_static_selectorELNS0_4arch9wavefront6targetE1EEEvT1_
		.amdhsa_group_segment_fixed_size 0
		.amdhsa_private_segment_fixed_size 0
		.amdhsa_kernarg_size 128
		.amdhsa_user_sgpr_count 6
		.amdhsa_user_sgpr_private_segment_buffer 1
		.amdhsa_user_sgpr_dispatch_ptr 0
		.amdhsa_user_sgpr_queue_ptr 0
		.amdhsa_user_sgpr_kernarg_segment_ptr 1
		.amdhsa_user_sgpr_dispatch_id 0
		.amdhsa_user_sgpr_flat_scratch_init 0
		.amdhsa_user_sgpr_kernarg_preload_length 0
		.amdhsa_user_sgpr_kernarg_preload_offset 0
		.amdhsa_user_sgpr_private_segment_size 0
		.amdhsa_uses_dynamic_stack 0
		.amdhsa_system_sgpr_private_segment_wavefront_offset 0
		.amdhsa_system_sgpr_workgroup_id_x 1
		.amdhsa_system_sgpr_workgroup_id_y 0
		.amdhsa_system_sgpr_workgroup_id_z 0
		.amdhsa_system_sgpr_workgroup_info 0
		.amdhsa_system_vgpr_workitem_id 0
		.amdhsa_next_free_vgpr 1
		.amdhsa_next_free_sgpr 0
		.amdhsa_accum_offset 4
		.amdhsa_reserve_vcc 0
		.amdhsa_reserve_flat_scratch 0
		.amdhsa_float_round_mode_32 0
		.amdhsa_float_round_mode_16_64 0
		.amdhsa_float_denorm_mode_32 3
		.amdhsa_float_denorm_mode_16_64 3
		.amdhsa_dx10_clamp 1
		.amdhsa_ieee_mode 1
		.amdhsa_fp16_overflow 0
		.amdhsa_tg_split 0
		.amdhsa_exception_fp_ieee_invalid_op 0
		.amdhsa_exception_fp_denorm_src 0
		.amdhsa_exception_fp_ieee_div_zero 0
		.amdhsa_exception_fp_ieee_overflow 0
		.amdhsa_exception_fp_ieee_underflow 0
		.amdhsa_exception_fp_ieee_inexact 0
		.amdhsa_exception_int_div_zero 0
	.end_amdhsa_kernel
	.section	.text._ZN7rocprim17ROCPRIM_400000_NS6detail17trampoline_kernelINS0_14default_configENS1_33run_length_encode_config_selectorIfjNS0_4plusIjEEEEZZNS1_33reduce_by_key_impl_wrapped_configILNS1_25lookback_scan_determinismE0ES3_S7_PKfNS0_17constant_iteratorIjlEEPfPlSF_S6_NS0_8equal_toIfEEEE10hipError_tPvRmT2_T3_mT4_T5_T6_T7_T8_P12ihipStream_tbENKUlT_T0_E_clISt17integral_constantIbLb1EESZ_EEDaSU_SV_EUlSU_E_NS1_11comp_targetILNS1_3genE3ELNS1_11target_archE908ELNS1_3gpuE7ELNS1_3repE0EEENS1_30default_config_static_selectorELNS0_4arch9wavefront6targetE1EEEvT1_,"axG",@progbits,_ZN7rocprim17ROCPRIM_400000_NS6detail17trampoline_kernelINS0_14default_configENS1_33run_length_encode_config_selectorIfjNS0_4plusIjEEEEZZNS1_33reduce_by_key_impl_wrapped_configILNS1_25lookback_scan_determinismE0ES3_S7_PKfNS0_17constant_iteratorIjlEEPfPlSF_S6_NS0_8equal_toIfEEEE10hipError_tPvRmT2_T3_mT4_T5_T6_T7_T8_P12ihipStream_tbENKUlT_T0_E_clISt17integral_constantIbLb1EESZ_EEDaSU_SV_EUlSU_E_NS1_11comp_targetILNS1_3genE3ELNS1_11target_archE908ELNS1_3gpuE7ELNS1_3repE0EEENS1_30default_config_static_selectorELNS0_4arch9wavefront6targetE1EEEvT1_,comdat
.Lfunc_end385:
	.size	_ZN7rocprim17ROCPRIM_400000_NS6detail17trampoline_kernelINS0_14default_configENS1_33run_length_encode_config_selectorIfjNS0_4plusIjEEEEZZNS1_33reduce_by_key_impl_wrapped_configILNS1_25lookback_scan_determinismE0ES3_S7_PKfNS0_17constant_iteratorIjlEEPfPlSF_S6_NS0_8equal_toIfEEEE10hipError_tPvRmT2_T3_mT4_T5_T6_T7_T8_P12ihipStream_tbENKUlT_T0_E_clISt17integral_constantIbLb1EESZ_EEDaSU_SV_EUlSU_E_NS1_11comp_targetILNS1_3genE3ELNS1_11target_archE908ELNS1_3gpuE7ELNS1_3repE0EEENS1_30default_config_static_selectorELNS0_4arch9wavefront6targetE1EEEvT1_, .Lfunc_end385-_ZN7rocprim17ROCPRIM_400000_NS6detail17trampoline_kernelINS0_14default_configENS1_33run_length_encode_config_selectorIfjNS0_4plusIjEEEEZZNS1_33reduce_by_key_impl_wrapped_configILNS1_25lookback_scan_determinismE0ES3_S7_PKfNS0_17constant_iteratorIjlEEPfPlSF_S6_NS0_8equal_toIfEEEE10hipError_tPvRmT2_T3_mT4_T5_T6_T7_T8_P12ihipStream_tbENKUlT_T0_E_clISt17integral_constantIbLb1EESZ_EEDaSU_SV_EUlSU_E_NS1_11comp_targetILNS1_3genE3ELNS1_11target_archE908ELNS1_3gpuE7ELNS1_3repE0EEENS1_30default_config_static_selectorELNS0_4arch9wavefront6targetE1EEEvT1_
                                        ; -- End function
	.section	.AMDGPU.csdata,"",@progbits
; Kernel info:
; codeLenInByte = 0
; NumSgprs: 4
; NumVgprs: 0
; NumAgprs: 0
; TotalNumVgprs: 0
; ScratchSize: 0
; MemoryBound: 0
; FloatMode: 240
; IeeeMode: 1
; LDSByteSize: 0 bytes/workgroup (compile time only)
; SGPRBlocks: 0
; VGPRBlocks: 0
; NumSGPRsForWavesPerEU: 4
; NumVGPRsForWavesPerEU: 1
; AccumOffset: 4
; Occupancy: 8
; WaveLimiterHint : 0
; COMPUTE_PGM_RSRC2:SCRATCH_EN: 0
; COMPUTE_PGM_RSRC2:USER_SGPR: 6
; COMPUTE_PGM_RSRC2:TRAP_HANDLER: 0
; COMPUTE_PGM_RSRC2:TGID_X_EN: 1
; COMPUTE_PGM_RSRC2:TGID_Y_EN: 0
; COMPUTE_PGM_RSRC2:TGID_Z_EN: 0
; COMPUTE_PGM_RSRC2:TIDIG_COMP_CNT: 0
; COMPUTE_PGM_RSRC3_GFX90A:ACCUM_OFFSET: 0
; COMPUTE_PGM_RSRC3_GFX90A:TG_SPLIT: 0
	.section	.text._ZN7rocprim17ROCPRIM_400000_NS6detail17trampoline_kernelINS0_14default_configENS1_33run_length_encode_config_selectorIfjNS0_4plusIjEEEEZZNS1_33reduce_by_key_impl_wrapped_configILNS1_25lookback_scan_determinismE0ES3_S7_PKfNS0_17constant_iteratorIjlEEPfPlSF_S6_NS0_8equal_toIfEEEE10hipError_tPvRmT2_T3_mT4_T5_T6_T7_T8_P12ihipStream_tbENKUlT_T0_E_clISt17integral_constantIbLb1EESZ_EEDaSU_SV_EUlSU_E_NS1_11comp_targetILNS1_3genE2ELNS1_11target_archE906ELNS1_3gpuE6ELNS1_3repE0EEENS1_30default_config_static_selectorELNS0_4arch9wavefront6targetE1EEEvT1_,"axG",@progbits,_ZN7rocprim17ROCPRIM_400000_NS6detail17trampoline_kernelINS0_14default_configENS1_33run_length_encode_config_selectorIfjNS0_4plusIjEEEEZZNS1_33reduce_by_key_impl_wrapped_configILNS1_25lookback_scan_determinismE0ES3_S7_PKfNS0_17constant_iteratorIjlEEPfPlSF_S6_NS0_8equal_toIfEEEE10hipError_tPvRmT2_T3_mT4_T5_T6_T7_T8_P12ihipStream_tbENKUlT_T0_E_clISt17integral_constantIbLb1EESZ_EEDaSU_SV_EUlSU_E_NS1_11comp_targetILNS1_3genE2ELNS1_11target_archE906ELNS1_3gpuE6ELNS1_3repE0EEENS1_30default_config_static_selectorELNS0_4arch9wavefront6targetE1EEEvT1_,comdat
	.protected	_ZN7rocprim17ROCPRIM_400000_NS6detail17trampoline_kernelINS0_14default_configENS1_33run_length_encode_config_selectorIfjNS0_4plusIjEEEEZZNS1_33reduce_by_key_impl_wrapped_configILNS1_25lookback_scan_determinismE0ES3_S7_PKfNS0_17constant_iteratorIjlEEPfPlSF_S6_NS0_8equal_toIfEEEE10hipError_tPvRmT2_T3_mT4_T5_T6_T7_T8_P12ihipStream_tbENKUlT_T0_E_clISt17integral_constantIbLb1EESZ_EEDaSU_SV_EUlSU_E_NS1_11comp_targetILNS1_3genE2ELNS1_11target_archE906ELNS1_3gpuE6ELNS1_3repE0EEENS1_30default_config_static_selectorELNS0_4arch9wavefront6targetE1EEEvT1_ ; -- Begin function _ZN7rocprim17ROCPRIM_400000_NS6detail17trampoline_kernelINS0_14default_configENS1_33run_length_encode_config_selectorIfjNS0_4plusIjEEEEZZNS1_33reduce_by_key_impl_wrapped_configILNS1_25lookback_scan_determinismE0ES3_S7_PKfNS0_17constant_iteratorIjlEEPfPlSF_S6_NS0_8equal_toIfEEEE10hipError_tPvRmT2_T3_mT4_T5_T6_T7_T8_P12ihipStream_tbENKUlT_T0_E_clISt17integral_constantIbLb1EESZ_EEDaSU_SV_EUlSU_E_NS1_11comp_targetILNS1_3genE2ELNS1_11target_archE906ELNS1_3gpuE6ELNS1_3repE0EEENS1_30default_config_static_selectorELNS0_4arch9wavefront6targetE1EEEvT1_
	.globl	_ZN7rocprim17ROCPRIM_400000_NS6detail17trampoline_kernelINS0_14default_configENS1_33run_length_encode_config_selectorIfjNS0_4plusIjEEEEZZNS1_33reduce_by_key_impl_wrapped_configILNS1_25lookback_scan_determinismE0ES3_S7_PKfNS0_17constant_iteratorIjlEEPfPlSF_S6_NS0_8equal_toIfEEEE10hipError_tPvRmT2_T3_mT4_T5_T6_T7_T8_P12ihipStream_tbENKUlT_T0_E_clISt17integral_constantIbLb1EESZ_EEDaSU_SV_EUlSU_E_NS1_11comp_targetILNS1_3genE2ELNS1_11target_archE906ELNS1_3gpuE6ELNS1_3repE0EEENS1_30default_config_static_selectorELNS0_4arch9wavefront6targetE1EEEvT1_
	.p2align	8
	.type	_ZN7rocprim17ROCPRIM_400000_NS6detail17trampoline_kernelINS0_14default_configENS1_33run_length_encode_config_selectorIfjNS0_4plusIjEEEEZZNS1_33reduce_by_key_impl_wrapped_configILNS1_25lookback_scan_determinismE0ES3_S7_PKfNS0_17constant_iteratorIjlEEPfPlSF_S6_NS0_8equal_toIfEEEE10hipError_tPvRmT2_T3_mT4_T5_T6_T7_T8_P12ihipStream_tbENKUlT_T0_E_clISt17integral_constantIbLb1EESZ_EEDaSU_SV_EUlSU_E_NS1_11comp_targetILNS1_3genE2ELNS1_11target_archE906ELNS1_3gpuE6ELNS1_3repE0EEENS1_30default_config_static_selectorELNS0_4arch9wavefront6targetE1EEEvT1_,@function
_ZN7rocprim17ROCPRIM_400000_NS6detail17trampoline_kernelINS0_14default_configENS1_33run_length_encode_config_selectorIfjNS0_4plusIjEEEEZZNS1_33reduce_by_key_impl_wrapped_configILNS1_25lookback_scan_determinismE0ES3_S7_PKfNS0_17constant_iteratorIjlEEPfPlSF_S6_NS0_8equal_toIfEEEE10hipError_tPvRmT2_T3_mT4_T5_T6_T7_T8_P12ihipStream_tbENKUlT_T0_E_clISt17integral_constantIbLb1EESZ_EEDaSU_SV_EUlSU_E_NS1_11comp_targetILNS1_3genE2ELNS1_11target_archE906ELNS1_3gpuE6ELNS1_3repE0EEENS1_30default_config_static_selectorELNS0_4arch9wavefront6targetE1EEEvT1_: ; @_ZN7rocprim17ROCPRIM_400000_NS6detail17trampoline_kernelINS0_14default_configENS1_33run_length_encode_config_selectorIfjNS0_4plusIjEEEEZZNS1_33reduce_by_key_impl_wrapped_configILNS1_25lookback_scan_determinismE0ES3_S7_PKfNS0_17constant_iteratorIjlEEPfPlSF_S6_NS0_8equal_toIfEEEE10hipError_tPvRmT2_T3_mT4_T5_T6_T7_T8_P12ihipStream_tbENKUlT_T0_E_clISt17integral_constantIbLb1EESZ_EEDaSU_SV_EUlSU_E_NS1_11comp_targetILNS1_3genE2ELNS1_11target_archE906ELNS1_3gpuE6ELNS1_3repE0EEENS1_30default_config_static_selectorELNS0_4arch9wavefront6targetE1EEEvT1_
; %bb.0:
	.section	.rodata,"a",@progbits
	.p2align	6, 0x0
	.amdhsa_kernel _ZN7rocprim17ROCPRIM_400000_NS6detail17trampoline_kernelINS0_14default_configENS1_33run_length_encode_config_selectorIfjNS0_4plusIjEEEEZZNS1_33reduce_by_key_impl_wrapped_configILNS1_25lookback_scan_determinismE0ES3_S7_PKfNS0_17constant_iteratorIjlEEPfPlSF_S6_NS0_8equal_toIfEEEE10hipError_tPvRmT2_T3_mT4_T5_T6_T7_T8_P12ihipStream_tbENKUlT_T0_E_clISt17integral_constantIbLb1EESZ_EEDaSU_SV_EUlSU_E_NS1_11comp_targetILNS1_3genE2ELNS1_11target_archE906ELNS1_3gpuE6ELNS1_3repE0EEENS1_30default_config_static_selectorELNS0_4arch9wavefront6targetE1EEEvT1_
		.amdhsa_group_segment_fixed_size 0
		.amdhsa_private_segment_fixed_size 0
		.amdhsa_kernarg_size 128
		.amdhsa_user_sgpr_count 6
		.amdhsa_user_sgpr_private_segment_buffer 1
		.amdhsa_user_sgpr_dispatch_ptr 0
		.amdhsa_user_sgpr_queue_ptr 0
		.amdhsa_user_sgpr_kernarg_segment_ptr 1
		.amdhsa_user_sgpr_dispatch_id 0
		.amdhsa_user_sgpr_flat_scratch_init 0
		.amdhsa_user_sgpr_kernarg_preload_length 0
		.amdhsa_user_sgpr_kernarg_preload_offset 0
		.amdhsa_user_sgpr_private_segment_size 0
		.amdhsa_uses_dynamic_stack 0
		.amdhsa_system_sgpr_private_segment_wavefront_offset 0
		.amdhsa_system_sgpr_workgroup_id_x 1
		.amdhsa_system_sgpr_workgroup_id_y 0
		.amdhsa_system_sgpr_workgroup_id_z 0
		.amdhsa_system_sgpr_workgroup_info 0
		.amdhsa_system_vgpr_workitem_id 0
		.amdhsa_next_free_vgpr 1
		.amdhsa_next_free_sgpr 0
		.amdhsa_accum_offset 4
		.amdhsa_reserve_vcc 0
		.amdhsa_reserve_flat_scratch 0
		.amdhsa_float_round_mode_32 0
		.amdhsa_float_round_mode_16_64 0
		.amdhsa_float_denorm_mode_32 3
		.amdhsa_float_denorm_mode_16_64 3
		.amdhsa_dx10_clamp 1
		.amdhsa_ieee_mode 1
		.amdhsa_fp16_overflow 0
		.amdhsa_tg_split 0
		.amdhsa_exception_fp_ieee_invalid_op 0
		.amdhsa_exception_fp_denorm_src 0
		.amdhsa_exception_fp_ieee_div_zero 0
		.amdhsa_exception_fp_ieee_overflow 0
		.amdhsa_exception_fp_ieee_underflow 0
		.amdhsa_exception_fp_ieee_inexact 0
		.amdhsa_exception_int_div_zero 0
	.end_amdhsa_kernel
	.section	.text._ZN7rocprim17ROCPRIM_400000_NS6detail17trampoline_kernelINS0_14default_configENS1_33run_length_encode_config_selectorIfjNS0_4plusIjEEEEZZNS1_33reduce_by_key_impl_wrapped_configILNS1_25lookback_scan_determinismE0ES3_S7_PKfNS0_17constant_iteratorIjlEEPfPlSF_S6_NS0_8equal_toIfEEEE10hipError_tPvRmT2_T3_mT4_T5_T6_T7_T8_P12ihipStream_tbENKUlT_T0_E_clISt17integral_constantIbLb1EESZ_EEDaSU_SV_EUlSU_E_NS1_11comp_targetILNS1_3genE2ELNS1_11target_archE906ELNS1_3gpuE6ELNS1_3repE0EEENS1_30default_config_static_selectorELNS0_4arch9wavefront6targetE1EEEvT1_,"axG",@progbits,_ZN7rocprim17ROCPRIM_400000_NS6detail17trampoline_kernelINS0_14default_configENS1_33run_length_encode_config_selectorIfjNS0_4plusIjEEEEZZNS1_33reduce_by_key_impl_wrapped_configILNS1_25lookback_scan_determinismE0ES3_S7_PKfNS0_17constant_iteratorIjlEEPfPlSF_S6_NS0_8equal_toIfEEEE10hipError_tPvRmT2_T3_mT4_T5_T6_T7_T8_P12ihipStream_tbENKUlT_T0_E_clISt17integral_constantIbLb1EESZ_EEDaSU_SV_EUlSU_E_NS1_11comp_targetILNS1_3genE2ELNS1_11target_archE906ELNS1_3gpuE6ELNS1_3repE0EEENS1_30default_config_static_selectorELNS0_4arch9wavefront6targetE1EEEvT1_,comdat
.Lfunc_end386:
	.size	_ZN7rocprim17ROCPRIM_400000_NS6detail17trampoline_kernelINS0_14default_configENS1_33run_length_encode_config_selectorIfjNS0_4plusIjEEEEZZNS1_33reduce_by_key_impl_wrapped_configILNS1_25lookback_scan_determinismE0ES3_S7_PKfNS0_17constant_iteratorIjlEEPfPlSF_S6_NS0_8equal_toIfEEEE10hipError_tPvRmT2_T3_mT4_T5_T6_T7_T8_P12ihipStream_tbENKUlT_T0_E_clISt17integral_constantIbLb1EESZ_EEDaSU_SV_EUlSU_E_NS1_11comp_targetILNS1_3genE2ELNS1_11target_archE906ELNS1_3gpuE6ELNS1_3repE0EEENS1_30default_config_static_selectorELNS0_4arch9wavefront6targetE1EEEvT1_, .Lfunc_end386-_ZN7rocprim17ROCPRIM_400000_NS6detail17trampoline_kernelINS0_14default_configENS1_33run_length_encode_config_selectorIfjNS0_4plusIjEEEEZZNS1_33reduce_by_key_impl_wrapped_configILNS1_25lookback_scan_determinismE0ES3_S7_PKfNS0_17constant_iteratorIjlEEPfPlSF_S6_NS0_8equal_toIfEEEE10hipError_tPvRmT2_T3_mT4_T5_T6_T7_T8_P12ihipStream_tbENKUlT_T0_E_clISt17integral_constantIbLb1EESZ_EEDaSU_SV_EUlSU_E_NS1_11comp_targetILNS1_3genE2ELNS1_11target_archE906ELNS1_3gpuE6ELNS1_3repE0EEENS1_30default_config_static_selectorELNS0_4arch9wavefront6targetE1EEEvT1_
                                        ; -- End function
	.section	.AMDGPU.csdata,"",@progbits
; Kernel info:
; codeLenInByte = 0
; NumSgprs: 4
; NumVgprs: 0
; NumAgprs: 0
; TotalNumVgprs: 0
; ScratchSize: 0
; MemoryBound: 0
; FloatMode: 240
; IeeeMode: 1
; LDSByteSize: 0 bytes/workgroup (compile time only)
; SGPRBlocks: 0
; VGPRBlocks: 0
; NumSGPRsForWavesPerEU: 4
; NumVGPRsForWavesPerEU: 1
; AccumOffset: 4
; Occupancy: 8
; WaveLimiterHint : 0
; COMPUTE_PGM_RSRC2:SCRATCH_EN: 0
; COMPUTE_PGM_RSRC2:USER_SGPR: 6
; COMPUTE_PGM_RSRC2:TRAP_HANDLER: 0
; COMPUTE_PGM_RSRC2:TGID_X_EN: 1
; COMPUTE_PGM_RSRC2:TGID_Y_EN: 0
; COMPUTE_PGM_RSRC2:TGID_Z_EN: 0
; COMPUTE_PGM_RSRC2:TIDIG_COMP_CNT: 0
; COMPUTE_PGM_RSRC3_GFX90A:ACCUM_OFFSET: 0
; COMPUTE_PGM_RSRC3_GFX90A:TG_SPLIT: 0
	.section	.text._ZN7rocprim17ROCPRIM_400000_NS6detail17trampoline_kernelINS0_14default_configENS1_33run_length_encode_config_selectorIfjNS0_4plusIjEEEEZZNS1_33reduce_by_key_impl_wrapped_configILNS1_25lookback_scan_determinismE0ES3_S7_PKfNS0_17constant_iteratorIjlEEPfPlSF_S6_NS0_8equal_toIfEEEE10hipError_tPvRmT2_T3_mT4_T5_T6_T7_T8_P12ihipStream_tbENKUlT_T0_E_clISt17integral_constantIbLb1EESZ_EEDaSU_SV_EUlSU_E_NS1_11comp_targetILNS1_3genE10ELNS1_11target_archE1201ELNS1_3gpuE5ELNS1_3repE0EEENS1_30default_config_static_selectorELNS0_4arch9wavefront6targetE1EEEvT1_,"axG",@progbits,_ZN7rocprim17ROCPRIM_400000_NS6detail17trampoline_kernelINS0_14default_configENS1_33run_length_encode_config_selectorIfjNS0_4plusIjEEEEZZNS1_33reduce_by_key_impl_wrapped_configILNS1_25lookback_scan_determinismE0ES3_S7_PKfNS0_17constant_iteratorIjlEEPfPlSF_S6_NS0_8equal_toIfEEEE10hipError_tPvRmT2_T3_mT4_T5_T6_T7_T8_P12ihipStream_tbENKUlT_T0_E_clISt17integral_constantIbLb1EESZ_EEDaSU_SV_EUlSU_E_NS1_11comp_targetILNS1_3genE10ELNS1_11target_archE1201ELNS1_3gpuE5ELNS1_3repE0EEENS1_30default_config_static_selectorELNS0_4arch9wavefront6targetE1EEEvT1_,comdat
	.protected	_ZN7rocprim17ROCPRIM_400000_NS6detail17trampoline_kernelINS0_14default_configENS1_33run_length_encode_config_selectorIfjNS0_4plusIjEEEEZZNS1_33reduce_by_key_impl_wrapped_configILNS1_25lookback_scan_determinismE0ES3_S7_PKfNS0_17constant_iteratorIjlEEPfPlSF_S6_NS0_8equal_toIfEEEE10hipError_tPvRmT2_T3_mT4_T5_T6_T7_T8_P12ihipStream_tbENKUlT_T0_E_clISt17integral_constantIbLb1EESZ_EEDaSU_SV_EUlSU_E_NS1_11comp_targetILNS1_3genE10ELNS1_11target_archE1201ELNS1_3gpuE5ELNS1_3repE0EEENS1_30default_config_static_selectorELNS0_4arch9wavefront6targetE1EEEvT1_ ; -- Begin function _ZN7rocprim17ROCPRIM_400000_NS6detail17trampoline_kernelINS0_14default_configENS1_33run_length_encode_config_selectorIfjNS0_4plusIjEEEEZZNS1_33reduce_by_key_impl_wrapped_configILNS1_25lookback_scan_determinismE0ES3_S7_PKfNS0_17constant_iteratorIjlEEPfPlSF_S6_NS0_8equal_toIfEEEE10hipError_tPvRmT2_T3_mT4_T5_T6_T7_T8_P12ihipStream_tbENKUlT_T0_E_clISt17integral_constantIbLb1EESZ_EEDaSU_SV_EUlSU_E_NS1_11comp_targetILNS1_3genE10ELNS1_11target_archE1201ELNS1_3gpuE5ELNS1_3repE0EEENS1_30default_config_static_selectorELNS0_4arch9wavefront6targetE1EEEvT1_
	.globl	_ZN7rocprim17ROCPRIM_400000_NS6detail17trampoline_kernelINS0_14default_configENS1_33run_length_encode_config_selectorIfjNS0_4plusIjEEEEZZNS1_33reduce_by_key_impl_wrapped_configILNS1_25lookback_scan_determinismE0ES3_S7_PKfNS0_17constant_iteratorIjlEEPfPlSF_S6_NS0_8equal_toIfEEEE10hipError_tPvRmT2_T3_mT4_T5_T6_T7_T8_P12ihipStream_tbENKUlT_T0_E_clISt17integral_constantIbLb1EESZ_EEDaSU_SV_EUlSU_E_NS1_11comp_targetILNS1_3genE10ELNS1_11target_archE1201ELNS1_3gpuE5ELNS1_3repE0EEENS1_30default_config_static_selectorELNS0_4arch9wavefront6targetE1EEEvT1_
	.p2align	8
	.type	_ZN7rocprim17ROCPRIM_400000_NS6detail17trampoline_kernelINS0_14default_configENS1_33run_length_encode_config_selectorIfjNS0_4plusIjEEEEZZNS1_33reduce_by_key_impl_wrapped_configILNS1_25lookback_scan_determinismE0ES3_S7_PKfNS0_17constant_iteratorIjlEEPfPlSF_S6_NS0_8equal_toIfEEEE10hipError_tPvRmT2_T3_mT4_T5_T6_T7_T8_P12ihipStream_tbENKUlT_T0_E_clISt17integral_constantIbLb1EESZ_EEDaSU_SV_EUlSU_E_NS1_11comp_targetILNS1_3genE10ELNS1_11target_archE1201ELNS1_3gpuE5ELNS1_3repE0EEENS1_30default_config_static_selectorELNS0_4arch9wavefront6targetE1EEEvT1_,@function
_ZN7rocprim17ROCPRIM_400000_NS6detail17trampoline_kernelINS0_14default_configENS1_33run_length_encode_config_selectorIfjNS0_4plusIjEEEEZZNS1_33reduce_by_key_impl_wrapped_configILNS1_25lookback_scan_determinismE0ES3_S7_PKfNS0_17constant_iteratorIjlEEPfPlSF_S6_NS0_8equal_toIfEEEE10hipError_tPvRmT2_T3_mT4_T5_T6_T7_T8_P12ihipStream_tbENKUlT_T0_E_clISt17integral_constantIbLb1EESZ_EEDaSU_SV_EUlSU_E_NS1_11comp_targetILNS1_3genE10ELNS1_11target_archE1201ELNS1_3gpuE5ELNS1_3repE0EEENS1_30default_config_static_selectorELNS0_4arch9wavefront6targetE1EEEvT1_: ; @_ZN7rocprim17ROCPRIM_400000_NS6detail17trampoline_kernelINS0_14default_configENS1_33run_length_encode_config_selectorIfjNS0_4plusIjEEEEZZNS1_33reduce_by_key_impl_wrapped_configILNS1_25lookback_scan_determinismE0ES3_S7_PKfNS0_17constant_iteratorIjlEEPfPlSF_S6_NS0_8equal_toIfEEEE10hipError_tPvRmT2_T3_mT4_T5_T6_T7_T8_P12ihipStream_tbENKUlT_T0_E_clISt17integral_constantIbLb1EESZ_EEDaSU_SV_EUlSU_E_NS1_11comp_targetILNS1_3genE10ELNS1_11target_archE1201ELNS1_3gpuE5ELNS1_3repE0EEENS1_30default_config_static_selectorELNS0_4arch9wavefront6targetE1EEEvT1_
; %bb.0:
	.section	.rodata,"a",@progbits
	.p2align	6, 0x0
	.amdhsa_kernel _ZN7rocprim17ROCPRIM_400000_NS6detail17trampoline_kernelINS0_14default_configENS1_33run_length_encode_config_selectorIfjNS0_4plusIjEEEEZZNS1_33reduce_by_key_impl_wrapped_configILNS1_25lookback_scan_determinismE0ES3_S7_PKfNS0_17constant_iteratorIjlEEPfPlSF_S6_NS0_8equal_toIfEEEE10hipError_tPvRmT2_T3_mT4_T5_T6_T7_T8_P12ihipStream_tbENKUlT_T0_E_clISt17integral_constantIbLb1EESZ_EEDaSU_SV_EUlSU_E_NS1_11comp_targetILNS1_3genE10ELNS1_11target_archE1201ELNS1_3gpuE5ELNS1_3repE0EEENS1_30default_config_static_selectorELNS0_4arch9wavefront6targetE1EEEvT1_
		.amdhsa_group_segment_fixed_size 0
		.amdhsa_private_segment_fixed_size 0
		.amdhsa_kernarg_size 128
		.amdhsa_user_sgpr_count 6
		.amdhsa_user_sgpr_private_segment_buffer 1
		.amdhsa_user_sgpr_dispatch_ptr 0
		.amdhsa_user_sgpr_queue_ptr 0
		.amdhsa_user_sgpr_kernarg_segment_ptr 1
		.amdhsa_user_sgpr_dispatch_id 0
		.amdhsa_user_sgpr_flat_scratch_init 0
		.amdhsa_user_sgpr_kernarg_preload_length 0
		.amdhsa_user_sgpr_kernarg_preload_offset 0
		.amdhsa_user_sgpr_private_segment_size 0
		.amdhsa_uses_dynamic_stack 0
		.amdhsa_system_sgpr_private_segment_wavefront_offset 0
		.amdhsa_system_sgpr_workgroup_id_x 1
		.amdhsa_system_sgpr_workgroup_id_y 0
		.amdhsa_system_sgpr_workgroup_id_z 0
		.amdhsa_system_sgpr_workgroup_info 0
		.amdhsa_system_vgpr_workitem_id 0
		.amdhsa_next_free_vgpr 1
		.amdhsa_next_free_sgpr 0
		.amdhsa_accum_offset 4
		.amdhsa_reserve_vcc 0
		.amdhsa_reserve_flat_scratch 0
		.amdhsa_float_round_mode_32 0
		.amdhsa_float_round_mode_16_64 0
		.amdhsa_float_denorm_mode_32 3
		.amdhsa_float_denorm_mode_16_64 3
		.amdhsa_dx10_clamp 1
		.amdhsa_ieee_mode 1
		.amdhsa_fp16_overflow 0
		.amdhsa_tg_split 0
		.amdhsa_exception_fp_ieee_invalid_op 0
		.amdhsa_exception_fp_denorm_src 0
		.amdhsa_exception_fp_ieee_div_zero 0
		.amdhsa_exception_fp_ieee_overflow 0
		.amdhsa_exception_fp_ieee_underflow 0
		.amdhsa_exception_fp_ieee_inexact 0
		.amdhsa_exception_int_div_zero 0
	.end_amdhsa_kernel
	.section	.text._ZN7rocprim17ROCPRIM_400000_NS6detail17trampoline_kernelINS0_14default_configENS1_33run_length_encode_config_selectorIfjNS0_4plusIjEEEEZZNS1_33reduce_by_key_impl_wrapped_configILNS1_25lookback_scan_determinismE0ES3_S7_PKfNS0_17constant_iteratorIjlEEPfPlSF_S6_NS0_8equal_toIfEEEE10hipError_tPvRmT2_T3_mT4_T5_T6_T7_T8_P12ihipStream_tbENKUlT_T0_E_clISt17integral_constantIbLb1EESZ_EEDaSU_SV_EUlSU_E_NS1_11comp_targetILNS1_3genE10ELNS1_11target_archE1201ELNS1_3gpuE5ELNS1_3repE0EEENS1_30default_config_static_selectorELNS0_4arch9wavefront6targetE1EEEvT1_,"axG",@progbits,_ZN7rocprim17ROCPRIM_400000_NS6detail17trampoline_kernelINS0_14default_configENS1_33run_length_encode_config_selectorIfjNS0_4plusIjEEEEZZNS1_33reduce_by_key_impl_wrapped_configILNS1_25lookback_scan_determinismE0ES3_S7_PKfNS0_17constant_iteratorIjlEEPfPlSF_S6_NS0_8equal_toIfEEEE10hipError_tPvRmT2_T3_mT4_T5_T6_T7_T8_P12ihipStream_tbENKUlT_T0_E_clISt17integral_constantIbLb1EESZ_EEDaSU_SV_EUlSU_E_NS1_11comp_targetILNS1_3genE10ELNS1_11target_archE1201ELNS1_3gpuE5ELNS1_3repE0EEENS1_30default_config_static_selectorELNS0_4arch9wavefront6targetE1EEEvT1_,comdat
.Lfunc_end387:
	.size	_ZN7rocprim17ROCPRIM_400000_NS6detail17trampoline_kernelINS0_14default_configENS1_33run_length_encode_config_selectorIfjNS0_4plusIjEEEEZZNS1_33reduce_by_key_impl_wrapped_configILNS1_25lookback_scan_determinismE0ES3_S7_PKfNS0_17constant_iteratorIjlEEPfPlSF_S6_NS0_8equal_toIfEEEE10hipError_tPvRmT2_T3_mT4_T5_T6_T7_T8_P12ihipStream_tbENKUlT_T0_E_clISt17integral_constantIbLb1EESZ_EEDaSU_SV_EUlSU_E_NS1_11comp_targetILNS1_3genE10ELNS1_11target_archE1201ELNS1_3gpuE5ELNS1_3repE0EEENS1_30default_config_static_selectorELNS0_4arch9wavefront6targetE1EEEvT1_, .Lfunc_end387-_ZN7rocprim17ROCPRIM_400000_NS6detail17trampoline_kernelINS0_14default_configENS1_33run_length_encode_config_selectorIfjNS0_4plusIjEEEEZZNS1_33reduce_by_key_impl_wrapped_configILNS1_25lookback_scan_determinismE0ES3_S7_PKfNS0_17constant_iteratorIjlEEPfPlSF_S6_NS0_8equal_toIfEEEE10hipError_tPvRmT2_T3_mT4_T5_T6_T7_T8_P12ihipStream_tbENKUlT_T0_E_clISt17integral_constantIbLb1EESZ_EEDaSU_SV_EUlSU_E_NS1_11comp_targetILNS1_3genE10ELNS1_11target_archE1201ELNS1_3gpuE5ELNS1_3repE0EEENS1_30default_config_static_selectorELNS0_4arch9wavefront6targetE1EEEvT1_
                                        ; -- End function
	.section	.AMDGPU.csdata,"",@progbits
; Kernel info:
; codeLenInByte = 0
; NumSgprs: 4
; NumVgprs: 0
; NumAgprs: 0
; TotalNumVgprs: 0
; ScratchSize: 0
; MemoryBound: 0
; FloatMode: 240
; IeeeMode: 1
; LDSByteSize: 0 bytes/workgroup (compile time only)
; SGPRBlocks: 0
; VGPRBlocks: 0
; NumSGPRsForWavesPerEU: 4
; NumVGPRsForWavesPerEU: 1
; AccumOffset: 4
; Occupancy: 8
; WaveLimiterHint : 0
; COMPUTE_PGM_RSRC2:SCRATCH_EN: 0
; COMPUTE_PGM_RSRC2:USER_SGPR: 6
; COMPUTE_PGM_RSRC2:TRAP_HANDLER: 0
; COMPUTE_PGM_RSRC2:TGID_X_EN: 1
; COMPUTE_PGM_RSRC2:TGID_Y_EN: 0
; COMPUTE_PGM_RSRC2:TGID_Z_EN: 0
; COMPUTE_PGM_RSRC2:TIDIG_COMP_CNT: 0
; COMPUTE_PGM_RSRC3_GFX90A:ACCUM_OFFSET: 0
; COMPUTE_PGM_RSRC3_GFX90A:TG_SPLIT: 0
	.section	.text._ZN7rocprim17ROCPRIM_400000_NS6detail17trampoline_kernelINS0_14default_configENS1_33run_length_encode_config_selectorIfjNS0_4plusIjEEEEZZNS1_33reduce_by_key_impl_wrapped_configILNS1_25lookback_scan_determinismE0ES3_S7_PKfNS0_17constant_iteratorIjlEEPfPlSF_S6_NS0_8equal_toIfEEEE10hipError_tPvRmT2_T3_mT4_T5_T6_T7_T8_P12ihipStream_tbENKUlT_T0_E_clISt17integral_constantIbLb1EESZ_EEDaSU_SV_EUlSU_E_NS1_11comp_targetILNS1_3genE10ELNS1_11target_archE1200ELNS1_3gpuE4ELNS1_3repE0EEENS1_30default_config_static_selectorELNS0_4arch9wavefront6targetE1EEEvT1_,"axG",@progbits,_ZN7rocprim17ROCPRIM_400000_NS6detail17trampoline_kernelINS0_14default_configENS1_33run_length_encode_config_selectorIfjNS0_4plusIjEEEEZZNS1_33reduce_by_key_impl_wrapped_configILNS1_25lookback_scan_determinismE0ES3_S7_PKfNS0_17constant_iteratorIjlEEPfPlSF_S6_NS0_8equal_toIfEEEE10hipError_tPvRmT2_T3_mT4_T5_T6_T7_T8_P12ihipStream_tbENKUlT_T0_E_clISt17integral_constantIbLb1EESZ_EEDaSU_SV_EUlSU_E_NS1_11comp_targetILNS1_3genE10ELNS1_11target_archE1200ELNS1_3gpuE4ELNS1_3repE0EEENS1_30default_config_static_selectorELNS0_4arch9wavefront6targetE1EEEvT1_,comdat
	.protected	_ZN7rocprim17ROCPRIM_400000_NS6detail17trampoline_kernelINS0_14default_configENS1_33run_length_encode_config_selectorIfjNS0_4plusIjEEEEZZNS1_33reduce_by_key_impl_wrapped_configILNS1_25lookback_scan_determinismE0ES3_S7_PKfNS0_17constant_iteratorIjlEEPfPlSF_S6_NS0_8equal_toIfEEEE10hipError_tPvRmT2_T3_mT4_T5_T6_T7_T8_P12ihipStream_tbENKUlT_T0_E_clISt17integral_constantIbLb1EESZ_EEDaSU_SV_EUlSU_E_NS1_11comp_targetILNS1_3genE10ELNS1_11target_archE1200ELNS1_3gpuE4ELNS1_3repE0EEENS1_30default_config_static_selectorELNS0_4arch9wavefront6targetE1EEEvT1_ ; -- Begin function _ZN7rocprim17ROCPRIM_400000_NS6detail17trampoline_kernelINS0_14default_configENS1_33run_length_encode_config_selectorIfjNS0_4plusIjEEEEZZNS1_33reduce_by_key_impl_wrapped_configILNS1_25lookback_scan_determinismE0ES3_S7_PKfNS0_17constant_iteratorIjlEEPfPlSF_S6_NS0_8equal_toIfEEEE10hipError_tPvRmT2_T3_mT4_T5_T6_T7_T8_P12ihipStream_tbENKUlT_T0_E_clISt17integral_constantIbLb1EESZ_EEDaSU_SV_EUlSU_E_NS1_11comp_targetILNS1_3genE10ELNS1_11target_archE1200ELNS1_3gpuE4ELNS1_3repE0EEENS1_30default_config_static_selectorELNS0_4arch9wavefront6targetE1EEEvT1_
	.globl	_ZN7rocprim17ROCPRIM_400000_NS6detail17trampoline_kernelINS0_14default_configENS1_33run_length_encode_config_selectorIfjNS0_4plusIjEEEEZZNS1_33reduce_by_key_impl_wrapped_configILNS1_25lookback_scan_determinismE0ES3_S7_PKfNS0_17constant_iteratorIjlEEPfPlSF_S6_NS0_8equal_toIfEEEE10hipError_tPvRmT2_T3_mT4_T5_T6_T7_T8_P12ihipStream_tbENKUlT_T0_E_clISt17integral_constantIbLb1EESZ_EEDaSU_SV_EUlSU_E_NS1_11comp_targetILNS1_3genE10ELNS1_11target_archE1200ELNS1_3gpuE4ELNS1_3repE0EEENS1_30default_config_static_selectorELNS0_4arch9wavefront6targetE1EEEvT1_
	.p2align	8
	.type	_ZN7rocprim17ROCPRIM_400000_NS6detail17trampoline_kernelINS0_14default_configENS1_33run_length_encode_config_selectorIfjNS0_4plusIjEEEEZZNS1_33reduce_by_key_impl_wrapped_configILNS1_25lookback_scan_determinismE0ES3_S7_PKfNS0_17constant_iteratorIjlEEPfPlSF_S6_NS0_8equal_toIfEEEE10hipError_tPvRmT2_T3_mT4_T5_T6_T7_T8_P12ihipStream_tbENKUlT_T0_E_clISt17integral_constantIbLb1EESZ_EEDaSU_SV_EUlSU_E_NS1_11comp_targetILNS1_3genE10ELNS1_11target_archE1200ELNS1_3gpuE4ELNS1_3repE0EEENS1_30default_config_static_selectorELNS0_4arch9wavefront6targetE1EEEvT1_,@function
_ZN7rocprim17ROCPRIM_400000_NS6detail17trampoline_kernelINS0_14default_configENS1_33run_length_encode_config_selectorIfjNS0_4plusIjEEEEZZNS1_33reduce_by_key_impl_wrapped_configILNS1_25lookback_scan_determinismE0ES3_S7_PKfNS0_17constant_iteratorIjlEEPfPlSF_S6_NS0_8equal_toIfEEEE10hipError_tPvRmT2_T3_mT4_T5_T6_T7_T8_P12ihipStream_tbENKUlT_T0_E_clISt17integral_constantIbLb1EESZ_EEDaSU_SV_EUlSU_E_NS1_11comp_targetILNS1_3genE10ELNS1_11target_archE1200ELNS1_3gpuE4ELNS1_3repE0EEENS1_30default_config_static_selectorELNS0_4arch9wavefront6targetE1EEEvT1_: ; @_ZN7rocprim17ROCPRIM_400000_NS6detail17trampoline_kernelINS0_14default_configENS1_33run_length_encode_config_selectorIfjNS0_4plusIjEEEEZZNS1_33reduce_by_key_impl_wrapped_configILNS1_25lookback_scan_determinismE0ES3_S7_PKfNS0_17constant_iteratorIjlEEPfPlSF_S6_NS0_8equal_toIfEEEE10hipError_tPvRmT2_T3_mT4_T5_T6_T7_T8_P12ihipStream_tbENKUlT_T0_E_clISt17integral_constantIbLb1EESZ_EEDaSU_SV_EUlSU_E_NS1_11comp_targetILNS1_3genE10ELNS1_11target_archE1200ELNS1_3gpuE4ELNS1_3repE0EEENS1_30default_config_static_selectorELNS0_4arch9wavefront6targetE1EEEvT1_
; %bb.0:
	.section	.rodata,"a",@progbits
	.p2align	6, 0x0
	.amdhsa_kernel _ZN7rocprim17ROCPRIM_400000_NS6detail17trampoline_kernelINS0_14default_configENS1_33run_length_encode_config_selectorIfjNS0_4plusIjEEEEZZNS1_33reduce_by_key_impl_wrapped_configILNS1_25lookback_scan_determinismE0ES3_S7_PKfNS0_17constant_iteratorIjlEEPfPlSF_S6_NS0_8equal_toIfEEEE10hipError_tPvRmT2_T3_mT4_T5_T6_T7_T8_P12ihipStream_tbENKUlT_T0_E_clISt17integral_constantIbLb1EESZ_EEDaSU_SV_EUlSU_E_NS1_11comp_targetILNS1_3genE10ELNS1_11target_archE1200ELNS1_3gpuE4ELNS1_3repE0EEENS1_30default_config_static_selectorELNS0_4arch9wavefront6targetE1EEEvT1_
		.amdhsa_group_segment_fixed_size 0
		.amdhsa_private_segment_fixed_size 0
		.amdhsa_kernarg_size 128
		.amdhsa_user_sgpr_count 6
		.amdhsa_user_sgpr_private_segment_buffer 1
		.amdhsa_user_sgpr_dispatch_ptr 0
		.amdhsa_user_sgpr_queue_ptr 0
		.amdhsa_user_sgpr_kernarg_segment_ptr 1
		.amdhsa_user_sgpr_dispatch_id 0
		.amdhsa_user_sgpr_flat_scratch_init 0
		.amdhsa_user_sgpr_kernarg_preload_length 0
		.amdhsa_user_sgpr_kernarg_preload_offset 0
		.amdhsa_user_sgpr_private_segment_size 0
		.amdhsa_uses_dynamic_stack 0
		.amdhsa_system_sgpr_private_segment_wavefront_offset 0
		.amdhsa_system_sgpr_workgroup_id_x 1
		.amdhsa_system_sgpr_workgroup_id_y 0
		.amdhsa_system_sgpr_workgroup_id_z 0
		.amdhsa_system_sgpr_workgroup_info 0
		.amdhsa_system_vgpr_workitem_id 0
		.amdhsa_next_free_vgpr 1
		.amdhsa_next_free_sgpr 0
		.amdhsa_accum_offset 4
		.amdhsa_reserve_vcc 0
		.amdhsa_reserve_flat_scratch 0
		.amdhsa_float_round_mode_32 0
		.amdhsa_float_round_mode_16_64 0
		.amdhsa_float_denorm_mode_32 3
		.amdhsa_float_denorm_mode_16_64 3
		.amdhsa_dx10_clamp 1
		.amdhsa_ieee_mode 1
		.amdhsa_fp16_overflow 0
		.amdhsa_tg_split 0
		.amdhsa_exception_fp_ieee_invalid_op 0
		.amdhsa_exception_fp_denorm_src 0
		.amdhsa_exception_fp_ieee_div_zero 0
		.amdhsa_exception_fp_ieee_overflow 0
		.amdhsa_exception_fp_ieee_underflow 0
		.amdhsa_exception_fp_ieee_inexact 0
		.amdhsa_exception_int_div_zero 0
	.end_amdhsa_kernel
	.section	.text._ZN7rocprim17ROCPRIM_400000_NS6detail17trampoline_kernelINS0_14default_configENS1_33run_length_encode_config_selectorIfjNS0_4plusIjEEEEZZNS1_33reduce_by_key_impl_wrapped_configILNS1_25lookback_scan_determinismE0ES3_S7_PKfNS0_17constant_iteratorIjlEEPfPlSF_S6_NS0_8equal_toIfEEEE10hipError_tPvRmT2_T3_mT4_T5_T6_T7_T8_P12ihipStream_tbENKUlT_T0_E_clISt17integral_constantIbLb1EESZ_EEDaSU_SV_EUlSU_E_NS1_11comp_targetILNS1_3genE10ELNS1_11target_archE1200ELNS1_3gpuE4ELNS1_3repE0EEENS1_30default_config_static_selectorELNS0_4arch9wavefront6targetE1EEEvT1_,"axG",@progbits,_ZN7rocprim17ROCPRIM_400000_NS6detail17trampoline_kernelINS0_14default_configENS1_33run_length_encode_config_selectorIfjNS0_4plusIjEEEEZZNS1_33reduce_by_key_impl_wrapped_configILNS1_25lookback_scan_determinismE0ES3_S7_PKfNS0_17constant_iteratorIjlEEPfPlSF_S6_NS0_8equal_toIfEEEE10hipError_tPvRmT2_T3_mT4_T5_T6_T7_T8_P12ihipStream_tbENKUlT_T0_E_clISt17integral_constantIbLb1EESZ_EEDaSU_SV_EUlSU_E_NS1_11comp_targetILNS1_3genE10ELNS1_11target_archE1200ELNS1_3gpuE4ELNS1_3repE0EEENS1_30default_config_static_selectorELNS0_4arch9wavefront6targetE1EEEvT1_,comdat
.Lfunc_end388:
	.size	_ZN7rocprim17ROCPRIM_400000_NS6detail17trampoline_kernelINS0_14default_configENS1_33run_length_encode_config_selectorIfjNS0_4plusIjEEEEZZNS1_33reduce_by_key_impl_wrapped_configILNS1_25lookback_scan_determinismE0ES3_S7_PKfNS0_17constant_iteratorIjlEEPfPlSF_S6_NS0_8equal_toIfEEEE10hipError_tPvRmT2_T3_mT4_T5_T6_T7_T8_P12ihipStream_tbENKUlT_T0_E_clISt17integral_constantIbLb1EESZ_EEDaSU_SV_EUlSU_E_NS1_11comp_targetILNS1_3genE10ELNS1_11target_archE1200ELNS1_3gpuE4ELNS1_3repE0EEENS1_30default_config_static_selectorELNS0_4arch9wavefront6targetE1EEEvT1_, .Lfunc_end388-_ZN7rocprim17ROCPRIM_400000_NS6detail17trampoline_kernelINS0_14default_configENS1_33run_length_encode_config_selectorIfjNS0_4plusIjEEEEZZNS1_33reduce_by_key_impl_wrapped_configILNS1_25lookback_scan_determinismE0ES3_S7_PKfNS0_17constant_iteratorIjlEEPfPlSF_S6_NS0_8equal_toIfEEEE10hipError_tPvRmT2_T3_mT4_T5_T6_T7_T8_P12ihipStream_tbENKUlT_T0_E_clISt17integral_constantIbLb1EESZ_EEDaSU_SV_EUlSU_E_NS1_11comp_targetILNS1_3genE10ELNS1_11target_archE1200ELNS1_3gpuE4ELNS1_3repE0EEENS1_30default_config_static_selectorELNS0_4arch9wavefront6targetE1EEEvT1_
                                        ; -- End function
	.section	.AMDGPU.csdata,"",@progbits
; Kernel info:
; codeLenInByte = 0
; NumSgprs: 4
; NumVgprs: 0
; NumAgprs: 0
; TotalNumVgprs: 0
; ScratchSize: 0
; MemoryBound: 0
; FloatMode: 240
; IeeeMode: 1
; LDSByteSize: 0 bytes/workgroup (compile time only)
; SGPRBlocks: 0
; VGPRBlocks: 0
; NumSGPRsForWavesPerEU: 4
; NumVGPRsForWavesPerEU: 1
; AccumOffset: 4
; Occupancy: 8
; WaveLimiterHint : 0
; COMPUTE_PGM_RSRC2:SCRATCH_EN: 0
; COMPUTE_PGM_RSRC2:USER_SGPR: 6
; COMPUTE_PGM_RSRC2:TRAP_HANDLER: 0
; COMPUTE_PGM_RSRC2:TGID_X_EN: 1
; COMPUTE_PGM_RSRC2:TGID_Y_EN: 0
; COMPUTE_PGM_RSRC2:TGID_Z_EN: 0
; COMPUTE_PGM_RSRC2:TIDIG_COMP_CNT: 0
; COMPUTE_PGM_RSRC3_GFX90A:ACCUM_OFFSET: 0
; COMPUTE_PGM_RSRC3_GFX90A:TG_SPLIT: 0
	.section	.text._ZN7rocprim17ROCPRIM_400000_NS6detail17trampoline_kernelINS0_14default_configENS1_33run_length_encode_config_selectorIfjNS0_4plusIjEEEEZZNS1_33reduce_by_key_impl_wrapped_configILNS1_25lookback_scan_determinismE0ES3_S7_PKfNS0_17constant_iteratorIjlEEPfPlSF_S6_NS0_8equal_toIfEEEE10hipError_tPvRmT2_T3_mT4_T5_T6_T7_T8_P12ihipStream_tbENKUlT_T0_E_clISt17integral_constantIbLb1EESZ_EEDaSU_SV_EUlSU_E_NS1_11comp_targetILNS1_3genE9ELNS1_11target_archE1100ELNS1_3gpuE3ELNS1_3repE0EEENS1_30default_config_static_selectorELNS0_4arch9wavefront6targetE1EEEvT1_,"axG",@progbits,_ZN7rocprim17ROCPRIM_400000_NS6detail17trampoline_kernelINS0_14default_configENS1_33run_length_encode_config_selectorIfjNS0_4plusIjEEEEZZNS1_33reduce_by_key_impl_wrapped_configILNS1_25lookback_scan_determinismE0ES3_S7_PKfNS0_17constant_iteratorIjlEEPfPlSF_S6_NS0_8equal_toIfEEEE10hipError_tPvRmT2_T3_mT4_T5_T6_T7_T8_P12ihipStream_tbENKUlT_T0_E_clISt17integral_constantIbLb1EESZ_EEDaSU_SV_EUlSU_E_NS1_11comp_targetILNS1_3genE9ELNS1_11target_archE1100ELNS1_3gpuE3ELNS1_3repE0EEENS1_30default_config_static_selectorELNS0_4arch9wavefront6targetE1EEEvT1_,comdat
	.protected	_ZN7rocprim17ROCPRIM_400000_NS6detail17trampoline_kernelINS0_14default_configENS1_33run_length_encode_config_selectorIfjNS0_4plusIjEEEEZZNS1_33reduce_by_key_impl_wrapped_configILNS1_25lookback_scan_determinismE0ES3_S7_PKfNS0_17constant_iteratorIjlEEPfPlSF_S6_NS0_8equal_toIfEEEE10hipError_tPvRmT2_T3_mT4_T5_T6_T7_T8_P12ihipStream_tbENKUlT_T0_E_clISt17integral_constantIbLb1EESZ_EEDaSU_SV_EUlSU_E_NS1_11comp_targetILNS1_3genE9ELNS1_11target_archE1100ELNS1_3gpuE3ELNS1_3repE0EEENS1_30default_config_static_selectorELNS0_4arch9wavefront6targetE1EEEvT1_ ; -- Begin function _ZN7rocprim17ROCPRIM_400000_NS6detail17trampoline_kernelINS0_14default_configENS1_33run_length_encode_config_selectorIfjNS0_4plusIjEEEEZZNS1_33reduce_by_key_impl_wrapped_configILNS1_25lookback_scan_determinismE0ES3_S7_PKfNS0_17constant_iteratorIjlEEPfPlSF_S6_NS0_8equal_toIfEEEE10hipError_tPvRmT2_T3_mT4_T5_T6_T7_T8_P12ihipStream_tbENKUlT_T0_E_clISt17integral_constantIbLb1EESZ_EEDaSU_SV_EUlSU_E_NS1_11comp_targetILNS1_3genE9ELNS1_11target_archE1100ELNS1_3gpuE3ELNS1_3repE0EEENS1_30default_config_static_selectorELNS0_4arch9wavefront6targetE1EEEvT1_
	.globl	_ZN7rocprim17ROCPRIM_400000_NS6detail17trampoline_kernelINS0_14default_configENS1_33run_length_encode_config_selectorIfjNS0_4plusIjEEEEZZNS1_33reduce_by_key_impl_wrapped_configILNS1_25lookback_scan_determinismE0ES3_S7_PKfNS0_17constant_iteratorIjlEEPfPlSF_S6_NS0_8equal_toIfEEEE10hipError_tPvRmT2_T3_mT4_T5_T6_T7_T8_P12ihipStream_tbENKUlT_T0_E_clISt17integral_constantIbLb1EESZ_EEDaSU_SV_EUlSU_E_NS1_11comp_targetILNS1_3genE9ELNS1_11target_archE1100ELNS1_3gpuE3ELNS1_3repE0EEENS1_30default_config_static_selectorELNS0_4arch9wavefront6targetE1EEEvT1_
	.p2align	8
	.type	_ZN7rocprim17ROCPRIM_400000_NS6detail17trampoline_kernelINS0_14default_configENS1_33run_length_encode_config_selectorIfjNS0_4plusIjEEEEZZNS1_33reduce_by_key_impl_wrapped_configILNS1_25lookback_scan_determinismE0ES3_S7_PKfNS0_17constant_iteratorIjlEEPfPlSF_S6_NS0_8equal_toIfEEEE10hipError_tPvRmT2_T3_mT4_T5_T6_T7_T8_P12ihipStream_tbENKUlT_T0_E_clISt17integral_constantIbLb1EESZ_EEDaSU_SV_EUlSU_E_NS1_11comp_targetILNS1_3genE9ELNS1_11target_archE1100ELNS1_3gpuE3ELNS1_3repE0EEENS1_30default_config_static_selectorELNS0_4arch9wavefront6targetE1EEEvT1_,@function
_ZN7rocprim17ROCPRIM_400000_NS6detail17trampoline_kernelINS0_14default_configENS1_33run_length_encode_config_selectorIfjNS0_4plusIjEEEEZZNS1_33reduce_by_key_impl_wrapped_configILNS1_25lookback_scan_determinismE0ES3_S7_PKfNS0_17constant_iteratorIjlEEPfPlSF_S6_NS0_8equal_toIfEEEE10hipError_tPvRmT2_T3_mT4_T5_T6_T7_T8_P12ihipStream_tbENKUlT_T0_E_clISt17integral_constantIbLb1EESZ_EEDaSU_SV_EUlSU_E_NS1_11comp_targetILNS1_3genE9ELNS1_11target_archE1100ELNS1_3gpuE3ELNS1_3repE0EEENS1_30default_config_static_selectorELNS0_4arch9wavefront6targetE1EEEvT1_: ; @_ZN7rocprim17ROCPRIM_400000_NS6detail17trampoline_kernelINS0_14default_configENS1_33run_length_encode_config_selectorIfjNS0_4plusIjEEEEZZNS1_33reduce_by_key_impl_wrapped_configILNS1_25lookback_scan_determinismE0ES3_S7_PKfNS0_17constant_iteratorIjlEEPfPlSF_S6_NS0_8equal_toIfEEEE10hipError_tPvRmT2_T3_mT4_T5_T6_T7_T8_P12ihipStream_tbENKUlT_T0_E_clISt17integral_constantIbLb1EESZ_EEDaSU_SV_EUlSU_E_NS1_11comp_targetILNS1_3genE9ELNS1_11target_archE1100ELNS1_3gpuE3ELNS1_3repE0EEENS1_30default_config_static_selectorELNS0_4arch9wavefront6targetE1EEEvT1_
; %bb.0:
	.section	.rodata,"a",@progbits
	.p2align	6, 0x0
	.amdhsa_kernel _ZN7rocprim17ROCPRIM_400000_NS6detail17trampoline_kernelINS0_14default_configENS1_33run_length_encode_config_selectorIfjNS0_4plusIjEEEEZZNS1_33reduce_by_key_impl_wrapped_configILNS1_25lookback_scan_determinismE0ES3_S7_PKfNS0_17constant_iteratorIjlEEPfPlSF_S6_NS0_8equal_toIfEEEE10hipError_tPvRmT2_T3_mT4_T5_T6_T7_T8_P12ihipStream_tbENKUlT_T0_E_clISt17integral_constantIbLb1EESZ_EEDaSU_SV_EUlSU_E_NS1_11comp_targetILNS1_3genE9ELNS1_11target_archE1100ELNS1_3gpuE3ELNS1_3repE0EEENS1_30default_config_static_selectorELNS0_4arch9wavefront6targetE1EEEvT1_
		.amdhsa_group_segment_fixed_size 0
		.amdhsa_private_segment_fixed_size 0
		.amdhsa_kernarg_size 128
		.amdhsa_user_sgpr_count 6
		.amdhsa_user_sgpr_private_segment_buffer 1
		.amdhsa_user_sgpr_dispatch_ptr 0
		.amdhsa_user_sgpr_queue_ptr 0
		.amdhsa_user_sgpr_kernarg_segment_ptr 1
		.amdhsa_user_sgpr_dispatch_id 0
		.amdhsa_user_sgpr_flat_scratch_init 0
		.amdhsa_user_sgpr_kernarg_preload_length 0
		.amdhsa_user_sgpr_kernarg_preload_offset 0
		.amdhsa_user_sgpr_private_segment_size 0
		.amdhsa_uses_dynamic_stack 0
		.amdhsa_system_sgpr_private_segment_wavefront_offset 0
		.amdhsa_system_sgpr_workgroup_id_x 1
		.amdhsa_system_sgpr_workgroup_id_y 0
		.amdhsa_system_sgpr_workgroup_id_z 0
		.amdhsa_system_sgpr_workgroup_info 0
		.amdhsa_system_vgpr_workitem_id 0
		.amdhsa_next_free_vgpr 1
		.amdhsa_next_free_sgpr 0
		.amdhsa_accum_offset 4
		.amdhsa_reserve_vcc 0
		.amdhsa_reserve_flat_scratch 0
		.amdhsa_float_round_mode_32 0
		.amdhsa_float_round_mode_16_64 0
		.amdhsa_float_denorm_mode_32 3
		.amdhsa_float_denorm_mode_16_64 3
		.amdhsa_dx10_clamp 1
		.amdhsa_ieee_mode 1
		.amdhsa_fp16_overflow 0
		.amdhsa_tg_split 0
		.amdhsa_exception_fp_ieee_invalid_op 0
		.amdhsa_exception_fp_denorm_src 0
		.amdhsa_exception_fp_ieee_div_zero 0
		.amdhsa_exception_fp_ieee_overflow 0
		.amdhsa_exception_fp_ieee_underflow 0
		.amdhsa_exception_fp_ieee_inexact 0
		.amdhsa_exception_int_div_zero 0
	.end_amdhsa_kernel
	.section	.text._ZN7rocprim17ROCPRIM_400000_NS6detail17trampoline_kernelINS0_14default_configENS1_33run_length_encode_config_selectorIfjNS0_4plusIjEEEEZZNS1_33reduce_by_key_impl_wrapped_configILNS1_25lookback_scan_determinismE0ES3_S7_PKfNS0_17constant_iteratorIjlEEPfPlSF_S6_NS0_8equal_toIfEEEE10hipError_tPvRmT2_T3_mT4_T5_T6_T7_T8_P12ihipStream_tbENKUlT_T0_E_clISt17integral_constantIbLb1EESZ_EEDaSU_SV_EUlSU_E_NS1_11comp_targetILNS1_3genE9ELNS1_11target_archE1100ELNS1_3gpuE3ELNS1_3repE0EEENS1_30default_config_static_selectorELNS0_4arch9wavefront6targetE1EEEvT1_,"axG",@progbits,_ZN7rocprim17ROCPRIM_400000_NS6detail17trampoline_kernelINS0_14default_configENS1_33run_length_encode_config_selectorIfjNS0_4plusIjEEEEZZNS1_33reduce_by_key_impl_wrapped_configILNS1_25lookback_scan_determinismE0ES3_S7_PKfNS0_17constant_iteratorIjlEEPfPlSF_S6_NS0_8equal_toIfEEEE10hipError_tPvRmT2_T3_mT4_T5_T6_T7_T8_P12ihipStream_tbENKUlT_T0_E_clISt17integral_constantIbLb1EESZ_EEDaSU_SV_EUlSU_E_NS1_11comp_targetILNS1_3genE9ELNS1_11target_archE1100ELNS1_3gpuE3ELNS1_3repE0EEENS1_30default_config_static_selectorELNS0_4arch9wavefront6targetE1EEEvT1_,comdat
.Lfunc_end389:
	.size	_ZN7rocprim17ROCPRIM_400000_NS6detail17trampoline_kernelINS0_14default_configENS1_33run_length_encode_config_selectorIfjNS0_4plusIjEEEEZZNS1_33reduce_by_key_impl_wrapped_configILNS1_25lookback_scan_determinismE0ES3_S7_PKfNS0_17constant_iteratorIjlEEPfPlSF_S6_NS0_8equal_toIfEEEE10hipError_tPvRmT2_T3_mT4_T5_T6_T7_T8_P12ihipStream_tbENKUlT_T0_E_clISt17integral_constantIbLb1EESZ_EEDaSU_SV_EUlSU_E_NS1_11comp_targetILNS1_3genE9ELNS1_11target_archE1100ELNS1_3gpuE3ELNS1_3repE0EEENS1_30default_config_static_selectorELNS0_4arch9wavefront6targetE1EEEvT1_, .Lfunc_end389-_ZN7rocprim17ROCPRIM_400000_NS6detail17trampoline_kernelINS0_14default_configENS1_33run_length_encode_config_selectorIfjNS0_4plusIjEEEEZZNS1_33reduce_by_key_impl_wrapped_configILNS1_25lookback_scan_determinismE0ES3_S7_PKfNS0_17constant_iteratorIjlEEPfPlSF_S6_NS0_8equal_toIfEEEE10hipError_tPvRmT2_T3_mT4_T5_T6_T7_T8_P12ihipStream_tbENKUlT_T0_E_clISt17integral_constantIbLb1EESZ_EEDaSU_SV_EUlSU_E_NS1_11comp_targetILNS1_3genE9ELNS1_11target_archE1100ELNS1_3gpuE3ELNS1_3repE0EEENS1_30default_config_static_selectorELNS0_4arch9wavefront6targetE1EEEvT1_
                                        ; -- End function
	.section	.AMDGPU.csdata,"",@progbits
; Kernel info:
; codeLenInByte = 0
; NumSgprs: 4
; NumVgprs: 0
; NumAgprs: 0
; TotalNumVgprs: 0
; ScratchSize: 0
; MemoryBound: 0
; FloatMode: 240
; IeeeMode: 1
; LDSByteSize: 0 bytes/workgroup (compile time only)
; SGPRBlocks: 0
; VGPRBlocks: 0
; NumSGPRsForWavesPerEU: 4
; NumVGPRsForWavesPerEU: 1
; AccumOffset: 4
; Occupancy: 8
; WaveLimiterHint : 0
; COMPUTE_PGM_RSRC2:SCRATCH_EN: 0
; COMPUTE_PGM_RSRC2:USER_SGPR: 6
; COMPUTE_PGM_RSRC2:TRAP_HANDLER: 0
; COMPUTE_PGM_RSRC2:TGID_X_EN: 1
; COMPUTE_PGM_RSRC2:TGID_Y_EN: 0
; COMPUTE_PGM_RSRC2:TGID_Z_EN: 0
; COMPUTE_PGM_RSRC2:TIDIG_COMP_CNT: 0
; COMPUTE_PGM_RSRC3_GFX90A:ACCUM_OFFSET: 0
; COMPUTE_PGM_RSRC3_GFX90A:TG_SPLIT: 0
	.section	.text._ZN7rocprim17ROCPRIM_400000_NS6detail17trampoline_kernelINS0_14default_configENS1_33run_length_encode_config_selectorIfjNS0_4plusIjEEEEZZNS1_33reduce_by_key_impl_wrapped_configILNS1_25lookback_scan_determinismE0ES3_S7_PKfNS0_17constant_iteratorIjlEEPfPlSF_S6_NS0_8equal_toIfEEEE10hipError_tPvRmT2_T3_mT4_T5_T6_T7_T8_P12ihipStream_tbENKUlT_T0_E_clISt17integral_constantIbLb1EESZ_EEDaSU_SV_EUlSU_E_NS1_11comp_targetILNS1_3genE8ELNS1_11target_archE1030ELNS1_3gpuE2ELNS1_3repE0EEENS1_30default_config_static_selectorELNS0_4arch9wavefront6targetE1EEEvT1_,"axG",@progbits,_ZN7rocprim17ROCPRIM_400000_NS6detail17trampoline_kernelINS0_14default_configENS1_33run_length_encode_config_selectorIfjNS0_4plusIjEEEEZZNS1_33reduce_by_key_impl_wrapped_configILNS1_25lookback_scan_determinismE0ES3_S7_PKfNS0_17constant_iteratorIjlEEPfPlSF_S6_NS0_8equal_toIfEEEE10hipError_tPvRmT2_T3_mT4_T5_T6_T7_T8_P12ihipStream_tbENKUlT_T0_E_clISt17integral_constantIbLb1EESZ_EEDaSU_SV_EUlSU_E_NS1_11comp_targetILNS1_3genE8ELNS1_11target_archE1030ELNS1_3gpuE2ELNS1_3repE0EEENS1_30default_config_static_selectorELNS0_4arch9wavefront6targetE1EEEvT1_,comdat
	.protected	_ZN7rocprim17ROCPRIM_400000_NS6detail17trampoline_kernelINS0_14default_configENS1_33run_length_encode_config_selectorIfjNS0_4plusIjEEEEZZNS1_33reduce_by_key_impl_wrapped_configILNS1_25lookback_scan_determinismE0ES3_S7_PKfNS0_17constant_iteratorIjlEEPfPlSF_S6_NS0_8equal_toIfEEEE10hipError_tPvRmT2_T3_mT4_T5_T6_T7_T8_P12ihipStream_tbENKUlT_T0_E_clISt17integral_constantIbLb1EESZ_EEDaSU_SV_EUlSU_E_NS1_11comp_targetILNS1_3genE8ELNS1_11target_archE1030ELNS1_3gpuE2ELNS1_3repE0EEENS1_30default_config_static_selectorELNS0_4arch9wavefront6targetE1EEEvT1_ ; -- Begin function _ZN7rocprim17ROCPRIM_400000_NS6detail17trampoline_kernelINS0_14default_configENS1_33run_length_encode_config_selectorIfjNS0_4plusIjEEEEZZNS1_33reduce_by_key_impl_wrapped_configILNS1_25lookback_scan_determinismE0ES3_S7_PKfNS0_17constant_iteratorIjlEEPfPlSF_S6_NS0_8equal_toIfEEEE10hipError_tPvRmT2_T3_mT4_T5_T6_T7_T8_P12ihipStream_tbENKUlT_T0_E_clISt17integral_constantIbLb1EESZ_EEDaSU_SV_EUlSU_E_NS1_11comp_targetILNS1_3genE8ELNS1_11target_archE1030ELNS1_3gpuE2ELNS1_3repE0EEENS1_30default_config_static_selectorELNS0_4arch9wavefront6targetE1EEEvT1_
	.globl	_ZN7rocprim17ROCPRIM_400000_NS6detail17trampoline_kernelINS0_14default_configENS1_33run_length_encode_config_selectorIfjNS0_4plusIjEEEEZZNS1_33reduce_by_key_impl_wrapped_configILNS1_25lookback_scan_determinismE0ES3_S7_PKfNS0_17constant_iteratorIjlEEPfPlSF_S6_NS0_8equal_toIfEEEE10hipError_tPvRmT2_T3_mT4_T5_T6_T7_T8_P12ihipStream_tbENKUlT_T0_E_clISt17integral_constantIbLb1EESZ_EEDaSU_SV_EUlSU_E_NS1_11comp_targetILNS1_3genE8ELNS1_11target_archE1030ELNS1_3gpuE2ELNS1_3repE0EEENS1_30default_config_static_selectorELNS0_4arch9wavefront6targetE1EEEvT1_
	.p2align	8
	.type	_ZN7rocprim17ROCPRIM_400000_NS6detail17trampoline_kernelINS0_14default_configENS1_33run_length_encode_config_selectorIfjNS0_4plusIjEEEEZZNS1_33reduce_by_key_impl_wrapped_configILNS1_25lookback_scan_determinismE0ES3_S7_PKfNS0_17constant_iteratorIjlEEPfPlSF_S6_NS0_8equal_toIfEEEE10hipError_tPvRmT2_T3_mT4_T5_T6_T7_T8_P12ihipStream_tbENKUlT_T0_E_clISt17integral_constantIbLb1EESZ_EEDaSU_SV_EUlSU_E_NS1_11comp_targetILNS1_3genE8ELNS1_11target_archE1030ELNS1_3gpuE2ELNS1_3repE0EEENS1_30default_config_static_selectorELNS0_4arch9wavefront6targetE1EEEvT1_,@function
_ZN7rocprim17ROCPRIM_400000_NS6detail17trampoline_kernelINS0_14default_configENS1_33run_length_encode_config_selectorIfjNS0_4plusIjEEEEZZNS1_33reduce_by_key_impl_wrapped_configILNS1_25lookback_scan_determinismE0ES3_S7_PKfNS0_17constant_iteratorIjlEEPfPlSF_S6_NS0_8equal_toIfEEEE10hipError_tPvRmT2_T3_mT4_T5_T6_T7_T8_P12ihipStream_tbENKUlT_T0_E_clISt17integral_constantIbLb1EESZ_EEDaSU_SV_EUlSU_E_NS1_11comp_targetILNS1_3genE8ELNS1_11target_archE1030ELNS1_3gpuE2ELNS1_3repE0EEENS1_30default_config_static_selectorELNS0_4arch9wavefront6targetE1EEEvT1_: ; @_ZN7rocprim17ROCPRIM_400000_NS6detail17trampoline_kernelINS0_14default_configENS1_33run_length_encode_config_selectorIfjNS0_4plusIjEEEEZZNS1_33reduce_by_key_impl_wrapped_configILNS1_25lookback_scan_determinismE0ES3_S7_PKfNS0_17constant_iteratorIjlEEPfPlSF_S6_NS0_8equal_toIfEEEE10hipError_tPvRmT2_T3_mT4_T5_T6_T7_T8_P12ihipStream_tbENKUlT_T0_E_clISt17integral_constantIbLb1EESZ_EEDaSU_SV_EUlSU_E_NS1_11comp_targetILNS1_3genE8ELNS1_11target_archE1030ELNS1_3gpuE2ELNS1_3repE0EEENS1_30default_config_static_selectorELNS0_4arch9wavefront6targetE1EEEvT1_
; %bb.0:
	.section	.rodata,"a",@progbits
	.p2align	6, 0x0
	.amdhsa_kernel _ZN7rocprim17ROCPRIM_400000_NS6detail17trampoline_kernelINS0_14default_configENS1_33run_length_encode_config_selectorIfjNS0_4plusIjEEEEZZNS1_33reduce_by_key_impl_wrapped_configILNS1_25lookback_scan_determinismE0ES3_S7_PKfNS0_17constant_iteratorIjlEEPfPlSF_S6_NS0_8equal_toIfEEEE10hipError_tPvRmT2_T3_mT4_T5_T6_T7_T8_P12ihipStream_tbENKUlT_T0_E_clISt17integral_constantIbLb1EESZ_EEDaSU_SV_EUlSU_E_NS1_11comp_targetILNS1_3genE8ELNS1_11target_archE1030ELNS1_3gpuE2ELNS1_3repE0EEENS1_30default_config_static_selectorELNS0_4arch9wavefront6targetE1EEEvT1_
		.amdhsa_group_segment_fixed_size 0
		.amdhsa_private_segment_fixed_size 0
		.amdhsa_kernarg_size 128
		.amdhsa_user_sgpr_count 6
		.amdhsa_user_sgpr_private_segment_buffer 1
		.amdhsa_user_sgpr_dispatch_ptr 0
		.amdhsa_user_sgpr_queue_ptr 0
		.amdhsa_user_sgpr_kernarg_segment_ptr 1
		.amdhsa_user_sgpr_dispatch_id 0
		.amdhsa_user_sgpr_flat_scratch_init 0
		.amdhsa_user_sgpr_kernarg_preload_length 0
		.amdhsa_user_sgpr_kernarg_preload_offset 0
		.amdhsa_user_sgpr_private_segment_size 0
		.amdhsa_uses_dynamic_stack 0
		.amdhsa_system_sgpr_private_segment_wavefront_offset 0
		.amdhsa_system_sgpr_workgroup_id_x 1
		.amdhsa_system_sgpr_workgroup_id_y 0
		.amdhsa_system_sgpr_workgroup_id_z 0
		.amdhsa_system_sgpr_workgroup_info 0
		.amdhsa_system_vgpr_workitem_id 0
		.amdhsa_next_free_vgpr 1
		.amdhsa_next_free_sgpr 0
		.amdhsa_accum_offset 4
		.amdhsa_reserve_vcc 0
		.amdhsa_reserve_flat_scratch 0
		.amdhsa_float_round_mode_32 0
		.amdhsa_float_round_mode_16_64 0
		.amdhsa_float_denorm_mode_32 3
		.amdhsa_float_denorm_mode_16_64 3
		.amdhsa_dx10_clamp 1
		.amdhsa_ieee_mode 1
		.amdhsa_fp16_overflow 0
		.amdhsa_tg_split 0
		.amdhsa_exception_fp_ieee_invalid_op 0
		.amdhsa_exception_fp_denorm_src 0
		.amdhsa_exception_fp_ieee_div_zero 0
		.amdhsa_exception_fp_ieee_overflow 0
		.amdhsa_exception_fp_ieee_underflow 0
		.amdhsa_exception_fp_ieee_inexact 0
		.amdhsa_exception_int_div_zero 0
	.end_amdhsa_kernel
	.section	.text._ZN7rocprim17ROCPRIM_400000_NS6detail17trampoline_kernelINS0_14default_configENS1_33run_length_encode_config_selectorIfjNS0_4plusIjEEEEZZNS1_33reduce_by_key_impl_wrapped_configILNS1_25lookback_scan_determinismE0ES3_S7_PKfNS0_17constant_iteratorIjlEEPfPlSF_S6_NS0_8equal_toIfEEEE10hipError_tPvRmT2_T3_mT4_T5_T6_T7_T8_P12ihipStream_tbENKUlT_T0_E_clISt17integral_constantIbLb1EESZ_EEDaSU_SV_EUlSU_E_NS1_11comp_targetILNS1_3genE8ELNS1_11target_archE1030ELNS1_3gpuE2ELNS1_3repE0EEENS1_30default_config_static_selectorELNS0_4arch9wavefront6targetE1EEEvT1_,"axG",@progbits,_ZN7rocprim17ROCPRIM_400000_NS6detail17trampoline_kernelINS0_14default_configENS1_33run_length_encode_config_selectorIfjNS0_4plusIjEEEEZZNS1_33reduce_by_key_impl_wrapped_configILNS1_25lookback_scan_determinismE0ES3_S7_PKfNS0_17constant_iteratorIjlEEPfPlSF_S6_NS0_8equal_toIfEEEE10hipError_tPvRmT2_T3_mT4_T5_T6_T7_T8_P12ihipStream_tbENKUlT_T0_E_clISt17integral_constantIbLb1EESZ_EEDaSU_SV_EUlSU_E_NS1_11comp_targetILNS1_3genE8ELNS1_11target_archE1030ELNS1_3gpuE2ELNS1_3repE0EEENS1_30default_config_static_selectorELNS0_4arch9wavefront6targetE1EEEvT1_,comdat
.Lfunc_end390:
	.size	_ZN7rocprim17ROCPRIM_400000_NS6detail17trampoline_kernelINS0_14default_configENS1_33run_length_encode_config_selectorIfjNS0_4plusIjEEEEZZNS1_33reduce_by_key_impl_wrapped_configILNS1_25lookback_scan_determinismE0ES3_S7_PKfNS0_17constant_iteratorIjlEEPfPlSF_S6_NS0_8equal_toIfEEEE10hipError_tPvRmT2_T3_mT4_T5_T6_T7_T8_P12ihipStream_tbENKUlT_T0_E_clISt17integral_constantIbLb1EESZ_EEDaSU_SV_EUlSU_E_NS1_11comp_targetILNS1_3genE8ELNS1_11target_archE1030ELNS1_3gpuE2ELNS1_3repE0EEENS1_30default_config_static_selectorELNS0_4arch9wavefront6targetE1EEEvT1_, .Lfunc_end390-_ZN7rocprim17ROCPRIM_400000_NS6detail17trampoline_kernelINS0_14default_configENS1_33run_length_encode_config_selectorIfjNS0_4plusIjEEEEZZNS1_33reduce_by_key_impl_wrapped_configILNS1_25lookback_scan_determinismE0ES3_S7_PKfNS0_17constant_iteratorIjlEEPfPlSF_S6_NS0_8equal_toIfEEEE10hipError_tPvRmT2_T3_mT4_T5_T6_T7_T8_P12ihipStream_tbENKUlT_T0_E_clISt17integral_constantIbLb1EESZ_EEDaSU_SV_EUlSU_E_NS1_11comp_targetILNS1_3genE8ELNS1_11target_archE1030ELNS1_3gpuE2ELNS1_3repE0EEENS1_30default_config_static_selectorELNS0_4arch9wavefront6targetE1EEEvT1_
                                        ; -- End function
	.section	.AMDGPU.csdata,"",@progbits
; Kernel info:
; codeLenInByte = 0
; NumSgprs: 4
; NumVgprs: 0
; NumAgprs: 0
; TotalNumVgprs: 0
; ScratchSize: 0
; MemoryBound: 0
; FloatMode: 240
; IeeeMode: 1
; LDSByteSize: 0 bytes/workgroup (compile time only)
; SGPRBlocks: 0
; VGPRBlocks: 0
; NumSGPRsForWavesPerEU: 4
; NumVGPRsForWavesPerEU: 1
; AccumOffset: 4
; Occupancy: 8
; WaveLimiterHint : 0
; COMPUTE_PGM_RSRC2:SCRATCH_EN: 0
; COMPUTE_PGM_RSRC2:USER_SGPR: 6
; COMPUTE_PGM_RSRC2:TRAP_HANDLER: 0
; COMPUTE_PGM_RSRC2:TGID_X_EN: 1
; COMPUTE_PGM_RSRC2:TGID_Y_EN: 0
; COMPUTE_PGM_RSRC2:TGID_Z_EN: 0
; COMPUTE_PGM_RSRC2:TIDIG_COMP_CNT: 0
; COMPUTE_PGM_RSRC3_GFX90A:ACCUM_OFFSET: 0
; COMPUTE_PGM_RSRC3_GFX90A:TG_SPLIT: 0
	.section	.text._ZN7rocprim17ROCPRIM_400000_NS6detail17trampoline_kernelINS0_14default_configENS1_33run_length_encode_config_selectorIfjNS0_4plusIjEEEEZZNS1_33reduce_by_key_impl_wrapped_configILNS1_25lookback_scan_determinismE0ES3_S7_PKfNS0_17constant_iteratorIjlEEPfPlSF_S6_NS0_8equal_toIfEEEE10hipError_tPvRmT2_T3_mT4_T5_T6_T7_T8_P12ihipStream_tbENKUlT_T0_E_clISt17integral_constantIbLb1EESY_IbLb0EEEEDaSU_SV_EUlSU_E_NS1_11comp_targetILNS1_3genE0ELNS1_11target_archE4294967295ELNS1_3gpuE0ELNS1_3repE0EEENS1_30default_config_static_selectorELNS0_4arch9wavefront6targetE1EEEvT1_,"axG",@progbits,_ZN7rocprim17ROCPRIM_400000_NS6detail17trampoline_kernelINS0_14default_configENS1_33run_length_encode_config_selectorIfjNS0_4plusIjEEEEZZNS1_33reduce_by_key_impl_wrapped_configILNS1_25lookback_scan_determinismE0ES3_S7_PKfNS0_17constant_iteratorIjlEEPfPlSF_S6_NS0_8equal_toIfEEEE10hipError_tPvRmT2_T3_mT4_T5_T6_T7_T8_P12ihipStream_tbENKUlT_T0_E_clISt17integral_constantIbLb1EESY_IbLb0EEEEDaSU_SV_EUlSU_E_NS1_11comp_targetILNS1_3genE0ELNS1_11target_archE4294967295ELNS1_3gpuE0ELNS1_3repE0EEENS1_30default_config_static_selectorELNS0_4arch9wavefront6targetE1EEEvT1_,comdat
	.protected	_ZN7rocprim17ROCPRIM_400000_NS6detail17trampoline_kernelINS0_14default_configENS1_33run_length_encode_config_selectorIfjNS0_4plusIjEEEEZZNS1_33reduce_by_key_impl_wrapped_configILNS1_25lookback_scan_determinismE0ES3_S7_PKfNS0_17constant_iteratorIjlEEPfPlSF_S6_NS0_8equal_toIfEEEE10hipError_tPvRmT2_T3_mT4_T5_T6_T7_T8_P12ihipStream_tbENKUlT_T0_E_clISt17integral_constantIbLb1EESY_IbLb0EEEEDaSU_SV_EUlSU_E_NS1_11comp_targetILNS1_3genE0ELNS1_11target_archE4294967295ELNS1_3gpuE0ELNS1_3repE0EEENS1_30default_config_static_selectorELNS0_4arch9wavefront6targetE1EEEvT1_ ; -- Begin function _ZN7rocprim17ROCPRIM_400000_NS6detail17trampoline_kernelINS0_14default_configENS1_33run_length_encode_config_selectorIfjNS0_4plusIjEEEEZZNS1_33reduce_by_key_impl_wrapped_configILNS1_25lookback_scan_determinismE0ES3_S7_PKfNS0_17constant_iteratorIjlEEPfPlSF_S6_NS0_8equal_toIfEEEE10hipError_tPvRmT2_T3_mT4_T5_T6_T7_T8_P12ihipStream_tbENKUlT_T0_E_clISt17integral_constantIbLb1EESY_IbLb0EEEEDaSU_SV_EUlSU_E_NS1_11comp_targetILNS1_3genE0ELNS1_11target_archE4294967295ELNS1_3gpuE0ELNS1_3repE0EEENS1_30default_config_static_selectorELNS0_4arch9wavefront6targetE1EEEvT1_
	.globl	_ZN7rocprim17ROCPRIM_400000_NS6detail17trampoline_kernelINS0_14default_configENS1_33run_length_encode_config_selectorIfjNS0_4plusIjEEEEZZNS1_33reduce_by_key_impl_wrapped_configILNS1_25lookback_scan_determinismE0ES3_S7_PKfNS0_17constant_iteratorIjlEEPfPlSF_S6_NS0_8equal_toIfEEEE10hipError_tPvRmT2_T3_mT4_T5_T6_T7_T8_P12ihipStream_tbENKUlT_T0_E_clISt17integral_constantIbLb1EESY_IbLb0EEEEDaSU_SV_EUlSU_E_NS1_11comp_targetILNS1_3genE0ELNS1_11target_archE4294967295ELNS1_3gpuE0ELNS1_3repE0EEENS1_30default_config_static_selectorELNS0_4arch9wavefront6targetE1EEEvT1_
	.p2align	8
	.type	_ZN7rocprim17ROCPRIM_400000_NS6detail17trampoline_kernelINS0_14default_configENS1_33run_length_encode_config_selectorIfjNS0_4plusIjEEEEZZNS1_33reduce_by_key_impl_wrapped_configILNS1_25lookback_scan_determinismE0ES3_S7_PKfNS0_17constant_iteratorIjlEEPfPlSF_S6_NS0_8equal_toIfEEEE10hipError_tPvRmT2_T3_mT4_T5_T6_T7_T8_P12ihipStream_tbENKUlT_T0_E_clISt17integral_constantIbLb1EESY_IbLb0EEEEDaSU_SV_EUlSU_E_NS1_11comp_targetILNS1_3genE0ELNS1_11target_archE4294967295ELNS1_3gpuE0ELNS1_3repE0EEENS1_30default_config_static_selectorELNS0_4arch9wavefront6targetE1EEEvT1_,@function
_ZN7rocprim17ROCPRIM_400000_NS6detail17trampoline_kernelINS0_14default_configENS1_33run_length_encode_config_selectorIfjNS0_4plusIjEEEEZZNS1_33reduce_by_key_impl_wrapped_configILNS1_25lookback_scan_determinismE0ES3_S7_PKfNS0_17constant_iteratorIjlEEPfPlSF_S6_NS0_8equal_toIfEEEE10hipError_tPvRmT2_T3_mT4_T5_T6_T7_T8_P12ihipStream_tbENKUlT_T0_E_clISt17integral_constantIbLb1EESY_IbLb0EEEEDaSU_SV_EUlSU_E_NS1_11comp_targetILNS1_3genE0ELNS1_11target_archE4294967295ELNS1_3gpuE0ELNS1_3repE0EEENS1_30default_config_static_selectorELNS0_4arch9wavefront6targetE1EEEvT1_: ; @_ZN7rocprim17ROCPRIM_400000_NS6detail17trampoline_kernelINS0_14default_configENS1_33run_length_encode_config_selectorIfjNS0_4plusIjEEEEZZNS1_33reduce_by_key_impl_wrapped_configILNS1_25lookback_scan_determinismE0ES3_S7_PKfNS0_17constant_iteratorIjlEEPfPlSF_S6_NS0_8equal_toIfEEEE10hipError_tPvRmT2_T3_mT4_T5_T6_T7_T8_P12ihipStream_tbENKUlT_T0_E_clISt17integral_constantIbLb1EESY_IbLb0EEEEDaSU_SV_EUlSU_E_NS1_11comp_targetILNS1_3genE0ELNS1_11target_archE4294967295ELNS1_3gpuE0ELNS1_3repE0EEENS1_30default_config_static_selectorELNS0_4arch9wavefront6targetE1EEEvT1_
; %bb.0:
	.section	.rodata,"a",@progbits
	.p2align	6, 0x0
	.amdhsa_kernel _ZN7rocprim17ROCPRIM_400000_NS6detail17trampoline_kernelINS0_14default_configENS1_33run_length_encode_config_selectorIfjNS0_4plusIjEEEEZZNS1_33reduce_by_key_impl_wrapped_configILNS1_25lookback_scan_determinismE0ES3_S7_PKfNS0_17constant_iteratorIjlEEPfPlSF_S6_NS0_8equal_toIfEEEE10hipError_tPvRmT2_T3_mT4_T5_T6_T7_T8_P12ihipStream_tbENKUlT_T0_E_clISt17integral_constantIbLb1EESY_IbLb0EEEEDaSU_SV_EUlSU_E_NS1_11comp_targetILNS1_3genE0ELNS1_11target_archE4294967295ELNS1_3gpuE0ELNS1_3repE0EEENS1_30default_config_static_selectorELNS0_4arch9wavefront6targetE1EEEvT1_
		.amdhsa_group_segment_fixed_size 0
		.amdhsa_private_segment_fixed_size 0
		.amdhsa_kernarg_size 128
		.amdhsa_user_sgpr_count 6
		.amdhsa_user_sgpr_private_segment_buffer 1
		.amdhsa_user_sgpr_dispatch_ptr 0
		.amdhsa_user_sgpr_queue_ptr 0
		.amdhsa_user_sgpr_kernarg_segment_ptr 1
		.amdhsa_user_sgpr_dispatch_id 0
		.amdhsa_user_sgpr_flat_scratch_init 0
		.amdhsa_user_sgpr_kernarg_preload_length 0
		.amdhsa_user_sgpr_kernarg_preload_offset 0
		.amdhsa_user_sgpr_private_segment_size 0
		.amdhsa_uses_dynamic_stack 0
		.amdhsa_system_sgpr_private_segment_wavefront_offset 0
		.amdhsa_system_sgpr_workgroup_id_x 1
		.amdhsa_system_sgpr_workgroup_id_y 0
		.amdhsa_system_sgpr_workgroup_id_z 0
		.amdhsa_system_sgpr_workgroup_info 0
		.amdhsa_system_vgpr_workitem_id 0
		.amdhsa_next_free_vgpr 1
		.amdhsa_next_free_sgpr 0
		.amdhsa_accum_offset 4
		.amdhsa_reserve_vcc 0
		.amdhsa_reserve_flat_scratch 0
		.amdhsa_float_round_mode_32 0
		.amdhsa_float_round_mode_16_64 0
		.amdhsa_float_denorm_mode_32 3
		.amdhsa_float_denorm_mode_16_64 3
		.amdhsa_dx10_clamp 1
		.amdhsa_ieee_mode 1
		.amdhsa_fp16_overflow 0
		.amdhsa_tg_split 0
		.amdhsa_exception_fp_ieee_invalid_op 0
		.amdhsa_exception_fp_denorm_src 0
		.amdhsa_exception_fp_ieee_div_zero 0
		.amdhsa_exception_fp_ieee_overflow 0
		.amdhsa_exception_fp_ieee_underflow 0
		.amdhsa_exception_fp_ieee_inexact 0
		.amdhsa_exception_int_div_zero 0
	.end_amdhsa_kernel
	.section	.text._ZN7rocprim17ROCPRIM_400000_NS6detail17trampoline_kernelINS0_14default_configENS1_33run_length_encode_config_selectorIfjNS0_4plusIjEEEEZZNS1_33reduce_by_key_impl_wrapped_configILNS1_25lookback_scan_determinismE0ES3_S7_PKfNS0_17constant_iteratorIjlEEPfPlSF_S6_NS0_8equal_toIfEEEE10hipError_tPvRmT2_T3_mT4_T5_T6_T7_T8_P12ihipStream_tbENKUlT_T0_E_clISt17integral_constantIbLb1EESY_IbLb0EEEEDaSU_SV_EUlSU_E_NS1_11comp_targetILNS1_3genE0ELNS1_11target_archE4294967295ELNS1_3gpuE0ELNS1_3repE0EEENS1_30default_config_static_selectorELNS0_4arch9wavefront6targetE1EEEvT1_,"axG",@progbits,_ZN7rocprim17ROCPRIM_400000_NS6detail17trampoline_kernelINS0_14default_configENS1_33run_length_encode_config_selectorIfjNS0_4plusIjEEEEZZNS1_33reduce_by_key_impl_wrapped_configILNS1_25lookback_scan_determinismE0ES3_S7_PKfNS0_17constant_iteratorIjlEEPfPlSF_S6_NS0_8equal_toIfEEEE10hipError_tPvRmT2_T3_mT4_T5_T6_T7_T8_P12ihipStream_tbENKUlT_T0_E_clISt17integral_constantIbLb1EESY_IbLb0EEEEDaSU_SV_EUlSU_E_NS1_11comp_targetILNS1_3genE0ELNS1_11target_archE4294967295ELNS1_3gpuE0ELNS1_3repE0EEENS1_30default_config_static_selectorELNS0_4arch9wavefront6targetE1EEEvT1_,comdat
.Lfunc_end391:
	.size	_ZN7rocprim17ROCPRIM_400000_NS6detail17trampoline_kernelINS0_14default_configENS1_33run_length_encode_config_selectorIfjNS0_4plusIjEEEEZZNS1_33reduce_by_key_impl_wrapped_configILNS1_25lookback_scan_determinismE0ES3_S7_PKfNS0_17constant_iteratorIjlEEPfPlSF_S6_NS0_8equal_toIfEEEE10hipError_tPvRmT2_T3_mT4_T5_T6_T7_T8_P12ihipStream_tbENKUlT_T0_E_clISt17integral_constantIbLb1EESY_IbLb0EEEEDaSU_SV_EUlSU_E_NS1_11comp_targetILNS1_3genE0ELNS1_11target_archE4294967295ELNS1_3gpuE0ELNS1_3repE0EEENS1_30default_config_static_selectorELNS0_4arch9wavefront6targetE1EEEvT1_, .Lfunc_end391-_ZN7rocprim17ROCPRIM_400000_NS6detail17trampoline_kernelINS0_14default_configENS1_33run_length_encode_config_selectorIfjNS0_4plusIjEEEEZZNS1_33reduce_by_key_impl_wrapped_configILNS1_25lookback_scan_determinismE0ES3_S7_PKfNS0_17constant_iteratorIjlEEPfPlSF_S6_NS0_8equal_toIfEEEE10hipError_tPvRmT2_T3_mT4_T5_T6_T7_T8_P12ihipStream_tbENKUlT_T0_E_clISt17integral_constantIbLb1EESY_IbLb0EEEEDaSU_SV_EUlSU_E_NS1_11comp_targetILNS1_3genE0ELNS1_11target_archE4294967295ELNS1_3gpuE0ELNS1_3repE0EEENS1_30default_config_static_selectorELNS0_4arch9wavefront6targetE1EEEvT1_
                                        ; -- End function
	.section	.AMDGPU.csdata,"",@progbits
; Kernel info:
; codeLenInByte = 0
; NumSgprs: 4
; NumVgprs: 0
; NumAgprs: 0
; TotalNumVgprs: 0
; ScratchSize: 0
; MemoryBound: 0
; FloatMode: 240
; IeeeMode: 1
; LDSByteSize: 0 bytes/workgroup (compile time only)
; SGPRBlocks: 0
; VGPRBlocks: 0
; NumSGPRsForWavesPerEU: 4
; NumVGPRsForWavesPerEU: 1
; AccumOffset: 4
; Occupancy: 8
; WaveLimiterHint : 0
; COMPUTE_PGM_RSRC2:SCRATCH_EN: 0
; COMPUTE_PGM_RSRC2:USER_SGPR: 6
; COMPUTE_PGM_RSRC2:TRAP_HANDLER: 0
; COMPUTE_PGM_RSRC2:TGID_X_EN: 1
; COMPUTE_PGM_RSRC2:TGID_Y_EN: 0
; COMPUTE_PGM_RSRC2:TGID_Z_EN: 0
; COMPUTE_PGM_RSRC2:TIDIG_COMP_CNT: 0
; COMPUTE_PGM_RSRC3_GFX90A:ACCUM_OFFSET: 0
; COMPUTE_PGM_RSRC3_GFX90A:TG_SPLIT: 0
	.section	.text._ZN7rocprim17ROCPRIM_400000_NS6detail17trampoline_kernelINS0_14default_configENS1_33run_length_encode_config_selectorIfjNS0_4plusIjEEEEZZNS1_33reduce_by_key_impl_wrapped_configILNS1_25lookback_scan_determinismE0ES3_S7_PKfNS0_17constant_iteratorIjlEEPfPlSF_S6_NS0_8equal_toIfEEEE10hipError_tPvRmT2_T3_mT4_T5_T6_T7_T8_P12ihipStream_tbENKUlT_T0_E_clISt17integral_constantIbLb1EESY_IbLb0EEEEDaSU_SV_EUlSU_E_NS1_11comp_targetILNS1_3genE5ELNS1_11target_archE942ELNS1_3gpuE9ELNS1_3repE0EEENS1_30default_config_static_selectorELNS0_4arch9wavefront6targetE1EEEvT1_,"axG",@progbits,_ZN7rocprim17ROCPRIM_400000_NS6detail17trampoline_kernelINS0_14default_configENS1_33run_length_encode_config_selectorIfjNS0_4plusIjEEEEZZNS1_33reduce_by_key_impl_wrapped_configILNS1_25lookback_scan_determinismE0ES3_S7_PKfNS0_17constant_iteratorIjlEEPfPlSF_S6_NS0_8equal_toIfEEEE10hipError_tPvRmT2_T3_mT4_T5_T6_T7_T8_P12ihipStream_tbENKUlT_T0_E_clISt17integral_constantIbLb1EESY_IbLb0EEEEDaSU_SV_EUlSU_E_NS1_11comp_targetILNS1_3genE5ELNS1_11target_archE942ELNS1_3gpuE9ELNS1_3repE0EEENS1_30default_config_static_selectorELNS0_4arch9wavefront6targetE1EEEvT1_,comdat
	.protected	_ZN7rocprim17ROCPRIM_400000_NS6detail17trampoline_kernelINS0_14default_configENS1_33run_length_encode_config_selectorIfjNS0_4plusIjEEEEZZNS1_33reduce_by_key_impl_wrapped_configILNS1_25lookback_scan_determinismE0ES3_S7_PKfNS0_17constant_iteratorIjlEEPfPlSF_S6_NS0_8equal_toIfEEEE10hipError_tPvRmT2_T3_mT4_T5_T6_T7_T8_P12ihipStream_tbENKUlT_T0_E_clISt17integral_constantIbLb1EESY_IbLb0EEEEDaSU_SV_EUlSU_E_NS1_11comp_targetILNS1_3genE5ELNS1_11target_archE942ELNS1_3gpuE9ELNS1_3repE0EEENS1_30default_config_static_selectorELNS0_4arch9wavefront6targetE1EEEvT1_ ; -- Begin function _ZN7rocprim17ROCPRIM_400000_NS6detail17trampoline_kernelINS0_14default_configENS1_33run_length_encode_config_selectorIfjNS0_4plusIjEEEEZZNS1_33reduce_by_key_impl_wrapped_configILNS1_25lookback_scan_determinismE0ES3_S7_PKfNS0_17constant_iteratorIjlEEPfPlSF_S6_NS0_8equal_toIfEEEE10hipError_tPvRmT2_T3_mT4_T5_T6_T7_T8_P12ihipStream_tbENKUlT_T0_E_clISt17integral_constantIbLb1EESY_IbLb0EEEEDaSU_SV_EUlSU_E_NS1_11comp_targetILNS1_3genE5ELNS1_11target_archE942ELNS1_3gpuE9ELNS1_3repE0EEENS1_30default_config_static_selectorELNS0_4arch9wavefront6targetE1EEEvT1_
	.globl	_ZN7rocprim17ROCPRIM_400000_NS6detail17trampoline_kernelINS0_14default_configENS1_33run_length_encode_config_selectorIfjNS0_4plusIjEEEEZZNS1_33reduce_by_key_impl_wrapped_configILNS1_25lookback_scan_determinismE0ES3_S7_PKfNS0_17constant_iteratorIjlEEPfPlSF_S6_NS0_8equal_toIfEEEE10hipError_tPvRmT2_T3_mT4_T5_T6_T7_T8_P12ihipStream_tbENKUlT_T0_E_clISt17integral_constantIbLb1EESY_IbLb0EEEEDaSU_SV_EUlSU_E_NS1_11comp_targetILNS1_3genE5ELNS1_11target_archE942ELNS1_3gpuE9ELNS1_3repE0EEENS1_30default_config_static_selectorELNS0_4arch9wavefront6targetE1EEEvT1_
	.p2align	8
	.type	_ZN7rocprim17ROCPRIM_400000_NS6detail17trampoline_kernelINS0_14default_configENS1_33run_length_encode_config_selectorIfjNS0_4plusIjEEEEZZNS1_33reduce_by_key_impl_wrapped_configILNS1_25lookback_scan_determinismE0ES3_S7_PKfNS0_17constant_iteratorIjlEEPfPlSF_S6_NS0_8equal_toIfEEEE10hipError_tPvRmT2_T3_mT4_T5_T6_T7_T8_P12ihipStream_tbENKUlT_T0_E_clISt17integral_constantIbLb1EESY_IbLb0EEEEDaSU_SV_EUlSU_E_NS1_11comp_targetILNS1_3genE5ELNS1_11target_archE942ELNS1_3gpuE9ELNS1_3repE0EEENS1_30default_config_static_selectorELNS0_4arch9wavefront6targetE1EEEvT1_,@function
_ZN7rocprim17ROCPRIM_400000_NS6detail17trampoline_kernelINS0_14default_configENS1_33run_length_encode_config_selectorIfjNS0_4plusIjEEEEZZNS1_33reduce_by_key_impl_wrapped_configILNS1_25lookback_scan_determinismE0ES3_S7_PKfNS0_17constant_iteratorIjlEEPfPlSF_S6_NS0_8equal_toIfEEEE10hipError_tPvRmT2_T3_mT4_T5_T6_T7_T8_P12ihipStream_tbENKUlT_T0_E_clISt17integral_constantIbLb1EESY_IbLb0EEEEDaSU_SV_EUlSU_E_NS1_11comp_targetILNS1_3genE5ELNS1_11target_archE942ELNS1_3gpuE9ELNS1_3repE0EEENS1_30default_config_static_selectorELNS0_4arch9wavefront6targetE1EEEvT1_: ; @_ZN7rocprim17ROCPRIM_400000_NS6detail17trampoline_kernelINS0_14default_configENS1_33run_length_encode_config_selectorIfjNS0_4plusIjEEEEZZNS1_33reduce_by_key_impl_wrapped_configILNS1_25lookback_scan_determinismE0ES3_S7_PKfNS0_17constant_iteratorIjlEEPfPlSF_S6_NS0_8equal_toIfEEEE10hipError_tPvRmT2_T3_mT4_T5_T6_T7_T8_P12ihipStream_tbENKUlT_T0_E_clISt17integral_constantIbLb1EESY_IbLb0EEEEDaSU_SV_EUlSU_E_NS1_11comp_targetILNS1_3genE5ELNS1_11target_archE942ELNS1_3gpuE9ELNS1_3repE0EEENS1_30default_config_static_selectorELNS0_4arch9wavefront6targetE1EEEvT1_
; %bb.0:
	.section	.rodata,"a",@progbits
	.p2align	6, 0x0
	.amdhsa_kernel _ZN7rocprim17ROCPRIM_400000_NS6detail17trampoline_kernelINS0_14default_configENS1_33run_length_encode_config_selectorIfjNS0_4plusIjEEEEZZNS1_33reduce_by_key_impl_wrapped_configILNS1_25lookback_scan_determinismE0ES3_S7_PKfNS0_17constant_iteratorIjlEEPfPlSF_S6_NS0_8equal_toIfEEEE10hipError_tPvRmT2_T3_mT4_T5_T6_T7_T8_P12ihipStream_tbENKUlT_T0_E_clISt17integral_constantIbLb1EESY_IbLb0EEEEDaSU_SV_EUlSU_E_NS1_11comp_targetILNS1_3genE5ELNS1_11target_archE942ELNS1_3gpuE9ELNS1_3repE0EEENS1_30default_config_static_selectorELNS0_4arch9wavefront6targetE1EEEvT1_
		.amdhsa_group_segment_fixed_size 0
		.amdhsa_private_segment_fixed_size 0
		.amdhsa_kernarg_size 128
		.amdhsa_user_sgpr_count 6
		.amdhsa_user_sgpr_private_segment_buffer 1
		.amdhsa_user_sgpr_dispatch_ptr 0
		.amdhsa_user_sgpr_queue_ptr 0
		.amdhsa_user_sgpr_kernarg_segment_ptr 1
		.amdhsa_user_sgpr_dispatch_id 0
		.amdhsa_user_sgpr_flat_scratch_init 0
		.amdhsa_user_sgpr_kernarg_preload_length 0
		.amdhsa_user_sgpr_kernarg_preload_offset 0
		.amdhsa_user_sgpr_private_segment_size 0
		.amdhsa_uses_dynamic_stack 0
		.amdhsa_system_sgpr_private_segment_wavefront_offset 0
		.amdhsa_system_sgpr_workgroup_id_x 1
		.amdhsa_system_sgpr_workgroup_id_y 0
		.amdhsa_system_sgpr_workgroup_id_z 0
		.amdhsa_system_sgpr_workgroup_info 0
		.amdhsa_system_vgpr_workitem_id 0
		.amdhsa_next_free_vgpr 1
		.amdhsa_next_free_sgpr 0
		.amdhsa_accum_offset 4
		.amdhsa_reserve_vcc 0
		.amdhsa_reserve_flat_scratch 0
		.amdhsa_float_round_mode_32 0
		.amdhsa_float_round_mode_16_64 0
		.amdhsa_float_denorm_mode_32 3
		.amdhsa_float_denorm_mode_16_64 3
		.amdhsa_dx10_clamp 1
		.amdhsa_ieee_mode 1
		.amdhsa_fp16_overflow 0
		.amdhsa_tg_split 0
		.amdhsa_exception_fp_ieee_invalid_op 0
		.amdhsa_exception_fp_denorm_src 0
		.amdhsa_exception_fp_ieee_div_zero 0
		.amdhsa_exception_fp_ieee_overflow 0
		.amdhsa_exception_fp_ieee_underflow 0
		.amdhsa_exception_fp_ieee_inexact 0
		.amdhsa_exception_int_div_zero 0
	.end_amdhsa_kernel
	.section	.text._ZN7rocprim17ROCPRIM_400000_NS6detail17trampoline_kernelINS0_14default_configENS1_33run_length_encode_config_selectorIfjNS0_4plusIjEEEEZZNS1_33reduce_by_key_impl_wrapped_configILNS1_25lookback_scan_determinismE0ES3_S7_PKfNS0_17constant_iteratorIjlEEPfPlSF_S6_NS0_8equal_toIfEEEE10hipError_tPvRmT2_T3_mT4_T5_T6_T7_T8_P12ihipStream_tbENKUlT_T0_E_clISt17integral_constantIbLb1EESY_IbLb0EEEEDaSU_SV_EUlSU_E_NS1_11comp_targetILNS1_3genE5ELNS1_11target_archE942ELNS1_3gpuE9ELNS1_3repE0EEENS1_30default_config_static_selectorELNS0_4arch9wavefront6targetE1EEEvT1_,"axG",@progbits,_ZN7rocprim17ROCPRIM_400000_NS6detail17trampoline_kernelINS0_14default_configENS1_33run_length_encode_config_selectorIfjNS0_4plusIjEEEEZZNS1_33reduce_by_key_impl_wrapped_configILNS1_25lookback_scan_determinismE0ES3_S7_PKfNS0_17constant_iteratorIjlEEPfPlSF_S6_NS0_8equal_toIfEEEE10hipError_tPvRmT2_T3_mT4_T5_T6_T7_T8_P12ihipStream_tbENKUlT_T0_E_clISt17integral_constantIbLb1EESY_IbLb0EEEEDaSU_SV_EUlSU_E_NS1_11comp_targetILNS1_3genE5ELNS1_11target_archE942ELNS1_3gpuE9ELNS1_3repE0EEENS1_30default_config_static_selectorELNS0_4arch9wavefront6targetE1EEEvT1_,comdat
.Lfunc_end392:
	.size	_ZN7rocprim17ROCPRIM_400000_NS6detail17trampoline_kernelINS0_14default_configENS1_33run_length_encode_config_selectorIfjNS0_4plusIjEEEEZZNS1_33reduce_by_key_impl_wrapped_configILNS1_25lookback_scan_determinismE0ES3_S7_PKfNS0_17constant_iteratorIjlEEPfPlSF_S6_NS0_8equal_toIfEEEE10hipError_tPvRmT2_T3_mT4_T5_T6_T7_T8_P12ihipStream_tbENKUlT_T0_E_clISt17integral_constantIbLb1EESY_IbLb0EEEEDaSU_SV_EUlSU_E_NS1_11comp_targetILNS1_3genE5ELNS1_11target_archE942ELNS1_3gpuE9ELNS1_3repE0EEENS1_30default_config_static_selectorELNS0_4arch9wavefront6targetE1EEEvT1_, .Lfunc_end392-_ZN7rocprim17ROCPRIM_400000_NS6detail17trampoline_kernelINS0_14default_configENS1_33run_length_encode_config_selectorIfjNS0_4plusIjEEEEZZNS1_33reduce_by_key_impl_wrapped_configILNS1_25lookback_scan_determinismE0ES3_S7_PKfNS0_17constant_iteratorIjlEEPfPlSF_S6_NS0_8equal_toIfEEEE10hipError_tPvRmT2_T3_mT4_T5_T6_T7_T8_P12ihipStream_tbENKUlT_T0_E_clISt17integral_constantIbLb1EESY_IbLb0EEEEDaSU_SV_EUlSU_E_NS1_11comp_targetILNS1_3genE5ELNS1_11target_archE942ELNS1_3gpuE9ELNS1_3repE0EEENS1_30default_config_static_selectorELNS0_4arch9wavefront6targetE1EEEvT1_
                                        ; -- End function
	.section	.AMDGPU.csdata,"",@progbits
; Kernel info:
; codeLenInByte = 0
; NumSgprs: 4
; NumVgprs: 0
; NumAgprs: 0
; TotalNumVgprs: 0
; ScratchSize: 0
; MemoryBound: 0
; FloatMode: 240
; IeeeMode: 1
; LDSByteSize: 0 bytes/workgroup (compile time only)
; SGPRBlocks: 0
; VGPRBlocks: 0
; NumSGPRsForWavesPerEU: 4
; NumVGPRsForWavesPerEU: 1
; AccumOffset: 4
; Occupancy: 8
; WaveLimiterHint : 0
; COMPUTE_PGM_RSRC2:SCRATCH_EN: 0
; COMPUTE_PGM_RSRC2:USER_SGPR: 6
; COMPUTE_PGM_RSRC2:TRAP_HANDLER: 0
; COMPUTE_PGM_RSRC2:TGID_X_EN: 1
; COMPUTE_PGM_RSRC2:TGID_Y_EN: 0
; COMPUTE_PGM_RSRC2:TGID_Z_EN: 0
; COMPUTE_PGM_RSRC2:TIDIG_COMP_CNT: 0
; COMPUTE_PGM_RSRC3_GFX90A:ACCUM_OFFSET: 0
; COMPUTE_PGM_RSRC3_GFX90A:TG_SPLIT: 0
	.section	.text._ZN7rocprim17ROCPRIM_400000_NS6detail17trampoline_kernelINS0_14default_configENS1_33run_length_encode_config_selectorIfjNS0_4plusIjEEEEZZNS1_33reduce_by_key_impl_wrapped_configILNS1_25lookback_scan_determinismE0ES3_S7_PKfNS0_17constant_iteratorIjlEEPfPlSF_S6_NS0_8equal_toIfEEEE10hipError_tPvRmT2_T3_mT4_T5_T6_T7_T8_P12ihipStream_tbENKUlT_T0_E_clISt17integral_constantIbLb1EESY_IbLb0EEEEDaSU_SV_EUlSU_E_NS1_11comp_targetILNS1_3genE4ELNS1_11target_archE910ELNS1_3gpuE8ELNS1_3repE0EEENS1_30default_config_static_selectorELNS0_4arch9wavefront6targetE1EEEvT1_,"axG",@progbits,_ZN7rocprim17ROCPRIM_400000_NS6detail17trampoline_kernelINS0_14default_configENS1_33run_length_encode_config_selectorIfjNS0_4plusIjEEEEZZNS1_33reduce_by_key_impl_wrapped_configILNS1_25lookback_scan_determinismE0ES3_S7_PKfNS0_17constant_iteratorIjlEEPfPlSF_S6_NS0_8equal_toIfEEEE10hipError_tPvRmT2_T3_mT4_T5_T6_T7_T8_P12ihipStream_tbENKUlT_T0_E_clISt17integral_constantIbLb1EESY_IbLb0EEEEDaSU_SV_EUlSU_E_NS1_11comp_targetILNS1_3genE4ELNS1_11target_archE910ELNS1_3gpuE8ELNS1_3repE0EEENS1_30default_config_static_selectorELNS0_4arch9wavefront6targetE1EEEvT1_,comdat
	.protected	_ZN7rocprim17ROCPRIM_400000_NS6detail17trampoline_kernelINS0_14default_configENS1_33run_length_encode_config_selectorIfjNS0_4plusIjEEEEZZNS1_33reduce_by_key_impl_wrapped_configILNS1_25lookback_scan_determinismE0ES3_S7_PKfNS0_17constant_iteratorIjlEEPfPlSF_S6_NS0_8equal_toIfEEEE10hipError_tPvRmT2_T3_mT4_T5_T6_T7_T8_P12ihipStream_tbENKUlT_T0_E_clISt17integral_constantIbLb1EESY_IbLb0EEEEDaSU_SV_EUlSU_E_NS1_11comp_targetILNS1_3genE4ELNS1_11target_archE910ELNS1_3gpuE8ELNS1_3repE0EEENS1_30default_config_static_selectorELNS0_4arch9wavefront6targetE1EEEvT1_ ; -- Begin function _ZN7rocprim17ROCPRIM_400000_NS6detail17trampoline_kernelINS0_14default_configENS1_33run_length_encode_config_selectorIfjNS0_4plusIjEEEEZZNS1_33reduce_by_key_impl_wrapped_configILNS1_25lookback_scan_determinismE0ES3_S7_PKfNS0_17constant_iteratorIjlEEPfPlSF_S6_NS0_8equal_toIfEEEE10hipError_tPvRmT2_T3_mT4_T5_T6_T7_T8_P12ihipStream_tbENKUlT_T0_E_clISt17integral_constantIbLb1EESY_IbLb0EEEEDaSU_SV_EUlSU_E_NS1_11comp_targetILNS1_3genE4ELNS1_11target_archE910ELNS1_3gpuE8ELNS1_3repE0EEENS1_30default_config_static_selectorELNS0_4arch9wavefront6targetE1EEEvT1_
	.globl	_ZN7rocprim17ROCPRIM_400000_NS6detail17trampoline_kernelINS0_14default_configENS1_33run_length_encode_config_selectorIfjNS0_4plusIjEEEEZZNS1_33reduce_by_key_impl_wrapped_configILNS1_25lookback_scan_determinismE0ES3_S7_PKfNS0_17constant_iteratorIjlEEPfPlSF_S6_NS0_8equal_toIfEEEE10hipError_tPvRmT2_T3_mT4_T5_T6_T7_T8_P12ihipStream_tbENKUlT_T0_E_clISt17integral_constantIbLb1EESY_IbLb0EEEEDaSU_SV_EUlSU_E_NS1_11comp_targetILNS1_3genE4ELNS1_11target_archE910ELNS1_3gpuE8ELNS1_3repE0EEENS1_30default_config_static_selectorELNS0_4arch9wavefront6targetE1EEEvT1_
	.p2align	8
	.type	_ZN7rocprim17ROCPRIM_400000_NS6detail17trampoline_kernelINS0_14default_configENS1_33run_length_encode_config_selectorIfjNS0_4plusIjEEEEZZNS1_33reduce_by_key_impl_wrapped_configILNS1_25lookback_scan_determinismE0ES3_S7_PKfNS0_17constant_iteratorIjlEEPfPlSF_S6_NS0_8equal_toIfEEEE10hipError_tPvRmT2_T3_mT4_T5_T6_T7_T8_P12ihipStream_tbENKUlT_T0_E_clISt17integral_constantIbLb1EESY_IbLb0EEEEDaSU_SV_EUlSU_E_NS1_11comp_targetILNS1_3genE4ELNS1_11target_archE910ELNS1_3gpuE8ELNS1_3repE0EEENS1_30default_config_static_selectorELNS0_4arch9wavefront6targetE1EEEvT1_,@function
_ZN7rocprim17ROCPRIM_400000_NS6detail17trampoline_kernelINS0_14default_configENS1_33run_length_encode_config_selectorIfjNS0_4plusIjEEEEZZNS1_33reduce_by_key_impl_wrapped_configILNS1_25lookback_scan_determinismE0ES3_S7_PKfNS0_17constant_iteratorIjlEEPfPlSF_S6_NS0_8equal_toIfEEEE10hipError_tPvRmT2_T3_mT4_T5_T6_T7_T8_P12ihipStream_tbENKUlT_T0_E_clISt17integral_constantIbLb1EESY_IbLb0EEEEDaSU_SV_EUlSU_E_NS1_11comp_targetILNS1_3genE4ELNS1_11target_archE910ELNS1_3gpuE8ELNS1_3repE0EEENS1_30default_config_static_selectorELNS0_4arch9wavefront6targetE1EEEvT1_: ; @_ZN7rocprim17ROCPRIM_400000_NS6detail17trampoline_kernelINS0_14default_configENS1_33run_length_encode_config_selectorIfjNS0_4plusIjEEEEZZNS1_33reduce_by_key_impl_wrapped_configILNS1_25lookback_scan_determinismE0ES3_S7_PKfNS0_17constant_iteratorIjlEEPfPlSF_S6_NS0_8equal_toIfEEEE10hipError_tPvRmT2_T3_mT4_T5_T6_T7_T8_P12ihipStream_tbENKUlT_T0_E_clISt17integral_constantIbLb1EESY_IbLb0EEEEDaSU_SV_EUlSU_E_NS1_11comp_targetILNS1_3genE4ELNS1_11target_archE910ELNS1_3gpuE8ELNS1_3repE0EEENS1_30default_config_static_selectorELNS0_4arch9wavefront6targetE1EEEvT1_
; %bb.0:
	s_load_dwordx8 s[36:43], s[4:5], 0x40
	s_load_dwordx4 s[0:3], s[4:5], 0x0
	s_load_dword s7, s[4:5], 0x10
	s_load_dwordx4 s[44:47], s[4:5], 0x60
	s_mov_b64 s[12:13], -1
	s_waitcnt lgkmcnt(0)
	s_mul_i32 s8, s40, s39
	s_mul_hi_u32 s9, s40, s38
	s_add_i32 s8, s9, s8
	s_mul_i32 s9, s41, s38
	s_add_i32 s8, s8, s9
	s_lshl_b64 s[2:3], s[2:3], 2
	s_add_u32 s2, s0, s2
	s_addc_u32 s3, s1, s3
	s_mul_i32 s0, s6, 0xf00
	s_mov_b32 s1, 0
	s_lshl_b64 s[0:1], s[0:1], 2
	s_add_u32 s0, s2, s0
	s_mul_i32 s9, s40, s38
	s_addc_u32 s1, s3, s1
	s_add_u32 s2, s9, s6
	s_addc_u32 s3, s8, 0
	s_add_u32 s8, s42, -1
	s_addc_u32 s9, s43, -1
	s_cmp_eq_u64 s[2:3], s[8:9]
	s_cselect_b64 s[34:35], -1, 0
	s_cmp_lg_u64 s[2:3], s[8:9]
	s_cselect_b64 s[10:11], -1, 0
	s_mul_i32 s33, s8, 0xfffff100
	s_and_b64 vcc, exec, s[34:35]
	s_cbranch_vccnz .LBB393_2
; %bb.1:
	v_lshlrev_b32_e32 v1, 2, v0
	v_mov_b32_e32 v2, s1
	v_add_co_u32_e32 v4, vcc, s0, v1
	v_addc_co_u32_e32 v5, vcc, 0, v2, vcc
	v_add_co_u32_e32 v2, vcc, 0x1000, v4
	v_addc_co_u32_e32 v3, vcc, 0, v5, vcc
	global_load_dword v6, v1, s[0:1]
	global_load_dword v7, v1, s[0:1] offset:1024
	global_load_dword v8, v1, s[0:1] offset:2048
	;; [unrolled: 1-line block ×3, first 2 shown]
	global_load_dword v10, v[2:3], off
	global_load_dword v11, v[2:3], off offset:1024
	global_load_dword v12, v[2:3], off offset:2048
	;; [unrolled: 1-line block ×3, first 2 shown]
	v_add_co_u32_e32 v2, vcc, 0x2000, v4
	v_addc_co_u32_e32 v3, vcc, 0, v5, vcc
	v_add_co_u32_e32 v4, vcc, 0x3000, v4
	v_addc_co_u32_e32 v5, vcc, 0, v5, vcc
	global_load_dword v14, v[2:3], off
	global_load_dword v15, v[2:3], off offset:1024
	global_load_dword v16, v[2:3], off offset:2048
	;; [unrolled: 1-line block ×3, first 2 shown]
	global_load_dword v18, v[4:5], off
	global_load_dword v19, v[4:5], off offset:1024
	global_load_dword v20, v[4:5], off offset:2048
	v_mad_u32_u24 v2, v0, 56, v1
	s_mov_b64 s[8:9], -1
	s_waitcnt vmcnt(13)
	ds_write2st64_b32 v1, v6, v7 offset1:4
	s_waitcnt vmcnt(11)
	ds_write2st64_b32 v1, v8, v9 offset0:8 offset1:12
	s_waitcnt vmcnt(9)
	ds_write2st64_b32 v1, v10, v11 offset0:16 offset1:20
	;; [unrolled: 2-line block ×6, first 2 shown]
	s_waitcnt vmcnt(0)
	ds_write_b32 v1, v20 offset:14336
	s_waitcnt lgkmcnt(0)
	s_barrier
	ds_read2_b32 v[20:21], v2 offset1:1
	ds_read2_b32 v[18:19], v2 offset0:2 offset1:3
	ds_read2_b32 v[16:17], v2 offset0:4 offset1:5
	;; [unrolled: 1-line block ×6, first 2 shown]
	ds_read_b32 v1, v2 offset:56
	s_waitcnt lgkmcnt(7)
	v_mov_b32_e32 v22, v20
	s_waitcnt lgkmcnt(6)
	v_mov_b32_e32 v23, v18
	;; [unrolled: 2-line block ×7, first 2 shown]
	s_add_i32 s33, s33, s44
	s_cbranch_execz .LBB393_3
	s_branch .LBB393_34
.LBB393_2:
	s_mov_b64 s[8:9], 0
                                        ; implicit-def: $vgpr1
                                        ; implicit-def: $vgpr8
                                        ; implicit-def: $vgpr10
                                        ; implicit-def: $vgpr12
                                        ; implicit-def: $vgpr14
                                        ; implicit-def: $vgpr16
                                        ; implicit-def: $vgpr18
                                        ; implicit-def: $vgpr20
                                        ; implicit-def: $vgpr2_vgpr3
                                        ; implicit-def: $vgpr4_vgpr5
                                        ; implicit-def: $vgpr22_vgpr23
                                        ; implicit-def: $vgpr6_vgpr7
	s_add_i32 s33, s33, s44
	s_andn2_b64 vcc, exec, s[12:13]
	s_cbranch_vccnz .LBB393_34
.LBB393_3:
	v_cmp_gt_u32_e32 vcc, s33, v0
                                        ; implicit-def: $vgpr1
	s_and_saveexec_b64 s[8:9], vcc
	s_cbranch_execz .LBB393_5
; %bb.4:
	s_waitcnt lgkmcnt(0)
	v_lshlrev_b32_e32 v1, 2, v0
	global_load_dword v1, v1, s[0:1]
.LBB393_5:
	s_or_b64 exec, exec, s[8:9]
	v_or_b32_e32 v2, 0x100, v0
	v_cmp_gt_u32_e32 vcc, s33, v2
                                        ; implicit-def: $vgpr2
	s_and_saveexec_b64 s[8:9], vcc
	s_cbranch_execz .LBB393_7
; %bb.6:
	v_lshlrev_b32_e32 v2, 2, v0
	global_load_dword v2, v2, s[0:1] offset:1024
.LBB393_7:
	s_or_b64 exec, exec, s[8:9]
	v_or_b32_e32 v3, 0x200, v0
	v_cmp_gt_u32_e32 vcc, s33, v3
                                        ; implicit-def: $vgpr3
	s_and_saveexec_b64 s[8:9], vcc
	s_cbranch_execz .LBB393_9
; %bb.8:
	v_lshlrev_b32_e32 v3, 2, v0
	global_load_dword v3, v3, s[0:1] offset:2048
.LBB393_9:
	s_or_b64 exec, exec, s[8:9]
	v_or_b32_e32 v4, 0x300, v0
	v_cmp_gt_u32_e32 vcc, s33, v4
                                        ; implicit-def: $vgpr4
	s_and_saveexec_b64 s[8:9], vcc
	s_cbranch_execz .LBB393_11
; %bb.10:
	v_lshlrev_b32_e32 v4, 2, v0
	global_load_dword v4, v4, s[0:1] offset:3072
.LBB393_11:
	s_or_b64 exec, exec, s[8:9]
	v_or_b32_e32 v6, 0x400, v0
	v_cmp_gt_u32_e32 vcc, s33, v6
                                        ; implicit-def: $vgpr5
	s_and_saveexec_b64 s[8:9], vcc
	s_cbranch_execz .LBB393_13
; %bb.12:
	v_lshlrev_b32_e32 v5, 2, v6
	global_load_dword v5, v5, s[0:1]
.LBB393_13:
	s_or_b64 exec, exec, s[8:9]
	v_or_b32_e32 v7, 0x500, v0
	v_cmp_gt_u32_e32 vcc, s33, v7
                                        ; implicit-def: $vgpr6
	s_and_saveexec_b64 s[8:9], vcc
	s_cbranch_execz .LBB393_15
; %bb.14:
	v_lshlrev_b32_e32 v6, 2, v7
	global_load_dword v6, v6, s[0:1]
.LBB393_15:
	s_or_b64 exec, exec, s[8:9]
	v_or_b32_e32 v8, 0x600, v0
	v_cmp_gt_u32_e32 vcc, s33, v8
                                        ; implicit-def: $vgpr7
	s_and_saveexec_b64 s[8:9], vcc
	s_cbranch_execz .LBB393_17
; %bb.16:
	v_lshlrev_b32_e32 v7, 2, v8
	global_load_dword v7, v7, s[0:1]
.LBB393_17:
	s_or_b64 exec, exec, s[8:9]
	v_or_b32_e32 v9, 0x700, v0
	v_cmp_gt_u32_e32 vcc, s33, v9
                                        ; implicit-def: $vgpr8
	s_and_saveexec_b64 s[8:9], vcc
	s_cbranch_execz .LBB393_19
; %bb.18:
	v_lshlrev_b32_e32 v8, 2, v9
	global_load_dword v8, v8, s[0:1]
.LBB393_19:
	s_or_b64 exec, exec, s[8:9]
	v_or_b32_e32 v10, 0x800, v0
	v_cmp_gt_u32_e32 vcc, s33, v10
                                        ; implicit-def: $vgpr9
	s_and_saveexec_b64 s[8:9], vcc
	s_cbranch_execz .LBB393_21
; %bb.20:
	v_lshlrev_b32_e32 v9, 2, v10
	global_load_dword v9, v9, s[0:1]
.LBB393_21:
	s_or_b64 exec, exec, s[8:9]
	v_or_b32_e32 v11, 0x900, v0
	v_cmp_gt_u32_e32 vcc, s33, v11
                                        ; implicit-def: $vgpr10
	s_and_saveexec_b64 s[8:9], vcc
	s_cbranch_execz .LBB393_23
; %bb.22:
	v_lshlrev_b32_e32 v10, 2, v11
	global_load_dword v10, v10, s[0:1]
.LBB393_23:
	s_or_b64 exec, exec, s[8:9]
	v_or_b32_e32 v12, 0xa00, v0
	v_cmp_gt_u32_e32 vcc, s33, v12
                                        ; implicit-def: $vgpr11
	s_and_saveexec_b64 s[8:9], vcc
	s_cbranch_execz .LBB393_25
; %bb.24:
	v_lshlrev_b32_e32 v11, 2, v12
	global_load_dword v11, v11, s[0:1]
.LBB393_25:
	s_or_b64 exec, exec, s[8:9]
	v_or_b32_e32 v13, 0xb00, v0
	v_cmp_gt_u32_e32 vcc, s33, v13
                                        ; implicit-def: $vgpr12
	s_and_saveexec_b64 s[8:9], vcc
	s_cbranch_execz .LBB393_27
; %bb.26:
	v_lshlrev_b32_e32 v12, 2, v13
	global_load_dword v12, v12, s[0:1]
.LBB393_27:
	s_or_b64 exec, exec, s[8:9]
	v_or_b32_e32 v14, 0xc00, v0
	v_cmp_gt_u32_e32 vcc, s33, v14
                                        ; implicit-def: $vgpr13
	s_and_saveexec_b64 s[8:9], vcc
	s_cbranch_execz .LBB393_29
; %bb.28:
	v_lshlrev_b32_e32 v13, 2, v14
	global_load_dword v13, v13, s[0:1]
.LBB393_29:
	s_or_b64 exec, exec, s[8:9]
	v_or_b32_e32 v15, 0xd00, v0
	v_cmp_gt_u32_e32 vcc, s33, v15
                                        ; implicit-def: $vgpr14
	s_and_saveexec_b64 s[8:9], vcc
	s_cbranch_execz .LBB393_31
; %bb.30:
	v_lshlrev_b32_e32 v14, 2, v15
	global_load_dword v14, v14, s[0:1]
.LBB393_31:
	s_or_b64 exec, exec, s[8:9]
	v_or_b32_e32 v16, 0xe00, v0
	v_cmp_gt_u32_e32 vcc, s33, v16
                                        ; implicit-def: $vgpr15
	s_and_saveexec_b64 s[8:9], vcc
	s_cbranch_execz .LBB393_33
; %bb.32:
	v_lshlrev_b32_e32 v15, 2, v16
	global_load_dword v15, v15, s[0:1]
.LBB393_33:
	s_or_b64 exec, exec, s[8:9]
	v_lshlrev_b32_e32 v16, 2, v0
	s_waitcnt vmcnt(0) lgkmcnt(0)
	ds_write2st64_b32 v16, v1, v2 offset1:4
	ds_write2st64_b32 v16, v3, v4 offset0:8 offset1:12
	ds_write2st64_b32 v16, v5, v6 offset0:16 offset1:20
	;; [unrolled: 1-line block ×6, first 2 shown]
	ds_write_b32 v16, v15 offset:14336
	v_mad_u32_u24 v1, v0, 56, v16
	s_waitcnt lgkmcnt(0)
	s_barrier
	ds_read2_b32 v[20:21], v1 offset1:1
	ds_read2_b32 v[18:19], v1 offset0:2 offset1:3
	ds_read2_b32 v[16:17], v1 offset0:4 offset1:5
	;; [unrolled: 1-line block ×6, first 2 shown]
	ds_read_b32 v1, v1 offset:56
	v_mad_u32_u24 v2, v0, 15, 14
	v_cmp_gt_u32_e64 s[8:9], s33, v2
	s_waitcnt lgkmcnt(7)
	v_mov_b32_e32 v22, v20
	s_waitcnt lgkmcnt(6)
	v_mov_b32_e32 v23, v18
	;; [unrolled: 2-line block ×7, first 2 shown]
.LBB393_34:
	v_mov_b32_e32 v52, s7
                                        ; implicit-def: $vgpr53
	s_and_saveexec_b64 s[12:13], s[8:9]
; %bb.35:
	v_mov_b32_e32 v53, s7
; %bb.36:
	s_or_b64 exec, exec, s[12:13]
	s_load_dwordx2 s[50:51], s[4:5], 0x70
	s_cmp_eq_u64 s[2:3], 0
	s_cselect_b64 s[48:49], -1, 0
	s_cmp_lg_u64 s[2:3], 0
	s_mov_b64 s[8:9], 0
	s_cselect_b64 s[12:13], -1, 0
	s_and_b64 vcc, exec, s[10:11]
	s_waitcnt lgkmcnt(0)
	s_barrier
	s_cbranch_vccz .LBB393_42
; %bb.37:
	s_and_b64 vcc, exec, s[12:13]
	s_cbranch_vccz .LBB393_43
; %bb.38:
	s_add_u32 s8, s0, -4
	s_addc_u32 s9, s1, -1
	s_load_dword s7, s[8:9], 0x0
	v_lshlrev_b32_e32 v24, 2, v0
	v_cmp_ne_u32_e32 vcc, 0, v0
	ds_write_b32 v24, v1
	s_waitcnt lgkmcnt(0)
	v_mov_b32_e32 v7, s7
	s_barrier
	s_and_saveexec_b64 s[8:9], vcc
	s_cbranch_execz .LBB393_40
; %bb.39:
	v_add_u32_e32 v7, -4, v24
	ds_read_b32 v7, v7
.LBB393_40:
	s_or_b64 exec, exec, s[8:9]
	v_cmp_neq_f32_e32 vcc, v22, v21
	v_cndmask_b32_e64 v67, 0, 1, vcc
	v_cmp_neq_f32_e32 vcc, v23, v21
	v_cndmask_b32_e64 v66, 0, 1, vcc
	;; [unrolled: 2-line block ×14, first 2 shown]
	s_waitcnt lgkmcnt(0)
	v_cmp_neq_f32_e64 s[10:11], v7, v20
	s_mov_b64 s[8:9], -1
.LBB393_41:
                                        ; implicit-def: $sgpr7
	s_branch .LBB393_55
.LBB393_42:
                                        ; implicit-def: $sgpr10_sgpr11
                                        ; implicit-def: $vgpr54
                                        ; implicit-def: $vgpr55
                                        ; implicit-def: $vgpr56
                                        ; implicit-def: $vgpr57
                                        ; implicit-def: $vgpr58
                                        ; implicit-def: $vgpr59
                                        ; implicit-def: $vgpr60
                                        ; implicit-def: $vgpr61
                                        ; implicit-def: $vgpr62
                                        ; implicit-def: $vgpr63
                                        ; implicit-def: $vgpr64
                                        ; implicit-def: $vgpr65
                                        ; implicit-def: $vgpr66
                                        ; implicit-def: $vgpr67
                                        ; implicit-def: $sgpr7
	s_cbranch_execnz .LBB393_47
	s_branch .LBB393_55
.LBB393_43:
                                        ; implicit-def: $sgpr10_sgpr11
                                        ; implicit-def: $vgpr54
                                        ; implicit-def: $vgpr55
                                        ; implicit-def: $vgpr56
                                        ; implicit-def: $vgpr57
                                        ; implicit-def: $vgpr58
                                        ; implicit-def: $vgpr59
                                        ; implicit-def: $vgpr60
                                        ; implicit-def: $vgpr61
                                        ; implicit-def: $vgpr62
                                        ; implicit-def: $vgpr63
                                        ; implicit-def: $vgpr64
                                        ; implicit-def: $vgpr65
                                        ; implicit-def: $vgpr66
                                        ; implicit-def: $vgpr67
	s_cbranch_execz .LBB393_41
; %bb.44:
	v_cmp_neq_f32_e32 vcc, v21, v22
	v_cndmask_b32_e64 v67, 0, 1, vcc
	v_cmp_neq_f32_e32 vcc, v21, v23
	v_cndmask_b32_e64 v66, 0, 1, vcc
	;; [unrolled: 2-line block ×13, first 2 shown]
	v_cmp_neq_f32_e32 vcc, v9, v1
	v_lshlrev_b32_e32 v7, 2, v0
	v_cndmask_b32_e64 v54, 0, 1, vcc
	v_cmp_ne_u32_e32 vcc, 0, v0
	ds_write_b32 v7, v1
	s_waitcnt lgkmcnt(0)
	s_barrier
	s_waitcnt lgkmcnt(0)
                                        ; implicit-def: $sgpr10_sgpr11
	s_and_saveexec_b64 s[14:15], vcc
	s_xor_b64 s[14:15], exec, s[14:15]
	s_cbranch_execz .LBB393_46
; %bb.45:
	v_add_u32_e32 v2, -4, v7
	ds_read_b32 v2, v2
	s_or_b64 s[8:9], s[8:9], exec
	s_waitcnt lgkmcnt(0)
	v_cmp_neq_f32_e32 vcc, v2, v20
	s_and_b64 s[10:11], vcc, exec
.LBB393_46:
	s_or_b64 exec, exec, s[14:15]
	s_mov_b32 s7, 1
	s_branch .LBB393_55
.LBB393_47:
	s_mul_hi_u32 s7, s2, 0xfffff100
	s_mulk_i32 s3, 0xf100
	s_sub_i32 s7, s7, s2
	s_add_i32 s7, s7, s3
	s_mulk_i32 s2, 0xf100
	s_add_u32 s2, s2, s44
	s_addc_u32 s3, s7, s45
	s_and_b64 vcc, exec, s[12:13]
	s_cbranch_vccz .LBB393_52
; %bb.48:
	s_add_u32 s0, s0, -4
	s_addc_u32 s1, s1, -1
	v_mad_u32_u24 v4, v0, 15, 14
	v_mov_b32_e32 v5, 0
	s_load_dword s7, s[0:1], 0x0
	v_cmp_gt_u64_e32 vcc, s[2:3], v[4:5]
	v_cmp_neq_f32_e64 s[0:1], v9, v1
	v_mad_u32_u24 v4, v0, 15, 13
	s_and_b64 s[8:9], vcc, s[0:1]
	v_cmp_gt_u64_e32 vcc, s[2:3], v[4:5]
	v_cmp_neq_f32_e64 s[0:1], v8, v9
	v_mad_u32_u24 v4, v0, 15, 12
	s_and_b64 s[10:11], vcc, s[0:1]
	;; [unrolled: 4-line block ×13, first 2 shown]
	v_cmp_gt_u64_e32 vcc, s[2:3], v[4:5]
	v_cmp_neq_f32_e64 s[0:1], v20, v21
	v_lshlrev_b32_e32 v3, 2, v0
	v_mul_u32_u24_e32 v2, 15, v0
	s_and_b64 s[0:1], vcc, s[0:1]
	v_cmp_ne_u32_e32 vcc, 0, v0
	s_waitcnt lgkmcnt(0)
	v_mov_b32_e32 v4, s7
	ds_write_b32 v3, v1
	s_waitcnt lgkmcnt(0)
	s_barrier
	s_and_saveexec_b64 s[42:43], vcc
	s_cbranch_execz .LBB393_50
; %bb.49:
	v_add_u32_e32 v3, -4, v3
	ds_read_b32 v4, v3
.LBB393_50:
	s_or_b64 exec, exec, s[42:43]
	v_mov_b32_e32 v3, v5
	v_cndmask_b32_e64 v67, 0, 1, s[0:1]
	v_cmp_gt_u64_e32 vcc, s[2:3], v[2:3]
	s_waitcnt lgkmcnt(0)
	v_cmp_neq_f32_e64 s[0:1], v4, v20
	v_cndmask_b32_e64 v54, 0, 1, s[8:9]
	v_cndmask_b32_e64 v55, 0, 1, s[10:11]
	;; [unrolled: 1-line block ×13, first 2 shown]
	s_and_b64 s[10:11], vcc, s[0:1]
	s_mov_b64 s[8:9], -1
.LBB393_51:
                                        ; implicit-def: $sgpr7
	v_mov_b32_e32 v68, s7
	s_and_saveexec_b64 s[0:1], s[8:9]
	s_cbranch_execnz .LBB393_56
	s_branch .LBB393_57
.LBB393_52:
                                        ; implicit-def: $sgpr10_sgpr11
                                        ; implicit-def: $vgpr54
                                        ; implicit-def: $vgpr55
                                        ; implicit-def: $vgpr56
                                        ; implicit-def: $vgpr57
                                        ; implicit-def: $vgpr58
                                        ; implicit-def: $vgpr59
                                        ; implicit-def: $vgpr60
                                        ; implicit-def: $vgpr61
                                        ; implicit-def: $vgpr62
                                        ; implicit-def: $vgpr63
                                        ; implicit-def: $vgpr64
                                        ; implicit-def: $vgpr65
                                        ; implicit-def: $vgpr66
                                        ; implicit-def: $vgpr67
	s_cbranch_execz .LBB393_51
; %bb.53:
	v_mad_u32_u24 v2, v0, 15, 14
	v_mov_b32_e32 v3, 0
	v_cmp_gt_u64_e32 vcc, s[2:3], v[2:3]
	v_cmp_neq_f32_e64 s[0:1], v9, v1
	s_and_b64 s[0:1], vcc, s[0:1]
	v_mad_u32_u24 v2, v0, 15, 13
	v_cndmask_b32_e64 v54, 0, 1, s[0:1]
	v_cmp_gt_u64_e32 vcc, s[2:3], v[2:3]
	v_cmp_neq_f32_e64 s[0:1], v8, v9
	s_and_b64 s[0:1], vcc, s[0:1]
	v_mad_u32_u24 v2, v0, 15, 12
	v_cndmask_b32_e64 v55, 0, 1, s[0:1]
	;; [unrolled: 5-line block ×13, first 2 shown]
	v_cmp_gt_u64_e32 vcc, s[2:3], v[2:3]
	v_cmp_neq_f32_e64 s[0:1], v20, v21
	s_and_b64 s[0:1], vcc, s[0:1]
	v_lshlrev_b32_e32 v4, 2, v0
	s_mov_b32 s7, 1
	v_cndmask_b32_e64 v67, 0, 1, s[0:1]
	v_cmp_ne_u32_e32 vcc, 0, v0
	ds_write_b32 v4, v1
	s_waitcnt lgkmcnt(0)
	s_barrier
	s_waitcnt lgkmcnt(0)
                                        ; implicit-def: $sgpr10_sgpr11
	s_and_saveexec_b64 s[12:13], vcc
	s_cbranch_execz .LBB393_152
; %bb.54:
	v_add_u32_e32 v2, -4, v4
	ds_read_b32 v4, v2
	v_mul_u32_u24_e32 v2, 15, v0
	v_cmp_gt_u64_e32 vcc, s[2:3], v[2:3]
	s_or_b64 s[8:9], s[8:9], exec
	s_waitcnt lgkmcnt(0)
	v_cmp_neq_f32_e64 s[0:1], v4, v20
	s_and_b64 s[0:1], vcc, s[0:1]
	s_and_b64 s[10:11], s[0:1], exec
	s_or_b64 exec, exec, s[12:13]
.LBB393_55:
	v_mov_b32_e32 v68, s7
	s_and_saveexec_b64 s[0:1], s[8:9]
.LBB393_56:
	v_cndmask_b32_e64 v68, 0, 1, s[10:11]
.LBB393_57:
	s_or_b64 exec, exec, s[0:1]
	s_load_dwordx4 s[40:43], s[4:5], 0x20
	s_load_dwordx2 s[44:45], s[4:5], 0x30
	s_cmp_eq_u64 s[38:39], 0
	v_add3_u32 v2, v67, v68, v66
	s_cselect_b64 s[38:39], -1, 0
	s_cmp_lg_u32 s6, 0
	v_cmp_eq_u32_e64 s[24:25], 0, v67
	v_cmp_eq_u32_e64 s[22:23], 0, v66
	v_cmp_eq_u32_e64 s[20:21], 0, v65
	v_add3_u32 v72, v2, v65, v64
	v_cmp_eq_u32_e64 s[18:19], 0, v64
	v_cmp_eq_u32_e64 s[16:17], 0, v63
	;; [unrolled: 1-line block ×10, first 2 shown]
	v_cmp_eq_u32_e32 vcc, 0, v54
	v_mbcnt_lo_u32_b32 v71, -1, 0
	v_lshrrev_b32_e32 v69, 6, v0
	v_or_b32_e32 v70, 63, v0
	s_cbranch_scc0 .LBB393_88
; %bb.58:
	v_cndmask_b32_e64 v2, 0, v52, s[24:25]
	v_add_u32_e32 v2, v2, v52
	v_cndmask_b32_e64 v2, 0, v2, s[22:23]
	v_add_u32_e32 v2, v2, v52
	;; [unrolled: 2-line block ×11, first 2 shown]
	v_cndmask_b32_e64 v2, 0, v2, s[2:3]
	v_add3_u32 v3, v72, v63, v62
	v_add_u32_e32 v2, v2, v52
	v_add3_u32 v3, v3, v61, v60
	v_cndmask_b32_e64 v2, 0, v2, s[0:1]
	v_add3_u32 v3, v3, v59, v58
	v_add_u32_e32 v2, v2, v52
	v_add3_u32 v3, v3, v57, v56
	v_cndmask_b32_e32 v2, 0, v2, vcc
	v_add3_u32 v3, v3, v55, v54
	v_add_u32_e32 v2, v2, v53
	v_mbcnt_hi_u32_b32 v25, -1, v71
	v_and_b32_e32 v4, 15, v25
	v_mov_b32_dpp v6, v2 row_shr:1 row_mask:0xf bank_mask:0xf
	v_cmp_eq_u32_e32 vcc, 0, v3
	v_mov_b32_dpp v5, v3 row_shr:1 row_mask:0xf bank_mask:0xf
	v_cndmask_b32_e32 v6, 0, v6, vcc
	v_cmp_eq_u32_e32 vcc, 0, v4
	v_cndmask_b32_e64 v5, v5, 0, vcc
	v_add_u32_e32 v3, v5, v3
	v_cndmask_b32_e64 v5, v6, 0, vcc
	v_add_u32_e32 v2, v5, v2
	v_cmp_eq_u32_e32 vcc, 0, v3
	v_mov_b32_dpp v5, v3 row_shr:2 row_mask:0xf bank_mask:0xf
	v_cmp_lt_u32_e64 s[26:27], 1, v4
	v_mov_b32_dpp v6, v2 row_shr:2 row_mask:0xf bank_mask:0xf
	v_cndmask_b32_e64 v5, 0, v5, s[26:27]
	s_and_b64 vcc, s[26:27], vcc
	v_cndmask_b32_e32 v6, 0, v6, vcc
	v_add_u32_e32 v3, v3, v5
	v_add_u32_e32 v2, v6, v2
	v_cmp_eq_u32_e32 vcc, 0, v3
	v_mov_b32_dpp v5, v3 row_shr:4 row_mask:0xf bank_mask:0xf
	v_cmp_lt_u32_e64 s[26:27], 3, v4
	v_mov_b32_dpp v6, v2 row_shr:4 row_mask:0xf bank_mask:0xf
	v_cndmask_b32_e64 v5, 0, v5, s[26:27]
	s_and_b64 vcc, s[26:27], vcc
	v_cndmask_b32_e32 v6, 0, v6, vcc
	v_add_u32_e32 v3, v5, v3
	v_add_u32_e32 v2, v2, v6
	v_cmp_eq_u32_e32 vcc, 0, v3
	v_cmp_lt_u32_e64 s[26:27], 7, v4
	v_mov_b32_dpp v5, v3 row_shr:8 row_mask:0xf bank_mask:0xf
	v_mov_b32_dpp v6, v2 row_shr:8 row_mask:0xf bank_mask:0xf
	s_and_b64 vcc, s[26:27], vcc
	v_cndmask_b32_e64 v4, 0, v5, s[26:27]
	v_cndmask_b32_e32 v5, 0, v6, vcc
	v_add_u32_e32 v2, v5, v2
	v_add_u32_e32 v3, v4, v3
	v_bfe_i32 v6, v25, 4, 1
	v_mov_b32_dpp v5, v2 row_bcast:15 row_mask:0xf bank_mask:0xf
	v_mov_b32_dpp v4, v3 row_bcast:15 row_mask:0xf bank_mask:0xf
	v_cmp_eq_u32_e32 vcc, 0, v3
	v_cndmask_b32_e32 v5, 0, v5, vcc
	v_and_b32_e32 v4, v6, v4
	v_add_u32_e32 v3, v4, v3
	v_and_b32_e32 v4, v6, v5
	v_add_u32_e32 v4, v4, v2
	v_mov_b32_dpp v2, v3 row_bcast:31 row_mask:0xf bank_mask:0xf
	v_cmp_eq_u32_e32 vcc, 0, v3
	v_cmp_lt_u32_e64 s[26:27], 31, v25
	v_mov_b32_dpp v5, v4 row_bcast:31 row_mask:0xf bank_mask:0xf
	v_cndmask_b32_e64 v2, 0, v2, s[26:27]
	s_and_b64 vcc, s[26:27], vcc
	v_add_u32_e32 v2, v2, v3
	v_cndmask_b32_e32 v3, 0, v5, vcc
	v_add_u32_e32 v3, v3, v4
	v_cmp_eq_u32_e32 vcc, v70, v0
	v_lshlrev_b32_e32 v4, 3, v69
	s_and_saveexec_b64 s[26:27], vcc
	s_cbranch_execz .LBB393_60
; %bb.59:
	ds_write_b64 v4, v[2:3] offset:2064
.LBB393_60:
	s_or_b64 exec, exec, s[26:27]
	v_cmp_gt_u32_e32 vcc, 4, v0
	s_waitcnt lgkmcnt(0)
	s_barrier
	s_and_saveexec_b64 s[30:31], vcc
	s_cbranch_execz .LBB393_62
; %bb.61:
	v_lshlrev_b32_e32 v5, 3, v0
	ds_read_b64 v[6:7], v5 offset:2064
	v_and_b32_e32 v22, 3, v25
	v_cmp_lt_u32_e64 s[26:27], 1, v22
	s_waitcnt lgkmcnt(0)
	v_mov_b32_dpp v24, v7 row_shr:1 row_mask:0xf bank_mask:0xf
	v_cmp_eq_u32_e32 vcc, 0, v6
	v_mov_b32_dpp v23, v6 row_shr:1 row_mask:0xf bank_mask:0xf
	v_cndmask_b32_e32 v24, 0, v24, vcc
	v_cmp_eq_u32_e32 vcc, 0, v22
	v_cndmask_b32_e64 v23, v23, 0, vcc
	v_add_u32_e32 v6, v23, v6
	v_cndmask_b32_e64 v23, v24, 0, vcc
	v_add_u32_e32 v7, v23, v7
	v_cmp_eq_u32_e32 vcc, 0, v6
	v_mov_b32_dpp v23, v6 row_shr:2 row_mask:0xf bank_mask:0xf
	v_mov_b32_dpp v24, v7 row_shr:2 row_mask:0xf bank_mask:0xf
	v_cndmask_b32_e64 v22, 0, v23, s[26:27]
	s_and_b64 vcc, s[26:27], vcc
	v_add_u32_e32 v6, v22, v6
	v_cndmask_b32_e32 v22, 0, v24, vcc
	v_add_u32_e32 v7, v22, v7
	ds_write_b64 v5, v[6:7] offset:2064
.LBB393_62:
	s_or_b64 exec, exec, s[30:31]
	v_cmp_gt_u32_e32 vcc, 64, v0
	v_cmp_lt_u32_e64 s[26:27], 63, v0
	v_mov_b32_e32 v22, 0
	v_mov_b32_e32 v23, 0
	s_waitcnt lgkmcnt(0)
	s_barrier
	s_and_saveexec_b64 s[30:31], s[26:27]
	s_cbranch_execz .LBB393_64
; %bb.63:
	ds_read_b64 v[22:23], v4 offset:2056
	v_cmp_eq_u32_e64 s[26:27], 0, v2
	s_waitcnt lgkmcnt(0)
	v_add_u32_e32 v4, v22, v2
	v_cndmask_b32_e64 v2, 0, v23, s[26:27]
	v_add_u32_e32 v3, v2, v3
	v_mov_b32_e32 v2, v4
.LBB393_64:
	s_or_b64 exec, exec, s[30:31]
	v_add_u32_e32 v4, -1, v25
	v_and_b32_e32 v5, 64, v25
	v_cmp_lt_i32_e64 s[26:27], v4, v5
	v_cndmask_b32_e64 v4, v4, v25, s[26:27]
	v_lshlrev_b32_e32 v4, 2, v4
	ds_bpermute_b32 v30, v4, v2
	ds_bpermute_b32 v31, v4, v3
	v_cmp_eq_u32_e64 s[26:27], 0, v25
	s_and_saveexec_b64 s[52:53], vcc
	s_cbranch_execz .LBB393_87
; %bb.65:
	v_mov_b32_e32 v7, 0
	ds_read_b64 v[2:3], v7 offset:2088
	s_waitcnt lgkmcnt(0)
	v_readfirstlane_b32 s7, v2
	v_readfirstlane_b32 s56, v3
	s_and_saveexec_b64 s[30:31], s[26:27]
	s_cbranch_execz .LBB393_67
; %bb.66:
	s_add_i32 s54, s6, 64
	s_mov_b32 s55, 0
	s_lshl_b64 s[58:59], s[54:55], 4
	s_add_u32 s58, s36, s58
	s_addc_u32 s59, s37, s59
	s_and_b32 s61, s56, 0xff000000
	s_mov_b32 s60, s55
	s_and_b32 s63, s56, 0xff0000
	s_mov_b32 s62, s55
	s_or_b64 s[60:61], s[62:63], s[60:61]
	s_and_b32 s63, s56, 0xff00
	s_or_b64 s[60:61], s[60:61], s[62:63]
	s_and_b32 s63, s56, 0xff
	s_or_b64 s[54:55], s[60:61], s[62:63]
	v_mov_b32_e32 v4, s7
	v_mov_b32_e32 v5, s55
	;; [unrolled: 1-line block ×3, first 2 shown]
	v_pk_mov_b32 v[2:3], s[58:59], s[58:59] op_sel:[0,1]
	;;#ASMSTART
	global_store_dwordx4 v[2:3], v[4:7] off	
s_waitcnt vmcnt(0)
	;;#ASMEND
.LBB393_67:
	s_or_b64 exec, exec, s[30:31]
	v_xad_u32 v24, v25, -1, s6
	v_add_u32_e32 v6, 64, v24
	v_lshlrev_b64 v[2:3], 4, v[6:7]
	v_mov_b32_e32 v4, s37
	v_add_co_u32_e32 v26, vcc, s36, v2
	v_addc_co_u32_e32 v27, vcc, v4, v3, vcc
	;;#ASMSTART
	global_load_dwordx4 v[2:5], v[26:27] off glc	
s_waitcnt vmcnt(0)
	;;#ASMEND
	v_and_b32_e32 v5, 0xff, v3
	v_and_b32_e32 v6, 0xff00, v3
	v_or3_b32 v5, 0, v5, v6
	v_or3_b32 v2, v2, 0, 0
	v_and_b32_e32 v6, 0xff000000, v3
	v_and_b32_e32 v3, 0xff0000, v3
	v_or3_b32 v3, v5, v3, v6
	v_or3_b32 v2, v2, 0, 0
	v_cmp_eq_u16_sdwa s[54:55], v4, v7 src0_sel:BYTE_0 src1_sel:DWORD
	s_and_saveexec_b64 s[30:31], s[54:55]
	s_cbranch_execz .LBB393_73
; %bb.68:
	s_mov_b32 s57, 1
	s_mov_b64 s[54:55], 0
	v_mov_b32_e32 v6, 0
.LBB393_69:                             ; =>This Loop Header: Depth=1
                                        ;     Child Loop BB393_70 Depth 2
	s_max_u32 s58, s57, 1
.LBB393_70:                             ;   Parent Loop BB393_69 Depth=1
                                        ; =>  This Inner Loop Header: Depth=2
	s_add_i32 s58, s58, -1
	s_cmp_eq_u32 s58, 0
	s_sleep 1
	s_cbranch_scc0 .LBB393_70
; %bb.71:                               ;   in Loop: Header=BB393_69 Depth=1
	s_cmp_lt_u32 s57, 32
	s_cselect_b64 s[58:59], -1, 0
	s_cmp_lg_u64 s[58:59], 0
	s_addc_u32 s57, s57, 0
	;;#ASMSTART
	global_load_dwordx4 v[2:5], v[26:27] off glc	
s_waitcnt vmcnt(0)
	;;#ASMEND
	v_cmp_ne_u16_sdwa s[58:59], v4, v6 src0_sel:BYTE_0 src1_sel:DWORD
	s_or_b64 s[54:55], s[58:59], s[54:55]
	s_andn2_b64 exec, exec, s[54:55]
	s_cbranch_execnz .LBB393_69
; %bb.72:
	s_or_b64 exec, exec, s[54:55]
.LBB393_73:
	s_or_b64 exec, exec, s[30:31]
	v_mov_b32_e32 v32, 2
	v_cmp_eq_u16_sdwa s[30:31], v4, v32 src0_sel:BYTE_0 src1_sel:DWORD
	v_lshlrev_b64 v[26:27], v25, -1
	v_and_b32_e32 v5, s31, v27
	v_and_b32_e32 v33, 63, v25
	v_or_b32_e32 v5, 0x80000000, v5
	v_cmp_ne_u32_e32 vcc, 63, v33
	v_and_b32_e32 v6, s30, v26
	v_ffbl_b32_e32 v5, v5
	v_addc_co_u32_e32 v7, vcc, 0, v25, vcc
	v_add_u32_e32 v5, 32, v5
	v_ffbl_b32_e32 v6, v6
	v_lshlrev_b32_e32 v34, 2, v7
	v_min_u32_e32 v5, v6, v5
	ds_bpermute_b32 v6, v34, v3
	v_cmp_eq_u32_e32 vcc, 0, v2
	v_cmp_lt_u32_e64 s[30:31], v33, v5
	ds_bpermute_b32 v7, v34, v2
	s_and_b64 vcc, s[30:31], vcc
	s_waitcnt lgkmcnt(1)
	v_cndmask_b32_e32 v6, 0, v6, vcc
	v_cmp_gt_u32_e32 vcc, 62, v33
	v_add_u32_e32 v3, v6, v3
	v_cndmask_b32_e64 v6, 0, 1, vcc
	v_lshlrev_b32_e32 v6, 1, v6
	v_add_lshl_u32 v35, v6, v25, 2
	s_waitcnt lgkmcnt(0)
	v_cndmask_b32_e64 v7, 0, v7, s[30:31]
	ds_bpermute_b32 v6, v35, v3
	v_add_u32_e32 v2, v7, v2
	ds_bpermute_b32 v7, v35, v2
	v_add_u32_e32 v36, 2, v33
	v_cmp_eq_u32_e32 vcc, 0, v2
	s_waitcnt lgkmcnt(1)
	v_cndmask_b32_e32 v6, 0, v6, vcc
	v_cmp_gt_u32_e32 vcc, v36, v5
	v_cndmask_b32_e64 v6, v6, 0, vcc
	v_add_u32_e32 v3, v6, v3
	s_waitcnt lgkmcnt(0)
	v_cndmask_b32_e64 v6, v7, 0, vcc
	v_cmp_gt_u32_e32 vcc, 60, v33
	v_cndmask_b32_e64 v7, 0, 1, vcc
	v_lshlrev_b32_e32 v7, 2, v7
	v_add_lshl_u32 v37, v7, v25, 2
	ds_bpermute_b32 v7, v37, v3
	v_add_u32_e32 v2, v2, v6
	ds_bpermute_b32 v6, v37, v2
	v_add_u32_e32 v38, 4, v33
	v_cmp_eq_u32_e32 vcc, 0, v2
	s_waitcnt lgkmcnt(1)
	v_cndmask_b32_e32 v7, 0, v7, vcc
	v_cmp_gt_u32_e32 vcc, v38, v5
	v_cndmask_b32_e64 v7, v7, 0, vcc
	s_waitcnt lgkmcnt(0)
	v_cndmask_b32_e64 v6, v6, 0, vcc
	v_cmp_gt_u32_e32 vcc, 56, v33
	v_add_u32_e32 v3, v3, v7
	v_cndmask_b32_e64 v7, 0, 1, vcc
	v_lshlrev_b32_e32 v7, 3, v7
	v_add_lshl_u32 v39, v7, v25, 2
	ds_bpermute_b32 v7, v39, v3
	v_add_u32_e32 v2, v2, v6
	ds_bpermute_b32 v6, v39, v2
	v_add_u32_e32 v40, 8, v33
	v_cmp_eq_u32_e32 vcc, 0, v2
	s_waitcnt lgkmcnt(1)
	v_cndmask_b32_e32 v7, 0, v7, vcc
	v_cmp_gt_u32_e32 vcc, v40, v5
	v_cndmask_b32_e64 v7, v7, 0, vcc
	s_waitcnt lgkmcnt(0)
	v_cndmask_b32_e64 v6, v6, 0, vcc
	v_cmp_gt_u32_e32 vcc, 48, v33
	v_add_u32_e32 v3, v3, v7
	;; [unrolled: 16-line block ×3, first 2 shown]
	v_cndmask_b32_e64 v7, 0, 1, vcc
	v_lshlrev_b32_e32 v7, 5, v7
	v_add_lshl_u32 v43, v7, v25, 2
	ds_bpermute_b32 v7, v43, v3
	v_add_u32_e32 v2, v2, v6
	ds_bpermute_b32 v6, v43, v2
	v_add_u32_e32 v44, 32, v33
	v_cmp_eq_u32_e32 vcc, 0, v2
	s_waitcnt lgkmcnt(1)
	v_cndmask_b32_e32 v7, 0, v7, vcc
	v_cmp_gt_u32_e32 vcc, v44, v5
	v_cndmask_b32_e64 v5, v7, 0, vcc
	v_add_u32_e32 v3, v5, v3
	s_waitcnt lgkmcnt(0)
	v_cndmask_b32_e64 v5, v6, 0, vcc
	v_add_u32_e32 v2, v5, v2
	v_mov_b32_e32 v25, 0
	s_branch .LBB393_75
.LBB393_74:                             ;   in Loop: Header=BB393_75 Depth=1
	s_or_b64 exec, exec, s[30:31]
	v_cmp_eq_u16_sdwa s[30:31], v4, v32 src0_sel:BYTE_0 src1_sel:DWORD
	v_and_b32_e32 v5, s31, v27
	v_or_b32_e32 v5, 0x80000000, v5
	v_and_b32_e32 v28, s30, v26
	v_ffbl_b32_e32 v5, v5
	v_add_u32_e32 v5, 32, v5
	v_ffbl_b32_e32 v28, v28
	v_min_u32_e32 v5, v28, v5
	ds_bpermute_b32 v28, v34, v3
	v_cmp_eq_u32_e32 vcc, 0, v2
	v_cmp_lt_u32_e64 s[30:31], v33, v5
	ds_bpermute_b32 v29, v34, v2
	s_and_b64 vcc, s[30:31], vcc
	s_waitcnt lgkmcnt(1)
	v_cndmask_b32_e32 v28, 0, v28, vcc
	v_add_u32_e32 v3, v28, v3
	ds_bpermute_b32 v28, v35, v3
	s_waitcnt lgkmcnt(1)
	v_cndmask_b32_e64 v29, 0, v29, s[30:31]
	v_add_u32_e32 v2, v29, v2
	v_cmp_eq_u32_e32 vcc, 0, v2
	ds_bpermute_b32 v29, v35, v2
	s_waitcnt lgkmcnt(1)
	v_cndmask_b32_e32 v28, 0, v28, vcc
	v_cmp_gt_u32_e32 vcc, v36, v5
	v_cndmask_b32_e64 v28, v28, 0, vcc
	v_add_u32_e32 v3, v28, v3
	ds_bpermute_b32 v28, v37, v3
	s_waitcnt lgkmcnt(1)
	v_cndmask_b32_e64 v29, v29, 0, vcc
	v_add_u32_e32 v2, v2, v29
	v_cmp_eq_u32_e32 vcc, 0, v2
	ds_bpermute_b32 v29, v37, v2
	s_waitcnt lgkmcnt(1)
	v_cndmask_b32_e32 v28, 0, v28, vcc
	v_cmp_gt_u32_e32 vcc, v38, v5
	v_cndmask_b32_e64 v28, v28, 0, vcc
	v_add_u32_e32 v3, v3, v28
	ds_bpermute_b32 v28, v39, v3
	s_waitcnt lgkmcnt(1)
	v_cndmask_b32_e64 v29, v29, 0, vcc
	v_add_u32_e32 v2, v2, v29
	ds_bpermute_b32 v29, v39, v2
	v_cmp_eq_u32_e32 vcc, 0, v2
	s_waitcnt lgkmcnt(1)
	v_cndmask_b32_e32 v28, 0, v28, vcc
	v_cmp_gt_u32_e32 vcc, v40, v5
	v_cndmask_b32_e64 v28, v28, 0, vcc
	v_add_u32_e32 v3, v3, v28
	ds_bpermute_b32 v28, v41, v3
	s_waitcnt lgkmcnt(1)
	v_cndmask_b32_e64 v29, v29, 0, vcc
	v_add_u32_e32 v2, v2, v29
	ds_bpermute_b32 v29, v41, v2
	v_cmp_eq_u32_e32 vcc, 0, v2
	s_waitcnt lgkmcnt(1)
	v_cndmask_b32_e32 v28, 0, v28, vcc
	v_cmp_gt_u32_e32 vcc, v42, v5
	v_cndmask_b32_e64 v28, v28, 0, vcc
	v_add_u32_e32 v3, v3, v28
	ds_bpermute_b32 v28, v43, v3
	s_waitcnt lgkmcnt(1)
	v_cndmask_b32_e64 v29, v29, 0, vcc
	v_add_u32_e32 v2, v2, v29
	ds_bpermute_b32 v29, v43, v2
	v_cmp_eq_u32_e32 vcc, 0, v2
	s_waitcnt lgkmcnt(1)
	v_cndmask_b32_e32 v28, 0, v28, vcc
	v_cmp_gt_u32_e32 vcc, v44, v5
	v_cndmask_b32_e64 v5, v28, 0, vcc
	v_add_u32_e32 v3, v5, v3
	s_waitcnt lgkmcnt(0)
	v_cndmask_b32_e64 v5, v29, 0, vcc
	v_cmp_eq_u32_e32 vcc, 0, v6
	v_cndmask_b32_e32 v3, 0, v3, vcc
	v_subrev_u32_e32 v24, 64, v24
	v_add3_u32 v2, v2, v6, v5
	v_add_u32_e32 v3, v3, v7
.LBB393_75:                             ; =>This Loop Header: Depth=1
                                        ;     Child Loop BB393_78 Depth 2
                                        ;       Child Loop BB393_79 Depth 3
	v_cmp_ne_u16_sdwa s[30:31], v4, v32 src0_sel:BYTE_0 src1_sel:DWORD
	v_mov_b32_e32 v7, v3
	v_cndmask_b32_e64 v3, 0, 1, s[30:31]
	;;#ASMSTART
	;;#ASMEND
	v_cmp_ne_u32_e32 vcc, 0, v3
	s_cmp_lg_u64 vcc, exec
	v_mov_b32_e32 v6, v2
	s_cbranch_scc1 .LBB393_82
; %bb.76:                               ;   in Loop: Header=BB393_75 Depth=1
	v_lshlrev_b64 v[2:3], 4, v[24:25]
	v_mov_b32_e32 v4, s37
	v_add_co_u32_e32 v28, vcc, s36, v2
	v_addc_co_u32_e32 v29, vcc, v4, v3, vcc
	;;#ASMSTART
	global_load_dwordx4 v[2:5], v[28:29] off glc	
s_waitcnt vmcnt(0)
	;;#ASMEND
	v_and_b32_e32 v5, 0xff, v3
	v_and_b32_e32 v45, 0xff00, v3
	v_or3_b32 v5, 0, v5, v45
	v_or3_b32 v2, v2, 0, 0
	v_and_b32_e32 v45, 0xff000000, v3
	v_and_b32_e32 v3, 0xff0000, v3
	v_or3_b32 v3, v5, v3, v45
	v_or3_b32 v2, v2, 0, 0
	v_cmp_eq_u16_sdwa s[54:55], v4, v25 src0_sel:BYTE_0 src1_sel:DWORD
	s_and_saveexec_b64 s[30:31], s[54:55]
	s_cbranch_execz .LBB393_74
; %bb.77:                               ;   in Loop: Header=BB393_75 Depth=1
	s_mov_b32 s57, 1
	s_mov_b64 s[54:55], 0
.LBB393_78:                             ;   Parent Loop BB393_75 Depth=1
                                        ; =>  This Loop Header: Depth=2
                                        ;       Child Loop BB393_79 Depth 3
	s_max_u32 s58, s57, 1
.LBB393_79:                             ;   Parent Loop BB393_75 Depth=1
                                        ;     Parent Loop BB393_78 Depth=2
                                        ; =>    This Inner Loop Header: Depth=3
	s_add_i32 s58, s58, -1
	s_cmp_eq_u32 s58, 0
	s_sleep 1
	s_cbranch_scc0 .LBB393_79
; %bb.80:                               ;   in Loop: Header=BB393_78 Depth=2
	s_cmp_lt_u32 s57, 32
	s_cselect_b64 s[58:59], -1, 0
	s_cmp_lg_u64 s[58:59], 0
	s_addc_u32 s57, s57, 0
	;;#ASMSTART
	global_load_dwordx4 v[2:5], v[28:29] off glc	
s_waitcnt vmcnt(0)
	;;#ASMEND
	v_cmp_ne_u16_sdwa s[58:59], v4, v25 src0_sel:BYTE_0 src1_sel:DWORD
	s_or_b64 s[54:55], s[58:59], s[54:55]
	s_andn2_b64 exec, exec, s[54:55]
	s_cbranch_execnz .LBB393_78
; %bb.81:                               ;   in Loop: Header=BB393_75 Depth=1
	s_or_b64 exec, exec, s[54:55]
	s_branch .LBB393_74
.LBB393_82:                             ;   in Loop: Header=BB393_75 Depth=1
                                        ; implicit-def: $vgpr3
                                        ; implicit-def: $vgpr2
                                        ; implicit-def: $vgpr4
	s_cbranch_execz .LBB393_75
; %bb.83:
	s_and_saveexec_b64 s[30:31], s[26:27]
	s_cbranch_execz .LBB393_85
; %bb.84:
	s_cmp_eq_u32 s7, 0
	s_cselect_b64 vcc, -1, 0
	s_mov_b32 s55, 0
	v_cndmask_b32_e32 v2, 0, v7, vcc
	s_add_i32 s54, s6, 64
	v_add_u32_e32 v2, s56, v2
	s_lshl_b64 s[54:55], s[54:55], 4
	s_add_u32 s54, s36, s54
	v_and_b32_e32 v3, 0xff000000, v2
	v_and_b32_e32 v4, 0xff0000, v2
	s_addc_u32 s55, s37, s55
	v_or_b32_e32 v3, v4, v3
	v_and_b32_e32 v4, 0xff00, v2
	v_and_b32_e32 v2, 0xff, v2
	v_add_u32_e32 v24, s7, v6
	v_mov_b32_e32 v27, 0
	v_or3_b32 v25, v3, v4, v2
	v_mov_b32_e32 v26, 2
	v_pk_mov_b32 v[2:3], s[54:55], s[54:55] op_sel:[0,1]
	;;#ASMSTART
	global_store_dwordx4 v[2:3], v[24:27] off	
s_waitcnt vmcnt(0)
	;;#ASMEND
	v_mov_b32_e32 v4, s7
	v_mov_b32_e32 v5, s56
	ds_write_b128 v27, v[4:7] offset:2048
.LBB393_85:
	s_or_b64 exec, exec, s[30:31]
	v_cmp_eq_u32_e32 vcc, 0, v0
	s_and_b64 exec, exec, vcc
	s_cbranch_execz .LBB393_87
; %bb.86:
	v_mov_b32_e32 v2, 0
	ds_write_b64 v2, v[6:7] offset:2088
.LBB393_87:
	s_or_b64 exec, exec, s[52:53]
	v_mov_b32_e32 v4, 0
	s_waitcnt lgkmcnt(0)
	s_barrier
	ds_read_b64 v[2:3], v4 offset:2088
	v_cndmask_b32_e64 v6, v30, v22, s[26:27]
	v_cmp_eq_u32_e32 vcc, 0, v6
	v_cndmask_b32_e64 v5, v31, v23, s[26:27]
	s_waitcnt lgkmcnt(0)
	v_cndmask_b32_e32 v7, 0, v3, vcc
	v_add_u32_e32 v5, v7, v5
	v_cmp_eq_u32_e32 vcc, 0, v0
	v_cndmask_b32_e32 v51, v5, v3, vcc
	v_cndmask_b32_e64 v3, v6, 0, vcc
	v_cmp_eq_u32_e32 vcc, 0, v68
	v_add_u32_e32 v50, v2, v3
	v_cndmask_b32_e32 v2, 0, v51, vcc
	v_add_u32_e32 v49, v2, v52
	v_cndmask_b32_e64 v2, 0, v49, s[24:25]
	v_add_u32_e32 v47, v2, v52
	v_cndmask_b32_e64 v2, 0, v47, s[22:23]
	;; [unrolled: 2-line block ×8, first 2 shown]
	v_add_u32_e32 v48, v50, v68
	v_add_u32_e32 v33, v2, v52
	v_add_u32_e32 v46, v48, v67
	v_cndmask_b32_e64 v2, 0, v33, s[8:9]
	v_add_u32_e32 v44, v46, v66
	v_add_u32_e32 v31, v2, v52
	v_add_u32_e32 v42, v44, v65
	v_cndmask_b32_e64 v2, 0, v31, s[28:29]
	;; [unrolled: 4-line block ×3, first 2 shown]
	v_add_u32_e32 v36, v38, v62
	v_add_u32_e32 v27, v2, v52
	s_barrier
	ds_read_b128 v[2:5], v4 offset:2048
	v_add_u32_e32 v34, v36, v61
	v_add_u32_e32 v32, v34, v60
	;; [unrolled: 1-line block ×4, first 2 shown]
	v_cndmask_b32_e64 v6, 0, v27, s[2:3]
	v_add_u32_e32 v26, v28, v57
	v_add_u32_e32 v23, v6, v52
	s_waitcnt lgkmcnt(0)
	v_cmp_eq_u32_e32 vcc, 0, v2
	v_add_u32_e32 v22, v26, v56
	v_cndmask_b32_e64 v6, 0, v23, s[0:1]
	v_cndmask_b32_e32 v5, 0, v5, vcc
	v_add_u32_e32 v24, v22, v55
	v_add_u32_e32 v25, v6, v52
	;; [unrolled: 1-line block ×3, first 2 shown]
	s_branch .LBB393_100
.LBB393_88:
                                        ; implicit-def: $vgpr2
                                        ; implicit-def: $vgpr6
                                        ; implicit-def: $vgpr24_vgpr25
                                        ; implicit-def: $vgpr22_vgpr23
                                        ; implicit-def: $vgpr26_vgpr27
                                        ; implicit-def: $vgpr28_vgpr29
                                        ; implicit-def: $vgpr50_vgpr51
                                        ; implicit-def: $vgpr48_vgpr49
                                        ; implicit-def: $vgpr46_vgpr47
                                        ; implicit-def: $vgpr44_vgpr45
                                        ; implicit-def: $vgpr42_vgpr43
                                        ; implicit-def: $vgpr40_vgpr41
                                        ; implicit-def: $vgpr38_vgpr39
                                        ; implicit-def: $vgpr36_vgpr37
                                        ; implicit-def: $vgpr34_vgpr35
                                        ; implicit-def: $vgpr32_vgpr33
                                        ; implicit-def: $vgpr30_vgpr31
	s_cbranch_execz .LBB393_100
; %bb.89:
	s_and_b64 s[0:1], s[38:39], exec
	s_cselect_b32 s1, 0, s51
	s_cselect_b32 s0, 0, s50
	s_cmp_eq_u64 s[0:1], 0
	v_mov_b32_e32 v6, v52
	s_cbranch_scc1 .LBB393_91
; %bb.90:
	v_mov_b32_e32 v2, 0
	global_load_dword v6, v2, s[0:1]
.LBB393_91:
	v_cmp_eq_u32_e64 s[0:1], 0, v67
	v_cndmask_b32_e64 v2, 0, v52, s[0:1]
	v_add_u32_e32 v2, v2, v52
	v_cmp_eq_u32_e64 s[2:3], 0, v66
	v_cndmask_b32_e64 v2, 0, v2, s[2:3]
	v_add_u32_e32 v2, v2, v52
	;; [unrolled: 3-line block ×11, first 2 shown]
	v_cmp_eq_u32_e64 s[22:23], 0, v56
	v_cndmask_b32_e64 v2, 0, v2, s[22:23]
	v_add3_u32 v3, v72, v63, v62
	v_add_u32_e32 v2, v2, v52
	v_cmp_eq_u32_e32 vcc, 0, v55
	v_add3_u32 v3, v3, v61, v60
	v_cndmask_b32_e32 v2, 0, v2, vcc
	v_add3_u32 v3, v3, v59, v58
	v_add_u32_e32 v2, v2, v52
	v_cmp_eq_u32_e64 s[24:25], 0, v54
	v_add3_u32 v3, v3, v57, v56
	v_cndmask_b32_e64 v2, 0, v2, s[24:25]
	v_add3_u32 v3, v3, v55, v54
	v_add_u32_e32 v2, v2, v53
	v_mbcnt_hi_u32_b32 v7, -1, v71
	v_and_b32_e32 v4, 15, v7
	v_mov_b32_dpp v22, v2 row_shr:1 row_mask:0xf bank_mask:0xf
	v_cmp_eq_u32_e64 s[24:25], 0, v3
	v_mov_b32_dpp v5, v3 row_shr:1 row_mask:0xf bank_mask:0xf
	v_cndmask_b32_e64 v22, 0, v22, s[24:25]
	v_cmp_eq_u32_e64 s[24:25], 0, v4
	v_cndmask_b32_e64 v5, v5, 0, s[24:25]
	v_add_u32_e32 v3, v5, v3
	v_cndmask_b32_e64 v5, v22, 0, s[24:25]
	v_add_u32_e32 v2, v5, v2
	v_cmp_eq_u32_e64 s[24:25], 0, v3
	v_mov_b32_dpp v5, v3 row_shr:2 row_mask:0xf bank_mask:0xf
	v_cmp_lt_u32_e64 s[26:27], 1, v4
	v_mov_b32_dpp v22, v2 row_shr:2 row_mask:0xf bank_mask:0xf
	v_cndmask_b32_e64 v5, 0, v5, s[26:27]
	s_and_b64 s[24:25], s[26:27], s[24:25]
	v_cndmask_b32_e64 v22, 0, v22, s[24:25]
	v_add_u32_e32 v3, v3, v5
	v_add_u32_e32 v2, v22, v2
	v_cmp_eq_u32_e64 s[24:25], 0, v3
	v_mov_b32_dpp v5, v3 row_shr:4 row_mask:0xf bank_mask:0xf
	v_cmp_lt_u32_e64 s[26:27], 3, v4
	v_mov_b32_dpp v22, v2 row_shr:4 row_mask:0xf bank_mask:0xf
	v_cndmask_b32_e64 v5, 0, v5, s[26:27]
	s_and_b64 s[24:25], s[26:27], s[24:25]
	v_cndmask_b32_e64 v22, 0, v22, s[24:25]
	v_add_u32_e32 v3, v5, v3
	v_add_u32_e32 v2, v2, v22
	v_cmp_eq_u32_e64 s[24:25], 0, v3
	v_cmp_lt_u32_e64 s[26:27], 7, v4
	v_mov_b32_dpp v5, v3 row_shr:8 row_mask:0xf bank_mask:0xf
	v_mov_b32_dpp v22, v2 row_shr:8 row_mask:0xf bank_mask:0xf
	s_and_b64 s[24:25], s[26:27], s[24:25]
	v_cndmask_b32_e64 v4, 0, v5, s[26:27]
	v_cndmask_b32_e64 v5, 0, v22, s[24:25]
	v_add_u32_e32 v2, v5, v2
	v_add_u32_e32 v3, v4, v3
	v_bfe_i32 v22, v7, 4, 1
	v_mov_b32_dpp v5, v2 row_bcast:15 row_mask:0xf bank_mask:0xf
	v_mov_b32_dpp v4, v3 row_bcast:15 row_mask:0xf bank_mask:0xf
	v_cmp_eq_u32_e64 s[24:25], 0, v3
	v_cndmask_b32_e64 v5, 0, v5, s[24:25]
	v_and_b32_e32 v4, v22, v4
	v_add_u32_e32 v3, v4, v3
	v_and_b32_e32 v4, v22, v5
	v_add_u32_e32 v4, v4, v2
	v_mov_b32_dpp v2, v3 row_bcast:31 row_mask:0xf bank_mask:0xf
	v_cmp_eq_u32_e64 s[24:25], 0, v3
	v_cmp_lt_u32_e64 s[26:27], 31, v7
	v_mov_b32_dpp v5, v4 row_bcast:31 row_mask:0xf bank_mask:0xf
	v_cndmask_b32_e64 v2, 0, v2, s[26:27]
	s_and_b64 s[24:25], s[26:27], s[24:25]
	v_add_u32_e32 v2, v2, v3
	v_cndmask_b32_e64 v3, 0, v5, s[24:25]
	v_add_u32_e32 v3, v3, v4
	v_cmp_eq_u32_e64 s[24:25], v70, v0
	s_and_saveexec_b64 s[26:27], s[24:25]
	s_cbranch_execz .LBB393_93
; %bb.92:
	v_lshlrev_b32_e32 v4, 3, v69
	ds_write_b64 v4, v[2:3] offset:2064
.LBB393_93:
	s_or_b64 exec, exec, s[26:27]
	v_cmp_gt_u32_e64 s[24:25], 4, v0
	s_waitcnt lgkmcnt(0)
	s_barrier
	s_and_saveexec_b64 s[28:29], s[24:25]
	s_cbranch_execz .LBB393_95
; %bb.94:
	v_lshlrev_b32_e32 v22, 3, v0
	ds_read_b64 v[4:5], v22 offset:2064
	v_and_b32_e32 v23, 3, v7
	v_cmp_lt_u32_e64 s[26:27], 1, v23
	s_waitcnt lgkmcnt(0)
	v_mov_b32_dpp v25, v5 row_shr:1 row_mask:0xf bank_mask:0xf
	v_cmp_eq_u32_e64 s[24:25], 0, v4
	v_mov_b32_dpp v24, v4 row_shr:1 row_mask:0xf bank_mask:0xf
	v_cndmask_b32_e64 v25, 0, v25, s[24:25]
	v_cmp_eq_u32_e64 s[24:25], 0, v23
	v_cndmask_b32_e64 v24, v24, 0, s[24:25]
	v_add_u32_e32 v4, v24, v4
	v_cndmask_b32_e64 v24, v25, 0, s[24:25]
	v_add_u32_e32 v5, v24, v5
	v_cmp_eq_u32_e64 s[24:25], 0, v4
	v_mov_b32_dpp v24, v4 row_shr:2 row_mask:0xf bank_mask:0xf
	v_mov_b32_dpp v25, v5 row_shr:2 row_mask:0xf bank_mask:0xf
	v_cndmask_b32_e64 v23, 0, v24, s[26:27]
	s_and_b64 s[24:25], s[26:27], s[24:25]
	v_add_u32_e32 v4, v23, v4
	v_cndmask_b32_e64 v23, 0, v25, s[24:25]
	v_add_u32_e32 v5, v23, v5
	ds_write_b64 v22, v[4:5] offset:2064
.LBB393_95:
	s_or_b64 exec, exec, s[28:29]
	v_cmp_lt_u32_e64 s[24:25], 63, v0
	v_mov_b32_e32 v23, 0
	v_mov_b32_e32 v4, 0
	s_waitcnt vmcnt(0)
	v_mov_b32_e32 v5, v6
	s_waitcnt lgkmcnt(0)
	s_barrier
	s_and_saveexec_b64 s[26:27], s[24:25]
	s_cbranch_execz .LBB393_97
; %bb.96:
	v_lshlrev_b32_e32 v4, 3, v69
	ds_read_b64 v[4:5], v4 offset:2056
	s_waitcnt lgkmcnt(0)
	v_cmp_eq_u32_e64 s[24:25], 0, v4
	v_cndmask_b32_e64 v22, 0, v6, s[24:25]
	v_add_u32_e32 v5, v22, v5
.LBB393_97:
	s_or_b64 exec, exec, s[26:27]
	v_cmp_eq_u32_e64 s[24:25], 0, v2
	v_add_u32_e32 v22, v4, v2
	v_cndmask_b32_e64 v2, 0, v5, s[24:25]
	v_add_u32_e32 v2, v2, v3
	v_add_u32_e32 v3, -1, v7
	v_and_b32_e32 v24, 64, v7
	v_cmp_lt_i32_e64 s[24:25], v3, v24
	v_cndmask_b32_e64 v3, v3, v7, s[24:25]
	v_lshlrev_b32_e32 v3, 2, v3
	ds_bpermute_b32 v22, v3, v22
	ds_bpermute_b32 v2, v3, v2
	v_cmp_eq_u32_e64 s[24:25], 0, v7
	v_cmp_eq_u32_e64 s[26:27], 0, v68
	s_waitcnt lgkmcnt(1)
	v_cndmask_b32_e64 v3, v22, v4, s[24:25]
	s_waitcnt lgkmcnt(0)
	v_cndmask_b32_e64 v2, v2, v5, s[24:25]
	v_cmp_eq_u32_e64 s[24:25], 0, v0
	v_cndmask_b32_e64 v51, v2, v6, s[24:25]
	v_cndmask_b32_e64 v2, 0, v51, s[26:27]
	v_add_u32_e32 v49, v2, v52
	v_cndmask_b32_e64 v2, 0, v49, s[0:1]
	v_add_u32_e32 v47, v2, v52
	;; [unrolled: 2-line block ×8, first 2 shown]
	v_cndmask_b32_e64 v50, v3, 0, s[24:25]
	v_cndmask_b32_e64 v2, 0, v35, s[14:15]
	v_add_u32_e32 v48, v50, v68
	v_add_u32_e32 v33, v2, v52
	v_add_u32_e32 v46, v48, v67
	v_cndmask_b32_e64 v2, 0, v33, s[16:17]
	v_add_u32_e32 v44, v46, v66
	v_add_u32_e32 v31, v2, v52
	v_add_u32_e32 v42, v44, v65
	;; [unrolled: 4-line block ×3, first 2 shown]
	v_cndmask_b32_e64 v2, 0, v29, s[20:21]
	v_add_u32_e32 v36, v38, v62
	v_add_u32_e32 v27, v2, v52
	ds_read_b64 v[2:3], v23 offset:2088
	v_add_u32_e32 v34, v36, v61
	v_add_u32_e32 v32, v34, v60
	;; [unrolled: 1-line block ×3, first 2 shown]
	v_cndmask_b32_e64 v4, 0, v27, s[22:23]
	v_add_u32_e32 v28, v30, v58
	v_add_u32_e32 v23, v4, v52
	;; [unrolled: 1-line block ×3, first 2 shown]
	v_cndmask_b32_e32 v4, 0, v23, vcc
	s_waitcnt lgkmcnt(0)
	v_cmp_eq_u32_e32 vcc, 0, v2
	v_add_u32_e32 v22, v26, v56
	v_add_u32_e32 v25, v4, v52
	v_cndmask_b32_e32 v4, 0, v6, vcc
	v_add_u32_e32 v24, v22, v55
	v_add_u32_e32 v6, v4, v3
	s_and_saveexec_b64 s[0:1], s[24:25]
	s_cbranch_execz .LBB393_99
; %bb.98:
	s_add_u32 s2, s36, 0x400
	v_and_b32_e32 v3, 0xff000000, v6
	v_and_b32_e32 v4, 0xff0000, v6
	s_addc_u32 s3, s37, 0
	v_or_b32_e32 v3, v4, v3
	v_and_b32_e32 v4, 0xff00, v6
	v_and_b32_e32 v7, 0xff, v6
	v_mov_b32_e32 v5, 0
	v_or3_b32 v3, v3, v4, v7
	v_mov_b32_e32 v4, 2
	v_pk_mov_b32 v[52:53], s[2:3], s[2:3] op_sel:[0,1]
	;;#ASMSTART
	global_store_dwordx4 v[52:53], v[2:5] off	
s_waitcnt vmcnt(0)
	;;#ASMEND
.LBB393_99:
	s_or_b64 exec, exec, s[0:1]
	v_mov_b32_e32 v4, 0
.LBB393_100:
	s_and_b64 s[0:1], s[38:39], exec
	s_cselect_b32 s1, 0, s47
	s_cselect_b32 s0, 0, s46
	s_cmp_eq_u64 s[0:1], 0
	v_pk_mov_b32 v[52:53], 0, 0
	s_waitcnt lgkmcnt(0)
	s_barrier
	s_cbranch_scc1 .LBB393_102
; %bb.101:
	v_mov_b32_e32 v3, 0
	global_load_dwordx2 v[52:53], v3, s[0:1]
.LBB393_102:
	s_waitcnt vmcnt(0)
	v_lshlrev_b64 v[70:71], 2, v[52:53]
	v_mov_b32_e32 v3, s41
	v_add_co_u32_e32 v7, vcc, s40, v70
	v_mov_b32_e32 v5, 0
	v_addc_co_u32_e32 v69, vcc, v3, v71, vcc
	v_lshlrev_b64 v[70:71], 2, v[4:5]
	v_add_co_u32_e32 v3, vcc, v7, v70
	v_addc_co_u32_e32 v7, vcc, v69, v71, vcc
	v_cmp_eq_u32_e32 vcc, 0, v68
	v_cndmask_b32_e64 v69, 1, 2, vcc
	v_cmp_eq_u32_e32 vcc, 0, v67
	v_cndmask_b32_e64 v70, 1, 2, vcc
	v_cmp_eq_u32_e32 vcc, 0, v66
	v_and_b32_e32 v69, v70, v69
	v_cndmask_b32_e64 v70, 1, 2, vcc
	v_cmp_eq_u32_e32 vcc, 0, v65
	v_and_b32_e32 v69, v69, v70
	;; [unrolled: 3-line block ×13, first 2 shown]
	v_cndmask_b32_e64 v70, 1, 2, vcc
	s_movk_i32 s30, 0x100
	v_and_b32_e32 v69, v69, v70
	v_cmp_gt_u32_e32 vcc, s30, v2
	v_cmp_ne_u32_e64 s[28:29], 0, v68
	v_cmp_ne_u32_e64 s[26:27], 0, v67
	;; [unrolled: 1-line block ×15, first 2 shown]
	s_mov_b64 s[36:37], -1
	v_cmp_gt_i16_e64 s[30:31], 2, v69
	s_cbranch_vccz .LBB393_109
; %bb.103:
	s_and_saveexec_b64 s[36:37], s[30:31]
	s_cbranch_execz .LBB393_108
; %bb.104:
	v_cmp_ne_u16_e32 vcc, 1, v69
	s_mov_b64 s[38:39], 0
	s_and_saveexec_b64 s[30:31], vcc
	s_xor_b64 s[30:31], exec, s[30:31]
	s_cbranch_execnz .LBB393_153
; %bb.105:
	s_andn2_saveexec_b64 s[30:31], s[30:31]
	s_cbranch_execnz .LBB393_169
.LBB393_106:
	s_or_b64 exec, exec, s[30:31]
	s_and_b64 exec, exec, s[38:39]
	s_cbranch_execz .LBB393_108
.LBB393_107:
	v_sub_u32_e32 v70, v24, v4
	v_mov_b32_e32 v71, 0
	v_lshlrev_b64 v[70:71], 2, v[70:71]
	v_add_co_u32_e32 v70, vcc, v3, v70
	v_addc_co_u32_e32 v71, vcc, v7, v71, vcc
	global_store_dword v[70:71], v1, off
.LBB393_108:
	s_or_b64 exec, exec, s[36:37]
	s_mov_b64 s[36:37], 0
.LBB393_109:
	s_and_b64 vcc, exec, s[36:37]
	s_cbranch_vccz .LBB393_131
; %bb.110:
	v_cmp_gt_i16_e32 vcc, 2, v69
	s_and_saveexec_b64 s[30:31], vcc
	s_cbranch_execz .LBB393_115
; %bb.111:
	v_cmp_ne_u16_e32 vcc, 1, v69
	s_mov_b64 s[38:39], 0
	s_and_saveexec_b64 s[36:37], vcc
	s_xor_b64 s[36:37], exec, s[36:37]
	s_cbranch_execnz .LBB393_170
; %bb.112:
	s_andn2_saveexec_b64 s[0:1], s[36:37]
	s_cbranch_execnz .LBB393_186
.LBB393_113:
	s_or_b64 exec, exec, s[0:1]
	s_and_b64 exec, exec, s[38:39]
	s_cbranch_execz .LBB393_115
.LBB393_114:
	v_sub_u32_e32 v8, v24, v4
	v_lshlrev_b32_e32 v8, 2, v8
	ds_write_b32 v8, v1
.LBB393_115:
	s_or_b64 exec, exec, s[30:31]
	v_cmp_lt_u32_e32 vcc, v0, v2
	s_waitcnt lgkmcnt(0)
	s_barrier
	s_and_saveexec_b64 s[2:3], vcc
	s_cbranch_execz .LBB393_130
; %bb.116:
	v_xad_u32 v1, v0, -1, v2
	s_movk_i32 s0, 0x1700
	v_cmp_gt_u32_e64 s[4:5], s0, v1
	s_movk_i32 s0, 0x16ff
	v_cmp_lt_u32_e32 vcc, s0, v1
	v_mov_b32_e32 v8, v0
	s_and_saveexec_b64 s[6:7], vcc
	s_cbranch_execz .LBB393_127
; %bb.117:
	v_sub_u32_e32 v8, v0, v2
	v_or_b32_e32 v8, 0xff, v8
	v_cmp_ge_u32_e32 vcc, v8, v0
	s_mov_b64 s[0:1], -1
	v_mov_b32_e32 v8, v0
	s_and_saveexec_b64 s[8:9], vcc
	s_cbranch_execz .LBB393_126
; %bb.118:
	v_lshrrev_b32_e32 v12, 8, v1
	v_add_u32_e32 v8, -1, v12
	v_or_b32_e32 v1, 0x100, v0
	v_lshrrev_b32_e32 v9, 1, v8
	v_add_u32_e32 v13, 1, v9
	v_cmp_lt_u32_e32 vcc, 13, v8
	v_mov_b32_e32 v16, 0
	v_pk_mov_b32 v[8:9], v[0:1], v[0:1] op_sel:[0,1]
	s_and_saveexec_b64 s[10:11], vcc
	s_cbranch_execz .LBB393_122
; %bb.119:
	v_and_b32_e32 v14, -8, v13
	v_lshlrev_b32_e32 v15, 2, v0
	s_mov_b32 s14, 0
	s_mov_b64 s[12:13], 0
	v_mov_b32_e32 v11, 0
	v_pk_mov_b32 v[8:9], v[0:1], v[0:1] op_sel:[0,1]
.LBB393_120:                            ; =>This Inner Loop Header: Depth=1
	v_mov_b32_e32 v10, v8
	v_add_u32_e32 v14, -8, v14
	v_lshlrev_b64 v[94:95], 2, v[10:11]
	v_mov_b32_e32 v10, v9
	ds_read2st64_b32 v[18:19], v15 offset1:4
	s_add_i32 s14, s14, 16
	v_cmp_eq_u32_e32 vcc, 0, v14
	v_lshlrev_b64 v[98:99], 2, v[10:11]
	v_add_u32_e32 v10, 0x200, v8
	s_or_b64 s[12:13], vcc, s[12:13]
	v_add_co_u32_e32 v98, vcc, v3, v98
	v_add_u32_e32 v16, 0x200, v9
	ds_read2st64_b32 v[20:21], v15 offset0:8 offset1:12
	v_mov_b32_e32 v17, v11
	ds_read2st64_b32 v[72:73], v15 offset0:16 offset1:20
	v_add_co_u32_e64 v94, s[0:1], v3, v94
	v_addc_co_u32_e32 v99, vcc, v7, v99, vcc
	v_lshlrev_b64 v[100:101], 2, v[10:11]
	v_lshlrev_b64 v[96:97], 2, v[16:17]
	v_addc_co_u32_e64 v95, s[0:1], v7, v95, s[0:1]
	v_add_u32_e32 v10, 0x400, v8
	v_add_co_u32_e32 v100, vcc, v3, v100
	v_add_u32_e32 v70, 0x400, v9
	v_mov_b32_e32 v71, v11
	ds_read2st64_b32 v[76:77], v15 offset0:24 offset1:28
	v_add_co_u32_e64 v96, s[0:1], v3, v96
	v_addc_co_u32_e32 v101, vcc, v7, v101, vcc
	v_lshlrev_b64 v[102:103], 2, v[10:11]
	ds_read2st64_b32 v[80:81], v15 offset0:32 offset1:36
	ds_read2st64_b32 v[84:85], v15 offset0:40 offset1:44
	;; [unrolled: 1-line block ×4, first 2 shown]
	v_lshlrev_b64 v[70:71], 2, v[70:71]
	v_addc_co_u32_e64 v97, s[0:1], v7, v97, s[0:1]
	v_add_u32_e32 v10, 0x600, v8
	s_waitcnt lgkmcnt(7)
	global_store_dword v[94:95], v18, off
	global_store_dword v[98:99], v19, off
	s_waitcnt lgkmcnt(6)
	global_store_dword v[100:101], v20, off
	global_store_dword v[96:97], v21, off
	v_add_co_u32_e32 v18, vcc, v3, v102
	v_add_u32_e32 v74, 0x600, v9
	v_mov_b32_e32 v75, v11
	v_add_co_u32_e64 v70, s[0:1], v3, v70
	v_addc_co_u32_e32 v19, vcc, v7, v103, vcc
	v_lshlrev_b64 v[20:21], 2, v[10:11]
	v_lshlrev_b64 v[74:75], 2, v[74:75]
	v_addc_co_u32_e64 v71, s[0:1], v7, v71, s[0:1]
	v_add_u32_e32 v10, 0x800, v8
	s_waitcnt lgkmcnt(5)
	global_store_dword v[18:19], v72, off
	global_store_dword v[70:71], v73, off
	v_add_co_u32_e32 v18, vcc, v3, v20
	v_add_u32_e32 v78, 0x800, v9
	v_mov_b32_e32 v79, v11
	v_add_co_u32_e64 v74, s[0:1], v3, v74
	v_addc_co_u32_e32 v19, vcc, v7, v21, vcc
	v_lshlrev_b64 v[20:21], 2, v[10:11]
	v_lshlrev_b64 v[78:79], 2, v[78:79]
	v_addc_co_u32_e64 v75, s[0:1], v7, v75, s[0:1]
	v_add_u32_e32 v10, 0xa00, v8
	;; [unrolled: 12-line block ×4, first 2 shown]
	s_waitcnt lgkmcnt(2)
	global_store_dword v[18:19], v84, off
	global_store_dword v[82:83], v85, off
	v_add_co_u32_e32 v18, vcc, v3, v20
	v_add_u32_e32 v90, 0xe00, v9
	v_mov_b32_e32 v91, v11
	v_add_co_u32_e64 v86, s[0:1], v3, v86
	v_addc_co_u32_e32 v19, vcc, v7, v21, vcc
	v_lshlrev_b64 v[20:21], 2, v[10:11]
	v_lshlrev_b64 v[90:91], 2, v[90:91]
	v_addc_co_u32_e64 v87, s[0:1], v7, v87, s[0:1]
	s_waitcnt lgkmcnt(1)
	global_store_dword v[18:19], v88, off
	global_store_dword v[86:87], v89, off
	v_add_co_u32_e32 v18, vcc, v3, v20
	v_add_u32_e32 v15, 0x4000, v15
	v_add_u32_e32 v9, 0x1000, v9
	v_mov_b32_e32 v16, s14
	v_add_co_u32_e64 v90, s[0:1], v3, v90
	v_add_u32_e32 v8, 0x1000, v8
	v_addc_co_u32_e32 v19, vcc, v7, v21, vcc
	v_addc_co_u32_e64 v91, s[0:1], v7, v91, s[0:1]
	s_waitcnt lgkmcnt(0)
	global_store_dword v[18:19], v92, off
	global_store_dword v[90:91], v93, off
	s_andn2_b64 exec, exec, s[12:13]
	s_cbranch_execnz .LBB393_120
; %bb.121:
	s_or_b64 exec, exec, s[12:13]
.LBB393_122:
	s_or_b64 exec, exec, s[10:11]
	v_and_b32_e32 v1, 7, v13
	v_cmp_ne_u32_e32 vcc, 0, v1
	s_and_saveexec_b64 s[10:11], vcc
	s_cbranch_execz .LBB393_125
; %bb.123:
	v_lshlrev_b32_e32 v10, 2, v0
	v_lshl_or_b32 v13, v16, 10, v10
	s_mov_b64 s[12:13], 0
	v_mov_b32_e32 v11, 0
.LBB393_124:                            ; =>This Inner Loop Header: Depth=1
	ds_read2st64_b32 v[14:15], v13 offset1:4
	v_mov_b32_e32 v10, v8
	v_add_u32_e32 v1, -1, v1
	v_lshlrev_b64 v[16:17], 2, v[10:11]
	v_mov_b32_e32 v10, v9
	v_cmp_eq_u32_e32 vcc, 0, v1
	v_add_co_u32_e64 v16, s[0:1], v3, v16
	v_lshlrev_b64 v[18:19], 2, v[10:11]
	v_add_u32_e32 v8, 0x200, v8
	v_add_u32_e32 v13, 0x800, v13
	;; [unrolled: 1-line block ×3, first 2 shown]
	v_addc_co_u32_e64 v17, s[0:1], v7, v17, s[0:1]
	s_or_b64 s[12:13], vcc, s[12:13]
	v_add_co_u32_e32 v18, vcc, v3, v18
	v_addc_co_u32_e32 v19, vcc, v7, v19, vcc
	s_waitcnt lgkmcnt(0)
	global_store_dword v[16:17], v14, off
	global_store_dword v[18:19], v15, off
	s_andn2_b64 exec, exec, s[12:13]
	s_cbranch_execnz .LBB393_124
.LBB393_125:
	s_or_b64 exec, exec, s[10:11]
	v_add_u32_e32 v1, 1, v12
	v_and_b32_e32 v9, 0x1fffffe, v1
	v_cmp_ne_u32_e32 vcc, v1, v9
	v_lshl_or_b32 v8, v9, 8, v0
	s_orn2_b64 s[0:1], vcc, exec
.LBB393_126:
	s_or_b64 exec, exec, s[8:9]
	s_andn2_b64 s[4:5], s[4:5], exec
	s_and_b64 s[0:1], s[0:1], exec
	s_or_b64 s[4:5], s[4:5], s[0:1]
.LBB393_127:
	s_or_b64 exec, exec, s[6:7]
	s_and_b64 exec, exec, s[4:5]
	s_cbranch_execz .LBB393_130
; %bb.128:
	v_lshlrev_b32_e32 v1, 2, v8
	s_mov_b64 s[0:1], 0
	v_mov_b32_e32 v9, 0
.LBB393_129:                            ; =>This Inner Loop Header: Depth=1
	ds_read_b32 v12, v1
	v_lshlrev_b64 v[10:11], 2, v[8:9]
	v_add_co_u32_e32 v10, vcc, v3, v10
	v_add_u32_e32 v8, 0x100, v8
	v_addc_co_u32_e32 v11, vcc, v7, v11, vcc
	v_cmp_ge_u32_e32 vcc, v8, v2
	v_add_u32_e32 v1, 0x400, v1
	s_or_b64 s[0:1], vcc, s[0:1]
	s_waitcnt lgkmcnt(0)
	global_store_dword v[10:11], v12, off
	s_andn2_b64 exec, exec, s[0:1]
	s_cbranch_execnz .LBB393_129
.LBB393_130:
	s_or_b64 exec, exec, s[2:3]
.LBB393_131:
	s_cmpk_lg_i32 s33, 0xf00
	s_cselect_b64 s[0:1], -1, 0
	v_cndmask_b32_e64 v11, 0, 1, s[48:49]
	s_and_b64 s[0:1], s[34:35], s[0:1]
	v_cmp_eq_u32_e32 vcc, 0, v0
	v_sub_u32_e32 v1, v2, v11
	v_cndmask_b32_e64 v3, 0, 1, s[0:1]
	s_and_b64 s[0:1], vcc, s[48:49]
	v_add_u32_e32 v1, v1, v3
	v_cndmask_b32_e64 v3, v68, 0, s[0:1]
	s_mul_hi_u32 s0, s33, 0x88888889
	s_lshr_b32 s0, s0, 3
	v_mad_i32_i24 v7, v0, -15, s33
	v_cmp_eq_u32_e32 vcc, s0, v0
	v_cmp_ne_u32_e64 s[0:1], 0, v7
	v_cndmask_b32_e64 v8, 1, v3, s[0:1]
	v_cmp_ne_u32_e64 s[0:1], 1, v7
	v_cndmask_b32_e64 v9, 1, v67, s[0:1]
	;; [unrolled: 2-line block ×14, first 2 shown]
	v_cmp_ne_u32_e64 s[0:1], 14, v7
	s_and_b64 vcc, s[34:35], vcc
	v_cndmask_b32_e64 v7, 1, v54, s[0:1]
	v_cndmask_b32_e32 v20, v57, v20, vcc
	v_cndmask_b32_e32 v19, v58, v19, vcc
	;; [unrolled: 1-line block ×4, first 2 shown]
	v_lshlrev_b64 v[8:9], 3, v[52:53]
	v_cndmask_b32_e32 v54, v54, v7, vcc
	v_cndmask_b32_e32 v55, v55, v68, vcc
	;; [unrolled: 1-line block ×11, first 2 shown]
	v_mov_b32_e32 v3, s43
	v_add_co_u32_e32 v7, vcc, s42, v8
	v_addc_co_u32_e32 v3, vcc, v3, v9, vcc
	v_lshlrev_b64 v[8:9], 3, v[4:5]
	v_add_co_u32_e32 v5, vcc, v7, v8
	v_addc_co_u32_e32 v10, vcc, v3, v9, vcc
	v_lshlrev_b32_e32 v3, 3, v11
	v_add_co_u32_e32 v3, vcc, v3, v5
	v_addc_co_u32_e32 v7, vcc, 0, v10, vcc
	v_add_co_u32_e32 v3, vcc, -8, v3
	v_addc_co_u32_e32 v7, vcc, -1, v7, vcc
	v_cmp_eq_u32_e32 vcc, 0, v58
	v_cndmask_b32_e64 v9, 1, 2, vcc
	v_cmp_eq_u32_e32 vcc, 0, v57
	v_add_u32_e32 v8, v4, v11
	v_cndmask_b32_e64 v11, 1, 2, vcc
	v_cmp_eq_u32_e32 vcc, 0, v56
	v_and_b32_e32 v9, v11, v9
	v_cndmask_b32_e64 v11, 1, 2, vcc
	v_cmp_eq_u32_e32 vcc, 0, v12
	v_and_b32_e32 v9, v9, v11
	;; [unrolled: 3-line block ×13, first 2 shown]
	v_cndmask_b32_e64 v11, 1, 2, vcc
	s_movk_i32 s30, 0x100
	v_and_b32_e32 v9, v9, v11
	v_cmp_gt_u32_e32 vcc, s30, v1
	v_cmp_ne_u32_e64 s[28:29], 0, v58
	v_cmp_ne_u32_e64 s[26:27], 0, v57
	;; [unrolled: 1-line block ×15, first 2 shown]
	s_mov_b64 s[36:37], -1
	v_cmp_gt_i16_e64 s[30:31], 2, v9
	s_barrier
	s_cbranch_vccz .LBB393_138
; %bb.132:
	s_and_saveexec_b64 s[36:37], s[30:31]
	s_cbranch_execz .LBB393_137
; %bb.133:
	v_cmp_ne_u16_e32 vcc, 1, v9
	s_mov_b64 s[38:39], 0
	s_and_saveexec_b64 s[30:31], vcc
	s_xor_b64 s[30:31], exec, s[30:31]
	s_cbranch_execnz .LBB393_187
; %bb.134:
	s_andn2_saveexec_b64 s[30:31], s[30:31]
	s_cbranch_execnz .LBB393_203
.LBB393_135:
	s_or_b64 exec, exec, s[30:31]
	s_and_b64 exec, exec, s[38:39]
	s_cbranch_execz .LBB393_137
.LBB393_136:
	v_mov_b32_e32 v13, 0
	v_sub_u32_e32 v14, v24, v8
	v_mov_b32_e32 v15, v13
	v_lshlrev_b64 v[14:15], 3, v[14:15]
	v_add_co_u32_e32 v14, vcc, v3, v14
	v_mov_b32_e32 v12, v25
	v_addc_co_u32_e32 v15, vcc, v7, v15, vcc
	global_store_dwordx2 v[14:15], v[12:13], off
.LBB393_137:
	s_or_b64 exec, exec, s[36:37]
	s_mov_b64 s[36:37], 0
.LBB393_138:
	s_and_b64 vcc, exec, s[36:37]
	s_cbranch_vccz .LBB393_148
; %bb.139:
	v_cmp_gt_i16_e32 vcc, 2, v9
	s_and_saveexec_b64 s[30:31], vcc
	s_cbranch_execz .LBB393_144
; %bb.140:
	v_cmp_ne_u16_e32 vcc, 1, v9
	s_mov_b64 s[38:39], 0
	s_and_saveexec_b64 s[36:37], vcc
	s_xor_b64 s[36:37], exec, s[36:37]
	s_cbranch_execnz .LBB393_204
; %bb.141:
	s_andn2_saveexec_b64 s[0:1], s[36:37]
	s_cbranch_execnz .LBB393_220
.LBB393_142:
	s_or_b64 exec, exec, s[0:1]
	s_and_b64 exec, exec, s[38:39]
	s_cbranch_execz .LBB393_144
.LBB393_143:
	v_sub_u32_e32 v8, v24, v8
	v_lshlrev_b32_e32 v8, 2, v8
	ds_write_b32 v8, v25
.LBB393_144:
	s_or_b64 exec, exec, s[30:31]
	v_cmp_lt_u32_e32 vcc, v0, v1
	s_waitcnt lgkmcnt(0)
	s_barrier
	s_and_saveexec_b64 s[0:1], vcc
	s_cbranch_execz .LBB393_147
; %bb.145:
	v_lshlrev_b32_e32 v11, 2, v0
	s_mov_b64 s[2:3], 0
	v_mov_b32_e32 v9, 0
	v_mov_b32_e32 v8, v0
.LBB393_146:                            ; =>This Inner Loop Header: Depth=1
	ds_read_b32 v12, v11
	v_lshlrev_b64 v[14:15], 3, v[8:9]
	v_add_co_u32_e32 v14, vcc, v3, v14
	v_add_u32_e32 v8, 0x100, v8
	v_addc_co_u32_e32 v15, vcc, v7, v15, vcc
	v_cmp_ge_u32_e32 vcc, v8, v1
	v_mov_b32_e32 v13, v9
	v_add_u32_e32 v11, 0x400, v11
	s_or_b64 s[2:3], vcc, s[2:3]
	s_waitcnt lgkmcnt(0)
	global_store_dwordx2 v[14:15], v[12:13], off
	s_andn2_b64 exec, exec, s[2:3]
	s_cbranch_execnz .LBB393_146
.LBB393_147:
	s_or_b64 exec, exec, s[0:1]
.LBB393_148:
	s_movk_i32 s0, 0xff
	v_cmp_eq_u32_e32 vcc, s0, v0
	s_and_b64 s[0:1], vcc, s[34:35]
	s_and_saveexec_b64 s[2:3], s[0:1]
	s_cbranch_execz .LBB393_151
; %bb.149:
	v_add_co_u32_e32 v0, vcc, v2, v4
	v_addc_co_u32_e64 v1, s[0:1], 0, 0, vcc
	v_add_co_u32_e32 v0, vcc, v0, v52
	v_mov_b32_e32 v3, 0
	v_addc_co_u32_e32 v1, vcc, v1, v53, vcc
	s_cmpk_lg_i32 s33, 0xf00
	global_store_dwordx2 v3, v[0:1], s[44:45]
	s_cbranch_scc1 .LBB393_151
; %bb.150:
	v_lshlrev_b64 v[0:1], 3, v[2:3]
	v_add_co_u32_e32 v0, vcc, v5, v0
	v_mov_b32_e32 v7, v3
	v_addc_co_u32_e32 v1, vcc, v10, v1, vcc
	global_store_dwordx2 v[0:1], v[6:7], off offset:-8
.LBB393_151:
	s_endpgm
.LBB393_152:
	s_or_b64 exec, exec, s[12:13]
	v_mov_b32_e32 v68, s7
	s_and_saveexec_b64 s[0:1], s[8:9]
	s_cbranch_execnz .LBB393_56
	s_branch .LBB393_57
.LBB393_153:
	s_and_saveexec_b64 s[38:39], s[28:29]
	s_cbranch_execnz .LBB393_221
; %bb.154:
	s_or_b64 exec, exec, s[38:39]
	s_and_saveexec_b64 s[38:39], s[26:27]
	s_cbranch_execnz .LBB393_222
.LBB393_155:
	s_or_b64 exec, exec, s[38:39]
	s_and_saveexec_b64 s[38:39], s[24:25]
	s_cbranch_execnz .LBB393_223
.LBB393_156:
	s_or_b64 exec, exec, s[38:39]
	s_and_saveexec_b64 s[38:39], s[22:23]
	s_cbranch_execnz .LBB393_224
.LBB393_157:
	s_or_b64 exec, exec, s[38:39]
	s_and_saveexec_b64 s[38:39], s[20:21]
	s_cbranch_execnz .LBB393_225
.LBB393_158:
	s_or_b64 exec, exec, s[38:39]
	s_and_saveexec_b64 s[38:39], s[18:19]
	s_cbranch_execnz .LBB393_226
.LBB393_159:
	s_or_b64 exec, exec, s[38:39]
	s_and_saveexec_b64 s[38:39], s[16:17]
	s_cbranch_execnz .LBB393_227
.LBB393_160:
	s_or_b64 exec, exec, s[38:39]
	s_and_saveexec_b64 s[38:39], s[14:15]
	s_cbranch_execnz .LBB393_228
.LBB393_161:
	s_or_b64 exec, exec, s[38:39]
	s_and_saveexec_b64 s[38:39], s[12:13]
	s_cbranch_execnz .LBB393_229
.LBB393_162:
	s_or_b64 exec, exec, s[38:39]
	s_and_saveexec_b64 s[38:39], s[10:11]
	s_cbranch_execnz .LBB393_230
.LBB393_163:
	s_or_b64 exec, exec, s[38:39]
	s_and_saveexec_b64 s[38:39], s[8:9]
	s_cbranch_execnz .LBB393_231
.LBB393_164:
	s_or_b64 exec, exec, s[38:39]
	s_and_saveexec_b64 s[38:39], s[6:7]
	s_cbranch_execnz .LBB393_232
.LBB393_165:
	s_or_b64 exec, exec, s[38:39]
	s_and_saveexec_b64 s[38:39], s[4:5]
	s_cbranch_execnz .LBB393_233
.LBB393_166:
	s_or_b64 exec, exec, s[38:39]
	s_and_saveexec_b64 s[38:39], s[2:3]
	s_cbranch_execz .LBB393_168
.LBB393_167:
	v_sub_u32_e32 v70, v22, v4
	v_mov_b32_e32 v71, 0
	v_lshlrev_b64 v[70:71], 2, v[70:71]
	v_add_co_u32_e32 v70, vcc, v3, v70
	v_addc_co_u32_e32 v71, vcc, v7, v71, vcc
	global_store_dword v[70:71], v9, off
.LBB393_168:
	s_or_b64 exec, exec, s[38:39]
	s_and_b64 s[38:39], s[0:1], exec
	s_andn2_saveexec_b64 s[30:31], s[30:31]
	s_cbranch_execz .LBB393_106
.LBB393_169:
	v_sub_u32_e32 v70, v50, v4
	v_mov_b32_e32 v71, 0
	v_lshlrev_b64 v[72:73], 2, v[70:71]
	v_add_co_u32_e32 v72, vcc, v3, v72
	v_addc_co_u32_e32 v73, vcc, v7, v73, vcc
	v_sub_u32_e32 v70, v48, v4
	global_store_dword v[72:73], v20, off
	v_lshlrev_b64 v[72:73], 2, v[70:71]
	v_add_co_u32_e32 v72, vcc, v3, v72
	v_addc_co_u32_e32 v73, vcc, v7, v73, vcc
	v_sub_u32_e32 v70, v46, v4
	global_store_dword v[72:73], v21, off
	v_lshlrev_b64 v[72:73], 2, v[70:71]
	v_add_co_u32_e32 v72, vcc, v3, v72
	v_addc_co_u32_e32 v73, vcc, v7, v73, vcc
	v_sub_u32_e32 v70, v44, v4
	global_store_dword v[72:73], v18, off
	v_lshlrev_b64 v[72:73], 2, v[70:71]
	v_add_co_u32_e32 v72, vcc, v3, v72
	v_addc_co_u32_e32 v73, vcc, v7, v73, vcc
	v_sub_u32_e32 v70, v42, v4
	global_store_dword v[72:73], v19, off
	v_lshlrev_b64 v[72:73], 2, v[70:71]
	v_add_co_u32_e32 v72, vcc, v3, v72
	v_addc_co_u32_e32 v73, vcc, v7, v73, vcc
	v_sub_u32_e32 v70, v40, v4
	global_store_dword v[72:73], v16, off
	v_lshlrev_b64 v[72:73], 2, v[70:71]
	v_add_co_u32_e32 v72, vcc, v3, v72
	v_addc_co_u32_e32 v73, vcc, v7, v73, vcc
	v_sub_u32_e32 v70, v38, v4
	global_store_dword v[72:73], v17, off
	v_lshlrev_b64 v[72:73], 2, v[70:71]
	v_add_co_u32_e32 v72, vcc, v3, v72
	v_addc_co_u32_e32 v73, vcc, v7, v73, vcc
	v_sub_u32_e32 v70, v36, v4
	global_store_dword v[72:73], v14, off
	v_lshlrev_b64 v[72:73], 2, v[70:71]
	v_add_co_u32_e32 v72, vcc, v3, v72
	v_addc_co_u32_e32 v73, vcc, v7, v73, vcc
	v_sub_u32_e32 v70, v34, v4
	global_store_dword v[72:73], v15, off
	v_lshlrev_b64 v[72:73], 2, v[70:71]
	v_add_co_u32_e32 v72, vcc, v3, v72
	v_addc_co_u32_e32 v73, vcc, v7, v73, vcc
	v_sub_u32_e32 v70, v32, v4
	global_store_dword v[72:73], v12, off
	v_lshlrev_b64 v[72:73], 2, v[70:71]
	v_add_co_u32_e32 v72, vcc, v3, v72
	v_addc_co_u32_e32 v73, vcc, v7, v73, vcc
	v_sub_u32_e32 v70, v30, v4
	global_store_dword v[72:73], v13, off
	v_lshlrev_b64 v[72:73], 2, v[70:71]
	v_add_co_u32_e32 v72, vcc, v3, v72
	v_addc_co_u32_e32 v73, vcc, v7, v73, vcc
	v_sub_u32_e32 v70, v28, v4
	global_store_dword v[72:73], v10, off
	v_lshlrev_b64 v[72:73], 2, v[70:71]
	v_add_co_u32_e32 v72, vcc, v3, v72
	v_addc_co_u32_e32 v73, vcc, v7, v73, vcc
	v_sub_u32_e32 v70, v26, v4
	global_store_dword v[72:73], v11, off
	v_lshlrev_b64 v[72:73], 2, v[70:71]
	v_add_co_u32_e32 v72, vcc, v3, v72
	v_sub_u32_e32 v70, v22, v4
	v_addc_co_u32_e32 v73, vcc, v7, v73, vcc
	v_lshlrev_b64 v[70:71], 2, v[70:71]
	v_add_co_u32_e32 v70, vcc, v3, v70
	v_addc_co_u32_e32 v71, vcc, v7, v71, vcc
	s_or_b64 s[38:39], s[38:39], exec
	global_store_dword v[72:73], v8, off
	global_store_dword v[70:71], v9, off
	s_or_b64 exec, exec, s[30:31]
	s_and_b64 exec, exec, s[38:39]
	s_cbranch_execnz .LBB393_107
	s_branch .LBB393_108
.LBB393_170:
	s_and_saveexec_b64 s[38:39], s[28:29]
	s_cbranch_execnz .LBB393_234
; %bb.171:
	s_or_b64 exec, exec, s[38:39]
	s_and_saveexec_b64 s[28:29], s[26:27]
	s_cbranch_execnz .LBB393_235
.LBB393_172:
	s_or_b64 exec, exec, s[28:29]
	s_and_saveexec_b64 s[26:27], s[24:25]
	s_cbranch_execnz .LBB393_236
.LBB393_173:
	s_or_b64 exec, exec, s[26:27]
	s_and_saveexec_b64 s[24:25], s[22:23]
	s_cbranch_execnz .LBB393_237
.LBB393_174:
	s_or_b64 exec, exec, s[24:25]
	s_and_saveexec_b64 s[22:23], s[20:21]
	s_cbranch_execnz .LBB393_238
.LBB393_175:
	s_or_b64 exec, exec, s[22:23]
	s_and_saveexec_b64 s[20:21], s[18:19]
	s_cbranch_execnz .LBB393_239
.LBB393_176:
	s_or_b64 exec, exec, s[20:21]
	s_and_saveexec_b64 s[18:19], s[16:17]
	s_cbranch_execnz .LBB393_240
.LBB393_177:
	s_or_b64 exec, exec, s[18:19]
	s_and_saveexec_b64 s[16:17], s[14:15]
	s_cbranch_execnz .LBB393_241
.LBB393_178:
	s_or_b64 exec, exec, s[16:17]
	s_and_saveexec_b64 s[14:15], s[12:13]
	s_cbranch_execnz .LBB393_242
.LBB393_179:
	s_or_b64 exec, exec, s[14:15]
	s_and_saveexec_b64 s[12:13], s[10:11]
	s_cbranch_execnz .LBB393_243
.LBB393_180:
	s_or_b64 exec, exec, s[12:13]
	s_and_saveexec_b64 s[10:11], s[8:9]
	s_cbranch_execnz .LBB393_244
.LBB393_181:
	s_or_b64 exec, exec, s[10:11]
	s_and_saveexec_b64 s[8:9], s[6:7]
	s_cbranch_execnz .LBB393_245
.LBB393_182:
	s_or_b64 exec, exec, s[8:9]
	s_and_saveexec_b64 s[6:7], s[4:5]
	s_cbranch_execnz .LBB393_246
.LBB393_183:
	s_or_b64 exec, exec, s[6:7]
	s_and_saveexec_b64 s[4:5], s[2:3]
	s_cbranch_execz .LBB393_185
.LBB393_184:
	v_sub_u32_e32 v8, v22, v4
	v_lshlrev_b32_e32 v8, 2, v8
	ds_write_b32 v8, v9
.LBB393_185:
	s_or_b64 exec, exec, s[4:5]
	s_and_b64 s[38:39], s[0:1], exec
                                        ; implicit-def: $vgpr9
                                        ; implicit-def: $vgpr11
                                        ; implicit-def: $vgpr13
                                        ; implicit-def: $vgpr15
                                        ; implicit-def: $vgpr17
                                        ; implicit-def: $vgpr19
                                        ; implicit-def: $vgpr21
	s_andn2_saveexec_b64 s[0:1], s[36:37]
	s_cbranch_execz .LBB393_113
.LBB393_186:
	v_sub_u32_e32 v69, v50, v4
	v_lshlrev_b32_e32 v69, 2, v69
	ds_write_b32 v69, v20
	v_sub_u32_e32 v20, v48, v4
	v_lshlrev_b32_e32 v20, 2, v20
	ds_write_b32 v20, v21
	;; [unrolled: 3-line block ×13, first 2 shown]
	v_sub_u32_e32 v8, v22, v4
	v_lshlrev_b32_e32 v8, 2, v8
	s_or_b64 s[38:39], s[38:39], exec
	ds_write_b32 v8, v9
	s_or_b64 exec, exec, s[0:1]
	s_and_b64 exec, exec, s[38:39]
	s_cbranch_execnz .LBB393_114
	s_branch .LBB393_115
.LBB393_187:
	s_and_saveexec_b64 s[38:39], s[28:29]
	s_cbranch_execnz .LBB393_247
; %bb.188:
	s_or_b64 exec, exec, s[38:39]
	s_and_saveexec_b64 s[38:39], s[26:27]
	s_cbranch_execnz .LBB393_248
.LBB393_189:
	s_or_b64 exec, exec, s[38:39]
	s_and_saveexec_b64 s[38:39], s[24:25]
	s_cbranch_execnz .LBB393_249
.LBB393_190:
	s_or_b64 exec, exec, s[38:39]
	s_and_saveexec_b64 s[38:39], s[22:23]
	s_cbranch_execnz .LBB393_250
.LBB393_191:
	s_or_b64 exec, exec, s[38:39]
	s_and_saveexec_b64 s[38:39], s[20:21]
	s_cbranch_execnz .LBB393_251
.LBB393_192:
	s_or_b64 exec, exec, s[38:39]
	s_and_saveexec_b64 s[38:39], s[18:19]
	s_cbranch_execnz .LBB393_252
.LBB393_193:
	s_or_b64 exec, exec, s[38:39]
	s_and_saveexec_b64 s[38:39], s[16:17]
	s_cbranch_execnz .LBB393_253
.LBB393_194:
	s_or_b64 exec, exec, s[38:39]
	s_and_saveexec_b64 s[38:39], s[14:15]
	s_cbranch_execnz .LBB393_254
.LBB393_195:
	s_or_b64 exec, exec, s[38:39]
	s_and_saveexec_b64 s[38:39], s[12:13]
	s_cbranch_execnz .LBB393_255
.LBB393_196:
	s_or_b64 exec, exec, s[38:39]
	s_and_saveexec_b64 s[38:39], s[10:11]
	s_cbranch_execnz .LBB393_256
.LBB393_197:
	s_or_b64 exec, exec, s[38:39]
	s_and_saveexec_b64 s[38:39], s[8:9]
	s_cbranch_execnz .LBB393_257
.LBB393_198:
	s_or_b64 exec, exec, s[38:39]
	s_and_saveexec_b64 s[38:39], s[6:7]
	s_cbranch_execnz .LBB393_258
.LBB393_199:
	s_or_b64 exec, exec, s[38:39]
	s_and_saveexec_b64 s[38:39], s[4:5]
	s_cbranch_execnz .LBB393_259
.LBB393_200:
	s_or_b64 exec, exec, s[38:39]
	s_and_saveexec_b64 s[38:39], s[2:3]
	s_cbranch_execz .LBB393_202
.LBB393_201:
	v_sub_u32_e32 v12, v22, v8
	v_mov_b32_e32 v13, 0
	v_lshlrev_b64 v[14:15], 3, v[12:13]
	v_add_co_u32_e32 v14, vcc, v3, v14
	v_addc_co_u32_e32 v15, vcc, v7, v15, vcc
	v_mov_b32_e32 v12, v23
	global_store_dwordx2 v[14:15], v[12:13], off
.LBB393_202:
	s_or_b64 exec, exec, s[38:39]
	s_and_b64 s[38:39], s[0:1], exec
	s_andn2_saveexec_b64 s[30:31], s[30:31]
	s_cbranch_execz .LBB393_135
.LBB393_203:
	v_mov_b32_e32 v13, 0
	v_sub_u32_e32 v14, v50, v8
	v_mov_b32_e32 v15, v13
	v_lshlrev_b64 v[14:15], 3, v[14:15]
	v_add_co_u32_e32 v14, vcc, v3, v14
	v_mov_b32_e32 v12, v51
	v_addc_co_u32_e32 v15, vcc, v7, v15, vcc
	global_store_dwordx2 v[14:15], v[12:13], off
	v_sub_u32_e32 v14, v48, v8
	v_mov_b32_e32 v15, v13
	v_lshlrev_b64 v[14:15], 3, v[14:15]
	v_add_co_u32_e32 v14, vcc, v3, v14
	v_mov_b32_e32 v12, v49
	v_addc_co_u32_e32 v15, vcc, v7, v15, vcc
	global_store_dwordx2 v[14:15], v[12:13], off
	;; [unrolled: 7-line block ×13, first 2 shown]
	v_sub_u32_e32 v14, v22, v8
	v_mov_b32_e32 v15, v13
	v_lshlrev_b64 v[14:15], 3, v[14:15]
	v_add_co_u32_e32 v14, vcc, v3, v14
	v_mov_b32_e32 v12, v23
	v_addc_co_u32_e32 v15, vcc, v7, v15, vcc
	s_or_b64 s[38:39], s[38:39], exec
	global_store_dwordx2 v[14:15], v[12:13], off
	s_or_b64 exec, exec, s[30:31]
	s_and_b64 exec, exec, s[38:39]
	s_cbranch_execnz .LBB393_136
	s_branch .LBB393_137
.LBB393_204:
	s_and_saveexec_b64 s[38:39], s[28:29]
	s_cbranch_execnz .LBB393_260
; %bb.205:
	s_or_b64 exec, exec, s[38:39]
	s_and_saveexec_b64 s[28:29], s[26:27]
	s_cbranch_execnz .LBB393_261
.LBB393_206:
	s_or_b64 exec, exec, s[28:29]
	s_and_saveexec_b64 s[26:27], s[24:25]
	s_cbranch_execnz .LBB393_262
.LBB393_207:
	s_or_b64 exec, exec, s[26:27]
	s_and_saveexec_b64 s[24:25], s[22:23]
	s_cbranch_execnz .LBB393_263
.LBB393_208:
	s_or_b64 exec, exec, s[24:25]
	s_and_saveexec_b64 s[22:23], s[20:21]
	s_cbranch_execnz .LBB393_264
.LBB393_209:
	s_or_b64 exec, exec, s[22:23]
	s_and_saveexec_b64 s[20:21], s[18:19]
	s_cbranch_execnz .LBB393_265
.LBB393_210:
	s_or_b64 exec, exec, s[20:21]
	s_and_saveexec_b64 s[18:19], s[16:17]
	s_cbranch_execnz .LBB393_266
.LBB393_211:
	s_or_b64 exec, exec, s[18:19]
	s_and_saveexec_b64 s[16:17], s[14:15]
	s_cbranch_execnz .LBB393_267
.LBB393_212:
	s_or_b64 exec, exec, s[16:17]
	s_and_saveexec_b64 s[14:15], s[12:13]
	s_cbranch_execnz .LBB393_268
.LBB393_213:
	s_or_b64 exec, exec, s[14:15]
	s_and_saveexec_b64 s[12:13], s[10:11]
	s_cbranch_execnz .LBB393_269
.LBB393_214:
	s_or_b64 exec, exec, s[12:13]
	s_and_saveexec_b64 s[10:11], s[8:9]
	s_cbranch_execnz .LBB393_270
.LBB393_215:
	s_or_b64 exec, exec, s[10:11]
	s_and_saveexec_b64 s[8:9], s[6:7]
	s_cbranch_execnz .LBB393_271
.LBB393_216:
	s_or_b64 exec, exec, s[8:9]
	s_and_saveexec_b64 s[6:7], s[4:5]
	s_cbranch_execnz .LBB393_272
.LBB393_217:
	s_or_b64 exec, exec, s[6:7]
	s_and_saveexec_b64 s[4:5], s[2:3]
	s_cbranch_execz .LBB393_219
.LBB393_218:
	v_sub_u32_e32 v9, v22, v8
	v_lshlrev_b32_e32 v9, 2, v9
	ds_write_b32 v9, v23
.LBB393_219:
	s_or_b64 exec, exec, s[4:5]
	s_and_b64 s[38:39], s[0:1], exec
                                        ; implicit-def: $vgpr22_vgpr23
                                        ; implicit-def: $vgpr26_vgpr27
                                        ; implicit-def: $vgpr28_vgpr29
                                        ; implicit-def: $vgpr50_vgpr51
                                        ; implicit-def: $vgpr48_vgpr49
                                        ; implicit-def: $vgpr46_vgpr47
                                        ; implicit-def: $vgpr44_vgpr45
                                        ; implicit-def: $vgpr42_vgpr43
                                        ; implicit-def: $vgpr40_vgpr41
                                        ; implicit-def: $vgpr38_vgpr39
                                        ; implicit-def: $vgpr36_vgpr37
                                        ; implicit-def: $vgpr34_vgpr35
                                        ; implicit-def: $vgpr32_vgpr33
                                        ; implicit-def: $vgpr30_vgpr31
	s_andn2_saveexec_b64 s[0:1], s[36:37]
	s_cbranch_execz .LBB393_142
.LBB393_220:
	v_sub_u32_e32 v9, v50, v8
	v_lshlrev_b32_e32 v9, 2, v9
	ds_write_b32 v9, v51
	v_sub_u32_e32 v9, v48, v8
	v_lshlrev_b32_e32 v9, 2, v9
	ds_write_b32 v9, v49
	;; [unrolled: 3-line block ×13, first 2 shown]
	v_sub_u32_e32 v9, v22, v8
	v_lshlrev_b32_e32 v9, 2, v9
	s_or_b64 s[38:39], s[38:39], exec
	ds_write_b32 v9, v23
	s_or_b64 exec, exec, s[0:1]
	s_and_b64 exec, exec, s[38:39]
	s_cbranch_execnz .LBB393_143
	s_branch .LBB393_144
.LBB393_221:
	v_sub_u32_e32 v70, v50, v4
	v_mov_b32_e32 v71, 0
	v_lshlrev_b64 v[70:71], 2, v[70:71]
	v_add_co_u32_e32 v70, vcc, v3, v70
	v_addc_co_u32_e32 v71, vcc, v7, v71, vcc
	global_store_dword v[70:71], v20, off
	s_or_b64 exec, exec, s[38:39]
	s_and_saveexec_b64 s[38:39], s[26:27]
	s_cbranch_execz .LBB393_155
.LBB393_222:
	v_sub_u32_e32 v70, v48, v4
	v_mov_b32_e32 v71, 0
	v_lshlrev_b64 v[70:71], 2, v[70:71]
	v_add_co_u32_e32 v70, vcc, v3, v70
	v_addc_co_u32_e32 v71, vcc, v7, v71, vcc
	global_store_dword v[70:71], v21, off
	s_or_b64 exec, exec, s[38:39]
	s_and_saveexec_b64 s[38:39], s[24:25]
	s_cbranch_execz .LBB393_156
.LBB393_223:
	v_sub_u32_e32 v70, v46, v4
	v_mov_b32_e32 v71, 0
	v_lshlrev_b64 v[70:71], 2, v[70:71]
	v_add_co_u32_e32 v70, vcc, v3, v70
	v_addc_co_u32_e32 v71, vcc, v7, v71, vcc
	global_store_dword v[70:71], v18, off
	s_or_b64 exec, exec, s[38:39]
	s_and_saveexec_b64 s[38:39], s[22:23]
	s_cbranch_execz .LBB393_157
.LBB393_224:
	v_sub_u32_e32 v70, v44, v4
	v_mov_b32_e32 v71, 0
	v_lshlrev_b64 v[70:71], 2, v[70:71]
	v_add_co_u32_e32 v70, vcc, v3, v70
	v_addc_co_u32_e32 v71, vcc, v7, v71, vcc
	global_store_dword v[70:71], v19, off
	s_or_b64 exec, exec, s[38:39]
	s_and_saveexec_b64 s[38:39], s[20:21]
	s_cbranch_execz .LBB393_158
.LBB393_225:
	v_sub_u32_e32 v70, v42, v4
	v_mov_b32_e32 v71, 0
	v_lshlrev_b64 v[70:71], 2, v[70:71]
	v_add_co_u32_e32 v70, vcc, v3, v70
	v_addc_co_u32_e32 v71, vcc, v7, v71, vcc
	global_store_dword v[70:71], v16, off
	s_or_b64 exec, exec, s[38:39]
	s_and_saveexec_b64 s[38:39], s[18:19]
	s_cbranch_execz .LBB393_159
.LBB393_226:
	v_sub_u32_e32 v70, v40, v4
	v_mov_b32_e32 v71, 0
	v_lshlrev_b64 v[70:71], 2, v[70:71]
	v_add_co_u32_e32 v70, vcc, v3, v70
	v_addc_co_u32_e32 v71, vcc, v7, v71, vcc
	global_store_dword v[70:71], v17, off
	s_or_b64 exec, exec, s[38:39]
	s_and_saveexec_b64 s[38:39], s[16:17]
	s_cbranch_execz .LBB393_160
.LBB393_227:
	v_sub_u32_e32 v70, v38, v4
	v_mov_b32_e32 v71, 0
	v_lshlrev_b64 v[70:71], 2, v[70:71]
	v_add_co_u32_e32 v70, vcc, v3, v70
	v_addc_co_u32_e32 v71, vcc, v7, v71, vcc
	global_store_dword v[70:71], v14, off
	s_or_b64 exec, exec, s[38:39]
	s_and_saveexec_b64 s[38:39], s[14:15]
	s_cbranch_execz .LBB393_161
.LBB393_228:
	v_sub_u32_e32 v70, v36, v4
	v_mov_b32_e32 v71, 0
	v_lshlrev_b64 v[70:71], 2, v[70:71]
	v_add_co_u32_e32 v70, vcc, v3, v70
	v_addc_co_u32_e32 v71, vcc, v7, v71, vcc
	global_store_dword v[70:71], v15, off
	s_or_b64 exec, exec, s[38:39]
	s_and_saveexec_b64 s[38:39], s[12:13]
	s_cbranch_execz .LBB393_162
.LBB393_229:
	v_sub_u32_e32 v70, v34, v4
	v_mov_b32_e32 v71, 0
	v_lshlrev_b64 v[70:71], 2, v[70:71]
	v_add_co_u32_e32 v70, vcc, v3, v70
	v_addc_co_u32_e32 v71, vcc, v7, v71, vcc
	global_store_dword v[70:71], v12, off
	s_or_b64 exec, exec, s[38:39]
	s_and_saveexec_b64 s[38:39], s[10:11]
	s_cbranch_execz .LBB393_163
.LBB393_230:
	v_sub_u32_e32 v70, v32, v4
	v_mov_b32_e32 v71, 0
	v_lshlrev_b64 v[70:71], 2, v[70:71]
	v_add_co_u32_e32 v70, vcc, v3, v70
	v_addc_co_u32_e32 v71, vcc, v7, v71, vcc
	global_store_dword v[70:71], v13, off
	s_or_b64 exec, exec, s[38:39]
	s_and_saveexec_b64 s[38:39], s[8:9]
	s_cbranch_execz .LBB393_164
.LBB393_231:
	v_sub_u32_e32 v70, v30, v4
	v_mov_b32_e32 v71, 0
	v_lshlrev_b64 v[70:71], 2, v[70:71]
	v_add_co_u32_e32 v70, vcc, v3, v70
	v_addc_co_u32_e32 v71, vcc, v7, v71, vcc
	global_store_dword v[70:71], v10, off
	s_or_b64 exec, exec, s[38:39]
	s_and_saveexec_b64 s[38:39], s[6:7]
	s_cbranch_execz .LBB393_165
.LBB393_232:
	v_sub_u32_e32 v70, v28, v4
	v_mov_b32_e32 v71, 0
	v_lshlrev_b64 v[70:71], 2, v[70:71]
	v_add_co_u32_e32 v70, vcc, v3, v70
	v_addc_co_u32_e32 v71, vcc, v7, v71, vcc
	global_store_dword v[70:71], v11, off
	s_or_b64 exec, exec, s[38:39]
	s_and_saveexec_b64 s[38:39], s[4:5]
	s_cbranch_execz .LBB393_166
.LBB393_233:
	v_sub_u32_e32 v70, v26, v4
	v_mov_b32_e32 v71, 0
	v_lshlrev_b64 v[70:71], 2, v[70:71]
	v_add_co_u32_e32 v70, vcc, v3, v70
	v_addc_co_u32_e32 v71, vcc, v7, v71, vcc
	global_store_dword v[70:71], v8, off
	s_or_b64 exec, exec, s[38:39]
	s_and_saveexec_b64 s[38:39], s[2:3]
	s_cbranch_execnz .LBB393_167
	s_branch .LBB393_168
.LBB393_234:
	v_sub_u32_e32 v69, v50, v4
	v_lshlrev_b32_e32 v69, 2, v69
	ds_write_b32 v69, v20
	s_or_b64 exec, exec, s[38:39]
	s_and_saveexec_b64 s[28:29], s[26:27]
	s_cbranch_execz .LBB393_172
.LBB393_235:
	v_sub_u32_e32 v20, v48, v4
	v_lshlrev_b32_e32 v20, 2, v20
	ds_write_b32 v20, v21
	s_or_b64 exec, exec, s[28:29]
	s_and_saveexec_b64 s[26:27], s[24:25]
	s_cbranch_execz .LBB393_173
.LBB393_236:
	v_sub_u32_e32 v20, v46, v4
	v_lshlrev_b32_e32 v20, 2, v20
	ds_write_b32 v20, v18
	s_or_b64 exec, exec, s[26:27]
	s_and_saveexec_b64 s[24:25], s[22:23]
	s_cbranch_execz .LBB393_174
.LBB393_237:
	v_sub_u32_e32 v18, v44, v4
	v_lshlrev_b32_e32 v18, 2, v18
	ds_write_b32 v18, v19
	s_or_b64 exec, exec, s[24:25]
	s_and_saveexec_b64 s[22:23], s[20:21]
	s_cbranch_execz .LBB393_175
.LBB393_238:
	v_sub_u32_e32 v18, v42, v4
	v_lshlrev_b32_e32 v18, 2, v18
	ds_write_b32 v18, v16
	s_or_b64 exec, exec, s[22:23]
	s_and_saveexec_b64 s[20:21], s[18:19]
	s_cbranch_execz .LBB393_176
.LBB393_239:
	v_sub_u32_e32 v16, v40, v4
	v_lshlrev_b32_e32 v16, 2, v16
	ds_write_b32 v16, v17
	s_or_b64 exec, exec, s[20:21]
	s_and_saveexec_b64 s[18:19], s[16:17]
	s_cbranch_execz .LBB393_177
.LBB393_240:
	v_sub_u32_e32 v16, v38, v4
	v_lshlrev_b32_e32 v16, 2, v16
	ds_write_b32 v16, v14
	s_or_b64 exec, exec, s[18:19]
	s_and_saveexec_b64 s[16:17], s[14:15]
	s_cbranch_execz .LBB393_178
.LBB393_241:
	v_sub_u32_e32 v14, v36, v4
	v_lshlrev_b32_e32 v14, 2, v14
	ds_write_b32 v14, v15
	s_or_b64 exec, exec, s[16:17]
	s_and_saveexec_b64 s[14:15], s[12:13]
	s_cbranch_execz .LBB393_179
.LBB393_242:
	v_sub_u32_e32 v14, v34, v4
	v_lshlrev_b32_e32 v14, 2, v14
	ds_write_b32 v14, v12
	s_or_b64 exec, exec, s[14:15]
	s_and_saveexec_b64 s[12:13], s[10:11]
	s_cbranch_execz .LBB393_180
.LBB393_243:
	v_sub_u32_e32 v12, v32, v4
	v_lshlrev_b32_e32 v12, 2, v12
	ds_write_b32 v12, v13
	s_or_b64 exec, exec, s[12:13]
	s_and_saveexec_b64 s[10:11], s[8:9]
	s_cbranch_execz .LBB393_181
.LBB393_244:
	v_sub_u32_e32 v12, v30, v4
	v_lshlrev_b32_e32 v12, 2, v12
	ds_write_b32 v12, v10
	s_or_b64 exec, exec, s[10:11]
	s_and_saveexec_b64 s[8:9], s[6:7]
	s_cbranch_execz .LBB393_182
.LBB393_245:
	v_sub_u32_e32 v10, v28, v4
	v_lshlrev_b32_e32 v10, 2, v10
	ds_write_b32 v10, v11
	s_or_b64 exec, exec, s[8:9]
	s_and_saveexec_b64 s[6:7], s[4:5]
	s_cbranch_execz .LBB393_183
.LBB393_246:
	v_sub_u32_e32 v10, v26, v4
	v_lshlrev_b32_e32 v10, 2, v10
	ds_write_b32 v10, v8
	s_or_b64 exec, exec, s[6:7]
	s_and_saveexec_b64 s[4:5], s[2:3]
	s_cbranch_execnz .LBB393_184
	s_branch .LBB393_185
.LBB393_247:
	v_sub_u32_e32 v12, v50, v8
	v_mov_b32_e32 v13, 0
	v_lshlrev_b64 v[14:15], 3, v[12:13]
	v_add_co_u32_e32 v14, vcc, v3, v14
	v_addc_co_u32_e32 v15, vcc, v7, v15, vcc
	v_mov_b32_e32 v12, v51
	global_store_dwordx2 v[14:15], v[12:13], off
	s_or_b64 exec, exec, s[38:39]
	s_and_saveexec_b64 s[38:39], s[26:27]
	s_cbranch_execz .LBB393_189
.LBB393_248:
	v_sub_u32_e32 v12, v48, v8
	v_mov_b32_e32 v13, 0
	v_lshlrev_b64 v[14:15], 3, v[12:13]
	v_add_co_u32_e32 v14, vcc, v3, v14
	v_addc_co_u32_e32 v15, vcc, v7, v15, vcc
	v_mov_b32_e32 v12, v49
	global_store_dwordx2 v[14:15], v[12:13], off
	s_or_b64 exec, exec, s[38:39]
	s_and_saveexec_b64 s[38:39], s[24:25]
	s_cbranch_execz .LBB393_190
.LBB393_249:
	v_sub_u32_e32 v12, v46, v8
	v_mov_b32_e32 v13, 0
	v_lshlrev_b64 v[14:15], 3, v[12:13]
	v_add_co_u32_e32 v14, vcc, v3, v14
	v_addc_co_u32_e32 v15, vcc, v7, v15, vcc
	v_mov_b32_e32 v12, v47
	global_store_dwordx2 v[14:15], v[12:13], off
	s_or_b64 exec, exec, s[38:39]
	s_and_saveexec_b64 s[38:39], s[22:23]
	s_cbranch_execz .LBB393_191
.LBB393_250:
	v_sub_u32_e32 v12, v44, v8
	v_mov_b32_e32 v13, 0
	v_lshlrev_b64 v[14:15], 3, v[12:13]
	v_add_co_u32_e32 v14, vcc, v3, v14
	v_addc_co_u32_e32 v15, vcc, v7, v15, vcc
	v_mov_b32_e32 v12, v45
	global_store_dwordx2 v[14:15], v[12:13], off
	s_or_b64 exec, exec, s[38:39]
	s_and_saveexec_b64 s[38:39], s[20:21]
	s_cbranch_execz .LBB393_192
.LBB393_251:
	v_sub_u32_e32 v12, v42, v8
	v_mov_b32_e32 v13, 0
	v_lshlrev_b64 v[14:15], 3, v[12:13]
	v_add_co_u32_e32 v14, vcc, v3, v14
	v_addc_co_u32_e32 v15, vcc, v7, v15, vcc
	v_mov_b32_e32 v12, v43
	global_store_dwordx2 v[14:15], v[12:13], off
	s_or_b64 exec, exec, s[38:39]
	s_and_saveexec_b64 s[38:39], s[18:19]
	s_cbranch_execz .LBB393_193
.LBB393_252:
	v_sub_u32_e32 v12, v40, v8
	v_mov_b32_e32 v13, 0
	v_lshlrev_b64 v[14:15], 3, v[12:13]
	v_add_co_u32_e32 v14, vcc, v3, v14
	v_addc_co_u32_e32 v15, vcc, v7, v15, vcc
	v_mov_b32_e32 v12, v41
	global_store_dwordx2 v[14:15], v[12:13], off
	s_or_b64 exec, exec, s[38:39]
	s_and_saveexec_b64 s[38:39], s[16:17]
	s_cbranch_execz .LBB393_194
.LBB393_253:
	v_sub_u32_e32 v12, v38, v8
	v_mov_b32_e32 v13, 0
	v_lshlrev_b64 v[14:15], 3, v[12:13]
	v_add_co_u32_e32 v14, vcc, v3, v14
	v_addc_co_u32_e32 v15, vcc, v7, v15, vcc
	v_mov_b32_e32 v12, v39
	global_store_dwordx2 v[14:15], v[12:13], off
	s_or_b64 exec, exec, s[38:39]
	s_and_saveexec_b64 s[38:39], s[14:15]
	s_cbranch_execz .LBB393_195
.LBB393_254:
	v_sub_u32_e32 v12, v36, v8
	v_mov_b32_e32 v13, 0
	v_lshlrev_b64 v[14:15], 3, v[12:13]
	v_add_co_u32_e32 v14, vcc, v3, v14
	v_addc_co_u32_e32 v15, vcc, v7, v15, vcc
	v_mov_b32_e32 v12, v37
	global_store_dwordx2 v[14:15], v[12:13], off
	s_or_b64 exec, exec, s[38:39]
	s_and_saveexec_b64 s[38:39], s[12:13]
	s_cbranch_execz .LBB393_196
.LBB393_255:
	v_sub_u32_e32 v12, v34, v8
	v_mov_b32_e32 v13, 0
	v_lshlrev_b64 v[14:15], 3, v[12:13]
	v_add_co_u32_e32 v14, vcc, v3, v14
	v_addc_co_u32_e32 v15, vcc, v7, v15, vcc
	v_mov_b32_e32 v12, v35
	global_store_dwordx2 v[14:15], v[12:13], off
	s_or_b64 exec, exec, s[38:39]
	s_and_saveexec_b64 s[38:39], s[10:11]
	s_cbranch_execz .LBB393_197
.LBB393_256:
	v_sub_u32_e32 v12, v32, v8
	v_mov_b32_e32 v13, 0
	v_lshlrev_b64 v[14:15], 3, v[12:13]
	v_add_co_u32_e32 v14, vcc, v3, v14
	v_addc_co_u32_e32 v15, vcc, v7, v15, vcc
	v_mov_b32_e32 v12, v33
	global_store_dwordx2 v[14:15], v[12:13], off
	s_or_b64 exec, exec, s[38:39]
	s_and_saveexec_b64 s[38:39], s[8:9]
	s_cbranch_execz .LBB393_198
.LBB393_257:
	v_sub_u32_e32 v12, v30, v8
	v_mov_b32_e32 v13, 0
	v_lshlrev_b64 v[14:15], 3, v[12:13]
	v_add_co_u32_e32 v14, vcc, v3, v14
	v_addc_co_u32_e32 v15, vcc, v7, v15, vcc
	v_mov_b32_e32 v12, v31
	global_store_dwordx2 v[14:15], v[12:13], off
	s_or_b64 exec, exec, s[38:39]
	s_and_saveexec_b64 s[38:39], s[6:7]
	s_cbranch_execz .LBB393_199
.LBB393_258:
	v_sub_u32_e32 v12, v28, v8
	v_mov_b32_e32 v13, 0
	v_lshlrev_b64 v[14:15], 3, v[12:13]
	v_add_co_u32_e32 v14, vcc, v3, v14
	v_addc_co_u32_e32 v15, vcc, v7, v15, vcc
	v_mov_b32_e32 v12, v29
	global_store_dwordx2 v[14:15], v[12:13], off
	s_or_b64 exec, exec, s[38:39]
	s_and_saveexec_b64 s[38:39], s[4:5]
	s_cbranch_execz .LBB393_200
.LBB393_259:
	v_sub_u32_e32 v12, v26, v8
	v_mov_b32_e32 v13, 0
	v_lshlrev_b64 v[14:15], 3, v[12:13]
	v_add_co_u32_e32 v14, vcc, v3, v14
	v_addc_co_u32_e32 v15, vcc, v7, v15, vcc
	v_mov_b32_e32 v12, v27
	global_store_dwordx2 v[14:15], v[12:13], off
	s_or_b64 exec, exec, s[38:39]
	s_and_saveexec_b64 s[38:39], s[2:3]
	s_cbranch_execnz .LBB393_201
	s_branch .LBB393_202
.LBB393_260:
	v_sub_u32_e32 v9, v50, v8
	v_lshlrev_b32_e32 v9, 2, v9
	ds_write_b32 v9, v51
	s_or_b64 exec, exec, s[38:39]
	s_and_saveexec_b64 s[28:29], s[26:27]
	s_cbranch_execz .LBB393_206
.LBB393_261:
	v_sub_u32_e32 v9, v48, v8
	v_lshlrev_b32_e32 v9, 2, v9
	ds_write_b32 v9, v49
	s_or_b64 exec, exec, s[28:29]
	s_and_saveexec_b64 s[26:27], s[24:25]
	s_cbranch_execz .LBB393_207
.LBB393_262:
	v_sub_u32_e32 v9, v46, v8
	v_lshlrev_b32_e32 v9, 2, v9
	ds_write_b32 v9, v47
	s_or_b64 exec, exec, s[26:27]
	s_and_saveexec_b64 s[24:25], s[22:23]
	s_cbranch_execz .LBB393_208
.LBB393_263:
	v_sub_u32_e32 v9, v44, v8
	v_lshlrev_b32_e32 v9, 2, v9
	ds_write_b32 v9, v45
	s_or_b64 exec, exec, s[24:25]
	s_and_saveexec_b64 s[22:23], s[20:21]
	s_cbranch_execz .LBB393_209
.LBB393_264:
	v_sub_u32_e32 v9, v42, v8
	v_lshlrev_b32_e32 v9, 2, v9
	ds_write_b32 v9, v43
	s_or_b64 exec, exec, s[22:23]
	s_and_saveexec_b64 s[20:21], s[18:19]
	s_cbranch_execz .LBB393_210
.LBB393_265:
	v_sub_u32_e32 v9, v40, v8
	v_lshlrev_b32_e32 v9, 2, v9
	ds_write_b32 v9, v41
	s_or_b64 exec, exec, s[20:21]
	s_and_saveexec_b64 s[18:19], s[16:17]
	s_cbranch_execz .LBB393_211
.LBB393_266:
	v_sub_u32_e32 v9, v38, v8
	v_lshlrev_b32_e32 v9, 2, v9
	ds_write_b32 v9, v39
	s_or_b64 exec, exec, s[18:19]
	s_and_saveexec_b64 s[16:17], s[14:15]
	s_cbranch_execz .LBB393_212
.LBB393_267:
	v_sub_u32_e32 v9, v36, v8
	v_lshlrev_b32_e32 v9, 2, v9
	ds_write_b32 v9, v37
	s_or_b64 exec, exec, s[16:17]
	s_and_saveexec_b64 s[14:15], s[12:13]
	s_cbranch_execz .LBB393_213
.LBB393_268:
	v_sub_u32_e32 v9, v34, v8
	v_lshlrev_b32_e32 v9, 2, v9
	ds_write_b32 v9, v35
	s_or_b64 exec, exec, s[14:15]
	s_and_saveexec_b64 s[12:13], s[10:11]
	s_cbranch_execz .LBB393_214
.LBB393_269:
	v_sub_u32_e32 v9, v32, v8
	v_lshlrev_b32_e32 v9, 2, v9
	ds_write_b32 v9, v33
	s_or_b64 exec, exec, s[12:13]
	s_and_saveexec_b64 s[10:11], s[8:9]
	s_cbranch_execz .LBB393_215
.LBB393_270:
	v_sub_u32_e32 v9, v30, v8
	v_lshlrev_b32_e32 v9, 2, v9
	ds_write_b32 v9, v31
	s_or_b64 exec, exec, s[10:11]
	s_and_saveexec_b64 s[8:9], s[6:7]
	s_cbranch_execz .LBB393_216
.LBB393_271:
	v_sub_u32_e32 v9, v28, v8
	v_lshlrev_b32_e32 v9, 2, v9
	ds_write_b32 v9, v29
	s_or_b64 exec, exec, s[8:9]
	s_and_saveexec_b64 s[6:7], s[4:5]
	s_cbranch_execz .LBB393_217
.LBB393_272:
	v_sub_u32_e32 v9, v26, v8
	v_lshlrev_b32_e32 v9, 2, v9
	ds_write_b32 v9, v27
	s_or_b64 exec, exec, s[6:7]
	s_and_saveexec_b64 s[4:5], s[2:3]
	s_cbranch_execnz .LBB393_218
	s_branch .LBB393_219
	.section	.rodata,"a",@progbits
	.p2align	6, 0x0
	.amdhsa_kernel _ZN7rocprim17ROCPRIM_400000_NS6detail17trampoline_kernelINS0_14default_configENS1_33run_length_encode_config_selectorIfjNS0_4plusIjEEEEZZNS1_33reduce_by_key_impl_wrapped_configILNS1_25lookback_scan_determinismE0ES3_S7_PKfNS0_17constant_iteratorIjlEEPfPlSF_S6_NS0_8equal_toIfEEEE10hipError_tPvRmT2_T3_mT4_T5_T6_T7_T8_P12ihipStream_tbENKUlT_T0_E_clISt17integral_constantIbLb1EESY_IbLb0EEEEDaSU_SV_EUlSU_E_NS1_11comp_targetILNS1_3genE4ELNS1_11target_archE910ELNS1_3gpuE8ELNS1_3repE0EEENS1_30default_config_static_selectorELNS0_4arch9wavefront6targetE1EEEvT1_
		.amdhsa_group_segment_fixed_size 15360
		.amdhsa_private_segment_fixed_size 0
		.amdhsa_kernarg_size 128
		.amdhsa_user_sgpr_count 6
		.amdhsa_user_sgpr_private_segment_buffer 1
		.amdhsa_user_sgpr_dispatch_ptr 0
		.amdhsa_user_sgpr_queue_ptr 0
		.amdhsa_user_sgpr_kernarg_segment_ptr 1
		.amdhsa_user_sgpr_dispatch_id 0
		.amdhsa_user_sgpr_flat_scratch_init 0
		.amdhsa_user_sgpr_kernarg_preload_length 0
		.amdhsa_user_sgpr_kernarg_preload_offset 0
		.amdhsa_user_sgpr_private_segment_size 0
		.amdhsa_uses_dynamic_stack 0
		.amdhsa_system_sgpr_private_segment_wavefront_offset 0
		.amdhsa_system_sgpr_workgroup_id_x 1
		.amdhsa_system_sgpr_workgroup_id_y 0
		.amdhsa_system_sgpr_workgroup_id_z 0
		.amdhsa_system_sgpr_workgroup_info 0
		.amdhsa_system_vgpr_workitem_id 0
		.amdhsa_next_free_vgpr 104
		.amdhsa_next_free_sgpr 64
		.amdhsa_accum_offset 104
		.amdhsa_reserve_vcc 1
		.amdhsa_reserve_flat_scratch 0
		.amdhsa_float_round_mode_32 0
		.amdhsa_float_round_mode_16_64 0
		.amdhsa_float_denorm_mode_32 3
		.amdhsa_float_denorm_mode_16_64 3
		.amdhsa_dx10_clamp 1
		.amdhsa_ieee_mode 1
		.amdhsa_fp16_overflow 0
		.amdhsa_tg_split 0
		.amdhsa_exception_fp_ieee_invalid_op 0
		.amdhsa_exception_fp_denorm_src 0
		.amdhsa_exception_fp_ieee_div_zero 0
		.amdhsa_exception_fp_ieee_overflow 0
		.amdhsa_exception_fp_ieee_underflow 0
		.amdhsa_exception_fp_ieee_inexact 0
		.amdhsa_exception_int_div_zero 0
	.end_amdhsa_kernel
	.section	.text._ZN7rocprim17ROCPRIM_400000_NS6detail17trampoline_kernelINS0_14default_configENS1_33run_length_encode_config_selectorIfjNS0_4plusIjEEEEZZNS1_33reduce_by_key_impl_wrapped_configILNS1_25lookback_scan_determinismE0ES3_S7_PKfNS0_17constant_iteratorIjlEEPfPlSF_S6_NS0_8equal_toIfEEEE10hipError_tPvRmT2_T3_mT4_T5_T6_T7_T8_P12ihipStream_tbENKUlT_T0_E_clISt17integral_constantIbLb1EESY_IbLb0EEEEDaSU_SV_EUlSU_E_NS1_11comp_targetILNS1_3genE4ELNS1_11target_archE910ELNS1_3gpuE8ELNS1_3repE0EEENS1_30default_config_static_selectorELNS0_4arch9wavefront6targetE1EEEvT1_,"axG",@progbits,_ZN7rocprim17ROCPRIM_400000_NS6detail17trampoline_kernelINS0_14default_configENS1_33run_length_encode_config_selectorIfjNS0_4plusIjEEEEZZNS1_33reduce_by_key_impl_wrapped_configILNS1_25lookback_scan_determinismE0ES3_S7_PKfNS0_17constant_iteratorIjlEEPfPlSF_S6_NS0_8equal_toIfEEEE10hipError_tPvRmT2_T3_mT4_T5_T6_T7_T8_P12ihipStream_tbENKUlT_T0_E_clISt17integral_constantIbLb1EESY_IbLb0EEEEDaSU_SV_EUlSU_E_NS1_11comp_targetILNS1_3genE4ELNS1_11target_archE910ELNS1_3gpuE8ELNS1_3repE0EEENS1_30default_config_static_selectorELNS0_4arch9wavefront6targetE1EEEvT1_,comdat
.Lfunc_end393:
	.size	_ZN7rocprim17ROCPRIM_400000_NS6detail17trampoline_kernelINS0_14default_configENS1_33run_length_encode_config_selectorIfjNS0_4plusIjEEEEZZNS1_33reduce_by_key_impl_wrapped_configILNS1_25lookback_scan_determinismE0ES3_S7_PKfNS0_17constant_iteratorIjlEEPfPlSF_S6_NS0_8equal_toIfEEEE10hipError_tPvRmT2_T3_mT4_T5_T6_T7_T8_P12ihipStream_tbENKUlT_T0_E_clISt17integral_constantIbLb1EESY_IbLb0EEEEDaSU_SV_EUlSU_E_NS1_11comp_targetILNS1_3genE4ELNS1_11target_archE910ELNS1_3gpuE8ELNS1_3repE0EEENS1_30default_config_static_selectorELNS0_4arch9wavefront6targetE1EEEvT1_, .Lfunc_end393-_ZN7rocprim17ROCPRIM_400000_NS6detail17trampoline_kernelINS0_14default_configENS1_33run_length_encode_config_selectorIfjNS0_4plusIjEEEEZZNS1_33reduce_by_key_impl_wrapped_configILNS1_25lookback_scan_determinismE0ES3_S7_PKfNS0_17constant_iteratorIjlEEPfPlSF_S6_NS0_8equal_toIfEEEE10hipError_tPvRmT2_T3_mT4_T5_T6_T7_T8_P12ihipStream_tbENKUlT_T0_E_clISt17integral_constantIbLb1EESY_IbLb0EEEEDaSU_SV_EUlSU_E_NS1_11comp_targetILNS1_3genE4ELNS1_11target_archE910ELNS1_3gpuE8ELNS1_3repE0EEENS1_30default_config_static_selectorELNS0_4arch9wavefront6targetE1EEEvT1_
                                        ; -- End function
	.section	.AMDGPU.csdata,"",@progbits
; Kernel info:
; codeLenInByte = 15004
; NumSgprs: 68
; NumVgprs: 104
; NumAgprs: 0
; TotalNumVgprs: 104
; ScratchSize: 0
; MemoryBound: 0
; FloatMode: 240
; IeeeMode: 1
; LDSByteSize: 15360 bytes/workgroup (compile time only)
; SGPRBlocks: 8
; VGPRBlocks: 12
; NumSGPRsForWavesPerEU: 68
; NumVGPRsForWavesPerEU: 104
; AccumOffset: 104
; Occupancy: 4
; WaveLimiterHint : 1
; COMPUTE_PGM_RSRC2:SCRATCH_EN: 0
; COMPUTE_PGM_RSRC2:USER_SGPR: 6
; COMPUTE_PGM_RSRC2:TRAP_HANDLER: 0
; COMPUTE_PGM_RSRC2:TGID_X_EN: 1
; COMPUTE_PGM_RSRC2:TGID_Y_EN: 0
; COMPUTE_PGM_RSRC2:TGID_Z_EN: 0
; COMPUTE_PGM_RSRC2:TIDIG_COMP_CNT: 0
; COMPUTE_PGM_RSRC3_GFX90A:ACCUM_OFFSET: 25
; COMPUTE_PGM_RSRC3_GFX90A:TG_SPLIT: 0
	.section	.text._ZN7rocprim17ROCPRIM_400000_NS6detail17trampoline_kernelINS0_14default_configENS1_33run_length_encode_config_selectorIfjNS0_4plusIjEEEEZZNS1_33reduce_by_key_impl_wrapped_configILNS1_25lookback_scan_determinismE0ES3_S7_PKfNS0_17constant_iteratorIjlEEPfPlSF_S6_NS0_8equal_toIfEEEE10hipError_tPvRmT2_T3_mT4_T5_T6_T7_T8_P12ihipStream_tbENKUlT_T0_E_clISt17integral_constantIbLb1EESY_IbLb0EEEEDaSU_SV_EUlSU_E_NS1_11comp_targetILNS1_3genE3ELNS1_11target_archE908ELNS1_3gpuE7ELNS1_3repE0EEENS1_30default_config_static_selectorELNS0_4arch9wavefront6targetE1EEEvT1_,"axG",@progbits,_ZN7rocprim17ROCPRIM_400000_NS6detail17trampoline_kernelINS0_14default_configENS1_33run_length_encode_config_selectorIfjNS0_4plusIjEEEEZZNS1_33reduce_by_key_impl_wrapped_configILNS1_25lookback_scan_determinismE0ES3_S7_PKfNS0_17constant_iteratorIjlEEPfPlSF_S6_NS0_8equal_toIfEEEE10hipError_tPvRmT2_T3_mT4_T5_T6_T7_T8_P12ihipStream_tbENKUlT_T0_E_clISt17integral_constantIbLb1EESY_IbLb0EEEEDaSU_SV_EUlSU_E_NS1_11comp_targetILNS1_3genE3ELNS1_11target_archE908ELNS1_3gpuE7ELNS1_3repE0EEENS1_30default_config_static_selectorELNS0_4arch9wavefront6targetE1EEEvT1_,comdat
	.protected	_ZN7rocprim17ROCPRIM_400000_NS6detail17trampoline_kernelINS0_14default_configENS1_33run_length_encode_config_selectorIfjNS0_4plusIjEEEEZZNS1_33reduce_by_key_impl_wrapped_configILNS1_25lookback_scan_determinismE0ES3_S7_PKfNS0_17constant_iteratorIjlEEPfPlSF_S6_NS0_8equal_toIfEEEE10hipError_tPvRmT2_T3_mT4_T5_T6_T7_T8_P12ihipStream_tbENKUlT_T0_E_clISt17integral_constantIbLb1EESY_IbLb0EEEEDaSU_SV_EUlSU_E_NS1_11comp_targetILNS1_3genE3ELNS1_11target_archE908ELNS1_3gpuE7ELNS1_3repE0EEENS1_30default_config_static_selectorELNS0_4arch9wavefront6targetE1EEEvT1_ ; -- Begin function _ZN7rocprim17ROCPRIM_400000_NS6detail17trampoline_kernelINS0_14default_configENS1_33run_length_encode_config_selectorIfjNS0_4plusIjEEEEZZNS1_33reduce_by_key_impl_wrapped_configILNS1_25lookback_scan_determinismE0ES3_S7_PKfNS0_17constant_iteratorIjlEEPfPlSF_S6_NS0_8equal_toIfEEEE10hipError_tPvRmT2_T3_mT4_T5_T6_T7_T8_P12ihipStream_tbENKUlT_T0_E_clISt17integral_constantIbLb1EESY_IbLb0EEEEDaSU_SV_EUlSU_E_NS1_11comp_targetILNS1_3genE3ELNS1_11target_archE908ELNS1_3gpuE7ELNS1_3repE0EEENS1_30default_config_static_selectorELNS0_4arch9wavefront6targetE1EEEvT1_
	.globl	_ZN7rocprim17ROCPRIM_400000_NS6detail17trampoline_kernelINS0_14default_configENS1_33run_length_encode_config_selectorIfjNS0_4plusIjEEEEZZNS1_33reduce_by_key_impl_wrapped_configILNS1_25lookback_scan_determinismE0ES3_S7_PKfNS0_17constant_iteratorIjlEEPfPlSF_S6_NS0_8equal_toIfEEEE10hipError_tPvRmT2_T3_mT4_T5_T6_T7_T8_P12ihipStream_tbENKUlT_T0_E_clISt17integral_constantIbLb1EESY_IbLb0EEEEDaSU_SV_EUlSU_E_NS1_11comp_targetILNS1_3genE3ELNS1_11target_archE908ELNS1_3gpuE7ELNS1_3repE0EEENS1_30default_config_static_selectorELNS0_4arch9wavefront6targetE1EEEvT1_
	.p2align	8
	.type	_ZN7rocprim17ROCPRIM_400000_NS6detail17trampoline_kernelINS0_14default_configENS1_33run_length_encode_config_selectorIfjNS0_4plusIjEEEEZZNS1_33reduce_by_key_impl_wrapped_configILNS1_25lookback_scan_determinismE0ES3_S7_PKfNS0_17constant_iteratorIjlEEPfPlSF_S6_NS0_8equal_toIfEEEE10hipError_tPvRmT2_T3_mT4_T5_T6_T7_T8_P12ihipStream_tbENKUlT_T0_E_clISt17integral_constantIbLb1EESY_IbLb0EEEEDaSU_SV_EUlSU_E_NS1_11comp_targetILNS1_3genE3ELNS1_11target_archE908ELNS1_3gpuE7ELNS1_3repE0EEENS1_30default_config_static_selectorELNS0_4arch9wavefront6targetE1EEEvT1_,@function
_ZN7rocprim17ROCPRIM_400000_NS6detail17trampoline_kernelINS0_14default_configENS1_33run_length_encode_config_selectorIfjNS0_4plusIjEEEEZZNS1_33reduce_by_key_impl_wrapped_configILNS1_25lookback_scan_determinismE0ES3_S7_PKfNS0_17constant_iteratorIjlEEPfPlSF_S6_NS0_8equal_toIfEEEE10hipError_tPvRmT2_T3_mT4_T5_T6_T7_T8_P12ihipStream_tbENKUlT_T0_E_clISt17integral_constantIbLb1EESY_IbLb0EEEEDaSU_SV_EUlSU_E_NS1_11comp_targetILNS1_3genE3ELNS1_11target_archE908ELNS1_3gpuE7ELNS1_3repE0EEENS1_30default_config_static_selectorELNS0_4arch9wavefront6targetE1EEEvT1_: ; @_ZN7rocprim17ROCPRIM_400000_NS6detail17trampoline_kernelINS0_14default_configENS1_33run_length_encode_config_selectorIfjNS0_4plusIjEEEEZZNS1_33reduce_by_key_impl_wrapped_configILNS1_25lookback_scan_determinismE0ES3_S7_PKfNS0_17constant_iteratorIjlEEPfPlSF_S6_NS0_8equal_toIfEEEE10hipError_tPvRmT2_T3_mT4_T5_T6_T7_T8_P12ihipStream_tbENKUlT_T0_E_clISt17integral_constantIbLb1EESY_IbLb0EEEEDaSU_SV_EUlSU_E_NS1_11comp_targetILNS1_3genE3ELNS1_11target_archE908ELNS1_3gpuE7ELNS1_3repE0EEENS1_30default_config_static_selectorELNS0_4arch9wavefront6targetE1EEEvT1_
; %bb.0:
	.section	.rodata,"a",@progbits
	.p2align	6, 0x0
	.amdhsa_kernel _ZN7rocprim17ROCPRIM_400000_NS6detail17trampoline_kernelINS0_14default_configENS1_33run_length_encode_config_selectorIfjNS0_4plusIjEEEEZZNS1_33reduce_by_key_impl_wrapped_configILNS1_25lookback_scan_determinismE0ES3_S7_PKfNS0_17constant_iteratorIjlEEPfPlSF_S6_NS0_8equal_toIfEEEE10hipError_tPvRmT2_T3_mT4_T5_T6_T7_T8_P12ihipStream_tbENKUlT_T0_E_clISt17integral_constantIbLb1EESY_IbLb0EEEEDaSU_SV_EUlSU_E_NS1_11comp_targetILNS1_3genE3ELNS1_11target_archE908ELNS1_3gpuE7ELNS1_3repE0EEENS1_30default_config_static_selectorELNS0_4arch9wavefront6targetE1EEEvT1_
		.amdhsa_group_segment_fixed_size 0
		.amdhsa_private_segment_fixed_size 0
		.amdhsa_kernarg_size 128
		.amdhsa_user_sgpr_count 6
		.amdhsa_user_sgpr_private_segment_buffer 1
		.amdhsa_user_sgpr_dispatch_ptr 0
		.amdhsa_user_sgpr_queue_ptr 0
		.amdhsa_user_sgpr_kernarg_segment_ptr 1
		.amdhsa_user_sgpr_dispatch_id 0
		.amdhsa_user_sgpr_flat_scratch_init 0
		.amdhsa_user_sgpr_kernarg_preload_length 0
		.amdhsa_user_sgpr_kernarg_preload_offset 0
		.amdhsa_user_sgpr_private_segment_size 0
		.amdhsa_uses_dynamic_stack 0
		.amdhsa_system_sgpr_private_segment_wavefront_offset 0
		.amdhsa_system_sgpr_workgroup_id_x 1
		.amdhsa_system_sgpr_workgroup_id_y 0
		.amdhsa_system_sgpr_workgroup_id_z 0
		.amdhsa_system_sgpr_workgroup_info 0
		.amdhsa_system_vgpr_workitem_id 0
		.amdhsa_next_free_vgpr 1
		.amdhsa_next_free_sgpr 0
		.amdhsa_accum_offset 4
		.amdhsa_reserve_vcc 0
		.amdhsa_reserve_flat_scratch 0
		.amdhsa_float_round_mode_32 0
		.amdhsa_float_round_mode_16_64 0
		.amdhsa_float_denorm_mode_32 3
		.amdhsa_float_denorm_mode_16_64 3
		.amdhsa_dx10_clamp 1
		.amdhsa_ieee_mode 1
		.amdhsa_fp16_overflow 0
		.amdhsa_tg_split 0
		.amdhsa_exception_fp_ieee_invalid_op 0
		.amdhsa_exception_fp_denorm_src 0
		.amdhsa_exception_fp_ieee_div_zero 0
		.amdhsa_exception_fp_ieee_overflow 0
		.amdhsa_exception_fp_ieee_underflow 0
		.amdhsa_exception_fp_ieee_inexact 0
		.amdhsa_exception_int_div_zero 0
	.end_amdhsa_kernel
	.section	.text._ZN7rocprim17ROCPRIM_400000_NS6detail17trampoline_kernelINS0_14default_configENS1_33run_length_encode_config_selectorIfjNS0_4plusIjEEEEZZNS1_33reduce_by_key_impl_wrapped_configILNS1_25lookback_scan_determinismE0ES3_S7_PKfNS0_17constant_iteratorIjlEEPfPlSF_S6_NS0_8equal_toIfEEEE10hipError_tPvRmT2_T3_mT4_T5_T6_T7_T8_P12ihipStream_tbENKUlT_T0_E_clISt17integral_constantIbLb1EESY_IbLb0EEEEDaSU_SV_EUlSU_E_NS1_11comp_targetILNS1_3genE3ELNS1_11target_archE908ELNS1_3gpuE7ELNS1_3repE0EEENS1_30default_config_static_selectorELNS0_4arch9wavefront6targetE1EEEvT1_,"axG",@progbits,_ZN7rocprim17ROCPRIM_400000_NS6detail17trampoline_kernelINS0_14default_configENS1_33run_length_encode_config_selectorIfjNS0_4plusIjEEEEZZNS1_33reduce_by_key_impl_wrapped_configILNS1_25lookback_scan_determinismE0ES3_S7_PKfNS0_17constant_iteratorIjlEEPfPlSF_S6_NS0_8equal_toIfEEEE10hipError_tPvRmT2_T3_mT4_T5_T6_T7_T8_P12ihipStream_tbENKUlT_T0_E_clISt17integral_constantIbLb1EESY_IbLb0EEEEDaSU_SV_EUlSU_E_NS1_11comp_targetILNS1_3genE3ELNS1_11target_archE908ELNS1_3gpuE7ELNS1_3repE0EEENS1_30default_config_static_selectorELNS0_4arch9wavefront6targetE1EEEvT1_,comdat
.Lfunc_end394:
	.size	_ZN7rocprim17ROCPRIM_400000_NS6detail17trampoline_kernelINS0_14default_configENS1_33run_length_encode_config_selectorIfjNS0_4plusIjEEEEZZNS1_33reduce_by_key_impl_wrapped_configILNS1_25lookback_scan_determinismE0ES3_S7_PKfNS0_17constant_iteratorIjlEEPfPlSF_S6_NS0_8equal_toIfEEEE10hipError_tPvRmT2_T3_mT4_T5_T6_T7_T8_P12ihipStream_tbENKUlT_T0_E_clISt17integral_constantIbLb1EESY_IbLb0EEEEDaSU_SV_EUlSU_E_NS1_11comp_targetILNS1_3genE3ELNS1_11target_archE908ELNS1_3gpuE7ELNS1_3repE0EEENS1_30default_config_static_selectorELNS0_4arch9wavefront6targetE1EEEvT1_, .Lfunc_end394-_ZN7rocprim17ROCPRIM_400000_NS6detail17trampoline_kernelINS0_14default_configENS1_33run_length_encode_config_selectorIfjNS0_4plusIjEEEEZZNS1_33reduce_by_key_impl_wrapped_configILNS1_25lookback_scan_determinismE0ES3_S7_PKfNS0_17constant_iteratorIjlEEPfPlSF_S6_NS0_8equal_toIfEEEE10hipError_tPvRmT2_T3_mT4_T5_T6_T7_T8_P12ihipStream_tbENKUlT_T0_E_clISt17integral_constantIbLb1EESY_IbLb0EEEEDaSU_SV_EUlSU_E_NS1_11comp_targetILNS1_3genE3ELNS1_11target_archE908ELNS1_3gpuE7ELNS1_3repE0EEENS1_30default_config_static_selectorELNS0_4arch9wavefront6targetE1EEEvT1_
                                        ; -- End function
	.section	.AMDGPU.csdata,"",@progbits
; Kernel info:
; codeLenInByte = 0
; NumSgprs: 4
; NumVgprs: 0
; NumAgprs: 0
; TotalNumVgprs: 0
; ScratchSize: 0
; MemoryBound: 0
; FloatMode: 240
; IeeeMode: 1
; LDSByteSize: 0 bytes/workgroup (compile time only)
; SGPRBlocks: 0
; VGPRBlocks: 0
; NumSGPRsForWavesPerEU: 4
; NumVGPRsForWavesPerEU: 1
; AccumOffset: 4
; Occupancy: 8
; WaveLimiterHint : 0
; COMPUTE_PGM_RSRC2:SCRATCH_EN: 0
; COMPUTE_PGM_RSRC2:USER_SGPR: 6
; COMPUTE_PGM_RSRC2:TRAP_HANDLER: 0
; COMPUTE_PGM_RSRC2:TGID_X_EN: 1
; COMPUTE_PGM_RSRC2:TGID_Y_EN: 0
; COMPUTE_PGM_RSRC2:TGID_Z_EN: 0
; COMPUTE_PGM_RSRC2:TIDIG_COMP_CNT: 0
; COMPUTE_PGM_RSRC3_GFX90A:ACCUM_OFFSET: 0
; COMPUTE_PGM_RSRC3_GFX90A:TG_SPLIT: 0
	.section	.text._ZN7rocprim17ROCPRIM_400000_NS6detail17trampoline_kernelINS0_14default_configENS1_33run_length_encode_config_selectorIfjNS0_4plusIjEEEEZZNS1_33reduce_by_key_impl_wrapped_configILNS1_25lookback_scan_determinismE0ES3_S7_PKfNS0_17constant_iteratorIjlEEPfPlSF_S6_NS0_8equal_toIfEEEE10hipError_tPvRmT2_T3_mT4_T5_T6_T7_T8_P12ihipStream_tbENKUlT_T0_E_clISt17integral_constantIbLb1EESY_IbLb0EEEEDaSU_SV_EUlSU_E_NS1_11comp_targetILNS1_3genE2ELNS1_11target_archE906ELNS1_3gpuE6ELNS1_3repE0EEENS1_30default_config_static_selectorELNS0_4arch9wavefront6targetE1EEEvT1_,"axG",@progbits,_ZN7rocprim17ROCPRIM_400000_NS6detail17trampoline_kernelINS0_14default_configENS1_33run_length_encode_config_selectorIfjNS0_4plusIjEEEEZZNS1_33reduce_by_key_impl_wrapped_configILNS1_25lookback_scan_determinismE0ES3_S7_PKfNS0_17constant_iteratorIjlEEPfPlSF_S6_NS0_8equal_toIfEEEE10hipError_tPvRmT2_T3_mT4_T5_T6_T7_T8_P12ihipStream_tbENKUlT_T0_E_clISt17integral_constantIbLb1EESY_IbLb0EEEEDaSU_SV_EUlSU_E_NS1_11comp_targetILNS1_3genE2ELNS1_11target_archE906ELNS1_3gpuE6ELNS1_3repE0EEENS1_30default_config_static_selectorELNS0_4arch9wavefront6targetE1EEEvT1_,comdat
	.protected	_ZN7rocprim17ROCPRIM_400000_NS6detail17trampoline_kernelINS0_14default_configENS1_33run_length_encode_config_selectorIfjNS0_4plusIjEEEEZZNS1_33reduce_by_key_impl_wrapped_configILNS1_25lookback_scan_determinismE0ES3_S7_PKfNS0_17constant_iteratorIjlEEPfPlSF_S6_NS0_8equal_toIfEEEE10hipError_tPvRmT2_T3_mT4_T5_T6_T7_T8_P12ihipStream_tbENKUlT_T0_E_clISt17integral_constantIbLb1EESY_IbLb0EEEEDaSU_SV_EUlSU_E_NS1_11comp_targetILNS1_3genE2ELNS1_11target_archE906ELNS1_3gpuE6ELNS1_3repE0EEENS1_30default_config_static_selectorELNS0_4arch9wavefront6targetE1EEEvT1_ ; -- Begin function _ZN7rocprim17ROCPRIM_400000_NS6detail17trampoline_kernelINS0_14default_configENS1_33run_length_encode_config_selectorIfjNS0_4plusIjEEEEZZNS1_33reduce_by_key_impl_wrapped_configILNS1_25lookback_scan_determinismE0ES3_S7_PKfNS0_17constant_iteratorIjlEEPfPlSF_S6_NS0_8equal_toIfEEEE10hipError_tPvRmT2_T3_mT4_T5_T6_T7_T8_P12ihipStream_tbENKUlT_T0_E_clISt17integral_constantIbLb1EESY_IbLb0EEEEDaSU_SV_EUlSU_E_NS1_11comp_targetILNS1_3genE2ELNS1_11target_archE906ELNS1_3gpuE6ELNS1_3repE0EEENS1_30default_config_static_selectorELNS0_4arch9wavefront6targetE1EEEvT1_
	.globl	_ZN7rocprim17ROCPRIM_400000_NS6detail17trampoline_kernelINS0_14default_configENS1_33run_length_encode_config_selectorIfjNS0_4plusIjEEEEZZNS1_33reduce_by_key_impl_wrapped_configILNS1_25lookback_scan_determinismE0ES3_S7_PKfNS0_17constant_iteratorIjlEEPfPlSF_S6_NS0_8equal_toIfEEEE10hipError_tPvRmT2_T3_mT4_T5_T6_T7_T8_P12ihipStream_tbENKUlT_T0_E_clISt17integral_constantIbLb1EESY_IbLb0EEEEDaSU_SV_EUlSU_E_NS1_11comp_targetILNS1_3genE2ELNS1_11target_archE906ELNS1_3gpuE6ELNS1_3repE0EEENS1_30default_config_static_selectorELNS0_4arch9wavefront6targetE1EEEvT1_
	.p2align	8
	.type	_ZN7rocprim17ROCPRIM_400000_NS6detail17trampoline_kernelINS0_14default_configENS1_33run_length_encode_config_selectorIfjNS0_4plusIjEEEEZZNS1_33reduce_by_key_impl_wrapped_configILNS1_25lookback_scan_determinismE0ES3_S7_PKfNS0_17constant_iteratorIjlEEPfPlSF_S6_NS0_8equal_toIfEEEE10hipError_tPvRmT2_T3_mT4_T5_T6_T7_T8_P12ihipStream_tbENKUlT_T0_E_clISt17integral_constantIbLb1EESY_IbLb0EEEEDaSU_SV_EUlSU_E_NS1_11comp_targetILNS1_3genE2ELNS1_11target_archE906ELNS1_3gpuE6ELNS1_3repE0EEENS1_30default_config_static_selectorELNS0_4arch9wavefront6targetE1EEEvT1_,@function
_ZN7rocprim17ROCPRIM_400000_NS6detail17trampoline_kernelINS0_14default_configENS1_33run_length_encode_config_selectorIfjNS0_4plusIjEEEEZZNS1_33reduce_by_key_impl_wrapped_configILNS1_25lookback_scan_determinismE0ES3_S7_PKfNS0_17constant_iteratorIjlEEPfPlSF_S6_NS0_8equal_toIfEEEE10hipError_tPvRmT2_T3_mT4_T5_T6_T7_T8_P12ihipStream_tbENKUlT_T0_E_clISt17integral_constantIbLb1EESY_IbLb0EEEEDaSU_SV_EUlSU_E_NS1_11comp_targetILNS1_3genE2ELNS1_11target_archE906ELNS1_3gpuE6ELNS1_3repE0EEENS1_30default_config_static_selectorELNS0_4arch9wavefront6targetE1EEEvT1_: ; @_ZN7rocprim17ROCPRIM_400000_NS6detail17trampoline_kernelINS0_14default_configENS1_33run_length_encode_config_selectorIfjNS0_4plusIjEEEEZZNS1_33reduce_by_key_impl_wrapped_configILNS1_25lookback_scan_determinismE0ES3_S7_PKfNS0_17constant_iteratorIjlEEPfPlSF_S6_NS0_8equal_toIfEEEE10hipError_tPvRmT2_T3_mT4_T5_T6_T7_T8_P12ihipStream_tbENKUlT_T0_E_clISt17integral_constantIbLb1EESY_IbLb0EEEEDaSU_SV_EUlSU_E_NS1_11comp_targetILNS1_3genE2ELNS1_11target_archE906ELNS1_3gpuE6ELNS1_3repE0EEENS1_30default_config_static_selectorELNS0_4arch9wavefront6targetE1EEEvT1_
; %bb.0:
	.section	.rodata,"a",@progbits
	.p2align	6, 0x0
	.amdhsa_kernel _ZN7rocprim17ROCPRIM_400000_NS6detail17trampoline_kernelINS0_14default_configENS1_33run_length_encode_config_selectorIfjNS0_4plusIjEEEEZZNS1_33reduce_by_key_impl_wrapped_configILNS1_25lookback_scan_determinismE0ES3_S7_PKfNS0_17constant_iteratorIjlEEPfPlSF_S6_NS0_8equal_toIfEEEE10hipError_tPvRmT2_T3_mT4_T5_T6_T7_T8_P12ihipStream_tbENKUlT_T0_E_clISt17integral_constantIbLb1EESY_IbLb0EEEEDaSU_SV_EUlSU_E_NS1_11comp_targetILNS1_3genE2ELNS1_11target_archE906ELNS1_3gpuE6ELNS1_3repE0EEENS1_30default_config_static_selectorELNS0_4arch9wavefront6targetE1EEEvT1_
		.amdhsa_group_segment_fixed_size 0
		.amdhsa_private_segment_fixed_size 0
		.amdhsa_kernarg_size 128
		.amdhsa_user_sgpr_count 6
		.amdhsa_user_sgpr_private_segment_buffer 1
		.amdhsa_user_sgpr_dispatch_ptr 0
		.amdhsa_user_sgpr_queue_ptr 0
		.amdhsa_user_sgpr_kernarg_segment_ptr 1
		.amdhsa_user_sgpr_dispatch_id 0
		.amdhsa_user_sgpr_flat_scratch_init 0
		.amdhsa_user_sgpr_kernarg_preload_length 0
		.amdhsa_user_sgpr_kernarg_preload_offset 0
		.amdhsa_user_sgpr_private_segment_size 0
		.amdhsa_uses_dynamic_stack 0
		.amdhsa_system_sgpr_private_segment_wavefront_offset 0
		.amdhsa_system_sgpr_workgroup_id_x 1
		.amdhsa_system_sgpr_workgroup_id_y 0
		.amdhsa_system_sgpr_workgroup_id_z 0
		.amdhsa_system_sgpr_workgroup_info 0
		.amdhsa_system_vgpr_workitem_id 0
		.amdhsa_next_free_vgpr 1
		.amdhsa_next_free_sgpr 0
		.amdhsa_accum_offset 4
		.amdhsa_reserve_vcc 0
		.amdhsa_reserve_flat_scratch 0
		.amdhsa_float_round_mode_32 0
		.amdhsa_float_round_mode_16_64 0
		.amdhsa_float_denorm_mode_32 3
		.amdhsa_float_denorm_mode_16_64 3
		.amdhsa_dx10_clamp 1
		.amdhsa_ieee_mode 1
		.amdhsa_fp16_overflow 0
		.amdhsa_tg_split 0
		.amdhsa_exception_fp_ieee_invalid_op 0
		.amdhsa_exception_fp_denorm_src 0
		.amdhsa_exception_fp_ieee_div_zero 0
		.amdhsa_exception_fp_ieee_overflow 0
		.amdhsa_exception_fp_ieee_underflow 0
		.amdhsa_exception_fp_ieee_inexact 0
		.amdhsa_exception_int_div_zero 0
	.end_amdhsa_kernel
	.section	.text._ZN7rocprim17ROCPRIM_400000_NS6detail17trampoline_kernelINS0_14default_configENS1_33run_length_encode_config_selectorIfjNS0_4plusIjEEEEZZNS1_33reduce_by_key_impl_wrapped_configILNS1_25lookback_scan_determinismE0ES3_S7_PKfNS0_17constant_iteratorIjlEEPfPlSF_S6_NS0_8equal_toIfEEEE10hipError_tPvRmT2_T3_mT4_T5_T6_T7_T8_P12ihipStream_tbENKUlT_T0_E_clISt17integral_constantIbLb1EESY_IbLb0EEEEDaSU_SV_EUlSU_E_NS1_11comp_targetILNS1_3genE2ELNS1_11target_archE906ELNS1_3gpuE6ELNS1_3repE0EEENS1_30default_config_static_selectorELNS0_4arch9wavefront6targetE1EEEvT1_,"axG",@progbits,_ZN7rocprim17ROCPRIM_400000_NS6detail17trampoline_kernelINS0_14default_configENS1_33run_length_encode_config_selectorIfjNS0_4plusIjEEEEZZNS1_33reduce_by_key_impl_wrapped_configILNS1_25lookback_scan_determinismE0ES3_S7_PKfNS0_17constant_iteratorIjlEEPfPlSF_S6_NS0_8equal_toIfEEEE10hipError_tPvRmT2_T3_mT4_T5_T6_T7_T8_P12ihipStream_tbENKUlT_T0_E_clISt17integral_constantIbLb1EESY_IbLb0EEEEDaSU_SV_EUlSU_E_NS1_11comp_targetILNS1_3genE2ELNS1_11target_archE906ELNS1_3gpuE6ELNS1_3repE0EEENS1_30default_config_static_selectorELNS0_4arch9wavefront6targetE1EEEvT1_,comdat
.Lfunc_end395:
	.size	_ZN7rocprim17ROCPRIM_400000_NS6detail17trampoline_kernelINS0_14default_configENS1_33run_length_encode_config_selectorIfjNS0_4plusIjEEEEZZNS1_33reduce_by_key_impl_wrapped_configILNS1_25lookback_scan_determinismE0ES3_S7_PKfNS0_17constant_iteratorIjlEEPfPlSF_S6_NS0_8equal_toIfEEEE10hipError_tPvRmT2_T3_mT4_T5_T6_T7_T8_P12ihipStream_tbENKUlT_T0_E_clISt17integral_constantIbLb1EESY_IbLb0EEEEDaSU_SV_EUlSU_E_NS1_11comp_targetILNS1_3genE2ELNS1_11target_archE906ELNS1_3gpuE6ELNS1_3repE0EEENS1_30default_config_static_selectorELNS0_4arch9wavefront6targetE1EEEvT1_, .Lfunc_end395-_ZN7rocprim17ROCPRIM_400000_NS6detail17trampoline_kernelINS0_14default_configENS1_33run_length_encode_config_selectorIfjNS0_4plusIjEEEEZZNS1_33reduce_by_key_impl_wrapped_configILNS1_25lookback_scan_determinismE0ES3_S7_PKfNS0_17constant_iteratorIjlEEPfPlSF_S6_NS0_8equal_toIfEEEE10hipError_tPvRmT2_T3_mT4_T5_T6_T7_T8_P12ihipStream_tbENKUlT_T0_E_clISt17integral_constantIbLb1EESY_IbLb0EEEEDaSU_SV_EUlSU_E_NS1_11comp_targetILNS1_3genE2ELNS1_11target_archE906ELNS1_3gpuE6ELNS1_3repE0EEENS1_30default_config_static_selectorELNS0_4arch9wavefront6targetE1EEEvT1_
                                        ; -- End function
	.section	.AMDGPU.csdata,"",@progbits
; Kernel info:
; codeLenInByte = 0
; NumSgprs: 4
; NumVgprs: 0
; NumAgprs: 0
; TotalNumVgprs: 0
; ScratchSize: 0
; MemoryBound: 0
; FloatMode: 240
; IeeeMode: 1
; LDSByteSize: 0 bytes/workgroup (compile time only)
; SGPRBlocks: 0
; VGPRBlocks: 0
; NumSGPRsForWavesPerEU: 4
; NumVGPRsForWavesPerEU: 1
; AccumOffset: 4
; Occupancy: 8
; WaveLimiterHint : 0
; COMPUTE_PGM_RSRC2:SCRATCH_EN: 0
; COMPUTE_PGM_RSRC2:USER_SGPR: 6
; COMPUTE_PGM_RSRC2:TRAP_HANDLER: 0
; COMPUTE_PGM_RSRC2:TGID_X_EN: 1
; COMPUTE_PGM_RSRC2:TGID_Y_EN: 0
; COMPUTE_PGM_RSRC2:TGID_Z_EN: 0
; COMPUTE_PGM_RSRC2:TIDIG_COMP_CNT: 0
; COMPUTE_PGM_RSRC3_GFX90A:ACCUM_OFFSET: 0
; COMPUTE_PGM_RSRC3_GFX90A:TG_SPLIT: 0
	.section	.text._ZN7rocprim17ROCPRIM_400000_NS6detail17trampoline_kernelINS0_14default_configENS1_33run_length_encode_config_selectorIfjNS0_4plusIjEEEEZZNS1_33reduce_by_key_impl_wrapped_configILNS1_25lookback_scan_determinismE0ES3_S7_PKfNS0_17constant_iteratorIjlEEPfPlSF_S6_NS0_8equal_toIfEEEE10hipError_tPvRmT2_T3_mT4_T5_T6_T7_T8_P12ihipStream_tbENKUlT_T0_E_clISt17integral_constantIbLb1EESY_IbLb0EEEEDaSU_SV_EUlSU_E_NS1_11comp_targetILNS1_3genE10ELNS1_11target_archE1201ELNS1_3gpuE5ELNS1_3repE0EEENS1_30default_config_static_selectorELNS0_4arch9wavefront6targetE1EEEvT1_,"axG",@progbits,_ZN7rocprim17ROCPRIM_400000_NS6detail17trampoline_kernelINS0_14default_configENS1_33run_length_encode_config_selectorIfjNS0_4plusIjEEEEZZNS1_33reduce_by_key_impl_wrapped_configILNS1_25lookback_scan_determinismE0ES3_S7_PKfNS0_17constant_iteratorIjlEEPfPlSF_S6_NS0_8equal_toIfEEEE10hipError_tPvRmT2_T3_mT4_T5_T6_T7_T8_P12ihipStream_tbENKUlT_T0_E_clISt17integral_constantIbLb1EESY_IbLb0EEEEDaSU_SV_EUlSU_E_NS1_11comp_targetILNS1_3genE10ELNS1_11target_archE1201ELNS1_3gpuE5ELNS1_3repE0EEENS1_30default_config_static_selectorELNS0_4arch9wavefront6targetE1EEEvT1_,comdat
	.protected	_ZN7rocprim17ROCPRIM_400000_NS6detail17trampoline_kernelINS0_14default_configENS1_33run_length_encode_config_selectorIfjNS0_4plusIjEEEEZZNS1_33reduce_by_key_impl_wrapped_configILNS1_25lookback_scan_determinismE0ES3_S7_PKfNS0_17constant_iteratorIjlEEPfPlSF_S6_NS0_8equal_toIfEEEE10hipError_tPvRmT2_T3_mT4_T5_T6_T7_T8_P12ihipStream_tbENKUlT_T0_E_clISt17integral_constantIbLb1EESY_IbLb0EEEEDaSU_SV_EUlSU_E_NS1_11comp_targetILNS1_3genE10ELNS1_11target_archE1201ELNS1_3gpuE5ELNS1_3repE0EEENS1_30default_config_static_selectorELNS0_4arch9wavefront6targetE1EEEvT1_ ; -- Begin function _ZN7rocprim17ROCPRIM_400000_NS6detail17trampoline_kernelINS0_14default_configENS1_33run_length_encode_config_selectorIfjNS0_4plusIjEEEEZZNS1_33reduce_by_key_impl_wrapped_configILNS1_25lookback_scan_determinismE0ES3_S7_PKfNS0_17constant_iteratorIjlEEPfPlSF_S6_NS0_8equal_toIfEEEE10hipError_tPvRmT2_T3_mT4_T5_T6_T7_T8_P12ihipStream_tbENKUlT_T0_E_clISt17integral_constantIbLb1EESY_IbLb0EEEEDaSU_SV_EUlSU_E_NS1_11comp_targetILNS1_3genE10ELNS1_11target_archE1201ELNS1_3gpuE5ELNS1_3repE0EEENS1_30default_config_static_selectorELNS0_4arch9wavefront6targetE1EEEvT1_
	.globl	_ZN7rocprim17ROCPRIM_400000_NS6detail17trampoline_kernelINS0_14default_configENS1_33run_length_encode_config_selectorIfjNS0_4plusIjEEEEZZNS1_33reduce_by_key_impl_wrapped_configILNS1_25lookback_scan_determinismE0ES3_S7_PKfNS0_17constant_iteratorIjlEEPfPlSF_S6_NS0_8equal_toIfEEEE10hipError_tPvRmT2_T3_mT4_T5_T6_T7_T8_P12ihipStream_tbENKUlT_T0_E_clISt17integral_constantIbLb1EESY_IbLb0EEEEDaSU_SV_EUlSU_E_NS1_11comp_targetILNS1_3genE10ELNS1_11target_archE1201ELNS1_3gpuE5ELNS1_3repE0EEENS1_30default_config_static_selectorELNS0_4arch9wavefront6targetE1EEEvT1_
	.p2align	8
	.type	_ZN7rocprim17ROCPRIM_400000_NS6detail17trampoline_kernelINS0_14default_configENS1_33run_length_encode_config_selectorIfjNS0_4plusIjEEEEZZNS1_33reduce_by_key_impl_wrapped_configILNS1_25lookback_scan_determinismE0ES3_S7_PKfNS0_17constant_iteratorIjlEEPfPlSF_S6_NS0_8equal_toIfEEEE10hipError_tPvRmT2_T3_mT4_T5_T6_T7_T8_P12ihipStream_tbENKUlT_T0_E_clISt17integral_constantIbLb1EESY_IbLb0EEEEDaSU_SV_EUlSU_E_NS1_11comp_targetILNS1_3genE10ELNS1_11target_archE1201ELNS1_3gpuE5ELNS1_3repE0EEENS1_30default_config_static_selectorELNS0_4arch9wavefront6targetE1EEEvT1_,@function
_ZN7rocprim17ROCPRIM_400000_NS6detail17trampoline_kernelINS0_14default_configENS1_33run_length_encode_config_selectorIfjNS0_4plusIjEEEEZZNS1_33reduce_by_key_impl_wrapped_configILNS1_25lookback_scan_determinismE0ES3_S7_PKfNS0_17constant_iteratorIjlEEPfPlSF_S6_NS0_8equal_toIfEEEE10hipError_tPvRmT2_T3_mT4_T5_T6_T7_T8_P12ihipStream_tbENKUlT_T0_E_clISt17integral_constantIbLb1EESY_IbLb0EEEEDaSU_SV_EUlSU_E_NS1_11comp_targetILNS1_3genE10ELNS1_11target_archE1201ELNS1_3gpuE5ELNS1_3repE0EEENS1_30default_config_static_selectorELNS0_4arch9wavefront6targetE1EEEvT1_: ; @_ZN7rocprim17ROCPRIM_400000_NS6detail17trampoline_kernelINS0_14default_configENS1_33run_length_encode_config_selectorIfjNS0_4plusIjEEEEZZNS1_33reduce_by_key_impl_wrapped_configILNS1_25lookback_scan_determinismE0ES3_S7_PKfNS0_17constant_iteratorIjlEEPfPlSF_S6_NS0_8equal_toIfEEEE10hipError_tPvRmT2_T3_mT4_T5_T6_T7_T8_P12ihipStream_tbENKUlT_T0_E_clISt17integral_constantIbLb1EESY_IbLb0EEEEDaSU_SV_EUlSU_E_NS1_11comp_targetILNS1_3genE10ELNS1_11target_archE1201ELNS1_3gpuE5ELNS1_3repE0EEENS1_30default_config_static_selectorELNS0_4arch9wavefront6targetE1EEEvT1_
; %bb.0:
	.section	.rodata,"a",@progbits
	.p2align	6, 0x0
	.amdhsa_kernel _ZN7rocprim17ROCPRIM_400000_NS6detail17trampoline_kernelINS0_14default_configENS1_33run_length_encode_config_selectorIfjNS0_4plusIjEEEEZZNS1_33reduce_by_key_impl_wrapped_configILNS1_25lookback_scan_determinismE0ES3_S7_PKfNS0_17constant_iteratorIjlEEPfPlSF_S6_NS0_8equal_toIfEEEE10hipError_tPvRmT2_T3_mT4_T5_T6_T7_T8_P12ihipStream_tbENKUlT_T0_E_clISt17integral_constantIbLb1EESY_IbLb0EEEEDaSU_SV_EUlSU_E_NS1_11comp_targetILNS1_3genE10ELNS1_11target_archE1201ELNS1_3gpuE5ELNS1_3repE0EEENS1_30default_config_static_selectorELNS0_4arch9wavefront6targetE1EEEvT1_
		.amdhsa_group_segment_fixed_size 0
		.amdhsa_private_segment_fixed_size 0
		.amdhsa_kernarg_size 128
		.amdhsa_user_sgpr_count 6
		.amdhsa_user_sgpr_private_segment_buffer 1
		.amdhsa_user_sgpr_dispatch_ptr 0
		.amdhsa_user_sgpr_queue_ptr 0
		.amdhsa_user_sgpr_kernarg_segment_ptr 1
		.amdhsa_user_sgpr_dispatch_id 0
		.amdhsa_user_sgpr_flat_scratch_init 0
		.amdhsa_user_sgpr_kernarg_preload_length 0
		.amdhsa_user_sgpr_kernarg_preload_offset 0
		.amdhsa_user_sgpr_private_segment_size 0
		.amdhsa_uses_dynamic_stack 0
		.amdhsa_system_sgpr_private_segment_wavefront_offset 0
		.amdhsa_system_sgpr_workgroup_id_x 1
		.amdhsa_system_sgpr_workgroup_id_y 0
		.amdhsa_system_sgpr_workgroup_id_z 0
		.amdhsa_system_sgpr_workgroup_info 0
		.amdhsa_system_vgpr_workitem_id 0
		.amdhsa_next_free_vgpr 1
		.amdhsa_next_free_sgpr 0
		.amdhsa_accum_offset 4
		.amdhsa_reserve_vcc 0
		.amdhsa_reserve_flat_scratch 0
		.amdhsa_float_round_mode_32 0
		.amdhsa_float_round_mode_16_64 0
		.amdhsa_float_denorm_mode_32 3
		.amdhsa_float_denorm_mode_16_64 3
		.amdhsa_dx10_clamp 1
		.amdhsa_ieee_mode 1
		.amdhsa_fp16_overflow 0
		.amdhsa_tg_split 0
		.amdhsa_exception_fp_ieee_invalid_op 0
		.amdhsa_exception_fp_denorm_src 0
		.amdhsa_exception_fp_ieee_div_zero 0
		.amdhsa_exception_fp_ieee_overflow 0
		.amdhsa_exception_fp_ieee_underflow 0
		.amdhsa_exception_fp_ieee_inexact 0
		.amdhsa_exception_int_div_zero 0
	.end_amdhsa_kernel
	.section	.text._ZN7rocprim17ROCPRIM_400000_NS6detail17trampoline_kernelINS0_14default_configENS1_33run_length_encode_config_selectorIfjNS0_4plusIjEEEEZZNS1_33reduce_by_key_impl_wrapped_configILNS1_25lookback_scan_determinismE0ES3_S7_PKfNS0_17constant_iteratorIjlEEPfPlSF_S6_NS0_8equal_toIfEEEE10hipError_tPvRmT2_T3_mT4_T5_T6_T7_T8_P12ihipStream_tbENKUlT_T0_E_clISt17integral_constantIbLb1EESY_IbLb0EEEEDaSU_SV_EUlSU_E_NS1_11comp_targetILNS1_3genE10ELNS1_11target_archE1201ELNS1_3gpuE5ELNS1_3repE0EEENS1_30default_config_static_selectorELNS0_4arch9wavefront6targetE1EEEvT1_,"axG",@progbits,_ZN7rocprim17ROCPRIM_400000_NS6detail17trampoline_kernelINS0_14default_configENS1_33run_length_encode_config_selectorIfjNS0_4plusIjEEEEZZNS1_33reduce_by_key_impl_wrapped_configILNS1_25lookback_scan_determinismE0ES3_S7_PKfNS0_17constant_iteratorIjlEEPfPlSF_S6_NS0_8equal_toIfEEEE10hipError_tPvRmT2_T3_mT4_T5_T6_T7_T8_P12ihipStream_tbENKUlT_T0_E_clISt17integral_constantIbLb1EESY_IbLb0EEEEDaSU_SV_EUlSU_E_NS1_11comp_targetILNS1_3genE10ELNS1_11target_archE1201ELNS1_3gpuE5ELNS1_3repE0EEENS1_30default_config_static_selectorELNS0_4arch9wavefront6targetE1EEEvT1_,comdat
.Lfunc_end396:
	.size	_ZN7rocprim17ROCPRIM_400000_NS6detail17trampoline_kernelINS0_14default_configENS1_33run_length_encode_config_selectorIfjNS0_4plusIjEEEEZZNS1_33reduce_by_key_impl_wrapped_configILNS1_25lookback_scan_determinismE0ES3_S7_PKfNS0_17constant_iteratorIjlEEPfPlSF_S6_NS0_8equal_toIfEEEE10hipError_tPvRmT2_T3_mT4_T5_T6_T7_T8_P12ihipStream_tbENKUlT_T0_E_clISt17integral_constantIbLb1EESY_IbLb0EEEEDaSU_SV_EUlSU_E_NS1_11comp_targetILNS1_3genE10ELNS1_11target_archE1201ELNS1_3gpuE5ELNS1_3repE0EEENS1_30default_config_static_selectorELNS0_4arch9wavefront6targetE1EEEvT1_, .Lfunc_end396-_ZN7rocprim17ROCPRIM_400000_NS6detail17trampoline_kernelINS0_14default_configENS1_33run_length_encode_config_selectorIfjNS0_4plusIjEEEEZZNS1_33reduce_by_key_impl_wrapped_configILNS1_25lookback_scan_determinismE0ES3_S7_PKfNS0_17constant_iteratorIjlEEPfPlSF_S6_NS0_8equal_toIfEEEE10hipError_tPvRmT2_T3_mT4_T5_T6_T7_T8_P12ihipStream_tbENKUlT_T0_E_clISt17integral_constantIbLb1EESY_IbLb0EEEEDaSU_SV_EUlSU_E_NS1_11comp_targetILNS1_3genE10ELNS1_11target_archE1201ELNS1_3gpuE5ELNS1_3repE0EEENS1_30default_config_static_selectorELNS0_4arch9wavefront6targetE1EEEvT1_
                                        ; -- End function
	.section	.AMDGPU.csdata,"",@progbits
; Kernel info:
; codeLenInByte = 0
; NumSgprs: 4
; NumVgprs: 0
; NumAgprs: 0
; TotalNumVgprs: 0
; ScratchSize: 0
; MemoryBound: 0
; FloatMode: 240
; IeeeMode: 1
; LDSByteSize: 0 bytes/workgroup (compile time only)
; SGPRBlocks: 0
; VGPRBlocks: 0
; NumSGPRsForWavesPerEU: 4
; NumVGPRsForWavesPerEU: 1
; AccumOffset: 4
; Occupancy: 8
; WaveLimiterHint : 0
; COMPUTE_PGM_RSRC2:SCRATCH_EN: 0
; COMPUTE_PGM_RSRC2:USER_SGPR: 6
; COMPUTE_PGM_RSRC2:TRAP_HANDLER: 0
; COMPUTE_PGM_RSRC2:TGID_X_EN: 1
; COMPUTE_PGM_RSRC2:TGID_Y_EN: 0
; COMPUTE_PGM_RSRC2:TGID_Z_EN: 0
; COMPUTE_PGM_RSRC2:TIDIG_COMP_CNT: 0
; COMPUTE_PGM_RSRC3_GFX90A:ACCUM_OFFSET: 0
; COMPUTE_PGM_RSRC3_GFX90A:TG_SPLIT: 0
	.section	.text._ZN7rocprim17ROCPRIM_400000_NS6detail17trampoline_kernelINS0_14default_configENS1_33run_length_encode_config_selectorIfjNS0_4plusIjEEEEZZNS1_33reduce_by_key_impl_wrapped_configILNS1_25lookback_scan_determinismE0ES3_S7_PKfNS0_17constant_iteratorIjlEEPfPlSF_S6_NS0_8equal_toIfEEEE10hipError_tPvRmT2_T3_mT4_T5_T6_T7_T8_P12ihipStream_tbENKUlT_T0_E_clISt17integral_constantIbLb1EESY_IbLb0EEEEDaSU_SV_EUlSU_E_NS1_11comp_targetILNS1_3genE10ELNS1_11target_archE1200ELNS1_3gpuE4ELNS1_3repE0EEENS1_30default_config_static_selectorELNS0_4arch9wavefront6targetE1EEEvT1_,"axG",@progbits,_ZN7rocprim17ROCPRIM_400000_NS6detail17trampoline_kernelINS0_14default_configENS1_33run_length_encode_config_selectorIfjNS0_4plusIjEEEEZZNS1_33reduce_by_key_impl_wrapped_configILNS1_25lookback_scan_determinismE0ES3_S7_PKfNS0_17constant_iteratorIjlEEPfPlSF_S6_NS0_8equal_toIfEEEE10hipError_tPvRmT2_T3_mT4_T5_T6_T7_T8_P12ihipStream_tbENKUlT_T0_E_clISt17integral_constantIbLb1EESY_IbLb0EEEEDaSU_SV_EUlSU_E_NS1_11comp_targetILNS1_3genE10ELNS1_11target_archE1200ELNS1_3gpuE4ELNS1_3repE0EEENS1_30default_config_static_selectorELNS0_4arch9wavefront6targetE1EEEvT1_,comdat
	.protected	_ZN7rocprim17ROCPRIM_400000_NS6detail17trampoline_kernelINS0_14default_configENS1_33run_length_encode_config_selectorIfjNS0_4plusIjEEEEZZNS1_33reduce_by_key_impl_wrapped_configILNS1_25lookback_scan_determinismE0ES3_S7_PKfNS0_17constant_iteratorIjlEEPfPlSF_S6_NS0_8equal_toIfEEEE10hipError_tPvRmT2_T3_mT4_T5_T6_T7_T8_P12ihipStream_tbENKUlT_T0_E_clISt17integral_constantIbLb1EESY_IbLb0EEEEDaSU_SV_EUlSU_E_NS1_11comp_targetILNS1_3genE10ELNS1_11target_archE1200ELNS1_3gpuE4ELNS1_3repE0EEENS1_30default_config_static_selectorELNS0_4arch9wavefront6targetE1EEEvT1_ ; -- Begin function _ZN7rocprim17ROCPRIM_400000_NS6detail17trampoline_kernelINS0_14default_configENS1_33run_length_encode_config_selectorIfjNS0_4plusIjEEEEZZNS1_33reduce_by_key_impl_wrapped_configILNS1_25lookback_scan_determinismE0ES3_S7_PKfNS0_17constant_iteratorIjlEEPfPlSF_S6_NS0_8equal_toIfEEEE10hipError_tPvRmT2_T3_mT4_T5_T6_T7_T8_P12ihipStream_tbENKUlT_T0_E_clISt17integral_constantIbLb1EESY_IbLb0EEEEDaSU_SV_EUlSU_E_NS1_11comp_targetILNS1_3genE10ELNS1_11target_archE1200ELNS1_3gpuE4ELNS1_3repE0EEENS1_30default_config_static_selectorELNS0_4arch9wavefront6targetE1EEEvT1_
	.globl	_ZN7rocprim17ROCPRIM_400000_NS6detail17trampoline_kernelINS0_14default_configENS1_33run_length_encode_config_selectorIfjNS0_4plusIjEEEEZZNS1_33reduce_by_key_impl_wrapped_configILNS1_25lookback_scan_determinismE0ES3_S7_PKfNS0_17constant_iteratorIjlEEPfPlSF_S6_NS0_8equal_toIfEEEE10hipError_tPvRmT2_T3_mT4_T5_T6_T7_T8_P12ihipStream_tbENKUlT_T0_E_clISt17integral_constantIbLb1EESY_IbLb0EEEEDaSU_SV_EUlSU_E_NS1_11comp_targetILNS1_3genE10ELNS1_11target_archE1200ELNS1_3gpuE4ELNS1_3repE0EEENS1_30default_config_static_selectorELNS0_4arch9wavefront6targetE1EEEvT1_
	.p2align	8
	.type	_ZN7rocprim17ROCPRIM_400000_NS6detail17trampoline_kernelINS0_14default_configENS1_33run_length_encode_config_selectorIfjNS0_4plusIjEEEEZZNS1_33reduce_by_key_impl_wrapped_configILNS1_25lookback_scan_determinismE0ES3_S7_PKfNS0_17constant_iteratorIjlEEPfPlSF_S6_NS0_8equal_toIfEEEE10hipError_tPvRmT2_T3_mT4_T5_T6_T7_T8_P12ihipStream_tbENKUlT_T0_E_clISt17integral_constantIbLb1EESY_IbLb0EEEEDaSU_SV_EUlSU_E_NS1_11comp_targetILNS1_3genE10ELNS1_11target_archE1200ELNS1_3gpuE4ELNS1_3repE0EEENS1_30default_config_static_selectorELNS0_4arch9wavefront6targetE1EEEvT1_,@function
_ZN7rocprim17ROCPRIM_400000_NS6detail17trampoline_kernelINS0_14default_configENS1_33run_length_encode_config_selectorIfjNS0_4plusIjEEEEZZNS1_33reduce_by_key_impl_wrapped_configILNS1_25lookback_scan_determinismE0ES3_S7_PKfNS0_17constant_iteratorIjlEEPfPlSF_S6_NS0_8equal_toIfEEEE10hipError_tPvRmT2_T3_mT4_T5_T6_T7_T8_P12ihipStream_tbENKUlT_T0_E_clISt17integral_constantIbLb1EESY_IbLb0EEEEDaSU_SV_EUlSU_E_NS1_11comp_targetILNS1_3genE10ELNS1_11target_archE1200ELNS1_3gpuE4ELNS1_3repE0EEENS1_30default_config_static_selectorELNS0_4arch9wavefront6targetE1EEEvT1_: ; @_ZN7rocprim17ROCPRIM_400000_NS6detail17trampoline_kernelINS0_14default_configENS1_33run_length_encode_config_selectorIfjNS0_4plusIjEEEEZZNS1_33reduce_by_key_impl_wrapped_configILNS1_25lookback_scan_determinismE0ES3_S7_PKfNS0_17constant_iteratorIjlEEPfPlSF_S6_NS0_8equal_toIfEEEE10hipError_tPvRmT2_T3_mT4_T5_T6_T7_T8_P12ihipStream_tbENKUlT_T0_E_clISt17integral_constantIbLb1EESY_IbLb0EEEEDaSU_SV_EUlSU_E_NS1_11comp_targetILNS1_3genE10ELNS1_11target_archE1200ELNS1_3gpuE4ELNS1_3repE0EEENS1_30default_config_static_selectorELNS0_4arch9wavefront6targetE1EEEvT1_
; %bb.0:
	.section	.rodata,"a",@progbits
	.p2align	6, 0x0
	.amdhsa_kernel _ZN7rocprim17ROCPRIM_400000_NS6detail17trampoline_kernelINS0_14default_configENS1_33run_length_encode_config_selectorIfjNS0_4plusIjEEEEZZNS1_33reduce_by_key_impl_wrapped_configILNS1_25lookback_scan_determinismE0ES3_S7_PKfNS0_17constant_iteratorIjlEEPfPlSF_S6_NS0_8equal_toIfEEEE10hipError_tPvRmT2_T3_mT4_T5_T6_T7_T8_P12ihipStream_tbENKUlT_T0_E_clISt17integral_constantIbLb1EESY_IbLb0EEEEDaSU_SV_EUlSU_E_NS1_11comp_targetILNS1_3genE10ELNS1_11target_archE1200ELNS1_3gpuE4ELNS1_3repE0EEENS1_30default_config_static_selectorELNS0_4arch9wavefront6targetE1EEEvT1_
		.amdhsa_group_segment_fixed_size 0
		.amdhsa_private_segment_fixed_size 0
		.amdhsa_kernarg_size 128
		.amdhsa_user_sgpr_count 6
		.amdhsa_user_sgpr_private_segment_buffer 1
		.amdhsa_user_sgpr_dispatch_ptr 0
		.amdhsa_user_sgpr_queue_ptr 0
		.amdhsa_user_sgpr_kernarg_segment_ptr 1
		.amdhsa_user_sgpr_dispatch_id 0
		.amdhsa_user_sgpr_flat_scratch_init 0
		.amdhsa_user_sgpr_kernarg_preload_length 0
		.amdhsa_user_sgpr_kernarg_preload_offset 0
		.amdhsa_user_sgpr_private_segment_size 0
		.amdhsa_uses_dynamic_stack 0
		.amdhsa_system_sgpr_private_segment_wavefront_offset 0
		.amdhsa_system_sgpr_workgroup_id_x 1
		.amdhsa_system_sgpr_workgroup_id_y 0
		.amdhsa_system_sgpr_workgroup_id_z 0
		.amdhsa_system_sgpr_workgroup_info 0
		.amdhsa_system_vgpr_workitem_id 0
		.amdhsa_next_free_vgpr 1
		.amdhsa_next_free_sgpr 0
		.amdhsa_accum_offset 4
		.amdhsa_reserve_vcc 0
		.amdhsa_reserve_flat_scratch 0
		.amdhsa_float_round_mode_32 0
		.amdhsa_float_round_mode_16_64 0
		.amdhsa_float_denorm_mode_32 3
		.amdhsa_float_denorm_mode_16_64 3
		.amdhsa_dx10_clamp 1
		.amdhsa_ieee_mode 1
		.amdhsa_fp16_overflow 0
		.amdhsa_tg_split 0
		.amdhsa_exception_fp_ieee_invalid_op 0
		.amdhsa_exception_fp_denorm_src 0
		.amdhsa_exception_fp_ieee_div_zero 0
		.amdhsa_exception_fp_ieee_overflow 0
		.amdhsa_exception_fp_ieee_underflow 0
		.amdhsa_exception_fp_ieee_inexact 0
		.amdhsa_exception_int_div_zero 0
	.end_amdhsa_kernel
	.section	.text._ZN7rocprim17ROCPRIM_400000_NS6detail17trampoline_kernelINS0_14default_configENS1_33run_length_encode_config_selectorIfjNS0_4plusIjEEEEZZNS1_33reduce_by_key_impl_wrapped_configILNS1_25lookback_scan_determinismE0ES3_S7_PKfNS0_17constant_iteratorIjlEEPfPlSF_S6_NS0_8equal_toIfEEEE10hipError_tPvRmT2_T3_mT4_T5_T6_T7_T8_P12ihipStream_tbENKUlT_T0_E_clISt17integral_constantIbLb1EESY_IbLb0EEEEDaSU_SV_EUlSU_E_NS1_11comp_targetILNS1_3genE10ELNS1_11target_archE1200ELNS1_3gpuE4ELNS1_3repE0EEENS1_30default_config_static_selectorELNS0_4arch9wavefront6targetE1EEEvT1_,"axG",@progbits,_ZN7rocprim17ROCPRIM_400000_NS6detail17trampoline_kernelINS0_14default_configENS1_33run_length_encode_config_selectorIfjNS0_4plusIjEEEEZZNS1_33reduce_by_key_impl_wrapped_configILNS1_25lookback_scan_determinismE0ES3_S7_PKfNS0_17constant_iteratorIjlEEPfPlSF_S6_NS0_8equal_toIfEEEE10hipError_tPvRmT2_T3_mT4_T5_T6_T7_T8_P12ihipStream_tbENKUlT_T0_E_clISt17integral_constantIbLb1EESY_IbLb0EEEEDaSU_SV_EUlSU_E_NS1_11comp_targetILNS1_3genE10ELNS1_11target_archE1200ELNS1_3gpuE4ELNS1_3repE0EEENS1_30default_config_static_selectorELNS0_4arch9wavefront6targetE1EEEvT1_,comdat
.Lfunc_end397:
	.size	_ZN7rocprim17ROCPRIM_400000_NS6detail17trampoline_kernelINS0_14default_configENS1_33run_length_encode_config_selectorIfjNS0_4plusIjEEEEZZNS1_33reduce_by_key_impl_wrapped_configILNS1_25lookback_scan_determinismE0ES3_S7_PKfNS0_17constant_iteratorIjlEEPfPlSF_S6_NS0_8equal_toIfEEEE10hipError_tPvRmT2_T3_mT4_T5_T6_T7_T8_P12ihipStream_tbENKUlT_T0_E_clISt17integral_constantIbLb1EESY_IbLb0EEEEDaSU_SV_EUlSU_E_NS1_11comp_targetILNS1_3genE10ELNS1_11target_archE1200ELNS1_3gpuE4ELNS1_3repE0EEENS1_30default_config_static_selectorELNS0_4arch9wavefront6targetE1EEEvT1_, .Lfunc_end397-_ZN7rocprim17ROCPRIM_400000_NS6detail17trampoline_kernelINS0_14default_configENS1_33run_length_encode_config_selectorIfjNS0_4plusIjEEEEZZNS1_33reduce_by_key_impl_wrapped_configILNS1_25lookback_scan_determinismE0ES3_S7_PKfNS0_17constant_iteratorIjlEEPfPlSF_S6_NS0_8equal_toIfEEEE10hipError_tPvRmT2_T3_mT4_T5_T6_T7_T8_P12ihipStream_tbENKUlT_T0_E_clISt17integral_constantIbLb1EESY_IbLb0EEEEDaSU_SV_EUlSU_E_NS1_11comp_targetILNS1_3genE10ELNS1_11target_archE1200ELNS1_3gpuE4ELNS1_3repE0EEENS1_30default_config_static_selectorELNS0_4arch9wavefront6targetE1EEEvT1_
                                        ; -- End function
	.section	.AMDGPU.csdata,"",@progbits
; Kernel info:
; codeLenInByte = 0
; NumSgprs: 4
; NumVgprs: 0
; NumAgprs: 0
; TotalNumVgprs: 0
; ScratchSize: 0
; MemoryBound: 0
; FloatMode: 240
; IeeeMode: 1
; LDSByteSize: 0 bytes/workgroup (compile time only)
; SGPRBlocks: 0
; VGPRBlocks: 0
; NumSGPRsForWavesPerEU: 4
; NumVGPRsForWavesPerEU: 1
; AccumOffset: 4
; Occupancy: 8
; WaveLimiterHint : 0
; COMPUTE_PGM_RSRC2:SCRATCH_EN: 0
; COMPUTE_PGM_RSRC2:USER_SGPR: 6
; COMPUTE_PGM_RSRC2:TRAP_HANDLER: 0
; COMPUTE_PGM_RSRC2:TGID_X_EN: 1
; COMPUTE_PGM_RSRC2:TGID_Y_EN: 0
; COMPUTE_PGM_RSRC2:TGID_Z_EN: 0
; COMPUTE_PGM_RSRC2:TIDIG_COMP_CNT: 0
; COMPUTE_PGM_RSRC3_GFX90A:ACCUM_OFFSET: 0
; COMPUTE_PGM_RSRC3_GFX90A:TG_SPLIT: 0
	.section	.text._ZN7rocprim17ROCPRIM_400000_NS6detail17trampoline_kernelINS0_14default_configENS1_33run_length_encode_config_selectorIfjNS0_4plusIjEEEEZZNS1_33reduce_by_key_impl_wrapped_configILNS1_25lookback_scan_determinismE0ES3_S7_PKfNS0_17constant_iteratorIjlEEPfPlSF_S6_NS0_8equal_toIfEEEE10hipError_tPvRmT2_T3_mT4_T5_T6_T7_T8_P12ihipStream_tbENKUlT_T0_E_clISt17integral_constantIbLb1EESY_IbLb0EEEEDaSU_SV_EUlSU_E_NS1_11comp_targetILNS1_3genE9ELNS1_11target_archE1100ELNS1_3gpuE3ELNS1_3repE0EEENS1_30default_config_static_selectorELNS0_4arch9wavefront6targetE1EEEvT1_,"axG",@progbits,_ZN7rocprim17ROCPRIM_400000_NS6detail17trampoline_kernelINS0_14default_configENS1_33run_length_encode_config_selectorIfjNS0_4plusIjEEEEZZNS1_33reduce_by_key_impl_wrapped_configILNS1_25lookback_scan_determinismE0ES3_S7_PKfNS0_17constant_iteratorIjlEEPfPlSF_S6_NS0_8equal_toIfEEEE10hipError_tPvRmT2_T3_mT4_T5_T6_T7_T8_P12ihipStream_tbENKUlT_T0_E_clISt17integral_constantIbLb1EESY_IbLb0EEEEDaSU_SV_EUlSU_E_NS1_11comp_targetILNS1_3genE9ELNS1_11target_archE1100ELNS1_3gpuE3ELNS1_3repE0EEENS1_30default_config_static_selectorELNS0_4arch9wavefront6targetE1EEEvT1_,comdat
	.protected	_ZN7rocprim17ROCPRIM_400000_NS6detail17trampoline_kernelINS0_14default_configENS1_33run_length_encode_config_selectorIfjNS0_4plusIjEEEEZZNS1_33reduce_by_key_impl_wrapped_configILNS1_25lookback_scan_determinismE0ES3_S7_PKfNS0_17constant_iteratorIjlEEPfPlSF_S6_NS0_8equal_toIfEEEE10hipError_tPvRmT2_T3_mT4_T5_T6_T7_T8_P12ihipStream_tbENKUlT_T0_E_clISt17integral_constantIbLb1EESY_IbLb0EEEEDaSU_SV_EUlSU_E_NS1_11comp_targetILNS1_3genE9ELNS1_11target_archE1100ELNS1_3gpuE3ELNS1_3repE0EEENS1_30default_config_static_selectorELNS0_4arch9wavefront6targetE1EEEvT1_ ; -- Begin function _ZN7rocprim17ROCPRIM_400000_NS6detail17trampoline_kernelINS0_14default_configENS1_33run_length_encode_config_selectorIfjNS0_4plusIjEEEEZZNS1_33reduce_by_key_impl_wrapped_configILNS1_25lookback_scan_determinismE0ES3_S7_PKfNS0_17constant_iteratorIjlEEPfPlSF_S6_NS0_8equal_toIfEEEE10hipError_tPvRmT2_T3_mT4_T5_T6_T7_T8_P12ihipStream_tbENKUlT_T0_E_clISt17integral_constantIbLb1EESY_IbLb0EEEEDaSU_SV_EUlSU_E_NS1_11comp_targetILNS1_3genE9ELNS1_11target_archE1100ELNS1_3gpuE3ELNS1_3repE0EEENS1_30default_config_static_selectorELNS0_4arch9wavefront6targetE1EEEvT1_
	.globl	_ZN7rocprim17ROCPRIM_400000_NS6detail17trampoline_kernelINS0_14default_configENS1_33run_length_encode_config_selectorIfjNS0_4plusIjEEEEZZNS1_33reduce_by_key_impl_wrapped_configILNS1_25lookback_scan_determinismE0ES3_S7_PKfNS0_17constant_iteratorIjlEEPfPlSF_S6_NS0_8equal_toIfEEEE10hipError_tPvRmT2_T3_mT4_T5_T6_T7_T8_P12ihipStream_tbENKUlT_T0_E_clISt17integral_constantIbLb1EESY_IbLb0EEEEDaSU_SV_EUlSU_E_NS1_11comp_targetILNS1_3genE9ELNS1_11target_archE1100ELNS1_3gpuE3ELNS1_3repE0EEENS1_30default_config_static_selectorELNS0_4arch9wavefront6targetE1EEEvT1_
	.p2align	8
	.type	_ZN7rocprim17ROCPRIM_400000_NS6detail17trampoline_kernelINS0_14default_configENS1_33run_length_encode_config_selectorIfjNS0_4plusIjEEEEZZNS1_33reduce_by_key_impl_wrapped_configILNS1_25lookback_scan_determinismE0ES3_S7_PKfNS0_17constant_iteratorIjlEEPfPlSF_S6_NS0_8equal_toIfEEEE10hipError_tPvRmT2_T3_mT4_T5_T6_T7_T8_P12ihipStream_tbENKUlT_T0_E_clISt17integral_constantIbLb1EESY_IbLb0EEEEDaSU_SV_EUlSU_E_NS1_11comp_targetILNS1_3genE9ELNS1_11target_archE1100ELNS1_3gpuE3ELNS1_3repE0EEENS1_30default_config_static_selectorELNS0_4arch9wavefront6targetE1EEEvT1_,@function
_ZN7rocprim17ROCPRIM_400000_NS6detail17trampoline_kernelINS0_14default_configENS1_33run_length_encode_config_selectorIfjNS0_4plusIjEEEEZZNS1_33reduce_by_key_impl_wrapped_configILNS1_25lookback_scan_determinismE0ES3_S7_PKfNS0_17constant_iteratorIjlEEPfPlSF_S6_NS0_8equal_toIfEEEE10hipError_tPvRmT2_T3_mT4_T5_T6_T7_T8_P12ihipStream_tbENKUlT_T0_E_clISt17integral_constantIbLb1EESY_IbLb0EEEEDaSU_SV_EUlSU_E_NS1_11comp_targetILNS1_3genE9ELNS1_11target_archE1100ELNS1_3gpuE3ELNS1_3repE0EEENS1_30default_config_static_selectorELNS0_4arch9wavefront6targetE1EEEvT1_: ; @_ZN7rocprim17ROCPRIM_400000_NS6detail17trampoline_kernelINS0_14default_configENS1_33run_length_encode_config_selectorIfjNS0_4plusIjEEEEZZNS1_33reduce_by_key_impl_wrapped_configILNS1_25lookback_scan_determinismE0ES3_S7_PKfNS0_17constant_iteratorIjlEEPfPlSF_S6_NS0_8equal_toIfEEEE10hipError_tPvRmT2_T3_mT4_T5_T6_T7_T8_P12ihipStream_tbENKUlT_T0_E_clISt17integral_constantIbLb1EESY_IbLb0EEEEDaSU_SV_EUlSU_E_NS1_11comp_targetILNS1_3genE9ELNS1_11target_archE1100ELNS1_3gpuE3ELNS1_3repE0EEENS1_30default_config_static_selectorELNS0_4arch9wavefront6targetE1EEEvT1_
; %bb.0:
	.section	.rodata,"a",@progbits
	.p2align	6, 0x0
	.amdhsa_kernel _ZN7rocprim17ROCPRIM_400000_NS6detail17trampoline_kernelINS0_14default_configENS1_33run_length_encode_config_selectorIfjNS0_4plusIjEEEEZZNS1_33reduce_by_key_impl_wrapped_configILNS1_25lookback_scan_determinismE0ES3_S7_PKfNS0_17constant_iteratorIjlEEPfPlSF_S6_NS0_8equal_toIfEEEE10hipError_tPvRmT2_T3_mT4_T5_T6_T7_T8_P12ihipStream_tbENKUlT_T0_E_clISt17integral_constantIbLb1EESY_IbLb0EEEEDaSU_SV_EUlSU_E_NS1_11comp_targetILNS1_3genE9ELNS1_11target_archE1100ELNS1_3gpuE3ELNS1_3repE0EEENS1_30default_config_static_selectorELNS0_4arch9wavefront6targetE1EEEvT1_
		.amdhsa_group_segment_fixed_size 0
		.amdhsa_private_segment_fixed_size 0
		.amdhsa_kernarg_size 128
		.amdhsa_user_sgpr_count 6
		.amdhsa_user_sgpr_private_segment_buffer 1
		.amdhsa_user_sgpr_dispatch_ptr 0
		.amdhsa_user_sgpr_queue_ptr 0
		.amdhsa_user_sgpr_kernarg_segment_ptr 1
		.amdhsa_user_sgpr_dispatch_id 0
		.amdhsa_user_sgpr_flat_scratch_init 0
		.amdhsa_user_sgpr_kernarg_preload_length 0
		.amdhsa_user_sgpr_kernarg_preload_offset 0
		.amdhsa_user_sgpr_private_segment_size 0
		.amdhsa_uses_dynamic_stack 0
		.amdhsa_system_sgpr_private_segment_wavefront_offset 0
		.amdhsa_system_sgpr_workgroup_id_x 1
		.amdhsa_system_sgpr_workgroup_id_y 0
		.amdhsa_system_sgpr_workgroup_id_z 0
		.amdhsa_system_sgpr_workgroup_info 0
		.amdhsa_system_vgpr_workitem_id 0
		.amdhsa_next_free_vgpr 1
		.amdhsa_next_free_sgpr 0
		.amdhsa_accum_offset 4
		.amdhsa_reserve_vcc 0
		.amdhsa_reserve_flat_scratch 0
		.amdhsa_float_round_mode_32 0
		.amdhsa_float_round_mode_16_64 0
		.amdhsa_float_denorm_mode_32 3
		.amdhsa_float_denorm_mode_16_64 3
		.amdhsa_dx10_clamp 1
		.amdhsa_ieee_mode 1
		.amdhsa_fp16_overflow 0
		.amdhsa_tg_split 0
		.amdhsa_exception_fp_ieee_invalid_op 0
		.amdhsa_exception_fp_denorm_src 0
		.amdhsa_exception_fp_ieee_div_zero 0
		.amdhsa_exception_fp_ieee_overflow 0
		.amdhsa_exception_fp_ieee_underflow 0
		.amdhsa_exception_fp_ieee_inexact 0
		.amdhsa_exception_int_div_zero 0
	.end_amdhsa_kernel
	.section	.text._ZN7rocprim17ROCPRIM_400000_NS6detail17trampoline_kernelINS0_14default_configENS1_33run_length_encode_config_selectorIfjNS0_4plusIjEEEEZZNS1_33reduce_by_key_impl_wrapped_configILNS1_25lookback_scan_determinismE0ES3_S7_PKfNS0_17constant_iteratorIjlEEPfPlSF_S6_NS0_8equal_toIfEEEE10hipError_tPvRmT2_T3_mT4_T5_T6_T7_T8_P12ihipStream_tbENKUlT_T0_E_clISt17integral_constantIbLb1EESY_IbLb0EEEEDaSU_SV_EUlSU_E_NS1_11comp_targetILNS1_3genE9ELNS1_11target_archE1100ELNS1_3gpuE3ELNS1_3repE0EEENS1_30default_config_static_selectorELNS0_4arch9wavefront6targetE1EEEvT1_,"axG",@progbits,_ZN7rocprim17ROCPRIM_400000_NS6detail17trampoline_kernelINS0_14default_configENS1_33run_length_encode_config_selectorIfjNS0_4plusIjEEEEZZNS1_33reduce_by_key_impl_wrapped_configILNS1_25lookback_scan_determinismE0ES3_S7_PKfNS0_17constant_iteratorIjlEEPfPlSF_S6_NS0_8equal_toIfEEEE10hipError_tPvRmT2_T3_mT4_T5_T6_T7_T8_P12ihipStream_tbENKUlT_T0_E_clISt17integral_constantIbLb1EESY_IbLb0EEEEDaSU_SV_EUlSU_E_NS1_11comp_targetILNS1_3genE9ELNS1_11target_archE1100ELNS1_3gpuE3ELNS1_3repE0EEENS1_30default_config_static_selectorELNS0_4arch9wavefront6targetE1EEEvT1_,comdat
.Lfunc_end398:
	.size	_ZN7rocprim17ROCPRIM_400000_NS6detail17trampoline_kernelINS0_14default_configENS1_33run_length_encode_config_selectorIfjNS0_4plusIjEEEEZZNS1_33reduce_by_key_impl_wrapped_configILNS1_25lookback_scan_determinismE0ES3_S7_PKfNS0_17constant_iteratorIjlEEPfPlSF_S6_NS0_8equal_toIfEEEE10hipError_tPvRmT2_T3_mT4_T5_T6_T7_T8_P12ihipStream_tbENKUlT_T0_E_clISt17integral_constantIbLb1EESY_IbLb0EEEEDaSU_SV_EUlSU_E_NS1_11comp_targetILNS1_3genE9ELNS1_11target_archE1100ELNS1_3gpuE3ELNS1_3repE0EEENS1_30default_config_static_selectorELNS0_4arch9wavefront6targetE1EEEvT1_, .Lfunc_end398-_ZN7rocprim17ROCPRIM_400000_NS6detail17trampoline_kernelINS0_14default_configENS1_33run_length_encode_config_selectorIfjNS0_4plusIjEEEEZZNS1_33reduce_by_key_impl_wrapped_configILNS1_25lookback_scan_determinismE0ES3_S7_PKfNS0_17constant_iteratorIjlEEPfPlSF_S6_NS0_8equal_toIfEEEE10hipError_tPvRmT2_T3_mT4_T5_T6_T7_T8_P12ihipStream_tbENKUlT_T0_E_clISt17integral_constantIbLb1EESY_IbLb0EEEEDaSU_SV_EUlSU_E_NS1_11comp_targetILNS1_3genE9ELNS1_11target_archE1100ELNS1_3gpuE3ELNS1_3repE0EEENS1_30default_config_static_selectorELNS0_4arch9wavefront6targetE1EEEvT1_
                                        ; -- End function
	.section	.AMDGPU.csdata,"",@progbits
; Kernel info:
; codeLenInByte = 0
; NumSgprs: 4
; NumVgprs: 0
; NumAgprs: 0
; TotalNumVgprs: 0
; ScratchSize: 0
; MemoryBound: 0
; FloatMode: 240
; IeeeMode: 1
; LDSByteSize: 0 bytes/workgroup (compile time only)
; SGPRBlocks: 0
; VGPRBlocks: 0
; NumSGPRsForWavesPerEU: 4
; NumVGPRsForWavesPerEU: 1
; AccumOffset: 4
; Occupancy: 8
; WaveLimiterHint : 0
; COMPUTE_PGM_RSRC2:SCRATCH_EN: 0
; COMPUTE_PGM_RSRC2:USER_SGPR: 6
; COMPUTE_PGM_RSRC2:TRAP_HANDLER: 0
; COMPUTE_PGM_RSRC2:TGID_X_EN: 1
; COMPUTE_PGM_RSRC2:TGID_Y_EN: 0
; COMPUTE_PGM_RSRC2:TGID_Z_EN: 0
; COMPUTE_PGM_RSRC2:TIDIG_COMP_CNT: 0
; COMPUTE_PGM_RSRC3_GFX90A:ACCUM_OFFSET: 0
; COMPUTE_PGM_RSRC3_GFX90A:TG_SPLIT: 0
	.section	.text._ZN7rocprim17ROCPRIM_400000_NS6detail17trampoline_kernelINS0_14default_configENS1_33run_length_encode_config_selectorIfjNS0_4plusIjEEEEZZNS1_33reduce_by_key_impl_wrapped_configILNS1_25lookback_scan_determinismE0ES3_S7_PKfNS0_17constant_iteratorIjlEEPfPlSF_S6_NS0_8equal_toIfEEEE10hipError_tPvRmT2_T3_mT4_T5_T6_T7_T8_P12ihipStream_tbENKUlT_T0_E_clISt17integral_constantIbLb1EESY_IbLb0EEEEDaSU_SV_EUlSU_E_NS1_11comp_targetILNS1_3genE8ELNS1_11target_archE1030ELNS1_3gpuE2ELNS1_3repE0EEENS1_30default_config_static_selectorELNS0_4arch9wavefront6targetE1EEEvT1_,"axG",@progbits,_ZN7rocprim17ROCPRIM_400000_NS6detail17trampoline_kernelINS0_14default_configENS1_33run_length_encode_config_selectorIfjNS0_4plusIjEEEEZZNS1_33reduce_by_key_impl_wrapped_configILNS1_25lookback_scan_determinismE0ES3_S7_PKfNS0_17constant_iteratorIjlEEPfPlSF_S6_NS0_8equal_toIfEEEE10hipError_tPvRmT2_T3_mT4_T5_T6_T7_T8_P12ihipStream_tbENKUlT_T0_E_clISt17integral_constantIbLb1EESY_IbLb0EEEEDaSU_SV_EUlSU_E_NS1_11comp_targetILNS1_3genE8ELNS1_11target_archE1030ELNS1_3gpuE2ELNS1_3repE0EEENS1_30default_config_static_selectorELNS0_4arch9wavefront6targetE1EEEvT1_,comdat
	.protected	_ZN7rocprim17ROCPRIM_400000_NS6detail17trampoline_kernelINS0_14default_configENS1_33run_length_encode_config_selectorIfjNS0_4plusIjEEEEZZNS1_33reduce_by_key_impl_wrapped_configILNS1_25lookback_scan_determinismE0ES3_S7_PKfNS0_17constant_iteratorIjlEEPfPlSF_S6_NS0_8equal_toIfEEEE10hipError_tPvRmT2_T3_mT4_T5_T6_T7_T8_P12ihipStream_tbENKUlT_T0_E_clISt17integral_constantIbLb1EESY_IbLb0EEEEDaSU_SV_EUlSU_E_NS1_11comp_targetILNS1_3genE8ELNS1_11target_archE1030ELNS1_3gpuE2ELNS1_3repE0EEENS1_30default_config_static_selectorELNS0_4arch9wavefront6targetE1EEEvT1_ ; -- Begin function _ZN7rocprim17ROCPRIM_400000_NS6detail17trampoline_kernelINS0_14default_configENS1_33run_length_encode_config_selectorIfjNS0_4plusIjEEEEZZNS1_33reduce_by_key_impl_wrapped_configILNS1_25lookback_scan_determinismE0ES3_S7_PKfNS0_17constant_iteratorIjlEEPfPlSF_S6_NS0_8equal_toIfEEEE10hipError_tPvRmT2_T3_mT4_T5_T6_T7_T8_P12ihipStream_tbENKUlT_T0_E_clISt17integral_constantIbLb1EESY_IbLb0EEEEDaSU_SV_EUlSU_E_NS1_11comp_targetILNS1_3genE8ELNS1_11target_archE1030ELNS1_3gpuE2ELNS1_3repE0EEENS1_30default_config_static_selectorELNS0_4arch9wavefront6targetE1EEEvT1_
	.globl	_ZN7rocprim17ROCPRIM_400000_NS6detail17trampoline_kernelINS0_14default_configENS1_33run_length_encode_config_selectorIfjNS0_4plusIjEEEEZZNS1_33reduce_by_key_impl_wrapped_configILNS1_25lookback_scan_determinismE0ES3_S7_PKfNS0_17constant_iteratorIjlEEPfPlSF_S6_NS0_8equal_toIfEEEE10hipError_tPvRmT2_T3_mT4_T5_T6_T7_T8_P12ihipStream_tbENKUlT_T0_E_clISt17integral_constantIbLb1EESY_IbLb0EEEEDaSU_SV_EUlSU_E_NS1_11comp_targetILNS1_3genE8ELNS1_11target_archE1030ELNS1_3gpuE2ELNS1_3repE0EEENS1_30default_config_static_selectorELNS0_4arch9wavefront6targetE1EEEvT1_
	.p2align	8
	.type	_ZN7rocprim17ROCPRIM_400000_NS6detail17trampoline_kernelINS0_14default_configENS1_33run_length_encode_config_selectorIfjNS0_4plusIjEEEEZZNS1_33reduce_by_key_impl_wrapped_configILNS1_25lookback_scan_determinismE0ES3_S7_PKfNS0_17constant_iteratorIjlEEPfPlSF_S6_NS0_8equal_toIfEEEE10hipError_tPvRmT2_T3_mT4_T5_T6_T7_T8_P12ihipStream_tbENKUlT_T0_E_clISt17integral_constantIbLb1EESY_IbLb0EEEEDaSU_SV_EUlSU_E_NS1_11comp_targetILNS1_3genE8ELNS1_11target_archE1030ELNS1_3gpuE2ELNS1_3repE0EEENS1_30default_config_static_selectorELNS0_4arch9wavefront6targetE1EEEvT1_,@function
_ZN7rocprim17ROCPRIM_400000_NS6detail17trampoline_kernelINS0_14default_configENS1_33run_length_encode_config_selectorIfjNS0_4plusIjEEEEZZNS1_33reduce_by_key_impl_wrapped_configILNS1_25lookback_scan_determinismE0ES3_S7_PKfNS0_17constant_iteratorIjlEEPfPlSF_S6_NS0_8equal_toIfEEEE10hipError_tPvRmT2_T3_mT4_T5_T6_T7_T8_P12ihipStream_tbENKUlT_T0_E_clISt17integral_constantIbLb1EESY_IbLb0EEEEDaSU_SV_EUlSU_E_NS1_11comp_targetILNS1_3genE8ELNS1_11target_archE1030ELNS1_3gpuE2ELNS1_3repE0EEENS1_30default_config_static_selectorELNS0_4arch9wavefront6targetE1EEEvT1_: ; @_ZN7rocprim17ROCPRIM_400000_NS6detail17trampoline_kernelINS0_14default_configENS1_33run_length_encode_config_selectorIfjNS0_4plusIjEEEEZZNS1_33reduce_by_key_impl_wrapped_configILNS1_25lookback_scan_determinismE0ES3_S7_PKfNS0_17constant_iteratorIjlEEPfPlSF_S6_NS0_8equal_toIfEEEE10hipError_tPvRmT2_T3_mT4_T5_T6_T7_T8_P12ihipStream_tbENKUlT_T0_E_clISt17integral_constantIbLb1EESY_IbLb0EEEEDaSU_SV_EUlSU_E_NS1_11comp_targetILNS1_3genE8ELNS1_11target_archE1030ELNS1_3gpuE2ELNS1_3repE0EEENS1_30default_config_static_selectorELNS0_4arch9wavefront6targetE1EEEvT1_
; %bb.0:
	.section	.rodata,"a",@progbits
	.p2align	6, 0x0
	.amdhsa_kernel _ZN7rocprim17ROCPRIM_400000_NS6detail17trampoline_kernelINS0_14default_configENS1_33run_length_encode_config_selectorIfjNS0_4plusIjEEEEZZNS1_33reduce_by_key_impl_wrapped_configILNS1_25lookback_scan_determinismE0ES3_S7_PKfNS0_17constant_iteratorIjlEEPfPlSF_S6_NS0_8equal_toIfEEEE10hipError_tPvRmT2_T3_mT4_T5_T6_T7_T8_P12ihipStream_tbENKUlT_T0_E_clISt17integral_constantIbLb1EESY_IbLb0EEEEDaSU_SV_EUlSU_E_NS1_11comp_targetILNS1_3genE8ELNS1_11target_archE1030ELNS1_3gpuE2ELNS1_3repE0EEENS1_30default_config_static_selectorELNS0_4arch9wavefront6targetE1EEEvT1_
		.amdhsa_group_segment_fixed_size 0
		.amdhsa_private_segment_fixed_size 0
		.amdhsa_kernarg_size 128
		.amdhsa_user_sgpr_count 6
		.amdhsa_user_sgpr_private_segment_buffer 1
		.amdhsa_user_sgpr_dispatch_ptr 0
		.amdhsa_user_sgpr_queue_ptr 0
		.amdhsa_user_sgpr_kernarg_segment_ptr 1
		.amdhsa_user_sgpr_dispatch_id 0
		.amdhsa_user_sgpr_flat_scratch_init 0
		.amdhsa_user_sgpr_kernarg_preload_length 0
		.amdhsa_user_sgpr_kernarg_preload_offset 0
		.amdhsa_user_sgpr_private_segment_size 0
		.amdhsa_uses_dynamic_stack 0
		.amdhsa_system_sgpr_private_segment_wavefront_offset 0
		.amdhsa_system_sgpr_workgroup_id_x 1
		.amdhsa_system_sgpr_workgroup_id_y 0
		.amdhsa_system_sgpr_workgroup_id_z 0
		.amdhsa_system_sgpr_workgroup_info 0
		.amdhsa_system_vgpr_workitem_id 0
		.amdhsa_next_free_vgpr 1
		.amdhsa_next_free_sgpr 0
		.amdhsa_accum_offset 4
		.amdhsa_reserve_vcc 0
		.amdhsa_reserve_flat_scratch 0
		.amdhsa_float_round_mode_32 0
		.amdhsa_float_round_mode_16_64 0
		.amdhsa_float_denorm_mode_32 3
		.amdhsa_float_denorm_mode_16_64 3
		.amdhsa_dx10_clamp 1
		.amdhsa_ieee_mode 1
		.amdhsa_fp16_overflow 0
		.amdhsa_tg_split 0
		.amdhsa_exception_fp_ieee_invalid_op 0
		.amdhsa_exception_fp_denorm_src 0
		.amdhsa_exception_fp_ieee_div_zero 0
		.amdhsa_exception_fp_ieee_overflow 0
		.amdhsa_exception_fp_ieee_underflow 0
		.amdhsa_exception_fp_ieee_inexact 0
		.amdhsa_exception_int_div_zero 0
	.end_amdhsa_kernel
	.section	.text._ZN7rocprim17ROCPRIM_400000_NS6detail17trampoline_kernelINS0_14default_configENS1_33run_length_encode_config_selectorIfjNS0_4plusIjEEEEZZNS1_33reduce_by_key_impl_wrapped_configILNS1_25lookback_scan_determinismE0ES3_S7_PKfNS0_17constant_iteratorIjlEEPfPlSF_S6_NS0_8equal_toIfEEEE10hipError_tPvRmT2_T3_mT4_T5_T6_T7_T8_P12ihipStream_tbENKUlT_T0_E_clISt17integral_constantIbLb1EESY_IbLb0EEEEDaSU_SV_EUlSU_E_NS1_11comp_targetILNS1_3genE8ELNS1_11target_archE1030ELNS1_3gpuE2ELNS1_3repE0EEENS1_30default_config_static_selectorELNS0_4arch9wavefront6targetE1EEEvT1_,"axG",@progbits,_ZN7rocprim17ROCPRIM_400000_NS6detail17trampoline_kernelINS0_14default_configENS1_33run_length_encode_config_selectorIfjNS0_4plusIjEEEEZZNS1_33reduce_by_key_impl_wrapped_configILNS1_25lookback_scan_determinismE0ES3_S7_PKfNS0_17constant_iteratorIjlEEPfPlSF_S6_NS0_8equal_toIfEEEE10hipError_tPvRmT2_T3_mT4_T5_T6_T7_T8_P12ihipStream_tbENKUlT_T0_E_clISt17integral_constantIbLb1EESY_IbLb0EEEEDaSU_SV_EUlSU_E_NS1_11comp_targetILNS1_3genE8ELNS1_11target_archE1030ELNS1_3gpuE2ELNS1_3repE0EEENS1_30default_config_static_selectorELNS0_4arch9wavefront6targetE1EEEvT1_,comdat
.Lfunc_end399:
	.size	_ZN7rocprim17ROCPRIM_400000_NS6detail17trampoline_kernelINS0_14default_configENS1_33run_length_encode_config_selectorIfjNS0_4plusIjEEEEZZNS1_33reduce_by_key_impl_wrapped_configILNS1_25lookback_scan_determinismE0ES3_S7_PKfNS0_17constant_iteratorIjlEEPfPlSF_S6_NS0_8equal_toIfEEEE10hipError_tPvRmT2_T3_mT4_T5_T6_T7_T8_P12ihipStream_tbENKUlT_T0_E_clISt17integral_constantIbLb1EESY_IbLb0EEEEDaSU_SV_EUlSU_E_NS1_11comp_targetILNS1_3genE8ELNS1_11target_archE1030ELNS1_3gpuE2ELNS1_3repE0EEENS1_30default_config_static_selectorELNS0_4arch9wavefront6targetE1EEEvT1_, .Lfunc_end399-_ZN7rocprim17ROCPRIM_400000_NS6detail17trampoline_kernelINS0_14default_configENS1_33run_length_encode_config_selectorIfjNS0_4plusIjEEEEZZNS1_33reduce_by_key_impl_wrapped_configILNS1_25lookback_scan_determinismE0ES3_S7_PKfNS0_17constant_iteratorIjlEEPfPlSF_S6_NS0_8equal_toIfEEEE10hipError_tPvRmT2_T3_mT4_T5_T6_T7_T8_P12ihipStream_tbENKUlT_T0_E_clISt17integral_constantIbLb1EESY_IbLb0EEEEDaSU_SV_EUlSU_E_NS1_11comp_targetILNS1_3genE8ELNS1_11target_archE1030ELNS1_3gpuE2ELNS1_3repE0EEENS1_30default_config_static_selectorELNS0_4arch9wavefront6targetE1EEEvT1_
                                        ; -- End function
	.section	.AMDGPU.csdata,"",@progbits
; Kernel info:
; codeLenInByte = 0
; NumSgprs: 4
; NumVgprs: 0
; NumAgprs: 0
; TotalNumVgprs: 0
; ScratchSize: 0
; MemoryBound: 0
; FloatMode: 240
; IeeeMode: 1
; LDSByteSize: 0 bytes/workgroup (compile time only)
; SGPRBlocks: 0
; VGPRBlocks: 0
; NumSGPRsForWavesPerEU: 4
; NumVGPRsForWavesPerEU: 1
; AccumOffset: 4
; Occupancy: 8
; WaveLimiterHint : 0
; COMPUTE_PGM_RSRC2:SCRATCH_EN: 0
; COMPUTE_PGM_RSRC2:USER_SGPR: 6
; COMPUTE_PGM_RSRC2:TRAP_HANDLER: 0
; COMPUTE_PGM_RSRC2:TGID_X_EN: 1
; COMPUTE_PGM_RSRC2:TGID_Y_EN: 0
; COMPUTE_PGM_RSRC2:TGID_Z_EN: 0
; COMPUTE_PGM_RSRC2:TIDIG_COMP_CNT: 0
; COMPUTE_PGM_RSRC3_GFX90A:ACCUM_OFFSET: 0
; COMPUTE_PGM_RSRC3_GFX90A:TG_SPLIT: 0
	.section	.text._ZN7rocprim17ROCPRIM_400000_NS6detail17trampoline_kernelINS0_14default_configENS1_33run_length_encode_config_selectorIfjNS0_4plusIjEEEEZZNS1_33reduce_by_key_impl_wrapped_configILNS1_25lookback_scan_determinismE0ES3_S7_PKfNS0_17constant_iteratorIjlEEPfPlSF_S6_NS0_8equal_toIfEEEE10hipError_tPvRmT2_T3_mT4_T5_T6_T7_T8_P12ihipStream_tbENKUlT_T0_E_clISt17integral_constantIbLb0EESY_IbLb1EEEEDaSU_SV_EUlSU_E_NS1_11comp_targetILNS1_3genE0ELNS1_11target_archE4294967295ELNS1_3gpuE0ELNS1_3repE0EEENS1_30default_config_static_selectorELNS0_4arch9wavefront6targetE1EEEvT1_,"axG",@progbits,_ZN7rocprim17ROCPRIM_400000_NS6detail17trampoline_kernelINS0_14default_configENS1_33run_length_encode_config_selectorIfjNS0_4plusIjEEEEZZNS1_33reduce_by_key_impl_wrapped_configILNS1_25lookback_scan_determinismE0ES3_S7_PKfNS0_17constant_iteratorIjlEEPfPlSF_S6_NS0_8equal_toIfEEEE10hipError_tPvRmT2_T3_mT4_T5_T6_T7_T8_P12ihipStream_tbENKUlT_T0_E_clISt17integral_constantIbLb0EESY_IbLb1EEEEDaSU_SV_EUlSU_E_NS1_11comp_targetILNS1_3genE0ELNS1_11target_archE4294967295ELNS1_3gpuE0ELNS1_3repE0EEENS1_30default_config_static_selectorELNS0_4arch9wavefront6targetE1EEEvT1_,comdat
	.protected	_ZN7rocprim17ROCPRIM_400000_NS6detail17trampoline_kernelINS0_14default_configENS1_33run_length_encode_config_selectorIfjNS0_4plusIjEEEEZZNS1_33reduce_by_key_impl_wrapped_configILNS1_25lookback_scan_determinismE0ES3_S7_PKfNS0_17constant_iteratorIjlEEPfPlSF_S6_NS0_8equal_toIfEEEE10hipError_tPvRmT2_T3_mT4_T5_T6_T7_T8_P12ihipStream_tbENKUlT_T0_E_clISt17integral_constantIbLb0EESY_IbLb1EEEEDaSU_SV_EUlSU_E_NS1_11comp_targetILNS1_3genE0ELNS1_11target_archE4294967295ELNS1_3gpuE0ELNS1_3repE0EEENS1_30default_config_static_selectorELNS0_4arch9wavefront6targetE1EEEvT1_ ; -- Begin function _ZN7rocprim17ROCPRIM_400000_NS6detail17trampoline_kernelINS0_14default_configENS1_33run_length_encode_config_selectorIfjNS0_4plusIjEEEEZZNS1_33reduce_by_key_impl_wrapped_configILNS1_25lookback_scan_determinismE0ES3_S7_PKfNS0_17constant_iteratorIjlEEPfPlSF_S6_NS0_8equal_toIfEEEE10hipError_tPvRmT2_T3_mT4_T5_T6_T7_T8_P12ihipStream_tbENKUlT_T0_E_clISt17integral_constantIbLb0EESY_IbLb1EEEEDaSU_SV_EUlSU_E_NS1_11comp_targetILNS1_3genE0ELNS1_11target_archE4294967295ELNS1_3gpuE0ELNS1_3repE0EEENS1_30default_config_static_selectorELNS0_4arch9wavefront6targetE1EEEvT1_
	.globl	_ZN7rocprim17ROCPRIM_400000_NS6detail17trampoline_kernelINS0_14default_configENS1_33run_length_encode_config_selectorIfjNS0_4plusIjEEEEZZNS1_33reduce_by_key_impl_wrapped_configILNS1_25lookback_scan_determinismE0ES3_S7_PKfNS0_17constant_iteratorIjlEEPfPlSF_S6_NS0_8equal_toIfEEEE10hipError_tPvRmT2_T3_mT4_T5_T6_T7_T8_P12ihipStream_tbENKUlT_T0_E_clISt17integral_constantIbLb0EESY_IbLb1EEEEDaSU_SV_EUlSU_E_NS1_11comp_targetILNS1_3genE0ELNS1_11target_archE4294967295ELNS1_3gpuE0ELNS1_3repE0EEENS1_30default_config_static_selectorELNS0_4arch9wavefront6targetE1EEEvT1_
	.p2align	8
	.type	_ZN7rocprim17ROCPRIM_400000_NS6detail17trampoline_kernelINS0_14default_configENS1_33run_length_encode_config_selectorIfjNS0_4plusIjEEEEZZNS1_33reduce_by_key_impl_wrapped_configILNS1_25lookback_scan_determinismE0ES3_S7_PKfNS0_17constant_iteratorIjlEEPfPlSF_S6_NS0_8equal_toIfEEEE10hipError_tPvRmT2_T3_mT4_T5_T6_T7_T8_P12ihipStream_tbENKUlT_T0_E_clISt17integral_constantIbLb0EESY_IbLb1EEEEDaSU_SV_EUlSU_E_NS1_11comp_targetILNS1_3genE0ELNS1_11target_archE4294967295ELNS1_3gpuE0ELNS1_3repE0EEENS1_30default_config_static_selectorELNS0_4arch9wavefront6targetE1EEEvT1_,@function
_ZN7rocprim17ROCPRIM_400000_NS6detail17trampoline_kernelINS0_14default_configENS1_33run_length_encode_config_selectorIfjNS0_4plusIjEEEEZZNS1_33reduce_by_key_impl_wrapped_configILNS1_25lookback_scan_determinismE0ES3_S7_PKfNS0_17constant_iteratorIjlEEPfPlSF_S6_NS0_8equal_toIfEEEE10hipError_tPvRmT2_T3_mT4_T5_T6_T7_T8_P12ihipStream_tbENKUlT_T0_E_clISt17integral_constantIbLb0EESY_IbLb1EEEEDaSU_SV_EUlSU_E_NS1_11comp_targetILNS1_3genE0ELNS1_11target_archE4294967295ELNS1_3gpuE0ELNS1_3repE0EEENS1_30default_config_static_selectorELNS0_4arch9wavefront6targetE1EEEvT1_: ; @_ZN7rocprim17ROCPRIM_400000_NS6detail17trampoline_kernelINS0_14default_configENS1_33run_length_encode_config_selectorIfjNS0_4plusIjEEEEZZNS1_33reduce_by_key_impl_wrapped_configILNS1_25lookback_scan_determinismE0ES3_S7_PKfNS0_17constant_iteratorIjlEEPfPlSF_S6_NS0_8equal_toIfEEEE10hipError_tPvRmT2_T3_mT4_T5_T6_T7_T8_P12ihipStream_tbENKUlT_T0_E_clISt17integral_constantIbLb0EESY_IbLb1EEEEDaSU_SV_EUlSU_E_NS1_11comp_targetILNS1_3genE0ELNS1_11target_archE4294967295ELNS1_3gpuE0ELNS1_3repE0EEENS1_30default_config_static_selectorELNS0_4arch9wavefront6targetE1EEEvT1_
; %bb.0:
	.section	.rodata,"a",@progbits
	.p2align	6, 0x0
	.amdhsa_kernel _ZN7rocprim17ROCPRIM_400000_NS6detail17trampoline_kernelINS0_14default_configENS1_33run_length_encode_config_selectorIfjNS0_4plusIjEEEEZZNS1_33reduce_by_key_impl_wrapped_configILNS1_25lookback_scan_determinismE0ES3_S7_PKfNS0_17constant_iteratorIjlEEPfPlSF_S6_NS0_8equal_toIfEEEE10hipError_tPvRmT2_T3_mT4_T5_T6_T7_T8_P12ihipStream_tbENKUlT_T0_E_clISt17integral_constantIbLb0EESY_IbLb1EEEEDaSU_SV_EUlSU_E_NS1_11comp_targetILNS1_3genE0ELNS1_11target_archE4294967295ELNS1_3gpuE0ELNS1_3repE0EEENS1_30default_config_static_selectorELNS0_4arch9wavefront6targetE1EEEvT1_
		.amdhsa_group_segment_fixed_size 0
		.amdhsa_private_segment_fixed_size 0
		.amdhsa_kernarg_size 128
		.amdhsa_user_sgpr_count 6
		.amdhsa_user_sgpr_private_segment_buffer 1
		.amdhsa_user_sgpr_dispatch_ptr 0
		.amdhsa_user_sgpr_queue_ptr 0
		.amdhsa_user_sgpr_kernarg_segment_ptr 1
		.amdhsa_user_sgpr_dispatch_id 0
		.amdhsa_user_sgpr_flat_scratch_init 0
		.amdhsa_user_sgpr_kernarg_preload_length 0
		.amdhsa_user_sgpr_kernarg_preload_offset 0
		.amdhsa_user_sgpr_private_segment_size 0
		.amdhsa_uses_dynamic_stack 0
		.amdhsa_system_sgpr_private_segment_wavefront_offset 0
		.amdhsa_system_sgpr_workgroup_id_x 1
		.amdhsa_system_sgpr_workgroup_id_y 0
		.amdhsa_system_sgpr_workgroup_id_z 0
		.amdhsa_system_sgpr_workgroup_info 0
		.amdhsa_system_vgpr_workitem_id 0
		.amdhsa_next_free_vgpr 1
		.amdhsa_next_free_sgpr 0
		.amdhsa_accum_offset 4
		.amdhsa_reserve_vcc 0
		.amdhsa_reserve_flat_scratch 0
		.amdhsa_float_round_mode_32 0
		.amdhsa_float_round_mode_16_64 0
		.amdhsa_float_denorm_mode_32 3
		.amdhsa_float_denorm_mode_16_64 3
		.amdhsa_dx10_clamp 1
		.amdhsa_ieee_mode 1
		.amdhsa_fp16_overflow 0
		.amdhsa_tg_split 0
		.amdhsa_exception_fp_ieee_invalid_op 0
		.amdhsa_exception_fp_denorm_src 0
		.amdhsa_exception_fp_ieee_div_zero 0
		.amdhsa_exception_fp_ieee_overflow 0
		.amdhsa_exception_fp_ieee_underflow 0
		.amdhsa_exception_fp_ieee_inexact 0
		.amdhsa_exception_int_div_zero 0
	.end_amdhsa_kernel
	.section	.text._ZN7rocprim17ROCPRIM_400000_NS6detail17trampoline_kernelINS0_14default_configENS1_33run_length_encode_config_selectorIfjNS0_4plusIjEEEEZZNS1_33reduce_by_key_impl_wrapped_configILNS1_25lookback_scan_determinismE0ES3_S7_PKfNS0_17constant_iteratorIjlEEPfPlSF_S6_NS0_8equal_toIfEEEE10hipError_tPvRmT2_T3_mT4_T5_T6_T7_T8_P12ihipStream_tbENKUlT_T0_E_clISt17integral_constantIbLb0EESY_IbLb1EEEEDaSU_SV_EUlSU_E_NS1_11comp_targetILNS1_3genE0ELNS1_11target_archE4294967295ELNS1_3gpuE0ELNS1_3repE0EEENS1_30default_config_static_selectorELNS0_4arch9wavefront6targetE1EEEvT1_,"axG",@progbits,_ZN7rocprim17ROCPRIM_400000_NS6detail17trampoline_kernelINS0_14default_configENS1_33run_length_encode_config_selectorIfjNS0_4plusIjEEEEZZNS1_33reduce_by_key_impl_wrapped_configILNS1_25lookback_scan_determinismE0ES3_S7_PKfNS0_17constant_iteratorIjlEEPfPlSF_S6_NS0_8equal_toIfEEEE10hipError_tPvRmT2_T3_mT4_T5_T6_T7_T8_P12ihipStream_tbENKUlT_T0_E_clISt17integral_constantIbLb0EESY_IbLb1EEEEDaSU_SV_EUlSU_E_NS1_11comp_targetILNS1_3genE0ELNS1_11target_archE4294967295ELNS1_3gpuE0ELNS1_3repE0EEENS1_30default_config_static_selectorELNS0_4arch9wavefront6targetE1EEEvT1_,comdat
.Lfunc_end400:
	.size	_ZN7rocprim17ROCPRIM_400000_NS6detail17trampoline_kernelINS0_14default_configENS1_33run_length_encode_config_selectorIfjNS0_4plusIjEEEEZZNS1_33reduce_by_key_impl_wrapped_configILNS1_25lookback_scan_determinismE0ES3_S7_PKfNS0_17constant_iteratorIjlEEPfPlSF_S6_NS0_8equal_toIfEEEE10hipError_tPvRmT2_T3_mT4_T5_T6_T7_T8_P12ihipStream_tbENKUlT_T0_E_clISt17integral_constantIbLb0EESY_IbLb1EEEEDaSU_SV_EUlSU_E_NS1_11comp_targetILNS1_3genE0ELNS1_11target_archE4294967295ELNS1_3gpuE0ELNS1_3repE0EEENS1_30default_config_static_selectorELNS0_4arch9wavefront6targetE1EEEvT1_, .Lfunc_end400-_ZN7rocprim17ROCPRIM_400000_NS6detail17trampoline_kernelINS0_14default_configENS1_33run_length_encode_config_selectorIfjNS0_4plusIjEEEEZZNS1_33reduce_by_key_impl_wrapped_configILNS1_25lookback_scan_determinismE0ES3_S7_PKfNS0_17constant_iteratorIjlEEPfPlSF_S6_NS0_8equal_toIfEEEE10hipError_tPvRmT2_T3_mT4_T5_T6_T7_T8_P12ihipStream_tbENKUlT_T0_E_clISt17integral_constantIbLb0EESY_IbLb1EEEEDaSU_SV_EUlSU_E_NS1_11comp_targetILNS1_3genE0ELNS1_11target_archE4294967295ELNS1_3gpuE0ELNS1_3repE0EEENS1_30default_config_static_selectorELNS0_4arch9wavefront6targetE1EEEvT1_
                                        ; -- End function
	.section	.AMDGPU.csdata,"",@progbits
; Kernel info:
; codeLenInByte = 0
; NumSgprs: 4
; NumVgprs: 0
; NumAgprs: 0
; TotalNumVgprs: 0
; ScratchSize: 0
; MemoryBound: 0
; FloatMode: 240
; IeeeMode: 1
; LDSByteSize: 0 bytes/workgroup (compile time only)
; SGPRBlocks: 0
; VGPRBlocks: 0
; NumSGPRsForWavesPerEU: 4
; NumVGPRsForWavesPerEU: 1
; AccumOffset: 4
; Occupancy: 8
; WaveLimiterHint : 0
; COMPUTE_PGM_RSRC2:SCRATCH_EN: 0
; COMPUTE_PGM_RSRC2:USER_SGPR: 6
; COMPUTE_PGM_RSRC2:TRAP_HANDLER: 0
; COMPUTE_PGM_RSRC2:TGID_X_EN: 1
; COMPUTE_PGM_RSRC2:TGID_Y_EN: 0
; COMPUTE_PGM_RSRC2:TGID_Z_EN: 0
; COMPUTE_PGM_RSRC2:TIDIG_COMP_CNT: 0
; COMPUTE_PGM_RSRC3_GFX90A:ACCUM_OFFSET: 0
; COMPUTE_PGM_RSRC3_GFX90A:TG_SPLIT: 0
	.section	.text._ZN7rocprim17ROCPRIM_400000_NS6detail17trampoline_kernelINS0_14default_configENS1_33run_length_encode_config_selectorIfjNS0_4plusIjEEEEZZNS1_33reduce_by_key_impl_wrapped_configILNS1_25lookback_scan_determinismE0ES3_S7_PKfNS0_17constant_iteratorIjlEEPfPlSF_S6_NS0_8equal_toIfEEEE10hipError_tPvRmT2_T3_mT4_T5_T6_T7_T8_P12ihipStream_tbENKUlT_T0_E_clISt17integral_constantIbLb0EESY_IbLb1EEEEDaSU_SV_EUlSU_E_NS1_11comp_targetILNS1_3genE5ELNS1_11target_archE942ELNS1_3gpuE9ELNS1_3repE0EEENS1_30default_config_static_selectorELNS0_4arch9wavefront6targetE1EEEvT1_,"axG",@progbits,_ZN7rocprim17ROCPRIM_400000_NS6detail17trampoline_kernelINS0_14default_configENS1_33run_length_encode_config_selectorIfjNS0_4plusIjEEEEZZNS1_33reduce_by_key_impl_wrapped_configILNS1_25lookback_scan_determinismE0ES3_S7_PKfNS0_17constant_iteratorIjlEEPfPlSF_S6_NS0_8equal_toIfEEEE10hipError_tPvRmT2_T3_mT4_T5_T6_T7_T8_P12ihipStream_tbENKUlT_T0_E_clISt17integral_constantIbLb0EESY_IbLb1EEEEDaSU_SV_EUlSU_E_NS1_11comp_targetILNS1_3genE5ELNS1_11target_archE942ELNS1_3gpuE9ELNS1_3repE0EEENS1_30default_config_static_selectorELNS0_4arch9wavefront6targetE1EEEvT1_,comdat
	.protected	_ZN7rocprim17ROCPRIM_400000_NS6detail17trampoline_kernelINS0_14default_configENS1_33run_length_encode_config_selectorIfjNS0_4plusIjEEEEZZNS1_33reduce_by_key_impl_wrapped_configILNS1_25lookback_scan_determinismE0ES3_S7_PKfNS0_17constant_iteratorIjlEEPfPlSF_S6_NS0_8equal_toIfEEEE10hipError_tPvRmT2_T3_mT4_T5_T6_T7_T8_P12ihipStream_tbENKUlT_T0_E_clISt17integral_constantIbLb0EESY_IbLb1EEEEDaSU_SV_EUlSU_E_NS1_11comp_targetILNS1_3genE5ELNS1_11target_archE942ELNS1_3gpuE9ELNS1_3repE0EEENS1_30default_config_static_selectorELNS0_4arch9wavefront6targetE1EEEvT1_ ; -- Begin function _ZN7rocprim17ROCPRIM_400000_NS6detail17trampoline_kernelINS0_14default_configENS1_33run_length_encode_config_selectorIfjNS0_4plusIjEEEEZZNS1_33reduce_by_key_impl_wrapped_configILNS1_25lookback_scan_determinismE0ES3_S7_PKfNS0_17constant_iteratorIjlEEPfPlSF_S6_NS0_8equal_toIfEEEE10hipError_tPvRmT2_T3_mT4_T5_T6_T7_T8_P12ihipStream_tbENKUlT_T0_E_clISt17integral_constantIbLb0EESY_IbLb1EEEEDaSU_SV_EUlSU_E_NS1_11comp_targetILNS1_3genE5ELNS1_11target_archE942ELNS1_3gpuE9ELNS1_3repE0EEENS1_30default_config_static_selectorELNS0_4arch9wavefront6targetE1EEEvT1_
	.globl	_ZN7rocprim17ROCPRIM_400000_NS6detail17trampoline_kernelINS0_14default_configENS1_33run_length_encode_config_selectorIfjNS0_4plusIjEEEEZZNS1_33reduce_by_key_impl_wrapped_configILNS1_25lookback_scan_determinismE0ES3_S7_PKfNS0_17constant_iteratorIjlEEPfPlSF_S6_NS0_8equal_toIfEEEE10hipError_tPvRmT2_T3_mT4_T5_T6_T7_T8_P12ihipStream_tbENKUlT_T0_E_clISt17integral_constantIbLb0EESY_IbLb1EEEEDaSU_SV_EUlSU_E_NS1_11comp_targetILNS1_3genE5ELNS1_11target_archE942ELNS1_3gpuE9ELNS1_3repE0EEENS1_30default_config_static_selectorELNS0_4arch9wavefront6targetE1EEEvT1_
	.p2align	8
	.type	_ZN7rocprim17ROCPRIM_400000_NS6detail17trampoline_kernelINS0_14default_configENS1_33run_length_encode_config_selectorIfjNS0_4plusIjEEEEZZNS1_33reduce_by_key_impl_wrapped_configILNS1_25lookback_scan_determinismE0ES3_S7_PKfNS0_17constant_iteratorIjlEEPfPlSF_S6_NS0_8equal_toIfEEEE10hipError_tPvRmT2_T3_mT4_T5_T6_T7_T8_P12ihipStream_tbENKUlT_T0_E_clISt17integral_constantIbLb0EESY_IbLb1EEEEDaSU_SV_EUlSU_E_NS1_11comp_targetILNS1_3genE5ELNS1_11target_archE942ELNS1_3gpuE9ELNS1_3repE0EEENS1_30default_config_static_selectorELNS0_4arch9wavefront6targetE1EEEvT1_,@function
_ZN7rocprim17ROCPRIM_400000_NS6detail17trampoline_kernelINS0_14default_configENS1_33run_length_encode_config_selectorIfjNS0_4plusIjEEEEZZNS1_33reduce_by_key_impl_wrapped_configILNS1_25lookback_scan_determinismE0ES3_S7_PKfNS0_17constant_iteratorIjlEEPfPlSF_S6_NS0_8equal_toIfEEEE10hipError_tPvRmT2_T3_mT4_T5_T6_T7_T8_P12ihipStream_tbENKUlT_T0_E_clISt17integral_constantIbLb0EESY_IbLb1EEEEDaSU_SV_EUlSU_E_NS1_11comp_targetILNS1_3genE5ELNS1_11target_archE942ELNS1_3gpuE9ELNS1_3repE0EEENS1_30default_config_static_selectorELNS0_4arch9wavefront6targetE1EEEvT1_: ; @_ZN7rocprim17ROCPRIM_400000_NS6detail17trampoline_kernelINS0_14default_configENS1_33run_length_encode_config_selectorIfjNS0_4plusIjEEEEZZNS1_33reduce_by_key_impl_wrapped_configILNS1_25lookback_scan_determinismE0ES3_S7_PKfNS0_17constant_iteratorIjlEEPfPlSF_S6_NS0_8equal_toIfEEEE10hipError_tPvRmT2_T3_mT4_T5_T6_T7_T8_P12ihipStream_tbENKUlT_T0_E_clISt17integral_constantIbLb0EESY_IbLb1EEEEDaSU_SV_EUlSU_E_NS1_11comp_targetILNS1_3genE5ELNS1_11target_archE942ELNS1_3gpuE9ELNS1_3repE0EEENS1_30default_config_static_selectorELNS0_4arch9wavefront6targetE1EEEvT1_
; %bb.0:
	.section	.rodata,"a",@progbits
	.p2align	6, 0x0
	.amdhsa_kernel _ZN7rocprim17ROCPRIM_400000_NS6detail17trampoline_kernelINS0_14default_configENS1_33run_length_encode_config_selectorIfjNS0_4plusIjEEEEZZNS1_33reduce_by_key_impl_wrapped_configILNS1_25lookback_scan_determinismE0ES3_S7_PKfNS0_17constant_iteratorIjlEEPfPlSF_S6_NS0_8equal_toIfEEEE10hipError_tPvRmT2_T3_mT4_T5_T6_T7_T8_P12ihipStream_tbENKUlT_T0_E_clISt17integral_constantIbLb0EESY_IbLb1EEEEDaSU_SV_EUlSU_E_NS1_11comp_targetILNS1_3genE5ELNS1_11target_archE942ELNS1_3gpuE9ELNS1_3repE0EEENS1_30default_config_static_selectorELNS0_4arch9wavefront6targetE1EEEvT1_
		.amdhsa_group_segment_fixed_size 0
		.amdhsa_private_segment_fixed_size 0
		.amdhsa_kernarg_size 128
		.amdhsa_user_sgpr_count 6
		.amdhsa_user_sgpr_private_segment_buffer 1
		.amdhsa_user_sgpr_dispatch_ptr 0
		.amdhsa_user_sgpr_queue_ptr 0
		.amdhsa_user_sgpr_kernarg_segment_ptr 1
		.amdhsa_user_sgpr_dispatch_id 0
		.amdhsa_user_sgpr_flat_scratch_init 0
		.amdhsa_user_sgpr_kernarg_preload_length 0
		.amdhsa_user_sgpr_kernarg_preload_offset 0
		.amdhsa_user_sgpr_private_segment_size 0
		.amdhsa_uses_dynamic_stack 0
		.amdhsa_system_sgpr_private_segment_wavefront_offset 0
		.amdhsa_system_sgpr_workgroup_id_x 1
		.amdhsa_system_sgpr_workgroup_id_y 0
		.amdhsa_system_sgpr_workgroup_id_z 0
		.amdhsa_system_sgpr_workgroup_info 0
		.amdhsa_system_vgpr_workitem_id 0
		.amdhsa_next_free_vgpr 1
		.amdhsa_next_free_sgpr 0
		.amdhsa_accum_offset 4
		.amdhsa_reserve_vcc 0
		.amdhsa_reserve_flat_scratch 0
		.amdhsa_float_round_mode_32 0
		.amdhsa_float_round_mode_16_64 0
		.amdhsa_float_denorm_mode_32 3
		.amdhsa_float_denorm_mode_16_64 3
		.amdhsa_dx10_clamp 1
		.amdhsa_ieee_mode 1
		.amdhsa_fp16_overflow 0
		.amdhsa_tg_split 0
		.amdhsa_exception_fp_ieee_invalid_op 0
		.amdhsa_exception_fp_denorm_src 0
		.amdhsa_exception_fp_ieee_div_zero 0
		.amdhsa_exception_fp_ieee_overflow 0
		.amdhsa_exception_fp_ieee_underflow 0
		.amdhsa_exception_fp_ieee_inexact 0
		.amdhsa_exception_int_div_zero 0
	.end_amdhsa_kernel
	.section	.text._ZN7rocprim17ROCPRIM_400000_NS6detail17trampoline_kernelINS0_14default_configENS1_33run_length_encode_config_selectorIfjNS0_4plusIjEEEEZZNS1_33reduce_by_key_impl_wrapped_configILNS1_25lookback_scan_determinismE0ES3_S7_PKfNS0_17constant_iteratorIjlEEPfPlSF_S6_NS0_8equal_toIfEEEE10hipError_tPvRmT2_T3_mT4_T5_T6_T7_T8_P12ihipStream_tbENKUlT_T0_E_clISt17integral_constantIbLb0EESY_IbLb1EEEEDaSU_SV_EUlSU_E_NS1_11comp_targetILNS1_3genE5ELNS1_11target_archE942ELNS1_3gpuE9ELNS1_3repE0EEENS1_30default_config_static_selectorELNS0_4arch9wavefront6targetE1EEEvT1_,"axG",@progbits,_ZN7rocprim17ROCPRIM_400000_NS6detail17trampoline_kernelINS0_14default_configENS1_33run_length_encode_config_selectorIfjNS0_4plusIjEEEEZZNS1_33reduce_by_key_impl_wrapped_configILNS1_25lookback_scan_determinismE0ES3_S7_PKfNS0_17constant_iteratorIjlEEPfPlSF_S6_NS0_8equal_toIfEEEE10hipError_tPvRmT2_T3_mT4_T5_T6_T7_T8_P12ihipStream_tbENKUlT_T0_E_clISt17integral_constantIbLb0EESY_IbLb1EEEEDaSU_SV_EUlSU_E_NS1_11comp_targetILNS1_3genE5ELNS1_11target_archE942ELNS1_3gpuE9ELNS1_3repE0EEENS1_30default_config_static_selectorELNS0_4arch9wavefront6targetE1EEEvT1_,comdat
.Lfunc_end401:
	.size	_ZN7rocprim17ROCPRIM_400000_NS6detail17trampoline_kernelINS0_14default_configENS1_33run_length_encode_config_selectorIfjNS0_4plusIjEEEEZZNS1_33reduce_by_key_impl_wrapped_configILNS1_25lookback_scan_determinismE0ES3_S7_PKfNS0_17constant_iteratorIjlEEPfPlSF_S6_NS0_8equal_toIfEEEE10hipError_tPvRmT2_T3_mT4_T5_T6_T7_T8_P12ihipStream_tbENKUlT_T0_E_clISt17integral_constantIbLb0EESY_IbLb1EEEEDaSU_SV_EUlSU_E_NS1_11comp_targetILNS1_3genE5ELNS1_11target_archE942ELNS1_3gpuE9ELNS1_3repE0EEENS1_30default_config_static_selectorELNS0_4arch9wavefront6targetE1EEEvT1_, .Lfunc_end401-_ZN7rocprim17ROCPRIM_400000_NS6detail17trampoline_kernelINS0_14default_configENS1_33run_length_encode_config_selectorIfjNS0_4plusIjEEEEZZNS1_33reduce_by_key_impl_wrapped_configILNS1_25lookback_scan_determinismE0ES3_S7_PKfNS0_17constant_iteratorIjlEEPfPlSF_S6_NS0_8equal_toIfEEEE10hipError_tPvRmT2_T3_mT4_T5_T6_T7_T8_P12ihipStream_tbENKUlT_T0_E_clISt17integral_constantIbLb0EESY_IbLb1EEEEDaSU_SV_EUlSU_E_NS1_11comp_targetILNS1_3genE5ELNS1_11target_archE942ELNS1_3gpuE9ELNS1_3repE0EEENS1_30default_config_static_selectorELNS0_4arch9wavefront6targetE1EEEvT1_
                                        ; -- End function
	.section	.AMDGPU.csdata,"",@progbits
; Kernel info:
; codeLenInByte = 0
; NumSgprs: 4
; NumVgprs: 0
; NumAgprs: 0
; TotalNumVgprs: 0
; ScratchSize: 0
; MemoryBound: 0
; FloatMode: 240
; IeeeMode: 1
; LDSByteSize: 0 bytes/workgroup (compile time only)
; SGPRBlocks: 0
; VGPRBlocks: 0
; NumSGPRsForWavesPerEU: 4
; NumVGPRsForWavesPerEU: 1
; AccumOffset: 4
; Occupancy: 8
; WaveLimiterHint : 0
; COMPUTE_PGM_RSRC2:SCRATCH_EN: 0
; COMPUTE_PGM_RSRC2:USER_SGPR: 6
; COMPUTE_PGM_RSRC2:TRAP_HANDLER: 0
; COMPUTE_PGM_RSRC2:TGID_X_EN: 1
; COMPUTE_PGM_RSRC2:TGID_Y_EN: 0
; COMPUTE_PGM_RSRC2:TGID_Z_EN: 0
; COMPUTE_PGM_RSRC2:TIDIG_COMP_CNT: 0
; COMPUTE_PGM_RSRC3_GFX90A:ACCUM_OFFSET: 0
; COMPUTE_PGM_RSRC3_GFX90A:TG_SPLIT: 0
	.section	.text._ZN7rocprim17ROCPRIM_400000_NS6detail17trampoline_kernelINS0_14default_configENS1_33run_length_encode_config_selectorIfjNS0_4plusIjEEEEZZNS1_33reduce_by_key_impl_wrapped_configILNS1_25lookback_scan_determinismE0ES3_S7_PKfNS0_17constant_iteratorIjlEEPfPlSF_S6_NS0_8equal_toIfEEEE10hipError_tPvRmT2_T3_mT4_T5_T6_T7_T8_P12ihipStream_tbENKUlT_T0_E_clISt17integral_constantIbLb0EESY_IbLb1EEEEDaSU_SV_EUlSU_E_NS1_11comp_targetILNS1_3genE4ELNS1_11target_archE910ELNS1_3gpuE8ELNS1_3repE0EEENS1_30default_config_static_selectorELNS0_4arch9wavefront6targetE1EEEvT1_,"axG",@progbits,_ZN7rocprim17ROCPRIM_400000_NS6detail17trampoline_kernelINS0_14default_configENS1_33run_length_encode_config_selectorIfjNS0_4plusIjEEEEZZNS1_33reduce_by_key_impl_wrapped_configILNS1_25lookback_scan_determinismE0ES3_S7_PKfNS0_17constant_iteratorIjlEEPfPlSF_S6_NS0_8equal_toIfEEEE10hipError_tPvRmT2_T3_mT4_T5_T6_T7_T8_P12ihipStream_tbENKUlT_T0_E_clISt17integral_constantIbLb0EESY_IbLb1EEEEDaSU_SV_EUlSU_E_NS1_11comp_targetILNS1_3genE4ELNS1_11target_archE910ELNS1_3gpuE8ELNS1_3repE0EEENS1_30default_config_static_selectorELNS0_4arch9wavefront6targetE1EEEvT1_,comdat
	.protected	_ZN7rocprim17ROCPRIM_400000_NS6detail17trampoline_kernelINS0_14default_configENS1_33run_length_encode_config_selectorIfjNS0_4plusIjEEEEZZNS1_33reduce_by_key_impl_wrapped_configILNS1_25lookback_scan_determinismE0ES3_S7_PKfNS0_17constant_iteratorIjlEEPfPlSF_S6_NS0_8equal_toIfEEEE10hipError_tPvRmT2_T3_mT4_T5_T6_T7_T8_P12ihipStream_tbENKUlT_T0_E_clISt17integral_constantIbLb0EESY_IbLb1EEEEDaSU_SV_EUlSU_E_NS1_11comp_targetILNS1_3genE4ELNS1_11target_archE910ELNS1_3gpuE8ELNS1_3repE0EEENS1_30default_config_static_selectorELNS0_4arch9wavefront6targetE1EEEvT1_ ; -- Begin function _ZN7rocprim17ROCPRIM_400000_NS6detail17trampoline_kernelINS0_14default_configENS1_33run_length_encode_config_selectorIfjNS0_4plusIjEEEEZZNS1_33reduce_by_key_impl_wrapped_configILNS1_25lookback_scan_determinismE0ES3_S7_PKfNS0_17constant_iteratorIjlEEPfPlSF_S6_NS0_8equal_toIfEEEE10hipError_tPvRmT2_T3_mT4_T5_T6_T7_T8_P12ihipStream_tbENKUlT_T0_E_clISt17integral_constantIbLb0EESY_IbLb1EEEEDaSU_SV_EUlSU_E_NS1_11comp_targetILNS1_3genE4ELNS1_11target_archE910ELNS1_3gpuE8ELNS1_3repE0EEENS1_30default_config_static_selectorELNS0_4arch9wavefront6targetE1EEEvT1_
	.globl	_ZN7rocprim17ROCPRIM_400000_NS6detail17trampoline_kernelINS0_14default_configENS1_33run_length_encode_config_selectorIfjNS0_4plusIjEEEEZZNS1_33reduce_by_key_impl_wrapped_configILNS1_25lookback_scan_determinismE0ES3_S7_PKfNS0_17constant_iteratorIjlEEPfPlSF_S6_NS0_8equal_toIfEEEE10hipError_tPvRmT2_T3_mT4_T5_T6_T7_T8_P12ihipStream_tbENKUlT_T0_E_clISt17integral_constantIbLb0EESY_IbLb1EEEEDaSU_SV_EUlSU_E_NS1_11comp_targetILNS1_3genE4ELNS1_11target_archE910ELNS1_3gpuE8ELNS1_3repE0EEENS1_30default_config_static_selectorELNS0_4arch9wavefront6targetE1EEEvT1_
	.p2align	8
	.type	_ZN7rocprim17ROCPRIM_400000_NS6detail17trampoline_kernelINS0_14default_configENS1_33run_length_encode_config_selectorIfjNS0_4plusIjEEEEZZNS1_33reduce_by_key_impl_wrapped_configILNS1_25lookback_scan_determinismE0ES3_S7_PKfNS0_17constant_iteratorIjlEEPfPlSF_S6_NS0_8equal_toIfEEEE10hipError_tPvRmT2_T3_mT4_T5_T6_T7_T8_P12ihipStream_tbENKUlT_T0_E_clISt17integral_constantIbLb0EESY_IbLb1EEEEDaSU_SV_EUlSU_E_NS1_11comp_targetILNS1_3genE4ELNS1_11target_archE910ELNS1_3gpuE8ELNS1_3repE0EEENS1_30default_config_static_selectorELNS0_4arch9wavefront6targetE1EEEvT1_,@function
_ZN7rocprim17ROCPRIM_400000_NS6detail17trampoline_kernelINS0_14default_configENS1_33run_length_encode_config_selectorIfjNS0_4plusIjEEEEZZNS1_33reduce_by_key_impl_wrapped_configILNS1_25lookback_scan_determinismE0ES3_S7_PKfNS0_17constant_iteratorIjlEEPfPlSF_S6_NS0_8equal_toIfEEEE10hipError_tPvRmT2_T3_mT4_T5_T6_T7_T8_P12ihipStream_tbENKUlT_T0_E_clISt17integral_constantIbLb0EESY_IbLb1EEEEDaSU_SV_EUlSU_E_NS1_11comp_targetILNS1_3genE4ELNS1_11target_archE910ELNS1_3gpuE8ELNS1_3repE0EEENS1_30default_config_static_selectorELNS0_4arch9wavefront6targetE1EEEvT1_: ; @_ZN7rocprim17ROCPRIM_400000_NS6detail17trampoline_kernelINS0_14default_configENS1_33run_length_encode_config_selectorIfjNS0_4plusIjEEEEZZNS1_33reduce_by_key_impl_wrapped_configILNS1_25lookback_scan_determinismE0ES3_S7_PKfNS0_17constant_iteratorIjlEEPfPlSF_S6_NS0_8equal_toIfEEEE10hipError_tPvRmT2_T3_mT4_T5_T6_T7_T8_P12ihipStream_tbENKUlT_T0_E_clISt17integral_constantIbLb0EESY_IbLb1EEEEDaSU_SV_EUlSU_E_NS1_11comp_targetILNS1_3genE4ELNS1_11target_archE910ELNS1_3gpuE8ELNS1_3repE0EEENS1_30default_config_static_selectorELNS0_4arch9wavefront6targetE1EEEvT1_
; %bb.0:
	s_load_dword s12, s[4:5], 0x10
	s_load_dwordx4 s[44:47], s[4:5], 0x20
	s_load_dwordx2 s[52:53], s[4:5], 0x30
	s_load_dwordx2 s[34:35], s[4:5], 0x70
	s_load_dwordx4 s[48:51], s[4:5], 0x60
	s_load_dwordx8 s[36:43], s[4:5], 0x40
	v_cmp_ne_u32_e64 s[2:3], 0, v0
	v_cmp_eq_u32_e64 s[0:1], 0, v0
	s_and_saveexec_b64 s[6:7], s[0:1]
	s_cbranch_execz .LBB402_4
; %bb.1:
	s_mov_b64 s[10:11], exec
	v_mbcnt_lo_u32_b32 v1, s10, 0
	v_mbcnt_hi_u32_b32 v1, s11, v1
	v_cmp_eq_u32_e32 vcc, 0, v1
                                        ; implicit-def: $vgpr2
	s_and_saveexec_b64 s[8:9], vcc
	s_cbranch_execz .LBB402_3
; %bb.2:
	s_load_dwordx2 s[14:15], s[4:5], 0x78
	s_bcnt1_i32_b64 s10, s[10:11]
	v_mov_b32_e32 v2, 0
	v_mov_b32_e32 v3, s10
	s_waitcnt lgkmcnt(0)
	global_atomic_add v2, v2, v3, s[14:15] glc
.LBB402_3:
	s_or_b64 exec, exec, s[8:9]
	s_waitcnt vmcnt(0)
	v_readfirstlane_b32 s8, v2
	v_add_u32_e32 v1, s8, v1
	v_mov_b32_e32 v2, 0
	ds_write_b32 v2, v1
.LBB402_4:
	s_or_b64 exec, exec, s[6:7]
	s_load_dwordx4 s[4:7], s[4:5], 0x0
	v_mov_b32_e32 v3, 0
	s_waitcnt lgkmcnt(0)
	s_barrier
	ds_read_b32 v1, v3
	s_mul_i32 s8, s40, s39
	s_mul_hi_u32 s9, s40, s38
	s_add_i32 s8, s9, s8
	s_mul_i32 s9, s41, s38
	s_add_i32 s8, s8, s9
	s_lshl_b64 s[6:7], s[6:7], 2
	s_add_u32 s4, s4, s6
	s_movk_i32 s6, 0xf00
	s_waitcnt lgkmcnt(0)
	v_mul_lo_u32 v2, v1, s6
	s_mul_i32 s9, s40, s38
	s_addc_u32 s5, s5, s7
	v_readfirstlane_b32 s56, v1
	v_lshlrev_b64 v[2:3], 2, v[2:3]
	v_add_co_u32_e32 v2, vcc, s4, v2
	s_add_u32 s4, s9, s56
	v_mov_b32_e32 v1, s5
	s_addc_u32 s5, s8, 0
	s_add_u32 s8, s42, -1
	s_addc_u32 s9, s43, -1
	s_cmp_eq_u64 s[4:5], s[8:9]
	v_addc_co_u32_e32 v3, vcc, v1, v3, vcc
	s_cselect_b64 s[40:41], -1, 0
	s_cmp_lg_u64 s[4:5], s[8:9]
	s_mov_b64 s[10:11], -1
	s_cselect_b64 s[6:7], -1, 0
	s_mul_i32 s33, s8, 0xfffff100
	s_and_b64 vcc, exec, s[40:41]
	s_barrier
	s_cbranch_vccnz .LBB402_6
; %bb.5:
	v_lshlrev_b32_e32 v1, 2, v0
	v_add_co_u32_e32 v6, vcc, v2, v1
	v_addc_co_u32_e32 v7, vcc, 0, v3, vcc
	v_add_co_u32_e32 v4, vcc, 0x1000, v6
	v_readfirstlane_b32 s8, v2
	v_readfirstlane_b32 s9, v3
	v_addc_co_u32_e32 v5, vcc, 0, v7, vcc
	s_nop 3
	global_load_dword v8, v1, s[8:9]
	global_load_dword v9, v1, s[8:9] offset:1024
	global_load_dword v10, v1, s[8:9] offset:2048
	;; [unrolled: 1-line block ×3, first 2 shown]
	global_load_dword v12, v[4:5], off
	global_load_dword v13, v[4:5], off offset:1024
	global_load_dword v14, v[4:5], off offset:2048
	;; [unrolled: 1-line block ×3, first 2 shown]
	v_add_co_u32_e32 v4, vcc, 0x2000, v6
	v_addc_co_u32_e32 v5, vcc, 0, v7, vcc
	v_add_co_u32_e32 v6, vcc, 0x3000, v6
	v_addc_co_u32_e32 v7, vcc, 0, v7, vcc
	global_load_dword v16, v[4:5], off
	global_load_dword v17, v[4:5], off offset:1024
	global_load_dword v18, v[4:5], off offset:2048
	;; [unrolled: 1-line block ×3, first 2 shown]
	global_load_dword v20, v[6:7], off
	global_load_dword v21, v[6:7], off offset:1024
	global_load_dword v22, v[6:7], off offset:2048
	v_mad_u32_u24 v4, v0, 56, v1
	s_mov_b64 s[8:9], -1
	s_waitcnt vmcnt(13)
	ds_write2st64_b32 v1, v8, v9 offset1:4
	s_waitcnt vmcnt(11)
	ds_write2st64_b32 v1, v10, v11 offset0:8 offset1:12
	s_waitcnt vmcnt(9)
	ds_write2st64_b32 v1, v12, v13 offset0:16 offset1:20
	;; [unrolled: 2-line block ×6, first 2 shown]
	s_waitcnt vmcnt(0)
	ds_write_b32 v1, v22 offset:14336
	s_waitcnt lgkmcnt(0)
	s_barrier
	ds_read2_b32 v[20:21], v4 offset1:1
	ds_read2_b32 v[18:19], v4 offset0:2 offset1:3
	ds_read2_b32 v[16:17], v4 offset0:4 offset1:5
	;; [unrolled: 1-line block ×6, first 2 shown]
	ds_read_b32 v1, v4 offset:56
	s_waitcnt lgkmcnt(7)
	v_mov_b32_e32 v24, v20
	s_waitcnt lgkmcnt(6)
	v_mov_b32_e32 v25, v18
	;; [unrolled: 2-line block ×7, first 2 shown]
	s_add_i32 s33, s33, s48
	s_cbranch_execz .LBB402_7
	s_branch .LBB402_38
.LBB402_6:
	s_mov_b64 s[8:9], 0
                                        ; implicit-def: $vgpr1
                                        ; implicit-def: $vgpr8
                                        ; implicit-def: $vgpr10
                                        ; implicit-def: $vgpr12
                                        ; implicit-def: $vgpr14
                                        ; implicit-def: $vgpr16
                                        ; implicit-def: $vgpr18
                                        ; implicit-def: $vgpr20
                                        ; implicit-def: $vgpr4_vgpr5
                                        ; implicit-def: $vgpr6_vgpr7
                                        ; implicit-def: $vgpr24_vgpr25
                                        ; implicit-def: $vgpr22_vgpr23
	s_add_i32 s33, s33, s48
	s_andn2_b64 vcc, exec, s[10:11]
	s_cbranch_vccnz .LBB402_38
.LBB402_7:
	v_cmp_gt_u32_e32 vcc, s33, v0
                                        ; implicit-def: $vgpr1
	s_and_saveexec_b64 s[8:9], vcc
	s_cbranch_execz .LBB402_9
; %bb.8:
	s_waitcnt lgkmcnt(0)
	v_lshlrev_b32_e32 v1, 2, v0
	v_readfirstlane_b32 s10, v2
	v_readfirstlane_b32 s11, v3
	s_nop 4
	global_load_dword v1, v1, s[10:11]
.LBB402_9:
	s_or_b64 exec, exec, s[8:9]
	v_or_b32_e32 v4, 0x100, v0
	v_cmp_gt_u32_e32 vcc, s33, v4
                                        ; implicit-def: $vgpr4
	s_and_saveexec_b64 s[8:9], vcc
	s_cbranch_execz .LBB402_11
; %bb.10:
	v_lshlrev_b32_e32 v4, 2, v0
	v_readfirstlane_b32 s10, v2
	v_readfirstlane_b32 s11, v3
	s_nop 4
	global_load_dword v4, v4, s[10:11] offset:1024
.LBB402_11:
	s_or_b64 exec, exec, s[8:9]
	v_or_b32_e32 v5, 0x200, v0
	v_cmp_gt_u32_e32 vcc, s33, v5
                                        ; implicit-def: $vgpr5
	s_and_saveexec_b64 s[8:9], vcc
	s_cbranch_execz .LBB402_13
; %bb.12:
	v_lshlrev_b32_e32 v5, 2, v0
	v_readfirstlane_b32 s10, v2
	v_readfirstlane_b32 s11, v3
	s_nop 4
	global_load_dword v5, v5, s[10:11] offset:2048
.LBB402_13:
	s_or_b64 exec, exec, s[8:9]
	v_or_b32_e32 v6, 0x300, v0
	v_cmp_gt_u32_e32 vcc, s33, v6
                                        ; implicit-def: $vgpr6
	s_and_saveexec_b64 s[8:9], vcc
	s_cbranch_execz .LBB402_15
; %bb.14:
	v_lshlrev_b32_e32 v6, 2, v0
	v_readfirstlane_b32 s10, v2
	v_readfirstlane_b32 s11, v3
	s_nop 4
	global_load_dword v6, v6, s[10:11] offset:3072
.LBB402_15:
	s_or_b64 exec, exec, s[8:9]
	v_or_b32_e32 v8, 0x400, v0
	v_cmp_gt_u32_e32 vcc, s33, v8
                                        ; implicit-def: $vgpr7
	s_and_saveexec_b64 s[8:9], vcc
	s_cbranch_execz .LBB402_17
; %bb.16:
	v_lshlrev_b32_e32 v7, 2, v8
	v_readfirstlane_b32 s10, v2
	v_readfirstlane_b32 s11, v3
	s_nop 4
	global_load_dword v7, v7, s[10:11]
.LBB402_17:
	s_or_b64 exec, exec, s[8:9]
	v_or_b32_e32 v9, 0x500, v0
	v_cmp_gt_u32_e32 vcc, s33, v9
                                        ; implicit-def: $vgpr8
	s_and_saveexec_b64 s[8:9], vcc
	s_cbranch_execz .LBB402_19
; %bb.18:
	v_lshlrev_b32_e32 v8, 2, v9
	v_readfirstlane_b32 s10, v2
	v_readfirstlane_b32 s11, v3
	s_nop 4
	global_load_dword v8, v8, s[10:11]
.LBB402_19:
	s_or_b64 exec, exec, s[8:9]
	v_or_b32_e32 v10, 0x600, v0
	v_cmp_gt_u32_e32 vcc, s33, v10
                                        ; implicit-def: $vgpr9
	s_and_saveexec_b64 s[8:9], vcc
	s_cbranch_execz .LBB402_21
; %bb.20:
	v_lshlrev_b32_e32 v9, 2, v10
	v_readfirstlane_b32 s10, v2
	v_readfirstlane_b32 s11, v3
	s_nop 4
	global_load_dword v9, v9, s[10:11]
.LBB402_21:
	s_or_b64 exec, exec, s[8:9]
	v_or_b32_e32 v11, 0x700, v0
	v_cmp_gt_u32_e32 vcc, s33, v11
                                        ; implicit-def: $vgpr10
	s_and_saveexec_b64 s[8:9], vcc
	s_cbranch_execz .LBB402_23
; %bb.22:
	v_lshlrev_b32_e32 v10, 2, v11
	v_readfirstlane_b32 s10, v2
	v_readfirstlane_b32 s11, v3
	s_nop 4
	global_load_dword v10, v10, s[10:11]
.LBB402_23:
	s_or_b64 exec, exec, s[8:9]
	v_or_b32_e32 v12, 0x800, v0
	v_cmp_gt_u32_e32 vcc, s33, v12
                                        ; implicit-def: $vgpr11
	s_and_saveexec_b64 s[8:9], vcc
	s_cbranch_execz .LBB402_25
; %bb.24:
	v_lshlrev_b32_e32 v11, 2, v12
	v_readfirstlane_b32 s10, v2
	v_readfirstlane_b32 s11, v3
	s_nop 4
	global_load_dword v11, v11, s[10:11]
.LBB402_25:
	s_or_b64 exec, exec, s[8:9]
	v_or_b32_e32 v13, 0x900, v0
	v_cmp_gt_u32_e32 vcc, s33, v13
                                        ; implicit-def: $vgpr12
	s_and_saveexec_b64 s[8:9], vcc
	s_cbranch_execz .LBB402_27
; %bb.26:
	v_lshlrev_b32_e32 v12, 2, v13
	v_readfirstlane_b32 s10, v2
	v_readfirstlane_b32 s11, v3
	s_nop 4
	global_load_dword v12, v12, s[10:11]
.LBB402_27:
	s_or_b64 exec, exec, s[8:9]
	v_or_b32_e32 v14, 0xa00, v0
	v_cmp_gt_u32_e32 vcc, s33, v14
                                        ; implicit-def: $vgpr13
	s_and_saveexec_b64 s[8:9], vcc
	s_cbranch_execz .LBB402_29
; %bb.28:
	v_lshlrev_b32_e32 v13, 2, v14
	v_readfirstlane_b32 s10, v2
	v_readfirstlane_b32 s11, v3
	s_nop 4
	global_load_dword v13, v13, s[10:11]
.LBB402_29:
	s_or_b64 exec, exec, s[8:9]
	v_or_b32_e32 v15, 0xb00, v0
	v_cmp_gt_u32_e32 vcc, s33, v15
                                        ; implicit-def: $vgpr14
	s_and_saveexec_b64 s[8:9], vcc
	s_cbranch_execz .LBB402_31
; %bb.30:
	v_lshlrev_b32_e32 v14, 2, v15
	v_readfirstlane_b32 s10, v2
	v_readfirstlane_b32 s11, v3
	s_nop 4
	global_load_dword v14, v14, s[10:11]
.LBB402_31:
	s_or_b64 exec, exec, s[8:9]
	v_or_b32_e32 v16, 0xc00, v0
	v_cmp_gt_u32_e32 vcc, s33, v16
                                        ; implicit-def: $vgpr15
	s_and_saveexec_b64 s[8:9], vcc
	s_cbranch_execz .LBB402_33
; %bb.32:
	v_lshlrev_b32_e32 v15, 2, v16
	v_readfirstlane_b32 s10, v2
	v_readfirstlane_b32 s11, v3
	s_nop 4
	global_load_dword v15, v15, s[10:11]
.LBB402_33:
	s_or_b64 exec, exec, s[8:9]
	v_or_b32_e32 v17, 0xd00, v0
	v_cmp_gt_u32_e32 vcc, s33, v17
                                        ; implicit-def: $vgpr16
	s_and_saveexec_b64 s[8:9], vcc
	s_cbranch_execz .LBB402_35
; %bb.34:
	v_lshlrev_b32_e32 v16, 2, v17
	v_readfirstlane_b32 s10, v2
	v_readfirstlane_b32 s11, v3
	s_nop 4
	global_load_dword v16, v16, s[10:11]
.LBB402_35:
	s_or_b64 exec, exec, s[8:9]
	v_or_b32_e32 v18, 0xe00, v0
	v_cmp_gt_u32_e32 vcc, s33, v18
                                        ; implicit-def: $vgpr17
	s_and_saveexec_b64 s[8:9], vcc
	s_cbranch_execz .LBB402_37
; %bb.36:
	v_lshlrev_b32_e32 v17, 2, v18
	v_readfirstlane_b32 s10, v2
	v_readfirstlane_b32 s11, v3
	s_nop 4
	global_load_dword v17, v17, s[10:11]
.LBB402_37:
	s_or_b64 exec, exec, s[8:9]
	v_lshlrev_b32_e32 v18, 2, v0
	s_waitcnt vmcnt(0) lgkmcnt(0)
	ds_write2st64_b32 v18, v1, v4 offset1:4
	ds_write2st64_b32 v18, v5, v6 offset0:8 offset1:12
	ds_write2st64_b32 v18, v7, v8 offset0:16 offset1:20
	;; [unrolled: 1-line block ×6, first 2 shown]
	ds_write_b32 v18, v17 offset:14336
	v_mad_u32_u24 v1, v0, 56, v18
	s_waitcnt lgkmcnt(0)
	s_barrier
	ds_read2_b32 v[20:21], v1 offset1:1
	ds_read2_b32 v[18:19], v1 offset0:2 offset1:3
	ds_read2_b32 v[16:17], v1 offset0:4 offset1:5
	;; [unrolled: 1-line block ×6, first 2 shown]
	ds_read_b32 v1, v1 offset:56
	v_mad_u32_u24 v4, v0, 15, 14
	v_cmp_gt_u32_e64 s[8:9], s33, v4
	s_waitcnt lgkmcnt(7)
	v_mov_b32_e32 v24, v20
	s_waitcnt lgkmcnt(6)
	v_mov_b32_e32 v25, v18
	;; [unrolled: 2-line block ×7, first 2 shown]
.LBB402_38:
	v_mov_b32_e32 v52, s12
                                        ; implicit-def: $vgpr53
	s_and_saveexec_b64 s[10:11], s[8:9]
; %bb.39:
	v_mov_b32_e32 v53, s12
; %bb.40:
	s_or_b64 exec, exec, s[10:11]
	s_cmp_eq_u64 s[4:5], 0
	s_cselect_b64 s[42:43], -1, 0
	s_cmp_lg_u64 s[4:5], 0
	s_mov_b64 s[54:55], 0
	s_cselect_b64 s[8:9], -1, 0
	s_and_b64 vcc, exec, s[6:7]
	s_waitcnt lgkmcnt(0)
	s_barrier
	s_cbranch_vccz .LBB402_46
; %bb.41:
	s_and_b64 vcc, exec, s[8:9]
	s_cbranch_vccz .LBB402_47
; %bb.42:
	global_load_dword v23, v[2:3], off offset:-4
	v_lshlrev_b32_e32 v26, 2, v0
	ds_write_b32 v26, v1
	s_waitcnt lgkmcnt(0)
	s_barrier
	s_and_saveexec_b64 s[6:7], s[2:3]
	s_cbranch_execz .LBB402_44
; %bb.43:
	s_waitcnt vmcnt(0)
	v_add_u32_e32 v23, -4, v26
	ds_read_b32 v23, v23
.LBB402_44:
	s_or_b64 exec, exec, s[6:7]
	v_cmp_neq_f32_e32 vcc, v24, v21
	v_cndmask_b32_e64 v67, 0, 1, vcc
	v_cmp_neq_f32_e32 vcc, v25, v21
	v_cndmask_b32_e64 v66, 0, 1, vcc
	;; [unrolled: 2-line block ×14, first 2 shown]
	s_waitcnt vmcnt(0) lgkmcnt(0)
	v_cmp_neq_f32_e64 s[6:7], v23, v20
	s_mov_b64 s[54:55], -1
.LBB402_45:
                                        ; implicit-def: $sgpr12
	s_branch .LBB402_59
.LBB402_46:
                                        ; implicit-def: $sgpr6_sgpr7
                                        ; implicit-def: $vgpr54
                                        ; implicit-def: $vgpr55
                                        ; implicit-def: $vgpr56
                                        ; implicit-def: $vgpr57
                                        ; implicit-def: $vgpr58
                                        ; implicit-def: $vgpr59
                                        ; implicit-def: $vgpr60
                                        ; implicit-def: $vgpr61
                                        ; implicit-def: $vgpr62
                                        ; implicit-def: $vgpr63
                                        ; implicit-def: $vgpr64
                                        ; implicit-def: $vgpr65
                                        ; implicit-def: $vgpr66
                                        ; implicit-def: $vgpr67
                                        ; implicit-def: $sgpr12
	s_cbranch_execnz .LBB402_51
	s_branch .LBB402_59
.LBB402_47:
                                        ; implicit-def: $sgpr6_sgpr7
                                        ; implicit-def: $vgpr54
                                        ; implicit-def: $vgpr55
                                        ; implicit-def: $vgpr56
                                        ; implicit-def: $vgpr57
                                        ; implicit-def: $vgpr58
                                        ; implicit-def: $vgpr59
                                        ; implicit-def: $vgpr60
                                        ; implicit-def: $vgpr61
                                        ; implicit-def: $vgpr62
                                        ; implicit-def: $vgpr63
                                        ; implicit-def: $vgpr64
                                        ; implicit-def: $vgpr65
                                        ; implicit-def: $vgpr66
                                        ; implicit-def: $vgpr67
	s_cbranch_execz .LBB402_45
; %bb.48:
	v_cmp_neq_f32_e32 vcc, v21, v24
	v_cndmask_b32_e64 v67, 0, 1, vcc
	v_cmp_neq_f32_e32 vcc, v21, v25
	v_cndmask_b32_e64 v66, 0, 1, vcc
	;; [unrolled: 2-line block ×13, first 2 shown]
	v_cmp_neq_f32_e32 vcc, v9, v1
	v_lshlrev_b32_e32 v23, 2, v0
	v_cndmask_b32_e64 v54, 0, 1, vcc
	ds_write_b32 v23, v1
	s_waitcnt lgkmcnt(0)
	s_barrier
	s_waitcnt lgkmcnt(0)
                                        ; implicit-def: $sgpr6_sgpr7
	s_and_saveexec_b64 s[10:11], s[2:3]
	s_xor_b64 s[10:11], exec, s[10:11]
	s_cbranch_execz .LBB402_50
; %bb.49:
	v_add_u32_e32 v4, -4, v23
	ds_read_b32 v4, v4
	s_or_b64 s[54:55], s[54:55], exec
	s_waitcnt lgkmcnt(0)
	v_cmp_neq_f32_e32 vcc, v4, v20
	s_and_b64 s[6:7], vcc, exec
.LBB402_50:
	s_or_b64 exec, exec, s[10:11]
	s_mov_b32 s12, 1
	s_branch .LBB402_59
.LBB402_51:
	s_mul_hi_u32 s6, s4, 0xfffff100
	s_mulk_i32 s5, 0xf100
	s_sub_i32 s6, s6, s4
	s_add_i32 s6, s6, s5
	s_mulk_i32 s4, 0xf100
	s_add_u32 s48, s4, s48
	s_addc_u32 s49, s6, s49
	s_and_b64 vcc, exec, s[8:9]
	v_cmp_neq_f32_e64 s[30:31], v9, v1
	v_cmp_neq_f32_e64 s[28:29], v8, v9
	;; [unrolled: 1-line block ×14, first 2 shown]
	v_mad_u32_u24 v4, v0, 15, 14
	v_mad_u32_u24 v44, v0, 15, 13
	;; [unrolled: 1-line block ×14, first 2 shown]
	s_cbranch_vccz .LBB402_56
; %bb.52:
	global_load_dword v46, v[2:3], off offset:-4
	v_mov_b32_e32 v5, 0
	v_cmp_gt_u64_e32 vcc, s[48:49], v[4:5]
	v_mov_b32_e32 v45, v5
	s_and_b64 s[30:31], vcc, s[30:31]
	v_cmp_gt_u64_e32 vcc, s[48:49], v[44:45]
	v_mov_b32_e32 v43, v5
	s_and_b64 s[28:29], vcc, s[28:29]
	;; [unrolled: 3-line block ×13, first 2 shown]
	v_cmp_gt_u64_e32 vcc, s[48:49], v[6:7]
	v_lshlrev_b32_e32 v3, 2, v0
	v_mul_u32_u24_e32 v2, 15, v0
	s_and_b64 s[4:5], vcc, s[4:5]
	ds_write_b32 v3, v1
	s_waitcnt lgkmcnt(0)
	s_barrier
	s_and_saveexec_b64 s[54:55], s[2:3]
	s_cbranch_execz .LBB402_54
; %bb.53:
	v_add_u32_e32 v3, -4, v3
	s_waitcnt vmcnt(0)
	ds_read_b32 v46, v3
.LBB402_54:
	s_or_b64 exec, exec, s[54:55]
	v_mov_b32_e32 v3, v5
	v_cndmask_b32_e64 v67, 0, 1, s[4:5]
	v_cmp_gt_u64_e32 vcc, s[48:49], v[2:3]
	s_waitcnt vmcnt(0) lgkmcnt(0)
	v_cmp_neq_f32_e64 s[4:5], v46, v20
	v_cndmask_b32_e64 v54, 0, 1, s[30:31]
	v_cndmask_b32_e64 v55, 0, 1, s[28:29]
	;; [unrolled: 1-line block ×13, first 2 shown]
	s_and_b64 s[6:7], vcc, s[4:5]
	s_mov_b64 s[54:55], -1
.LBB402_55:
                                        ; implicit-def: $sgpr12
	v_mov_b32_e32 v68, s12
	s_and_saveexec_b64 s[2:3], s[54:55]
	s_cbranch_execnz .LBB402_60
	s_branch .LBB402_61
.LBB402_56:
                                        ; implicit-def: $sgpr6_sgpr7
                                        ; implicit-def: $vgpr54
                                        ; implicit-def: $vgpr55
                                        ; implicit-def: $vgpr56
                                        ; implicit-def: $vgpr57
                                        ; implicit-def: $vgpr58
                                        ; implicit-def: $vgpr59
                                        ; implicit-def: $vgpr60
                                        ; implicit-def: $vgpr61
                                        ; implicit-def: $vgpr62
                                        ; implicit-def: $vgpr63
                                        ; implicit-def: $vgpr64
                                        ; implicit-def: $vgpr65
                                        ; implicit-def: $vgpr66
                                        ; implicit-def: $vgpr67
	s_cbranch_execz .LBB402_55
; %bb.57:
	v_mov_b32_e32 v5, 0
	v_cmp_gt_u64_e32 vcc, s[48:49], v[4:5]
	v_cmp_neq_f32_e64 s[4:5], v9, v1
	s_and_b64 s[4:5], vcc, s[4:5]
	v_mov_b32_e32 v45, v5
	v_cndmask_b32_e64 v54, 0, 1, s[4:5]
	v_cmp_gt_u64_e32 vcc, s[48:49], v[44:45]
	v_cmp_neq_f32_e64 s[4:5], v8, v9
	s_and_b64 s[4:5], vcc, s[4:5]
	v_mov_b32_e32 v43, v5
	v_cndmask_b32_e64 v55, 0, 1, s[4:5]
	;; [unrolled: 5-line block ×13, first 2 shown]
	v_cmp_gt_u64_e32 vcc, s[48:49], v[6:7]
	v_cmp_neq_f32_e64 s[4:5], v20, v21
	s_and_b64 s[4:5], vcc, s[4:5]
	v_lshlrev_b32_e32 v2, 2, v0
	s_mov_b32 s12, 1
	v_cndmask_b32_e64 v67, 0, 1, s[4:5]
	ds_write_b32 v2, v1
	s_waitcnt lgkmcnt(0)
	s_barrier
	s_waitcnt lgkmcnt(0)
                                        ; implicit-def: $sgpr6_sgpr7
	s_and_saveexec_b64 s[4:5], s[2:3]
	s_cbranch_execz .LBB402_152
; %bb.58:
	v_add_u32_e32 v2, -4, v2
	ds_read_b32 v2, v2
	v_mul_u32_u24_e32 v4, 15, v0
	v_cmp_gt_u64_e32 vcc, s[48:49], v[4:5]
	s_or_b64 s[54:55], s[54:55], exec
	s_waitcnt lgkmcnt(0)
	v_cmp_neq_f32_e64 s[2:3], v2, v20
	s_and_b64 s[2:3], vcc, s[2:3]
	s_and_b64 s[6:7], s[2:3], exec
	s_or_b64 exec, exec, s[4:5]
.LBB402_59:
	v_mov_b32_e32 v68, s12
	s_and_saveexec_b64 s[2:3], s[54:55]
.LBB402_60:
	v_cndmask_b32_e64 v68, 0, 1, s[6:7]
.LBB402_61:
	s_or_b64 exec, exec, s[2:3]
	s_cmp_eq_u64 s[38:39], 0
	v_add3_u32 v2, v67, v68, v66
	s_cselect_b64 s[38:39], -1, 0
	s_cmp_lg_u32 s56, 0
	v_cmp_eq_u32_e64 s[26:27], 0, v67
	v_cmp_eq_u32_e64 s[24:25], 0, v66
	;; [unrolled: 1-line block ×3, first 2 shown]
	v_add3_u32 v72, v2, v65, v64
	v_cmp_eq_u32_e64 s[20:21], 0, v64
	v_cmp_eq_u32_e64 s[18:19], 0, v63
	;; [unrolled: 1-line block ×10, first 2 shown]
	v_cmp_eq_u32_e32 vcc, 0, v54
	v_mbcnt_lo_u32_b32 v71, -1, 0
	v_lshrrev_b32_e32 v69, 6, v0
	v_or_b32_e32 v70, 63, v0
	s_cbranch_scc0 .LBB402_88
; %bb.62:
	v_cndmask_b32_e64 v2, 0, v52, s[26:27]
	v_add_u32_e32 v2, v2, v52
	v_cndmask_b32_e64 v2, 0, v2, s[24:25]
	v_add_u32_e32 v2, v2, v52
	;; [unrolled: 2-line block ×11, first 2 shown]
	v_cndmask_b32_e64 v2, 0, v2, s[4:5]
	v_add3_u32 v3, v72, v63, v62
	v_add_u32_e32 v2, v2, v52
	v_add3_u32 v3, v3, v61, v60
	v_cndmask_b32_e64 v2, 0, v2, s[2:3]
	v_add3_u32 v3, v3, v59, v58
	v_add_u32_e32 v2, v2, v52
	v_add3_u32 v3, v3, v57, v56
	v_cndmask_b32_e32 v2, 0, v2, vcc
	v_add3_u32 v3, v3, v55, v54
	v_add_u32_e32 v2, v2, v53
	v_mbcnt_hi_u32_b32 v25, -1, v71
	v_and_b32_e32 v4, 15, v25
	v_mov_b32_dpp v6, v2 row_shr:1 row_mask:0xf bank_mask:0xf
	v_cmp_eq_u32_e32 vcc, 0, v3
	v_mov_b32_dpp v5, v3 row_shr:1 row_mask:0xf bank_mask:0xf
	v_cndmask_b32_e32 v6, 0, v6, vcc
	v_cmp_eq_u32_e32 vcc, 0, v4
	v_cndmask_b32_e64 v5, v5, 0, vcc
	v_add_u32_e32 v3, v5, v3
	v_cndmask_b32_e64 v5, v6, 0, vcc
	v_add_u32_e32 v2, v5, v2
	v_cmp_eq_u32_e32 vcc, 0, v3
	v_mov_b32_dpp v5, v3 row_shr:2 row_mask:0xf bank_mask:0xf
	v_cmp_lt_u32_e64 s[28:29], 1, v4
	v_mov_b32_dpp v6, v2 row_shr:2 row_mask:0xf bank_mask:0xf
	v_cndmask_b32_e64 v5, 0, v5, s[28:29]
	s_and_b64 vcc, s[28:29], vcc
	v_cndmask_b32_e32 v6, 0, v6, vcc
	v_add_u32_e32 v3, v3, v5
	v_add_u32_e32 v2, v6, v2
	v_cmp_eq_u32_e32 vcc, 0, v3
	v_mov_b32_dpp v5, v3 row_shr:4 row_mask:0xf bank_mask:0xf
	v_cmp_lt_u32_e64 s[28:29], 3, v4
	v_mov_b32_dpp v6, v2 row_shr:4 row_mask:0xf bank_mask:0xf
	v_cndmask_b32_e64 v5, 0, v5, s[28:29]
	s_and_b64 vcc, s[28:29], vcc
	v_cndmask_b32_e32 v6, 0, v6, vcc
	v_add_u32_e32 v3, v5, v3
	v_add_u32_e32 v2, v2, v6
	v_cmp_eq_u32_e32 vcc, 0, v3
	v_cmp_lt_u32_e64 s[28:29], 7, v4
	v_mov_b32_dpp v5, v3 row_shr:8 row_mask:0xf bank_mask:0xf
	v_mov_b32_dpp v6, v2 row_shr:8 row_mask:0xf bank_mask:0xf
	s_and_b64 vcc, s[28:29], vcc
	v_cndmask_b32_e64 v4, 0, v5, s[28:29]
	v_cndmask_b32_e32 v5, 0, v6, vcc
	v_add_u32_e32 v2, v5, v2
	v_add_u32_e32 v3, v4, v3
	v_bfe_i32 v6, v25, 4, 1
	v_mov_b32_dpp v5, v2 row_bcast:15 row_mask:0xf bank_mask:0xf
	v_mov_b32_dpp v4, v3 row_bcast:15 row_mask:0xf bank_mask:0xf
	v_cmp_eq_u32_e32 vcc, 0, v3
	v_cndmask_b32_e32 v5, 0, v5, vcc
	v_and_b32_e32 v4, v6, v4
	v_add_u32_e32 v3, v4, v3
	v_and_b32_e32 v4, v6, v5
	v_add_u32_e32 v4, v4, v2
	v_mov_b32_dpp v2, v3 row_bcast:31 row_mask:0xf bank_mask:0xf
	v_cmp_eq_u32_e32 vcc, 0, v3
	v_cmp_lt_u32_e64 s[28:29], 31, v25
	v_mov_b32_dpp v5, v4 row_bcast:31 row_mask:0xf bank_mask:0xf
	v_cndmask_b32_e64 v2, 0, v2, s[28:29]
	s_and_b64 vcc, s[28:29], vcc
	v_add_u32_e32 v2, v2, v3
	v_cndmask_b32_e32 v3, 0, v5, vcc
	v_add_u32_e32 v3, v3, v4
	v_cmp_eq_u32_e32 vcc, v70, v0
	v_lshlrev_b32_e32 v4, 3, v69
	s_and_saveexec_b64 s[28:29], vcc
	s_cbranch_execz .LBB402_64
; %bb.63:
	ds_write_b64 v4, v[2:3] offset:2064
.LBB402_64:
	s_or_b64 exec, exec, s[28:29]
	v_cmp_gt_u32_e32 vcc, 4, v0
	s_waitcnt lgkmcnt(0)
	s_barrier
	s_and_saveexec_b64 s[30:31], vcc
	s_cbranch_execz .LBB402_66
; %bb.65:
	v_lshlrev_b32_e32 v5, 3, v0
	ds_read_b64 v[6:7], v5 offset:2064
	v_and_b32_e32 v22, 3, v25
	v_cmp_lt_u32_e64 s[28:29], 1, v22
	s_waitcnt lgkmcnt(0)
	v_mov_b32_dpp v24, v7 row_shr:1 row_mask:0xf bank_mask:0xf
	v_cmp_eq_u32_e32 vcc, 0, v6
	v_mov_b32_dpp v23, v6 row_shr:1 row_mask:0xf bank_mask:0xf
	v_cndmask_b32_e32 v24, 0, v24, vcc
	v_cmp_eq_u32_e32 vcc, 0, v22
	v_cndmask_b32_e64 v23, v23, 0, vcc
	v_add_u32_e32 v6, v23, v6
	v_cndmask_b32_e64 v23, v24, 0, vcc
	v_add_u32_e32 v7, v23, v7
	v_cmp_eq_u32_e32 vcc, 0, v6
	v_mov_b32_dpp v23, v6 row_shr:2 row_mask:0xf bank_mask:0xf
	v_mov_b32_dpp v24, v7 row_shr:2 row_mask:0xf bank_mask:0xf
	v_cndmask_b32_e64 v22, 0, v23, s[28:29]
	s_and_b64 vcc, s[28:29], vcc
	v_add_u32_e32 v6, v22, v6
	v_cndmask_b32_e32 v22, 0, v24, vcc
	v_add_u32_e32 v7, v22, v7
	ds_write_b64 v5, v[6:7] offset:2064
.LBB402_66:
	s_or_b64 exec, exec, s[30:31]
	v_cmp_gt_u32_e32 vcc, 64, v0
	v_cmp_lt_u32_e64 s[28:29], 63, v0
	v_mov_b32_e32 v22, 0
	v_mov_b32_e32 v23, 0
	s_waitcnt lgkmcnt(0)
	s_barrier
	s_and_saveexec_b64 s[30:31], s[28:29]
	s_cbranch_execz .LBB402_68
; %bb.67:
	ds_read_b64 v[22:23], v4 offset:2056
	v_cmp_eq_u32_e64 s[28:29], 0, v2
	s_waitcnt lgkmcnt(0)
	v_add_u32_e32 v4, v22, v2
	v_cndmask_b32_e64 v2, 0, v23, s[28:29]
	v_add_u32_e32 v3, v2, v3
	v_mov_b32_e32 v2, v4
.LBB402_68:
	s_or_b64 exec, exec, s[30:31]
	v_add_u32_e32 v4, -1, v25
	v_and_b32_e32 v5, 64, v25
	v_cmp_lt_i32_e64 s[28:29], v4, v5
	v_cndmask_b32_e64 v4, v4, v25, s[28:29]
	v_lshlrev_b32_e32 v4, 2, v4
	ds_bpermute_b32 v30, v4, v2
	ds_bpermute_b32 v31, v4, v3
	v_cmp_eq_u32_e64 s[28:29], 0, v25
	s_and_saveexec_b64 s[48:49], vcc
	s_cbranch_execz .LBB402_87
; %bb.69:
	v_mov_b32_e32 v7, 0
	ds_read_b64 v[2:3], v7 offset:2088
	s_waitcnt lgkmcnt(0)
	v_readfirstlane_b32 s57, v2
	v_readfirstlane_b32 s58, v3
	s_and_saveexec_b64 s[30:31], s[28:29]
	s_cbranch_execz .LBB402_71
; %bb.70:
	s_add_i32 s54, s56, 64
	s_mov_b32 s55, 0
	s_lshl_b64 s[60:61], s[54:55], 4
	s_add_u32 s60, s36, s60
	s_addc_u32 s61, s37, s61
	s_and_b32 s63, s58, 0xff000000
	s_mov_b32 s62, s55
	s_and_b32 s65, s58, 0xff0000
	s_mov_b32 s64, s55
	s_or_b64 s[62:63], s[64:65], s[62:63]
	s_and_b32 s65, s58, 0xff00
	s_or_b64 s[62:63], s[62:63], s[64:65]
	s_and_b32 s65, s58, 0xff
	s_or_b64 s[54:55], s[62:63], s[64:65]
	v_mov_b32_e32 v4, s57
	v_mov_b32_e32 v5, s55
	;; [unrolled: 1-line block ×3, first 2 shown]
	v_pk_mov_b32 v[2:3], s[60:61], s[60:61] op_sel:[0,1]
	;;#ASMSTART
	global_store_dwordx4 v[2:3], v[4:7] off	
s_waitcnt vmcnt(0)
	;;#ASMEND
.LBB402_71:
	s_or_b64 exec, exec, s[30:31]
	v_xad_u32 v24, v25, -1, s56
	v_add_u32_e32 v6, 64, v24
	v_lshlrev_b64 v[2:3], 4, v[6:7]
	v_mov_b32_e32 v4, s37
	v_add_co_u32_e32 v26, vcc, s36, v2
	v_addc_co_u32_e32 v27, vcc, v4, v3, vcc
	;;#ASMSTART
	global_load_dwordx4 v[2:5], v[26:27] off glc	
s_waitcnt vmcnt(0)
	;;#ASMEND
	v_and_b32_e32 v5, 0xff, v3
	v_and_b32_e32 v6, 0xff00, v3
	v_or3_b32 v5, 0, v5, v6
	v_or3_b32 v2, v2, 0, 0
	v_and_b32_e32 v6, 0xff000000, v3
	v_and_b32_e32 v3, 0xff0000, v3
	v_or3_b32 v3, v5, v3, v6
	v_or3_b32 v2, v2, 0, 0
	v_cmp_eq_u16_sdwa s[54:55], v4, v7 src0_sel:BYTE_0 src1_sel:DWORD
	s_and_saveexec_b64 s[30:31], s[54:55]
	s_cbranch_execz .LBB402_75
; %bb.72:
	s_mov_b64 s[54:55], 0
	v_mov_b32_e32 v6, 0
.LBB402_73:                             ; =>This Inner Loop Header: Depth=1
	;;#ASMSTART
	global_load_dwordx4 v[2:5], v[26:27] off glc	
s_waitcnt vmcnt(0)
	;;#ASMEND
	v_cmp_ne_u16_sdwa s[60:61], v4, v6 src0_sel:BYTE_0 src1_sel:DWORD
	s_or_b64 s[54:55], s[60:61], s[54:55]
	s_andn2_b64 exec, exec, s[54:55]
	s_cbranch_execnz .LBB402_73
; %bb.74:
	s_or_b64 exec, exec, s[54:55]
.LBB402_75:
	s_or_b64 exec, exec, s[30:31]
	v_mov_b32_e32 v32, 2
	v_cmp_eq_u16_sdwa s[30:31], v4, v32 src0_sel:BYTE_0 src1_sel:DWORD
	v_lshlrev_b64 v[26:27], v25, -1
	v_and_b32_e32 v5, s31, v27
	v_and_b32_e32 v33, 63, v25
	v_or_b32_e32 v5, 0x80000000, v5
	v_cmp_ne_u32_e32 vcc, 63, v33
	v_and_b32_e32 v6, s30, v26
	v_ffbl_b32_e32 v5, v5
	v_addc_co_u32_e32 v7, vcc, 0, v25, vcc
	v_add_u32_e32 v5, 32, v5
	v_ffbl_b32_e32 v6, v6
	v_lshlrev_b32_e32 v34, 2, v7
	v_min_u32_e32 v5, v6, v5
	ds_bpermute_b32 v6, v34, v3
	v_cmp_eq_u32_e32 vcc, 0, v2
	v_cmp_lt_u32_e64 s[30:31], v33, v5
	ds_bpermute_b32 v7, v34, v2
	s_and_b64 vcc, s[30:31], vcc
	s_waitcnt lgkmcnt(1)
	v_cndmask_b32_e32 v6, 0, v6, vcc
	v_cmp_gt_u32_e32 vcc, 62, v33
	v_add_u32_e32 v3, v6, v3
	v_cndmask_b32_e64 v6, 0, 1, vcc
	v_lshlrev_b32_e32 v6, 1, v6
	v_add_lshl_u32 v35, v6, v25, 2
	s_waitcnt lgkmcnt(0)
	v_cndmask_b32_e64 v7, 0, v7, s[30:31]
	ds_bpermute_b32 v6, v35, v3
	v_add_u32_e32 v2, v7, v2
	ds_bpermute_b32 v7, v35, v2
	v_add_u32_e32 v36, 2, v33
	v_cmp_eq_u32_e32 vcc, 0, v2
	s_waitcnt lgkmcnt(1)
	v_cndmask_b32_e32 v6, 0, v6, vcc
	v_cmp_gt_u32_e32 vcc, v36, v5
	v_cndmask_b32_e64 v6, v6, 0, vcc
	v_add_u32_e32 v3, v6, v3
	s_waitcnt lgkmcnt(0)
	v_cndmask_b32_e64 v6, v7, 0, vcc
	v_cmp_gt_u32_e32 vcc, 60, v33
	v_cndmask_b32_e64 v7, 0, 1, vcc
	v_lshlrev_b32_e32 v7, 2, v7
	v_add_lshl_u32 v37, v7, v25, 2
	ds_bpermute_b32 v7, v37, v3
	v_add_u32_e32 v2, v2, v6
	ds_bpermute_b32 v6, v37, v2
	v_add_u32_e32 v38, 4, v33
	v_cmp_eq_u32_e32 vcc, 0, v2
	s_waitcnt lgkmcnt(1)
	v_cndmask_b32_e32 v7, 0, v7, vcc
	v_cmp_gt_u32_e32 vcc, v38, v5
	v_cndmask_b32_e64 v7, v7, 0, vcc
	s_waitcnt lgkmcnt(0)
	v_cndmask_b32_e64 v6, v6, 0, vcc
	v_cmp_gt_u32_e32 vcc, 56, v33
	v_add_u32_e32 v3, v3, v7
	v_cndmask_b32_e64 v7, 0, 1, vcc
	v_lshlrev_b32_e32 v7, 3, v7
	v_add_lshl_u32 v39, v7, v25, 2
	ds_bpermute_b32 v7, v39, v3
	v_add_u32_e32 v2, v2, v6
	ds_bpermute_b32 v6, v39, v2
	v_add_u32_e32 v40, 8, v33
	v_cmp_eq_u32_e32 vcc, 0, v2
	s_waitcnt lgkmcnt(1)
	v_cndmask_b32_e32 v7, 0, v7, vcc
	v_cmp_gt_u32_e32 vcc, v40, v5
	v_cndmask_b32_e64 v7, v7, 0, vcc
	s_waitcnt lgkmcnt(0)
	v_cndmask_b32_e64 v6, v6, 0, vcc
	v_cmp_gt_u32_e32 vcc, 48, v33
	v_add_u32_e32 v3, v3, v7
	;; [unrolled: 16-line block ×3, first 2 shown]
	v_cndmask_b32_e64 v7, 0, 1, vcc
	v_lshlrev_b32_e32 v7, 5, v7
	v_add_lshl_u32 v43, v7, v25, 2
	ds_bpermute_b32 v7, v43, v3
	v_add_u32_e32 v2, v2, v6
	ds_bpermute_b32 v6, v43, v2
	v_add_u32_e32 v44, 32, v33
	v_cmp_eq_u32_e32 vcc, 0, v2
	s_waitcnt lgkmcnt(1)
	v_cndmask_b32_e32 v7, 0, v7, vcc
	v_cmp_gt_u32_e32 vcc, v44, v5
	v_cndmask_b32_e64 v5, v7, 0, vcc
	v_add_u32_e32 v3, v5, v3
	s_waitcnt lgkmcnt(0)
	v_cndmask_b32_e64 v5, v6, 0, vcc
	v_add_u32_e32 v2, v5, v2
	v_mov_b32_e32 v25, 0
	s_branch .LBB402_77
.LBB402_76:                             ;   in Loop: Header=BB402_77 Depth=1
	s_or_b64 exec, exec, s[30:31]
	v_cmp_eq_u16_sdwa s[30:31], v4, v32 src0_sel:BYTE_0 src1_sel:DWORD
	v_and_b32_e32 v5, s31, v27
	v_or_b32_e32 v5, 0x80000000, v5
	v_and_b32_e32 v28, s30, v26
	v_ffbl_b32_e32 v5, v5
	v_add_u32_e32 v5, 32, v5
	v_ffbl_b32_e32 v28, v28
	v_min_u32_e32 v5, v28, v5
	ds_bpermute_b32 v28, v34, v3
	v_cmp_eq_u32_e32 vcc, 0, v2
	v_cmp_lt_u32_e64 s[30:31], v33, v5
	ds_bpermute_b32 v29, v34, v2
	s_and_b64 vcc, s[30:31], vcc
	s_waitcnt lgkmcnt(1)
	v_cndmask_b32_e32 v28, 0, v28, vcc
	v_add_u32_e32 v3, v28, v3
	ds_bpermute_b32 v28, v35, v3
	s_waitcnt lgkmcnt(1)
	v_cndmask_b32_e64 v29, 0, v29, s[30:31]
	v_add_u32_e32 v2, v29, v2
	v_cmp_eq_u32_e32 vcc, 0, v2
	ds_bpermute_b32 v29, v35, v2
	s_waitcnt lgkmcnt(1)
	v_cndmask_b32_e32 v28, 0, v28, vcc
	v_cmp_gt_u32_e32 vcc, v36, v5
	v_cndmask_b32_e64 v28, v28, 0, vcc
	v_add_u32_e32 v3, v28, v3
	ds_bpermute_b32 v28, v37, v3
	s_waitcnt lgkmcnt(1)
	v_cndmask_b32_e64 v29, v29, 0, vcc
	v_add_u32_e32 v2, v2, v29
	v_cmp_eq_u32_e32 vcc, 0, v2
	ds_bpermute_b32 v29, v37, v2
	s_waitcnt lgkmcnt(1)
	v_cndmask_b32_e32 v28, 0, v28, vcc
	v_cmp_gt_u32_e32 vcc, v38, v5
	v_cndmask_b32_e64 v28, v28, 0, vcc
	v_add_u32_e32 v3, v3, v28
	ds_bpermute_b32 v28, v39, v3
	s_waitcnt lgkmcnt(1)
	v_cndmask_b32_e64 v29, v29, 0, vcc
	v_add_u32_e32 v2, v2, v29
	ds_bpermute_b32 v29, v39, v2
	v_cmp_eq_u32_e32 vcc, 0, v2
	s_waitcnt lgkmcnt(1)
	v_cndmask_b32_e32 v28, 0, v28, vcc
	v_cmp_gt_u32_e32 vcc, v40, v5
	v_cndmask_b32_e64 v28, v28, 0, vcc
	v_add_u32_e32 v3, v3, v28
	ds_bpermute_b32 v28, v41, v3
	s_waitcnt lgkmcnt(1)
	v_cndmask_b32_e64 v29, v29, 0, vcc
	v_add_u32_e32 v2, v2, v29
	ds_bpermute_b32 v29, v41, v2
	v_cmp_eq_u32_e32 vcc, 0, v2
	;; [unrolled: 11-line block ×3, first 2 shown]
	s_waitcnt lgkmcnt(1)
	v_cndmask_b32_e32 v28, 0, v28, vcc
	v_cmp_gt_u32_e32 vcc, v44, v5
	v_cndmask_b32_e64 v5, v28, 0, vcc
	v_add_u32_e32 v3, v5, v3
	s_waitcnt lgkmcnt(0)
	v_cndmask_b32_e64 v5, v29, 0, vcc
	v_cmp_eq_u32_e32 vcc, 0, v6
	v_cndmask_b32_e32 v3, 0, v3, vcc
	v_subrev_u32_e32 v24, 64, v24
	v_add3_u32 v2, v2, v6, v5
	v_add_u32_e32 v3, v3, v7
.LBB402_77:                             ; =>This Loop Header: Depth=1
                                        ;     Child Loop BB402_80 Depth 2
	v_cmp_ne_u16_sdwa s[30:31], v4, v32 src0_sel:BYTE_0 src1_sel:DWORD
	v_mov_b32_e32 v7, v3
	v_cndmask_b32_e64 v3, 0, 1, s[30:31]
	;;#ASMSTART
	;;#ASMEND
	v_cmp_ne_u32_e32 vcc, 0, v3
	s_cmp_lg_u64 vcc, exec
	v_mov_b32_e32 v6, v2
	s_cbranch_scc1 .LBB402_82
; %bb.78:                               ;   in Loop: Header=BB402_77 Depth=1
	v_lshlrev_b64 v[2:3], 4, v[24:25]
	v_mov_b32_e32 v4, s37
	v_add_co_u32_e32 v28, vcc, s36, v2
	v_addc_co_u32_e32 v29, vcc, v4, v3, vcc
	;;#ASMSTART
	global_load_dwordx4 v[2:5], v[28:29] off glc	
s_waitcnt vmcnt(0)
	;;#ASMEND
	v_and_b32_e32 v5, 0xff, v3
	v_and_b32_e32 v45, 0xff00, v3
	v_or3_b32 v5, 0, v5, v45
	v_or3_b32 v2, v2, 0, 0
	v_and_b32_e32 v45, 0xff000000, v3
	v_and_b32_e32 v3, 0xff0000, v3
	v_or3_b32 v3, v5, v3, v45
	v_or3_b32 v2, v2, 0, 0
	v_cmp_eq_u16_sdwa s[54:55], v4, v25 src0_sel:BYTE_0 src1_sel:DWORD
	s_and_saveexec_b64 s[30:31], s[54:55]
	s_cbranch_execz .LBB402_76
; %bb.79:                               ;   in Loop: Header=BB402_77 Depth=1
	s_mov_b64 s[54:55], 0
.LBB402_80:                             ;   Parent Loop BB402_77 Depth=1
                                        ; =>  This Inner Loop Header: Depth=2
	;;#ASMSTART
	global_load_dwordx4 v[2:5], v[28:29] off glc	
s_waitcnt vmcnt(0)
	;;#ASMEND
	v_cmp_ne_u16_sdwa s[60:61], v4, v25 src0_sel:BYTE_0 src1_sel:DWORD
	s_or_b64 s[54:55], s[60:61], s[54:55]
	s_andn2_b64 exec, exec, s[54:55]
	s_cbranch_execnz .LBB402_80
; %bb.81:                               ;   in Loop: Header=BB402_77 Depth=1
	s_or_b64 exec, exec, s[54:55]
	s_branch .LBB402_76
.LBB402_82:                             ;   in Loop: Header=BB402_77 Depth=1
                                        ; implicit-def: $vgpr3
                                        ; implicit-def: $vgpr2
                                        ; implicit-def: $vgpr4
	s_cbranch_execz .LBB402_77
; %bb.83:
	s_and_saveexec_b64 s[30:31], s[28:29]
	s_cbranch_execz .LBB402_85
; %bb.84:
	s_cmp_eq_u32 s57, 0
	s_cselect_b64 vcc, -1, 0
	s_mov_b32 s55, 0
	v_cndmask_b32_e32 v2, 0, v7, vcc
	s_add_i32 s54, s56, 64
	v_add_u32_e32 v2, s58, v2
	s_lshl_b64 s[54:55], s[54:55], 4
	s_add_u32 s54, s36, s54
	v_and_b32_e32 v3, 0xff000000, v2
	v_and_b32_e32 v4, 0xff0000, v2
	s_addc_u32 s55, s37, s55
	v_or_b32_e32 v3, v4, v3
	v_and_b32_e32 v4, 0xff00, v2
	v_and_b32_e32 v2, 0xff, v2
	v_add_u32_e32 v24, s57, v6
	v_mov_b32_e32 v27, 0
	v_or3_b32 v25, v3, v4, v2
	v_mov_b32_e32 v26, 2
	v_pk_mov_b32 v[2:3], s[54:55], s[54:55] op_sel:[0,1]
	;;#ASMSTART
	global_store_dwordx4 v[2:3], v[24:27] off	
s_waitcnt vmcnt(0)
	;;#ASMEND
	v_mov_b32_e32 v4, s57
	v_mov_b32_e32 v5, s58
	ds_write_b128 v27, v[4:7] offset:2048
.LBB402_85:
	s_or_b64 exec, exec, s[30:31]
	s_and_b64 exec, exec, s[0:1]
	s_cbranch_execz .LBB402_87
; %bb.86:
	v_mov_b32_e32 v2, 0
	ds_write_b64 v2, v[6:7] offset:2088
.LBB402_87:
	s_or_b64 exec, exec, s[48:49]
	v_mov_b32_e32 v4, 0
	s_waitcnt lgkmcnt(0)
	s_barrier
	ds_read_b64 v[2:3], v4 offset:2088
	v_cndmask_b32_e64 v6, v30, v22, s[28:29]
	v_cmp_eq_u32_e32 vcc, 0, v6
	v_cndmask_b32_e64 v5, v31, v23, s[28:29]
	s_waitcnt lgkmcnt(0)
	v_cndmask_b32_e32 v7, 0, v3, vcc
	v_add_u32_e32 v5, v7, v5
	v_cndmask_b32_e64 v51, v5, v3, s[0:1]
	v_cndmask_b32_e64 v3, v6, 0, s[0:1]
	v_cmp_eq_u32_e32 vcc, 0, v68
	v_add_u32_e32 v50, v2, v3
	v_cndmask_b32_e32 v2, 0, v51, vcc
	v_add_u32_e32 v49, v2, v52
	v_cndmask_b32_e64 v2, 0, v49, s[26:27]
	v_add_u32_e32 v47, v2, v52
	v_cndmask_b32_e64 v2, 0, v47, s[24:25]
	;; [unrolled: 2-line block ×8, first 2 shown]
	v_add_u32_e32 v48, v50, v68
	v_add_u32_e32 v33, v2, v52
	v_add_u32_e32 v46, v48, v67
	v_cndmask_b32_e64 v2, 0, v33, s[10:11]
	v_add_u32_e32 v44, v46, v66
	v_add_u32_e32 v31, v2, v52
	v_add_u32_e32 v42, v44, v65
	v_cndmask_b32_e64 v2, 0, v31, s[8:9]
	;; [unrolled: 4-line block ×3, first 2 shown]
	v_add_u32_e32 v36, v38, v62
	v_add_u32_e32 v27, v2, v52
	s_barrier
	ds_read_b128 v[2:5], v4 offset:2048
	v_add_u32_e32 v34, v36, v61
	v_add_u32_e32 v32, v34, v60
	;; [unrolled: 1-line block ×4, first 2 shown]
	v_cndmask_b32_e64 v6, 0, v27, s[4:5]
	v_add_u32_e32 v26, v28, v57
	v_add_u32_e32 v23, v6, v52
	s_waitcnt lgkmcnt(0)
	v_cmp_eq_u32_e32 vcc, 0, v2
	v_add_u32_e32 v22, v26, v56
	v_cndmask_b32_e64 v6, 0, v23, s[2:3]
	v_cndmask_b32_e32 v5, 0, v5, vcc
	v_add_u32_e32 v24, v22, v55
	v_add_u32_e32 v25, v6, v52
	;; [unrolled: 1-line block ×3, first 2 shown]
	s_branch .LBB402_100
.LBB402_88:
                                        ; implicit-def: $vgpr2
                                        ; implicit-def: $vgpr6
                                        ; implicit-def: $vgpr24_vgpr25
                                        ; implicit-def: $vgpr22_vgpr23
                                        ; implicit-def: $vgpr26_vgpr27
                                        ; implicit-def: $vgpr28_vgpr29
                                        ; implicit-def: $vgpr50_vgpr51
                                        ; implicit-def: $vgpr48_vgpr49
                                        ; implicit-def: $vgpr46_vgpr47
                                        ; implicit-def: $vgpr44_vgpr45
                                        ; implicit-def: $vgpr42_vgpr43
                                        ; implicit-def: $vgpr40_vgpr41
                                        ; implicit-def: $vgpr38_vgpr39
                                        ; implicit-def: $vgpr36_vgpr37
                                        ; implicit-def: $vgpr34_vgpr35
                                        ; implicit-def: $vgpr32_vgpr33
                                        ; implicit-def: $vgpr30_vgpr31
	s_cbranch_execz .LBB402_100
; %bb.89:
	s_and_b64 s[2:3], s[38:39], exec
	s_cselect_b32 s3, 0, s35
	s_cselect_b32 s2, 0, s34
	s_cmp_eq_u64 s[2:3], 0
	v_mov_b32_e32 v6, v52
	s_cbranch_scc1 .LBB402_91
; %bb.90:
	v_mov_b32_e32 v2, 0
	global_load_dword v6, v2, s[2:3]
.LBB402_91:
	v_cmp_eq_u32_e64 s[2:3], 0, v67
	v_cndmask_b32_e64 v2, 0, v52, s[2:3]
	v_add_u32_e32 v2, v2, v52
	v_cmp_eq_u32_e64 s[4:5], 0, v66
	v_cndmask_b32_e64 v2, 0, v2, s[4:5]
	v_add_u32_e32 v2, v2, v52
	;; [unrolled: 3-line block ×11, first 2 shown]
	v_cmp_eq_u32_e64 s[24:25], 0, v56
	v_cndmask_b32_e64 v2, 0, v2, s[24:25]
	v_add3_u32 v3, v72, v63, v62
	v_add_u32_e32 v2, v2, v52
	v_cmp_eq_u32_e32 vcc, 0, v55
	v_add3_u32 v3, v3, v61, v60
	v_cndmask_b32_e32 v2, 0, v2, vcc
	v_add3_u32 v3, v3, v59, v58
	v_add_u32_e32 v2, v2, v52
	v_cmp_eq_u32_e64 s[26:27], 0, v54
	v_add3_u32 v3, v3, v57, v56
	v_cndmask_b32_e64 v2, 0, v2, s[26:27]
	v_add3_u32 v3, v3, v55, v54
	v_add_u32_e32 v2, v2, v53
	v_mbcnt_hi_u32_b32 v7, -1, v71
	v_and_b32_e32 v4, 15, v7
	v_mov_b32_dpp v22, v2 row_shr:1 row_mask:0xf bank_mask:0xf
	v_cmp_eq_u32_e64 s[26:27], 0, v3
	v_mov_b32_dpp v5, v3 row_shr:1 row_mask:0xf bank_mask:0xf
	v_cndmask_b32_e64 v22, 0, v22, s[26:27]
	v_cmp_eq_u32_e64 s[26:27], 0, v4
	v_cndmask_b32_e64 v5, v5, 0, s[26:27]
	v_add_u32_e32 v3, v5, v3
	v_cndmask_b32_e64 v5, v22, 0, s[26:27]
	v_add_u32_e32 v2, v5, v2
	v_cmp_eq_u32_e64 s[26:27], 0, v3
	v_mov_b32_dpp v5, v3 row_shr:2 row_mask:0xf bank_mask:0xf
	v_cmp_lt_u32_e64 s[28:29], 1, v4
	v_mov_b32_dpp v22, v2 row_shr:2 row_mask:0xf bank_mask:0xf
	v_cndmask_b32_e64 v5, 0, v5, s[28:29]
	s_and_b64 s[26:27], s[28:29], s[26:27]
	v_cndmask_b32_e64 v22, 0, v22, s[26:27]
	v_add_u32_e32 v3, v3, v5
	v_add_u32_e32 v2, v22, v2
	v_cmp_eq_u32_e64 s[26:27], 0, v3
	v_mov_b32_dpp v5, v3 row_shr:4 row_mask:0xf bank_mask:0xf
	v_cmp_lt_u32_e64 s[28:29], 3, v4
	v_mov_b32_dpp v22, v2 row_shr:4 row_mask:0xf bank_mask:0xf
	v_cndmask_b32_e64 v5, 0, v5, s[28:29]
	s_and_b64 s[26:27], s[28:29], s[26:27]
	v_cndmask_b32_e64 v22, 0, v22, s[26:27]
	v_add_u32_e32 v3, v5, v3
	v_add_u32_e32 v2, v2, v22
	v_cmp_eq_u32_e64 s[26:27], 0, v3
	v_cmp_lt_u32_e64 s[28:29], 7, v4
	v_mov_b32_dpp v5, v3 row_shr:8 row_mask:0xf bank_mask:0xf
	v_mov_b32_dpp v22, v2 row_shr:8 row_mask:0xf bank_mask:0xf
	s_and_b64 s[26:27], s[28:29], s[26:27]
	v_cndmask_b32_e64 v4, 0, v5, s[28:29]
	v_cndmask_b32_e64 v5, 0, v22, s[26:27]
	v_add_u32_e32 v2, v5, v2
	v_add_u32_e32 v3, v4, v3
	v_bfe_i32 v22, v7, 4, 1
	v_mov_b32_dpp v5, v2 row_bcast:15 row_mask:0xf bank_mask:0xf
	v_mov_b32_dpp v4, v3 row_bcast:15 row_mask:0xf bank_mask:0xf
	v_cmp_eq_u32_e64 s[26:27], 0, v3
	v_cndmask_b32_e64 v5, 0, v5, s[26:27]
	v_and_b32_e32 v4, v22, v4
	v_add_u32_e32 v3, v4, v3
	v_and_b32_e32 v4, v22, v5
	v_add_u32_e32 v4, v4, v2
	v_mov_b32_dpp v2, v3 row_bcast:31 row_mask:0xf bank_mask:0xf
	v_cmp_eq_u32_e64 s[26:27], 0, v3
	v_cmp_lt_u32_e64 s[28:29], 31, v7
	v_mov_b32_dpp v5, v4 row_bcast:31 row_mask:0xf bank_mask:0xf
	v_cndmask_b32_e64 v2, 0, v2, s[28:29]
	s_and_b64 s[26:27], s[28:29], s[26:27]
	v_add_u32_e32 v2, v2, v3
	v_cndmask_b32_e64 v3, 0, v5, s[26:27]
	v_add_u32_e32 v3, v3, v4
	v_cmp_eq_u32_e64 s[26:27], v70, v0
	v_lshlrev_b32_e32 v5, 3, v69
	s_and_saveexec_b64 s[28:29], s[26:27]
	s_cbranch_execz .LBB402_93
; %bb.92:
	ds_write_b64 v5, v[2:3] offset:2064
.LBB402_93:
	s_or_b64 exec, exec, s[28:29]
	v_cmp_gt_u32_e64 s[26:27], 4, v0
	s_waitcnt lgkmcnt(0)
	s_barrier
	s_and_saveexec_b64 s[30:31], s[26:27]
	s_cbranch_execz .LBB402_95
; %bb.94:
	v_lshlrev_b32_e32 v4, 3, v0
	ds_read_b64 v[22:23], v4 offset:2064
	v_and_b32_e32 v24, 3, v7
	v_cmp_lt_u32_e64 s[28:29], 1, v24
	s_waitcnt lgkmcnt(0)
	v_mov_b32_dpp v26, v23 row_shr:1 row_mask:0xf bank_mask:0xf
	v_cmp_eq_u32_e64 s[26:27], 0, v22
	v_mov_b32_dpp v25, v22 row_shr:1 row_mask:0xf bank_mask:0xf
	v_cndmask_b32_e64 v26, 0, v26, s[26:27]
	v_cmp_eq_u32_e64 s[26:27], 0, v24
	v_cndmask_b32_e64 v25, v25, 0, s[26:27]
	v_add_u32_e32 v22, v25, v22
	v_cndmask_b32_e64 v25, v26, 0, s[26:27]
	v_add_u32_e32 v23, v25, v23
	v_cmp_eq_u32_e64 s[26:27], 0, v22
	v_mov_b32_dpp v25, v22 row_shr:2 row_mask:0xf bank_mask:0xf
	v_mov_b32_dpp v26, v23 row_shr:2 row_mask:0xf bank_mask:0xf
	v_cndmask_b32_e64 v24, 0, v25, s[28:29]
	s_and_b64 s[26:27], s[28:29], s[26:27]
	v_add_u32_e32 v22, v24, v22
	v_cndmask_b32_e64 v24, 0, v26, s[26:27]
	v_add_u32_e32 v23, v24, v23
	ds_write_b64 v4, v[22:23] offset:2064
.LBB402_95:
	s_or_b64 exec, exec, s[30:31]
	v_cmp_lt_u32_e64 s[26:27], 63, v0
	v_mov_b32_e32 v23, 0
	v_mov_b32_e32 v4, 0
	s_waitcnt vmcnt(0)
	v_mov_b32_e32 v22, v6
	s_waitcnt lgkmcnt(0)
	s_barrier
	s_and_saveexec_b64 s[28:29], s[26:27]
	s_cbranch_execz .LBB402_97
; %bb.96:
	ds_read_b64 v[4:5], v5 offset:2056
	s_waitcnt lgkmcnt(0)
	v_cmp_eq_u32_e64 s[26:27], 0, v4
	v_cndmask_b32_e64 v22, 0, v6, s[26:27]
	v_add_u32_e32 v22, v22, v5
.LBB402_97:
	s_or_b64 exec, exec, s[28:29]
	v_cmp_eq_u32_e64 s[26:27], 0, v2
	v_add_u32_e32 v5, v4, v2
	v_cndmask_b32_e64 v2, 0, v22, s[26:27]
	v_add_u32_e32 v2, v2, v3
	v_add_u32_e32 v3, -1, v7
	v_and_b32_e32 v24, 64, v7
	v_cmp_lt_i32_e64 s[26:27], v3, v24
	v_cndmask_b32_e64 v3, v3, v7, s[26:27]
	v_lshlrev_b32_e32 v3, 2, v3
	ds_bpermute_b32 v2, v3, v2
	ds_bpermute_b32 v5, v3, v5
	v_cmp_eq_u32_e64 s[26:27], 0, v7
	s_waitcnt lgkmcnt(1)
	v_cndmask_b32_e64 v2, v2, v22, s[26:27]
	s_waitcnt lgkmcnt(0)
	v_cndmask_b32_e64 v3, v5, v4, s[26:27]
	v_cndmask_b32_e64 v51, v2, v6, s[0:1]
	v_cmp_eq_u32_e64 s[26:27], 0, v68
	v_cndmask_b32_e64 v2, 0, v51, s[26:27]
	v_add_u32_e32 v49, v2, v52
	v_cndmask_b32_e64 v2, 0, v49, s[2:3]
	v_add_u32_e32 v47, v2, v52
	;; [unrolled: 2-line block ×8, first 2 shown]
	v_cndmask_b32_e64 v50, v3, 0, s[0:1]
	v_cndmask_b32_e64 v2, 0, v35, s[16:17]
	v_add_u32_e32 v48, v50, v68
	v_add_u32_e32 v33, v2, v52
	v_add_u32_e32 v46, v48, v67
	v_cndmask_b32_e64 v2, 0, v33, s[18:19]
	v_add_u32_e32 v44, v46, v66
	v_add_u32_e32 v31, v2, v52
	v_add_u32_e32 v42, v44, v65
	;; [unrolled: 4-line block ×3, first 2 shown]
	v_cndmask_b32_e64 v2, 0, v29, s[22:23]
	v_add_u32_e32 v36, v38, v62
	v_add_u32_e32 v27, v2, v52
	ds_read_b64 v[2:3], v23 offset:2088
	v_add_u32_e32 v34, v36, v61
	v_add_u32_e32 v32, v34, v60
	;; [unrolled: 1-line block ×3, first 2 shown]
	v_cndmask_b32_e64 v4, 0, v27, s[24:25]
	v_add_u32_e32 v28, v30, v58
	v_add_u32_e32 v23, v4, v52
	;; [unrolled: 1-line block ×3, first 2 shown]
	v_cndmask_b32_e32 v4, 0, v23, vcc
	s_waitcnt lgkmcnt(0)
	v_cmp_eq_u32_e32 vcc, 0, v2
	v_add_u32_e32 v22, v26, v56
	v_add_u32_e32 v25, v4, v52
	v_cndmask_b32_e32 v4, 0, v6, vcc
	v_add_u32_e32 v24, v22, v55
	v_add_u32_e32 v6, v4, v3
	s_and_saveexec_b64 s[2:3], s[0:1]
	s_cbranch_execz .LBB402_99
; %bb.98:
	s_add_u32 s4, s36, 0x400
	v_and_b32_e32 v3, 0xff000000, v6
	v_and_b32_e32 v4, 0xff0000, v6
	s_addc_u32 s5, s37, 0
	v_or_b32_e32 v3, v4, v3
	v_and_b32_e32 v4, 0xff00, v6
	v_and_b32_e32 v7, 0xff, v6
	v_mov_b32_e32 v5, 0
	v_or3_b32 v3, v3, v4, v7
	v_mov_b32_e32 v4, 2
	v_pk_mov_b32 v[52:53], s[4:5], s[4:5] op_sel:[0,1]
	;;#ASMSTART
	global_store_dwordx4 v[52:53], v[2:5] off	
s_waitcnt vmcnt(0)
	;;#ASMEND
.LBB402_99:
	s_or_b64 exec, exec, s[2:3]
	v_mov_b32_e32 v4, 0
.LBB402_100:
	s_and_b64 s[2:3], s[38:39], exec
	s_cselect_b32 s3, 0, s51
	s_cselect_b32 s2, 0, s50
	s_cmp_eq_u64 s[2:3], 0
	v_pk_mov_b32 v[52:53], 0, 0
	s_barrier
	s_cbranch_scc1 .LBB402_102
; %bb.101:
	v_mov_b32_e32 v3, 0
	global_load_dwordx2 v[52:53], v3, s[2:3]
.LBB402_102:
	s_waitcnt vmcnt(0)
	v_lshlrev_b64 v[70:71], 2, v[52:53]
	v_mov_b32_e32 v3, s45
	v_add_co_u32_e32 v7, vcc, s44, v70
	v_mov_b32_e32 v5, 0
	v_addc_co_u32_e32 v69, vcc, v3, v71, vcc
	v_lshlrev_b64 v[70:71], 2, v[4:5]
	v_add_co_u32_e32 v3, vcc, v7, v70
	v_addc_co_u32_e32 v7, vcc, v69, v71, vcc
	v_cmp_eq_u32_e32 vcc, 0, v68
	v_cndmask_b32_e64 v69, 1, 2, vcc
	v_cmp_eq_u32_e32 vcc, 0, v67
	v_cndmask_b32_e64 v70, 1, 2, vcc
	v_cmp_eq_u32_e32 vcc, 0, v66
	v_and_b32_e32 v69, v70, v69
	v_cndmask_b32_e64 v70, 1, 2, vcc
	v_cmp_eq_u32_e32 vcc, 0, v65
	v_and_b32_e32 v69, v69, v70
	;; [unrolled: 3-line block ×13, first 2 shown]
	v_cndmask_b32_e64 v70, 1, 2, vcc
	s_movk_i32 s34, 0x100
	v_and_b32_e32 v69, v69, v70
	v_cmp_gt_u32_e32 vcc, s34, v2
	v_cmp_ne_u32_e64 s[30:31], 0, v68
	v_cmp_ne_u32_e64 s[28:29], 0, v67
	;; [unrolled: 1-line block ×15, first 2 shown]
	s_mov_b64 s[36:37], -1
	v_cmp_gt_i16_e64 s[34:35], 2, v69
	s_cbranch_vccz .LBB402_109
; %bb.103:
	s_and_saveexec_b64 s[36:37], s[34:35]
	s_cbranch_execz .LBB402_108
; %bb.104:
	v_cmp_ne_u16_e32 vcc, 1, v69
	s_mov_b64 s[38:39], 0
	s_and_saveexec_b64 s[34:35], vcc
	s_xor_b64 s[34:35], exec, s[34:35]
	s_cbranch_execnz .LBB402_153
; %bb.105:
	s_andn2_saveexec_b64 s[34:35], s[34:35]
	s_cbranch_execnz .LBB402_169
.LBB402_106:
	s_or_b64 exec, exec, s[34:35]
	s_and_b64 exec, exec, s[38:39]
	s_cbranch_execz .LBB402_108
.LBB402_107:
	v_sub_u32_e32 v70, v24, v4
	v_mov_b32_e32 v71, 0
	v_lshlrev_b64 v[70:71], 2, v[70:71]
	v_add_co_u32_e32 v70, vcc, v3, v70
	v_addc_co_u32_e32 v71, vcc, v7, v71, vcc
	global_store_dword v[70:71], v1, off
.LBB402_108:
	s_or_b64 exec, exec, s[36:37]
	s_mov_b64 s[36:37], 0
.LBB402_109:
	s_and_b64 vcc, exec, s[36:37]
	s_cbranch_vccz .LBB402_131
; %bb.110:
	v_cmp_gt_i16_e32 vcc, 2, v69
	s_and_saveexec_b64 s[34:35], vcc
	s_cbranch_execz .LBB402_115
; %bb.111:
	v_cmp_ne_u16_e32 vcc, 1, v69
	s_mov_b64 s[38:39], 0
	s_and_saveexec_b64 s[36:37], vcc
	s_xor_b64 s[36:37], exec, s[36:37]
	s_cbranch_execnz .LBB402_170
; %bb.112:
	s_andn2_saveexec_b64 s[2:3], s[36:37]
	s_cbranch_execnz .LBB402_186
.LBB402_113:
	s_or_b64 exec, exec, s[2:3]
	s_and_b64 exec, exec, s[38:39]
	s_cbranch_execz .LBB402_115
.LBB402_114:
	v_sub_u32_e32 v8, v24, v4
	v_lshlrev_b32_e32 v8, 2, v8
	ds_write_b32 v8, v1
.LBB402_115:
	s_or_b64 exec, exec, s[34:35]
	v_cmp_lt_u32_e32 vcc, v0, v2
	s_waitcnt lgkmcnt(0)
	s_barrier
	s_and_saveexec_b64 s[4:5], vcc
	s_cbranch_execz .LBB402_130
; %bb.116:
	v_xad_u32 v1, v0, -1, v2
	s_movk_i32 s2, 0x1700
	v_cmp_gt_u32_e64 s[6:7], s2, v1
	s_movk_i32 s2, 0x16ff
	v_cmp_lt_u32_e32 vcc, s2, v1
	v_mov_b32_e32 v8, v0
	s_and_saveexec_b64 s[8:9], vcc
	s_cbranch_execz .LBB402_127
; %bb.117:
	v_sub_u32_e32 v8, v0, v2
	v_or_b32_e32 v8, 0xff, v8
	v_cmp_ge_u32_e32 vcc, v8, v0
	s_mov_b64 s[2:3], -1
	v_mov_b32_e32 v8, v0
	s_and_saveexec_b64 s[10:11], vcc
	s_cbranch_execz .LBB402_126
; %bb.118:
	v_lshrrev_b32_e32 v12, 8, v1
	v_add_u32_e32 v8, -1, v12
	v_or_b32_e32 v1, 0x100, v0
	v_lshrrev_b32_e32 v9, 1, v8
	v_add_u32_e32 v13, 1, v9
	v_cmp_lt_u32_e32 vcc, 13, v8
	v_mov_b32_e32 v16, 0
	v_pk_mov_b32 v[8:9], v[0:1], v[0:1] op_sel:[0,1]
	s_and_saveexec_b64 s[12:13], vcc
	s_cbranch_execz .LBB402_122
; %bb.119:
	v_and_b32_e32 v14, -8, v13
	v_lshlrev_b32_e32 v15, 2, v0
	s_mov_b32 s16, 0
	s_mov_b64 s[14:15], 0
	v_mov_b32_e32 v11, 0
	v_pk_mov_b32 v[8:9], v[0:1], v[0:1] op_sel:[0,1]
.LBB402_120:                            ; =>This Inner Loop Header: Depth=1
	v_mov_b32_e32 v10, v8
	v_add_u32_e32 v14, -8, v14
	v_lshlrev_b64 v[94:95], 2, v[10:11]
	v_mov_b32_e32 v10, v9
	ds_read2st64_b32 v[18:19], v15 offset1:4
	s_add_i32 s16, s16, 16
	v_cmp_eq_u32_e32 vcc, 0, v14
	v_lshlrev_b64 v[98:99], 2, v[10:11]
	v_add_u32_e32 v10, 0x200, v8
	s_or_b64 s[14:15], vcc, s[14:15]
	v_add_co_u32_e32 v98, vcc, v3, v98
	v_add_u32_e32 v16, 0x200, v9
	ds_read2st64_b32 v[20:21], v15 offset0:8 offset1:12
	v_mov_b32_e32 v17, v11
	ds_read2st64_b32 v[72:73], v15 offset0:16 offset1:20
	v_add_co_u32_e64 v94, s[2:3], v3, v94
	v_addc_co_u32_e32 v99, vcc, v7, v99, vcc
	v_lshlrev_b64 v[100:101], 2, v[10:11]
	v_lshlrev_b64 v[96:97], 2, v[16:17]
	v_addc_co_u32_e64 v95, s[2:3], v7, v95, s[2:3]
	v_add_u32_e32 v10, 0x400, v8
	v_add_co_u32_e32 v100, vcc, v3, v100
	v_add_u32_e32 v70, 0x400, v9
	v_mov_b32_e32 v71, v11
	ds_read2st64_b32 v[76:77], v15 offset0:24 offset1:28
	v_add_co_u32_e64 v96, s[2:3], v3, v96
	v_addc_co_u32_e32 v101, vcc, v7, v101, vcc
	v_lshlrev_b64 v[102:103], 2, v[10:11]
	ds_read2st64_b32 v[80:81], v15 offset0:32 offset1:36
	ds_read2st64_b32 v[84:85], v15 offset0:40 offset1:44
	;; [unrolled: 1-line block ×4, first 2 shown]
	v_lshlrev_b64 v[70:71], 2, v[70:71]
	v_addc_co_u32_e64 v97, s[2:3], v7, v97, s[2:3]
	v_add_u32_e32 v10, 0x600, v8
	s_waitcnt lgkmcnt(7)
	global_store_dword v[94:95], v18, off
	global_store_dword v[98:99], v19, off
	s_waitcnt lgkmcnt(6)
	global_store_dword v[100:101], v20, off
	global_store_dword v[96:97], v21, off
	v_add_co_u32_e32 v18, vcc, v3, v102
	v_add_u32_e32 v74, 0x600, v9
	v_mov_b32_e32 v75, v11
	v_add_co_u32_e64 v70, s[2:3], v3, v70
	v_addc_co_u32_e32 v19, vcc, v7, v103, vcc
	v_lshlrev_b64 v[20:21], 2, v[10:11]
	v_lshlrev_b64 v[74:75], 2, v[74:75]
	v_addc_co_u32_e64 v71, s[2:3], v7, v71, s[2:3]
	v_add_u32_e32 v10, 0x800, v8
	s_waitcnt lgkmcnt(5)
	global_store_dword v[18:19], v72, off
	global_store_dword v[70:71], v73, off
	v_add_co_u32_e32 v18, vcc, v3, v20
	v_add_u32_e32 v78, 0x800, v9
	v_mov_b32_e32 v79, v11
	v_add_co_u32_e64 v74, s[2:3], v3, v74
	v_addc_co_u32_e32 v19, vcc, v7, v21, vcc
	v_lshlrev_b64 v[20:21], 2, v[10:11]
	v_lshlrev_b64 v[78:79], 2, v[78:79]
	v_addc_co_u32_e64 v75, s[2:3], v7, v75, s[2:3]
	v_add_u32_e32 v10, 0xa00, v8
	;; [unrolled: 12-line block ×4, first 2 shown]
	s_waitcnt lgkmcnt(2)
	global_store_dword v[18:19], v84, off
	global_store_dword v[82:83], v85, off
	v_add_co_u32_e32 v18, vcc, v3, v20
	v_add_u32_e32 v90, 0xe00, v9
	v_mov_b32_e32 v91, v11
	v_add_co_u32_e64 v86, s[2:3], v3, v86
	v_addc_co_u32_e32 v19, vcc, v7, v21, vcc
	v_lshlrev_b64 v[20:21], 2, v[10:11]
	v_lshlrev_b64 v[90:91], 2, v[90:91]
	v_addc_co_u32_e64 v87, s[2:3], v7, v87, s[2:3]
	s_waitcnt lgkmcnt(1)
	global_store_dword v[18:19], v88, off
	global_store_dword v[86:87], v89, off
	v_add_co_u32_e32 v18, vcc, v3, v20
	v_add_u32_e32 v15, 0x4000, v15
	v_add_u32_e32 v9, 0x1000, v9
	v_mov_b32_e32 v16, s16
	v_add_co_u32_e64 v90, s[2:3], v3, v90
	v_add_u32_e32 v8, 0x1000, v8
	v_addc_co_u32_e32 v19, vcc, v7, v21, vcc
	v_addc_co_u32_e64 v91, s[2:3], v7, v91, s[2:3]
	s_waitcnt lgkmcnt(0)
	global_store_dword v[18:19], v92, off
	global_store_dword v[90:91], v93, off
	s_andn2_b64 exec, exec, s[14:15]
	s_cbranch_execnz .LBB402_120
; %bb.121:
	s_or_b64 exec, exec, s[14:15]
.LBB402_122:
	s_or_b64 exec, exec, s[12:13]
	v_and_b32_e32 v1, 7, v13
	v_cmp_ne_u32_e32 vcc, 0, v1
	s_and_saveexec_b64 s[12:13], vcc
	s_cbranch_execz .LBB402_125
; %bb.123:
	v_lshlrev_b32_e32 v10, 2, v0
	v_lshl_or_b32 v13, v16, 10, v10
	s_mov_b64 s[14:15], 0
	v_mov_b32_e32 v11, 0
.LBB402_124:                            ; =>This Inner Loop Header: Depth=1
	ds_read2st64_b32 v[14:15], v13 offset1:4
	v_mov_b32_e32 v10, v8
	v_add_u32_e32 v1, -1, v1
	v_lshlrev_b64 v[16:17], 2, v[10:11]
	v_mov_b32_e32 v10, v9
	v_cmp_eq_u32_e32 vcc, 0, v1
	v_add_co_u32_e64 v16, s[2:3], v3, v16
	v_lshlrev_b64 v[18:19], 2, v[10:11]
	v_add_u32_e32 v8, 0x200, v8
	v_add_u32_e32 v13, 0x800, v13
	;; [unrolled: 1-line block ×3, first 2 shown]
	v_addc_co_u32_e64 v17, s[2:3], v7, v17, s[2:3]
	s_or_b64 s[14:15], vcc, s[14:15]
	v_add_co_u32_e32 v18, vcc, v3, v18
	v_addc_co_u32_e32 v19, vcc, v7, v19, vcc
	s_waitcnt lgkmcnt(0)
	global_store_dword v[16:17], v14, off
	global_store_dword v[18:19], v15, off
	s_andn2_b64 exec, exec, s[14:15]
	s_cbranch_execnz .LBB402_124
.LBB402_125:
	s_or_b64 exec, exec, s[12:13]
	v_add_u32_e32 v1, 1, v12
	v_and_b32_e32 v9, 0x1fffffe, v1
	v_cmp_ne_u32_e32 vcc, v1, v9
	v_lshl_or_b32 v8, v9, 8, v0
	s_orn2_b64 s[2:3], vcc, exec
.LBB402_126:
	s_or_b64 exec, exec, s[10:11]
	s_andn2_b64 s[6:7], s[6:7], exec
	s_and_b64 s[2:3], s[2:3], exec
	s_or_b64 s[6:7], s[6:7], s[2:3]
.LBB402_127:
	s_or_b64 exec, exec, s[8:9]
	s_and_b64 exec, exec, s[6:7]
	s_cbranch_execz .LBB402_130
; %bb.128:
	v_lshlrev_b32_e32 v1, 2, v8
	s_mov_b64 s[2:3], 0
	v_mov_b32_e32 v9, 0
.LBB402_129:                            ; =>This Inner Loop Header: Depth=1
	ds_read_b32 v12, v1
	v_lshlrev_b64 v[10:11], 2, v[8:9]
	v_add_co_u32_e32 v10, vcc, v3, v10
	v_add_u32_e32 v8, 0x100, v8
	v_addc_co_u32_e32 v11, vcc, v7, v11, vcc
	v_cmp_ge_u32_e32 vcc, v8, v2
	v_add_u32_e32 v1, 0x400, v1
	s_or_b64 s[2:3], vcc, s[2:3]
	s_waitcnt lgkmcnt(0)
	global_store_dword v[10:11], v12, off
	s_andn2_b64 exec, exec, s[2:3]
	s_cbranch_execnz .LBB402_129
.LBB402_130:
	s_or_b64 exec, exec, s[4:5]
.LBB402_131:
	s_cmpk_lg_i32 s33, 0xf00
	s_cselect_b64 s[2:3], -1, 0
	v_cndmask_b32_e64 v11, 0, 1, s[42:43]
	s_and_b64 s[2:3], s[2:3], s[40:41]
	v_sub_u32_e32 v1, v2, v11
	v_cndmask_b32_e64 v3, 0, 1, s[2:3]
	s_and_b64 s[0:1], s[0:1], s[42:43]
	v_add_u32_e32 v1, v1, v3
	v_cndmask_b32_e64 v3, v68, 0, s[0:1]
	s_mul_hi_u32 s0, s33, 0x88888889
	s_lshr_b32 s0, s0, 3
	v_mad_i32_i24 v7, v0, -15, s33
	v_cmp_eq_u32_e32 vcc, s0, v0
	v_cmp_ne_u32_e64 s[0:1], 0, v7
	v_cndmask_b32_e64 v8, 1, v3, s[0:1]
	v_cmp_ne_u32_e64 s[0:1], 1, v7
	v_cndmask_b32_e64 v9, 1, v67, s[0:1]
	;; [unrolled: 2-line block ×14, first 2 shown]
	v_cmp_ne_u32_e64 s[0:1], 14, v7
	s_and_b64 vcc, vcc, s[40:41]
	v_cndmask_b32_e64 v7, 1, v54, s[0:1]
	v_cndmask_b32_e32 v20, v57, v20, vcc
	v_cndmask_b32_e32 v19, v58, v19, vcc
	v_cndmask_b32_e32 v57, v67, v9, vcc
	v_cndmask_b32_e32 v58, v3, v8, vcc
	v_lshlrev_b64 v[8:9], 3, v[52:53]
	v_cndmask_b32_e32 v54, v54, v7, vcc
	v_cndmask_b32_e32 v55, v55, v68, vcc
	;; [unrolled: 1-line block ×11, first 2 shown]
	v_mov_b32_e32 v3, s47
	v_add_co_u32_e32 v7, vcc, s46, v8
	v_addc_co_u32_e32 v3, vcc, v3, v9, vcc
	v_lshlrev_b64 v[8:9], 3, v[4:5]
	v_add_co_u32_e32 v5, vcc, v7, v8
	v_addc_co_u32_e32 v10, vcc, v3, v9, vcc
	v_lshlrev_b32_e32 v3, 3, v11
	v_add_co_u32_e32 v3, vcc, v3, v5
	v_addc_co_u32_e32 v7, vcc, 0, v10, vcc
	v_add_co_u32_e32 v3, vcc, -8, v3
	v_addc_co_u32_e32 v7, vcc, -1, v7, vcc
	v_cmp_eq_u32_e32 vcc, 0, v58
	v_cndmask_b32_e64 v9, 1, 2, vcc
	v_cmp_eq_u32_e32 vcc, 0, v57
	v_add_u32_e32 v8, v4, v11
	v_cndmask_b32_e64 v11, 1, 2, vcc
	v_cmp_eq_u32_e32 vcc, 0, v56
	v_and_b32_e32 v9, v11, v9
	v_cndmask_b32_e64 v11, 1, 2, vcc
	v_cmp_eq_u32_e32 vcc, 0, v12
	v_and_b32_e32 v9, v9, v11
	;; [unrolled: 3-line block ×13, first 2 shown]
	v_cndmask_b32_e64 v11, 1, 2, vcc
	s_movk_i32 s30, 0x100
	v_and_b32_e32 v9, v9, v11
	v_cmp_gt_u32_e32 vcc, s30, v1
	v_cmp_ne_u32_e64 s[28:29], 0, v58
	v_cmp_ne_u32_e64 s[26:27], 0, v57
	;; [unrolled: 1-line block ×15, first 2 shown]
	s_mov_b64 s[34:35], -1
	v_cmp_gt_i16_e64 s[30:31], 2, v9
	s_barrier
	s_cbranch_vccz .LBB402_138
; %bb.132:
	s_and_saveexec_b64 s[34:35], s[30:31]
	s_cbranch_execz .LBB402_137
; %bb.133:
	v_cmp_ne_u16_e32 vcc, 1, v9
	s_mov_b64 s[36:37], 0
	s_and_saveexec_b64 s[30:31], vcc
	s_xor_b64 s[30:31], exec, s[30:31]
	s_cbranch_execnz .LBB402_187
; %bb.134:
	s_andn2_saveexec_b64 s[30:31], s[30:31]
	s_cbranch_execnz .LBB402_203
.LBB402_135:
	s_or_b64 exec, exec, s[30:31]
	s_and_b64 exec, exec, s[36:37]
	s_cbranch_execz .LBB402_137
.LBB402_136:
	v_mov_b32_e32 v13, 0
	v_sub_u32_e32 v14, v24, v8
	v_mov_b32_e32 v15, v13
	v_lshlrev_b64 v[14:15], 3, v[14:15]
	v_add_co_u32_e32 v14, vcc, v3, v14
	v_mov_b32_e32 v12, v25
	v_addc_co_u32_e32 v15, vcc, v7, v15, vcc
	global_store_dwordx2 v[14:15], v[12:13], off
.LBB402_137:
	s_or_b64 exec, exec, s[34:35]
	s_mov_b64 s[34:35], 0
.LBB402_138:
	s_and_b64 vcc, exec, s[34:35]
	s_cbranch_vccz .LBB402_148
; %bb.139:
	v_cmp_gt_i16_e32 vcc, 2, v9
	s_and_saveexec_b64 s[30:31], vcc
	s_cbranch_execz .LBB402_144
; %bb.140:
	v_cmp_ne_u16_e32 vcc, 1, v9
	s_mov_b64 s[36:37], 0
	s_and_saveexec_b64 s[34:35], vcc
	s_xor_b64 s[34:35], exec, s[34:35]
	s_cbranch_execnz .LBB402_204
; %bb.141:
	s_andn2_saveexec_b64 s[0:1], s[34:35]
	s_cbranch_execnz .LBB402_220
.LBB402_142:
	s_or_b64 exec, exec, s[0:1]
	s_and_b64 exec, exec, s[36:37]
	s_cbranch_execz .LBB402_144
.LBB402_143:
	v_sub_u32_e32 v8, v24, v8
	v_lshlrev_b32_e32 v8, 2, v8
	ds_write_b32 v8, v25
.LBB402_144:
	s_or_b64 exec, exec, s[30:31]
	v_cmp_lt_u32_e32 vcc, v0, v1
	s_waitcnt lgkmcnt(0)
	s_barrier
	s_and_saveexec_b64 s[0:1], vcc
	s_cbranch_execz .LBB402_147
; %bb.145:
	v_lshlrev_b32_e32 v11, 2, v0
	s_mov_b64 s[2:3], 0
	v_mov_b32_e32 v9, 0
	v_mov_b32_e32 v8, v0
.LBB402_146:                            ; =>This Inner Loop Header: Depth=1
	ds_read_b32 v12, v11
	v_lshlrev_b64 v[14:15], 3, v[8:9]
	v_add_co_u32_e32 v14, vcc, v3, v14
	v_add_u32_e32 v8, 0x100, v8
	v_addc_co_u32_e32 v15, vcc, v7, v15, vcc
	v_cmp_ge_u32_e32 vcc, v8, v1
	v_mov_b32_e32 v13, v9
	v_add_u32_e32 v11, 0x400, v11
	s_or_b64 s[2:3], vcc, s[2:3]
	s_waitcnt lgkmcnt(0)
	global_store_dwordx2 v[14:15], v[12:13], off
	s_andn2_b64 exec, exec, s[2:3]
	s_cbranch_execnz .LBB402_146
.LBB402_147:
	s_or_b64 exec, exec, s[0:1]
.LBB402_148:
	s_movk_i32 s0, 0xff
	v_cmp_eq_u32_e32 vcc, s0, v0
	s_and_b64 s[0:1], vcc, s[40:41]
	s_and_saveexec_b64 s[2:3], s[0:1]
	s_cbranch_execz .LBB402_151
; %bb.149:
	v_add_co_u32_e32 v0, vcc, v2, v4
	v_addc_co_u32_e64 v1, s[0:1], 0, 0, vcc
	v_add_co_u32_e32 v0, vcc, v0, v52
	v_mov_b32_e32 v3, 0
	v_addc_co_u32_e32 v1, vcc, v1, v53, vcc
	s_cmpk_lg_i32 s33, 0xf00
	global_store_dwordx2 v3, v[0:1], s[52:53]
	s_cbranch_scc1 .LBB402_151
; %bb.150:
	v_lshlrev_b64 v[0:1], 3, v[2:3]
	v_add_co_u32_e32 v0, vcc, v5, v0
	v_mov_b32_e32 v7, v3
	v_addc_co_u32_e32 v1, vcc, v10, v1, vcc
	global_store_dwordx2 v[0:1], v[6:7], off offset:-8
.LBB402_151:
	s_endpgm
.LBB402_152:
	s_or_b64 exec, exec, s[4:5]
	v_mov_b32_e32 v68, s12
	s_and_saveexec_b64 s[2:3], s[54:55]
	s_cbranch_execnz .LBB402_60
	s_branch .LBB402_61
.LBB402_153:
	s_and_saveexec_b64 s[38:39], s[30:31]
	s_cbranch_execnz .LBB402_221
; %bb.154:
	s_or_b64 exec, exec, s[38:39]
	s_and_saveexec_b64 s[38:39], s[28:29]
	s_cbranch_execnz .LBB402_222
.LBB402_155:
	s_or_b64 exec, exec, s[38:39]
	s_and_saveexec_b64 s[38:39], s[26:27]
	s_cbranch_execnz .LBB402_223
.LBB402_156:
	s_or_b64 exec, exec, s[38:39]
	s_and_saveexec_b64 s[38:39], s[24:25]
	s_cbranch_execnz .LBB402_224
.LBB402_157:
	s_or_b64 exec, exec, s[38:39]
	s_and_saveexec_b64 s[38:39], s[22:23]
	s_cbranch_execnz .LBB402_225
.LBB402_158:
	s_or_b64 exec, exec, s[38:39]
	s_and_saveexec_b64 s[38:39], s[20:21]
	s_cbranch_execnz .LBB402_226
.LBB402_159:
	s_or_b64 exec, exec, s[38:39]
	s_and_saveexec_b64 s[38:39], s[18:19]
	s_cbranch_execnz .LBB402_227
.LBB402_160:
	s_or_b64 exec, exec, s[38:39]
	s_and_saveexec_b64 s[38:39], s[16:17]
	s_cbranch_execnz .LBB402_228
.LBB402_161:
	s_or_b64 exec, exec, s[38:39]
	s_and_saveexec_b64 s[38:39], s[14:15]
	s_cbranch_execnz .LBB402_229
.LBB402_162:
	s_or_b64 exec, exec, s[38:39]
	s_and_saveexec_b64 s[38:39], s[12:13]
	s_cbranch_execnz .LBB402_230
.LBB402_163:
	s_or_b64 exec, exec, s[38:39]
	s_and_saveexec_b64 s[38:39], s[10:11]
	s_cbranch_execnz .LBB402_231
.LBB402_164:
	s_or_b64 exec, exec, s[38:39]
	s_and_saveexec_b64 s[38:39], s[8:9]
	s_cbranch_execnz .LBB402_232
.LBB402_165:
	s_or_b64 exec, exec, s[38:39]
	s_and_saveexec_b64 s[38:39], s[6:7]
	s_cbranch_execnz .LBB402_233
.LBB402_166:
	s_or_b64 exec, exec, s[38:39]
	s_and_saveexec_b64 s[38:39], s[4:5]
	s_cbranch_execz .LBB402_168
.LBB402_167:
	v_sub_u32_e32 v70, v22, v4
	v_mov_b32_e32 v71, 0
	v_lshlrev_b64 v[70:71], 2, v[70:71]
	v_add_co_u32_e32 v70, vcc, v3, v70
	v_addc_co_u32_e32 v71, vcc, v7, v71, vcc
	global_store_dword v[70:71], v9, off
.LBB402_168:
	s_or_b64 exec, exec, s[38:39]
	s_and_b64 s[38:39], s[2:3], exec
	s_andn2_saveexec_b64 s[34:35], s[34:35]
	s_cbranch_execz .LBB402_106
.LBB402_169:
	v_sub_u32_e32 v70, v50, v4
	v_mov_b32_e32 v71, 0
	v_lshlrev_b64 v[72:73], 2, v[70:71]
	v_add_co_u32_e32 v72, vcc, v3, v72
	v_addc_co_u32_e32 v73, vcc, v7, v73, vcc
	v_sub_u32_e32 v70, v48, v4
	global_store_dword v[72:73], v20, off
	v_lshlrev_b64 v[72:73], 2, v[70:71]
	v_add_co_u32_e32 v72, vcc, v3, v72
	v_addc_co_u32_e32 v73, vcc, v7, v73, vcc
	v_sub_u32_e32 v70, v46, v4
	global_store_dword v[72:73], v21, off
	;; [unrolled: 5-line block ×12, first 2 shown]
	v_lshlrev_b64 v[72:73], 2, v[70:71]
	v_add_co_u32_e32 v72, vcc, v3, v72
	v_sub_u32_e32 v70, v22, v4
	v_addc_co_u32_e32 v73, vcc, v7, v73, vcc
	v_lshlrev_b64 v[70:71], 2, v[70:71]
	v_add_co_u32_e32 v70, vcc, v3, v70
	v_addc_co_u32_e32 v71, vcc, v7, v71, vcc
	s_or_b64 s[38:39], s[38:39], exec
	global_store_dword v[72:73], v8, off
	global_store_dword v[70:71], v9, off
	s_or_b64 exec, exec, s[34:35]
	s_and_b64 exec, exec, s[38:39]
	s_cbranch_execnz .LBB402_107
	s_branch .LBB402_108
.LBB402_170:
	s_and_saveexec_b64 s[38:39], s[30:31]
	s_cbranch_execnz .LBB402_234
; %bb.171:
	s_or_b64 exec, exec, s[38:39]
	s_and_saveexec_b64 s[30:31], s[28:29]
	s_cbranch_execnz .LBB402_235
.LBB402_172:
	s_or_b64 exec, exec, s[30:31]
	s_and_saveexec_b64 s[28:29], s[26:27]
	s_cbranch_execnz .LBB402_236
.LBB402_173:
	s_or_b64 exec, exec, s[28:29]
	s_and_saveexec_b64 s[26:27], s[24:25]
	s_cbranch_execnz .LBB402_237
.LBB402_174:
	s_or_b64 exec, exec, s[26:27]
	s_and_saveexec_b64 s[24:25], s[22:23]
	s_cbranch_execnz .LBB402_238
.LBB402_175:
	s_or_b64 exec, exec, s[24:25]
	s_and_saveexec_b64 s[22:23], s[20:21]
	s_cbranch_execnz .LBB402_239
.LBB402_176:
	s_or_b64 exec, exec, s[22:23]
	s_and_saveexec_b64 s[20:21], s[18:19]
	s_cbranch_execnz .LBB402_240
.LBB402_177:
	s_or_b64 exec, exec, s[20:21]
	s_and_saveexec_b64 s[18:19], s[16:17]
	s_cbranch_execnz .LBB402_241
.LBB402_178:
	s_or_b64 exec, exec, s[18:19]
	s_and_saveexec_b64 s[16:17], s[14:15]
	s_cbranch_execnz .LBB402_242
.LBB402_179:
	s_or_b64 exec, exec, s[16:17]
	s_and_saveexec_b64 s[14:15], s[12:13]
	s_cbranch_execnz .LBB402_243
.LBB402_180:
	s_or_b64 exec, exec, s[14:15]
	s_and_saveexec_b64 s[12:13], s[10:11]
	s_cbranch_execnz .LBB402_244
.LBB402_181:
	s_or_b64 exec, exec, s[12:13]
	s_and_saveexec_b64 s[10:11], s[8:9]
	s_cbranch_execnz .LBB402_245
.LBB402_182:
	s_or_b64 exec, exec, s[10:11]
	s_and_saveexec_b64 s[8:9], s[6:7]
	s_cbranch_execnz .LBB402_246
.LBB402_183:
	s_or_b64 exec, exec, s[8:9]
	s_and_saveexec_b64 s[6:7], s[4:5]
	s_cbranch_execz .LBB402_185
.LBB402_184:
	v_sub_u32_e32 v8, v22, v4
	v_lshlrev_b32_e32 v8, 2, v8
	ds_write_b32 v8, v9
.LBB402_185:
	s_or_b64 exec, exec, s[6:7]
	s_and_b64 s[38:39], s[2:3], exec
                                        ; implicit-def: $vgpr9
                                        ; implicit-def: $vgpr11
                                        ; implicit-def: $vgpr13
                                        ; implicit-def: $vgpr15
                                        ; implicit-def: $vgpr17
                                        ; implicit-def: $vgpr19
                                        ; implicit-def: $vgpr21
	s_andn2_saveexec_b64 s[2:3], s[36:37]
	s_cbranch_execz .LBB402_113
.LBB402_186:
	v_sub_u32_e32 v69, v50, v4
	v_lshlrev_b32_e32 v69, 2, v69
	ds_write_b32 v69, v20
	v_sub_u32_e32 v20, v48, v4
	v_lshlrev_b32_e32 v20, 2, v20
	ds_write_b32 v20, v21
	;; [unrolled: 3-line block ×13, first 2 shown]
	v_sub_u32_e32 v8, v22, v4
	v_lshlrev_b32_e32 v8, 2, v8
	s_or_b64 s[38:39], s[38:39], exec
	ds_write_b32 v8, v9
	s_or_b64 exec, exec, s[2:3]
	s_and_b64 exec, exec, s[38:39]
	s_cbranch_execnz .LBB402_114
	s_branch .LBB402_115
.LBB402_187:
	s_and_saveexec_b64 s[36:37], s[28:29]
	s_cbranch_execnz .LBB402_247
; %bb.188:
	s_or_b64 exec, exec, s[36:37]
	s_and_saveexec_b64 s[36:37], s[26:27]
	s_cbranch_execnz .LBB402_248
.LBB402_189:
	s_or_b64 exec, exec, s[36:37]
	s_and_saveexec_b64 s[36:37], s[24:25]
	s_cbranch_execnz .LBB402_249
.LBB402_190:
	s_or_b64 exec, exec, s[36:37]
	s_and_saveexec_b64 s[36:37], s[22:23]
	s_cbranch_execnz .LBB402_250
.LBB402_191:
	s_or_b64 exec, exec, s[36:37]
	s_and_saveexec_b64 s[36:37], s[20:21]
	s_cbranch_execnz .LBB402_251
.LBB402_192:
	s_or_b64 exec, exec, s[36:37]
	s_and_saveexec_b64 s[36:37], s[18:19]
	s_cbranch_execnz .LBB402_252
.LBB402_193:
	s_or_b64 exec, exec, s[36:37]
	s_and_saveexec_b64 s[36:37], s[16:17]
	s_cbranch_execnz .LBB402_253
.LBB402_194:
	s_or_b64 exec, exec, s[36:37]
	s_and_saveexec_b64 s[36:37], s[14:15]
	s_cbranch_execnz .LBB402_254
.LBB402_195:
	s_or_b64 exec, exec, s[36:37]
	s_and_saveexec_b64 s[36:37], s[12:13]
	s_cbranch_execnz .LBB402_255
.LBB402_196:
	s_or_b64 exec, exec, s[36:37]
	s_and_saveexec_b64 s[36:37], s[10:11]
	s_cbranch_execnz .LBB402_256
.LBB402_197:
	s_or_b64 exec, exec, s[36:37]
	s_and_saveexec_b64 s[36:37], s[8:9]
	s_cbranch_execnz .LBB402_257
.LBB402_198:
	s_or_b64 exec, exec, s[36:37]
	s_and_saveexec_b64 s[36:37], s[6:7]
	s_cbranch_execnz .LBB402_258
.LBB402_199:
	s_or_b64 exec, exec, s[36:37]
	s_and_saveexec_b64 s[36:37], s[4:5]
	s_cbranch_execnz .LBB402_259
.LBB402_200:
	s_or_b64 exec, exec, s[36:37]
	s_and_saveexec_b64 s[36:37], s[2:3]
	s_cbranch_execz .LBB402_202
.LBB402_201:
	v_sub_u32_e32 v12, v22, v8
	v_mov_b32_e32 v13, 0
	v_lshlrev_b64 v[14:15], 3, v[12:13]
	v_add_co_u32_e32 v14, vcc, v3, v14
	v_addc_co_u32_e32 v15, vcc, v7, v15, vcc
	v_mov_b32_e32 v12, v23
	global_store_dwordx2 v[14:15], v[12:13], off
.LBB402_202:
	s_or_b64 exec, exec, s[36:37]
	s_and_b64 s[36:37], s[0:1], exec
	s_andn2_saveexec_b64 s[30:31], s[30:31]
	s_cbranch_execz .LBB402_135
.LBB402_203:
	v_mov_b32_e32 v13, 0
	v_sub_u32_e32 v14, v50, v8
	v_mov_b32_e32 v15, v13
	v_lshlrev_b64 v[14:15], 3, v[14:15]
	v_add_co_u32_e32 v14, vcc, v3, v14
	v_mov_b32_e32 v12, v51
	v_addc_co_u32_e32 v15, vcc, v7, v15, vcc
	global_store_dwordx2 v[14:15], v[12:13], off
	v_sub_u32_e32 v14, v48, v8
	v_mov_b32_e32 v15, v13
	v_lshlrev_b64 v[14:15], 3, v[14:15]
	v_add_co_u32_e32 v14, vcc, v3, v14
	v_mov_b32_e32 v12, v49
	v_addc_co_u32_e32 v15, vcc, v7, v15, vcc
	global_store_dwordx2 v[14:15], v[12:13], off
	;; [unrolled: 7-line block ×13, first 2 shown]
	v_sub_u32_e32 v14, v22, v8
	v_mov_b32_e32 v15, v13
	v_lshlrev_b64 v[14:15], 3, v[14:15]
	v_add_co_u32_e32 v14, vcc, v3, v14
	v_mov_b32_e32 v12, v23
	v_addc_co_u32_e32 v15, vcc, v7, v15, vcc
	s_or_b64 s[36:37], s[36:37], exec
	global_store_dwordx2 v[14:15], v[12:13], off
	s_or_b64 exec, exec, s[30:31]
	s_and_b64 exec, exec, s[36:37]
	s_cbranch_execnz .LBB402_136
	s_branch .LBB402_137
.LBB402_204:
	s_and_saveexec_b64 s[36:37], s[28:29]
	s_cbranch_execnz .LBB402_260
; %bb.205:
	s_or_b64 exec, exec, s[36:37]
	s_and_saveexec_b64 s[28:29], s[26:27]
	s_cbranch_execnz .LBB402_261
.LBB402_206:
	s_or_b64 exec, exec, s[28:29]
	s_and_saveexec_b64 s[26:27], s[24:25]
	s_cbranch_execnz .LBB402_262
.LBB402_207:
	s_or_b64 exec, exec, s[26:27]
	s_and_saveexec_b64 s[24:25], s[22:23]
	s_cbranch_execnz .LBB402_263
.LBB402_208:
	s_or_b64 exec, exec, s[24:25]
	s_and_saveexec_b64 s[22:23], s[20:21]
	s_cbranch_execnz .LBB402_264
.LBB402_209:
	s_or_b64 exec, exec, s[22:23]
	s_and_saveexec_b64 s[20:21], s[18:19]
	s_cbranch_execnz .LBB402_265
.LBB402_210:
	s_or_b64 exec, exec, s[20:21]
	s_and_saveexec_b64 s[18:19], s[16:17]
	s_cbranch_execnz .LBB402_266
.LBB402_211:
	s_or_b64 exec, exec, s[18:19]
	s_and_saveexec_b64 s[16:17], s[14:15]
	s_cbranch_execnz .LBB402_267
.LBB402_212:
	s_or_b64 exec, exec, s[16:17]
	s_and_saveexec_b64 s[14:15], s[12:13]
	s_cbranch_execnz .LBB402_268
.LBB402_213:
	s_or_b64 exec, exec, s[14:15]
	s_and_saveexec_b64 s[12:13], s[10:11]
	s_cbranch_execnz .LBB402_269
.LBB402_214:
	s_or_b64 exec, exec, s[12:13]
	s_and_saveexec_b64 s[10:11], s[8:9]
	s_cbranch_execnz .LBB402_270
.LBB402_215:
	s_or_b64 exec, exec, s[10:11]
	s_and_saveexec_b64 s[8:9], s[6:7]
	s_cbranch_execnz .LBB402_271
.LBB402_216:
	s_or_b64 exec, exec, s[8:9]
	s_and_saveexec_b64 s[6:7], s[4:5]
	s_cbranch_execnz .LBB402_272
.LBB402_217:
	s_or_b64 exec, exec, s[6:7]
	s_and_saveexec_b64 s[4:5], s[2:3]
	s_cbranch_execz .LBB402_219
.LBB402_218:
	v_sub_u32_e32 v9, v22, v8
	v_lshlrev_b32_e32 v9, 2, v9
	ds_write_b32 v9, v23
.LBB402_219:
	s_or_b64 exec, exec, s[4:5]
	s_and_b64 s[36:37], s[0:1], exec
                                        ; implicit-def: $vgpr22_vgpr23
                                        ; implicit-def: $vgpr26_vgpr27
                                        ; implicit-def: $vgpr28_vgpr29
                                        ; implicit-def: $vgpr50_vgpr51
                                        ; implicit-def: $vgpr48_vgpr49
                                        ; implicit-def: $vgpr46_vgpr47
                                        ; implicit-def: $vgpr44_vgpr45
                                        ; implicit-def: $vgpr42_vgpr43
                                        ; implicit-def: $vgpr40_vgpr41
                                        ; implicit-def: $vgpr38_vgpr39
                                        ; implicit-def: $vgpr36_vgpr37
                                        ; implicit-def: $vgpr34_vgpr35
                                        ; implicit-def: $vgpr32_vgpr33
                                        ; implicit-def: $vgpr30_vgpr31
	s_andn2_saveexec_b64 s[0:1], s[34:35]
	s_cbranch_execz .LBB402_142
.LBB402_220:
	v_sub_u32_e32 v9, v50, v8
	v_lshlrev_b32_e32 v9, 2, v9
	ds_write_b32 v9, v51
	v_sub_u32_e32 v9, v48, v8
	v_lshlrev_b32_e32 v9, 2, v9
	ds_write_b32 v9, v49
	;; [unrolled: 3-line block ×13, first 2 shown]
	v_sub_u32_e32 v9, v22, v8
	v_lshlrev_b32_e32 v9, 2, v9
	s_or_b64 s[36:37], s[36:37], exec
	ds_write_b32 v9, v23
	s_or_b64 exec, exec, s[0:1]
	s_and_b64 exec, exec, s[36:37]
	s_cbranch_execnz .LBB402_143
	s_branch .LBB402_144
.LBB402_221:
	v_sub_u32_e32 v70, v50, v4
	v_mov_b32_e32 v71, 0
	v_lshlrev_b64 v[70:71], 2, v[70:71]
	v_add_co_u32_e32 v70, vcc, v3, v70
	v_addc_co_u32_e32 v71, vcc, v7, v71, vcc
	global_store_dword v[70:71], v20, off
	s_or_b64 exec, exec, s[38:39]
	s_and_saveexec_b64 s[38:39], s[28:29]
	s_cbranch_execz .LBB402_155
.LBB402_222:
	v_sub_u32_e32 v70, v48, v4
	v_mov_b32_e32 v71, 0
	v_lshlrev_b64 v[70:71], 2, v[70:71]
	v_add_co_u32_e32 v70, vcc, v3, v70
	v_addc_co_u32_e32 v71, vcc, v7, v71, vcc
	global_store_dword v[70:71], v21, off
	s_or_b64 exec, exec, s[38:39]
	s_and_saveexec_b64 s[38:39], s[26:27]
	s_cbranch_execz .LBB402_156
.LBB402_223:
	v_sub_u32_e32 v70, v46, v4
	v_mov_b32_e32 v71, 0
	v_lshlrev_b64 v[70:71], 2, v[70:71]
	v_add_co_u32_e32 v70, vcc, v3, v70
	v_addc_co_u32_e32 v71, vcc, v7, v71, vcc
	global_store_dword v[70:71], v18, off
	s_or_b64 exec, exec, s[38:39]
	s_and_saveexec_b64 s[38:39], s[24:25]
	s_cbranch_execz .LBB402_157
.LBB402_224:
	v_sub_u32_e32 v70, v44, v4
	v_mov_b32_e32 v71, 0
	v_lshlrev_b64 v[70:71], 2, v[70:71]
	v_add_co_u32_e32 v70, vcc, v3, v70
	v_addc_co_u32_e32 v71, vcc, v7, v71, vcc
	global_store_dword v[70:71], v19, off
	s_or_b64 exec, exec, s[38:39]
	s_and_saveexec_b64 s[38:39], s[22:23]
	s_cbranch_execz .LBB402_158
.LBB402_225:
	v_sub_u32_e32 v70, v42, v4
	v_mov_b32_e32 v71, 0
	v_lshlrev_b64 v[70:71], 2, v[70:71]
	v_add_co_u32_e32 v70, vcc, v3, v70
	v_addc_co_u32_e32 v71, vcc, v7, v71, vcc
	global_store_dword v[70:71], v16, off
	s_or_b64 exec, exec, s[38:39]
	s_and_saveexec_b64 s[38:39], s[20:21]
	s_cbranch_execz .LBB402_159
.LBB402_226:
	v_sub_u32_e32 v70, v40, v4
	v_mov_b32_e32 v71, 0
	v_lshlrev_b64 v[70:71], 2, v[70:71]
	v_add_co_u32_e32 v70, vcc, v3, v70
	v_addc_co_u32_e32 v71, vcc, v7, v71, vcc
	global_store_dword v[70:71], v17, off
	s_or_b64 exec, exec, s[38:39]
	s_and_saveexec_b64 s[38:39], s[18:19]
	s_cbranch_execz .LBB402_160
.LBB402_227:
	v_sub_u32_e32 v70, v38, v4
	v_mov_b32_e32 v71, 0
	v_lshlrev_b64 v[70:71], 2, v[70:71]
	v_add_co_u32_e32 v70, vcc, v3, v70
	v_addc_co_u32_e32 v71, vcc, v7, v71, vcc
	global_store_dword v[70:71], v14, off
	s_or_b64 exec, exec, s[38:39]
	s_and_saveexec_b64 s[38:39], s[16:17]
	s_cbranch_execz .LBB402_161
.LBB402_228:
	v_sub_u32_e32 v70, v36, v4
	v_mov_b32_e32 v71, 0
	v_lshlrev_b64 v[70:71], 2, v[70:71]
	v_add_co_u32_e32 v70, vcc, v3, v70
	v_addc_co_u32_e32 v71, vcc, v7, v71, vcc
	global_store_dword v[70:71], v15, off
	s_or_b64 exec, exec, s[38:39]
	s_and_saveexec_b64 s[38:39], s[14:15]
	s_cbranch_execz .LBB402_162
.LBB402_229:
	v_sub_u32_e32 v70, v34, v4
	v_mov_b32_e32 v71, 0
	v_lshlrev_b64 v[70:71], 2, v[70:71]
	v_add_co_u32_e32 v70, vcc, v3, v70
	v_addc_co_u32_e32 v71, vcc, v7, v71, vcc
	global_store_dword v[70:71], v12, off
	s_or_b64 exec, exec, s[38:39]
	s_and_saveexec_b64 s[38:39], s[12:13]
	s_cbranch_execz .LBB402_163
.LBB402_230:
	v_sub_u32_e32 v70, v32, v4
	v_mov_b32_e32 v71, 0
	v_lshlrev_b64 v[70:71], 2, v[70:71]
	v_add_co_u32_e32 v70, vcc, v3, v70
	v_addc_co_u32_e32 v71, vcc, v7, v71, vcc
	global_store_dword v[70:71], v13, off
	s_or_b64 exec, exec, s[38:39]
	s_and_saveexec_b64 s[38:39], s[10:11]
	s_cbranch_execz .LBB402_164
.LBB402_231:
	v_sub_u32_e32 v70, v30, v4
	v_mov_b32_e32 v71, 0
	v_lshlrev_b64 v[70:71], 2, v[70:71]
	v_add_co_u32_e32 v70, vcc, v3, v70
	v_addc_co_u32_e32 v71, vcc, v7, v71, vcc
	global_store_dword v[70:71], v10, off
	s_or_b64 exec, exec, s[38:39]
	s_and_saveexec_b64 s[38:39], s[8:9]
	s_cbranch_execz .LBB402_165
.LBB402_232:
	v_sub_u32_e32 v70, v28, v4
	v_mov_b32_e32 v71, 0
	v_lshlrev_b64 v[70:71], 2, v[70:71]
	v_add_co_u32_e32 v70, vcc, v3, v70
	v_addc_co_u32_e32 v71, vcc, v7, v71, vcc
	global_store_dword v[70:71], v11, off
	s_or_b64 exec, exec, s[38:39]
	s_and_saveexec_b64 s[38:39], s[6:7]
	s_cbranch_execz .LBB402_166
.LBB402_233:
	v_sub_u32_e32 v70, v26, v4
	v_mov_b32_e32 v71, 0
	v_lshlrev_b64 v[70:71], 2, v[70:71]
	v_add_co_u32_e32 v70, vcc, v3, v70
	v_addc_co_u32_e32 v71, vcc, v7, v71, vcc
	global_store_dword v[70:71], v8, off
	s_or_b64 exec, exec, s[38:39]
	s_and_saveexec_b64 s[38:39], s[4:5]
	s_cbranch_execnz .LBB402_167
	s_branch .LBB402_168
.LBB402_234:
	v_sub_u32_e32 v69, v50, v4
	v_lshlrev_b32_e32 v69, 2, v69
	ds_write_b32 v69, v20
	s_or_b64 exec, exec, s[38:39]
	s_and_saveexec_b64 s[30:31], s[28:29]
	s_cbranch_execz .LBB402_172
.LBB402_235:
	v_sub_u32_e32 v20, v48, v4
	v_lshlrev_b32_e32 v20, 2, v20
	ds_write_b32 v20, v21
	s_or_b64 exec, exec, s[30:31]
	s_and_saveexec_b64 s[28:29], s[26:27]
	s_cbranch_execz .LBB402_173
.LBB402_236:
	v_sub_u32_e32 v20, v46, v4
	v_lshlrev_b32_e32 v20, 2, v20
	ds_write_b32 v20, v18
	s_or_b64 exec, exec, s[28:29]
	s_and_saveexec_b64 s[26:27], s[24:25]
	s_cbranch_execz .LBB402_174
.LBB402_237:
	v_sub_u32_e32 v18, v44, v4
	v_lshlrev_b32_e32 v18, 2, v18
	ds_write_b32 v18, v19
	s_or_b64 exec, exec, s[26:27]
	s_and_saveexec_b64 s[24:25], s[22:23]
	s_cbranch_execz .LBB402_175
.LBB402_238:
	v_sub_u32_e32 v18, v42, v4
	v_lshlrev_b32_e32 v18, 2, v18
	ds_write_b32 v18, v16
	s_or_b64 exec, exec, s[24:25]
	s_and_saveexec_b64 s[22:23], s[20:21]
	s_cbranch_execz .LBB402_176
.LBB402_239:
	v_sub_u32_e32 v16, v40, v4
	v_lshlrev_b32_e32 v16, 2, v16
	ds_write_b32 v16, v17
	s_or_b64 exec, exec, s[22:23]
	s_and_saveexec_b64 s[20:21], s[18:19]
	s_cbranch_execz .LBB402_177
.LBB402_240:
	v_sub_u32_e32 v16, v38, v4
	v_lshlrev_b32_e32 v16, 2, v16
	ds_write_b32 v16, v14
	s_or_b64 exec, exec, s[20:21]
	s_and_saveexec_b64 s[18:19], s[16:17]
	s_cbranch_execz .LBB402_178
.LBB402_241:
	v_sub_u32_e32 v14, v36, v4
	v_lshlrev_b32_e32 v14, 2, v14
	ds_write_b32 v14, v15
	s_or_b64 exec, exec, s[18:19]
	s_and_saveexec_b64 s[16:17], s[14:15]
	s_cbranch_execz .LBB402_179
.LBB402_242:
	v_sub_u32_e32 v14, v34, v4
	v_lshlrev_b32_e32 v14, 2, v14
	ds_write_b32 v14, v12
	s_or_b64 exec, exec, s[16:17]
	s_and_saveexec_b64 s[14:15], s[12:13]
	s_cbranch_execz .LBB402_180
.LBB402_243:
	v_sub_u32_e32 v12, v32, v4
	v_lshlrev_b32_e32 v12, 2, v12
	ds_write_b32 v12, v13
	s_or_b64 exec, exec, s[14:15]
	s_and_saveexec_b64 s[12:13], s[10:11]
	s_cbranch_execz .LBB402_181
.LBB402_244:
	v_sub_u32_e32 v12, v30, v4
	v_lshlrev_b32_e32 v12, 2, v12
	ds_write_b32 v12, v10
	s_or_b64 exec, exec, s[12:13]
	s_and_saveexec_b64 s[10:11], s[8:9]
	s_cbranch_execz .LBB402_182
.LBB402_245:
	v_sub_u32_e32 v10, v28, v4
	v_lshlrev_b32_e32 v10, 2, v10
	ds_write_b32 v10, v11
	s_or_b64 exec, exec, s[10:11]
	s_and_saveexec_b64 s[8:9], s[6:7]
	s_cbranch_execz .LBB402_183
.LBB402_246:
	v_sub_u32_e32 v10, v26, v4
	v_lshlrev_b32_e32 v10, 2, v10
	ds_write_b32 v10, v8
	s_or_b64 exec, exec, s[8:9]
	s_and_saveexec_b64 s[6:7], s[4:5]
	s_cbranch_execnz .LBB402_184
	s_branch .LBB402_185
.LBB402_247:
	v_sub_u32_e32 v12, v50, v8
	v_mov_b32_e32 v13, 0
	v_lshlrev_b64 v[14:15], 3, v[12:13]
	v_add_co_u32_e32 v14, vcc, v3, v14
	v_addc_co_u32_e32 v15, vcc, v7, v15, vcc
	v_mov_b32_e32 v12, v51
	global_store_dwordx2 v[14:15], v[12:13], off
	s_or_b64 exec, exec, s[36:37]
	s_and_saveexec_b64 s[36:37], s[26:27]
	s_cbranch_execz .LBB402_189
.LBB402_248:
	v_sub_u32_e32 v12, v48, v8
	v_mov_b32_e32 v13, 0
	v_lshlrev_b64 v[14:15], 3, v[12:13]
	v_add_co_u32_e32 v14, vcc, v3, v14
	v_addc_co_u32_e32 v15, vcc, v7, v15, vcc
	v_mov_b32_e32 v12, v49
	global_store_dwordx2 v[14:15], v[12:13], off
	s_or_b64 exec, exec, s[36:37]
	s_and_saveexec_b64 s[36:37], s[24:25]
	s_cbranch_execz .LBB402_190
.LBB402_249:
	v_sub_u32_e32 v12, v46, v8
	v_mov_b32_e32 v13, 0
	v_lshlrev_b64 v[14:15], 3, v[12:13]
	v_add_co_u32_e32 v14, vcc, v3, v14
	v_addc_co_u32_e32 v15, vcc, v7, v15, vcc
	v_mov_b32_e32 v12, v47
	global_store_dwordx2 v[14:15], v[12:13], off
	s_or_b64 exec, exec, s[36:37]
	s_and_saveexec_b64 s[36:37], s[22:23]
	s_cbranch_execz .LBB402_191
.LBB402_250:
	v_sub_u32_e32 v12, v44, v8
	v_mov_b32_e32 v13, 0
	v_lshlrev_b64 v[14:15], 3, v[12:13]
	v_add_co_u32_e32 v14, vcc, v3, v14
	v_addc_co_u32_e32 v15, vcc, v7, v15, vcc
	v_mov_b32_e32 v12, v45
	global_store_dwordx2 v[14:15], v[12:13], off
	s_or_b64 exec, exec, s[36:37]
	s_and_saveexec_b64 s[36:37], s[20:21]
	s_cbranch_execz .LBB402_192
.LBB402_251:
	v_sub_u32_e32 v12, v42, v8
	v_mov_b32_e32 v13, 0
	v_lshlrev_b64 v[14:15], 3, v[12:13]
	v_add_co_u32_e32 v14, vcc, v3, v14
	v_addc_co_u32_e32 v15, vcc, v7, v15, vcc
	v_mov_b32_e32 v12, v43
	global_store_dwordx2 v[14:15], v[12:13], off
	s_or_b64 exec, exec, s[36:37]
	s_and_saveexec_b64 s[36:37], s[18:19]
	s_cbranch_execz .LBB402_193
.LBB402_252:
	v_sub_u32_e32 v12, v40, v8
	v_mov_b32_e32 v13, 0
	v_lshlrev_b64 v[14:15], 3, v[12:13]
	v_add_co_u32_e32 v14, vcc, v3, v14
	v_addc_co_u32_e32 v15, vcc, v7, v15, vcc
	v_mov_b32_e32 v12, v41
	global_store_dwordx2 v[14:15], v[12:13], off
	s_or_b64 exec, exec, s[36:37]
	s_and_saveexec_b64 s[36:37], s[16:17]
	s_cbranch_execz .LBB402_194
.LBB402_253:
	v_sub_u32_e32 v12, v38, v8
	v_mov_b32_e32 v13, 0
	v_lshlrev_b64 v[14:15], 3, v[12:13]
	v_add_co_u32_e32 v14, vcc, v3, v14
	v_addc_co_u32_e32 v15, vcc, v7, v15, vcc
	v_mov_b32_e32 v12, v39
	global_store_dwordx2 v[14:15], v[12:13], off
	s_or_b64 exec, exec, s[36:37]
	s_and_saveexec_b64 s[36:37], s[14:15]
	s_cbranch_execz .LBB402_195
.LBB402_254:
	v_sub_u32_e32 v12, v36, v8
	v_mov_b32_e32 v13, 0
	v_lshlrev_b64 v[14:15], 3, v[12:13]
	v_add_co_u32_e32 v14, vcc, v3, v14
	v_addc_co_u32_e32 v15, vcc, v7, v15, vcc
	v_mov_b32_e32 v12, v37
	global_store_dwordx2 v[14:15], v[12:13], off
	s_or_b64 exec, exec, s[36:37]
	s_and_saveexec_b64 s[36:37], s[12:13]
	s_cbranch_execz .LBB402_196
.LBB402_255:
	v_sub_u32_e32 v12, v34, v8
	v_mov_b32_e32 v13, 0
	v_lshlrev_b64 v[14:15], 3, v[12:13]
	v_add_co_u32_e32 v14, vcc, v3, v14
	v_addc_co_u32_e32 v15, vcc, v7, v15, vcc
	v_mov_b32_e32 v12, v35
	global_store_dwordx2 v[14:15], v[12:13], off
	s_or_b64 exec, exec, s[36:37]
	s_and_saveexec_b64 s[36:37], s[10:11]
	s_cbranch_execz .LBB402_197
.LBB402_256:
	v_sub_u32_e32 v12, v32, v8
	v_mov_b32_e32 v13, 0
	v_lshlrev_b64 v[14:15], 3, v[12:13]
	v_add_co_u32_e32 v14, vcc, v3, v14
	v_addc_co_u32_e32 v15, vcc, v7, v15, vcc
	v_mov_b32_e32 v12, v33
	global_store_dwordx2 v[14:15], v[12:13], off
	s_or_b64 exec, exec, s[36:37]
	s_and_saveexec_b64 s[36:37], s[8:9]
	s_cbranch_execz .LBB402_198
.LBB402_257:
	v_sub_u32_e32 v12, v30, v8
	v_mov_b32_e32 v13, 0
	v_lshlrev_b64 v[14:15], 3, v[12:13]
	v_add_co_u32_e32 v14, vcc, v3, v14
	v_addc_co_u32_e32 v15, vcc, v7, v15, vcc
	v_mov_b32_e32 v12, v31
	global_store_dwordx2 v[14:15], v[12:13], off
	s_or_b64 exec, exec, s[36:37]
	s_and_saveexec_b64 s[36:37], s[6:7]
	s_cbranch_execz .LBB402_199
.LBB402_258:
	v_sub_u32_e32 v12, v28, v8
	v_mov_b32_e32 v13, 0
	v_lshlrev_b64 v[14:15], 3, v[12:13]
	v_add_co_u32_e32 v14, vcc, v3, v14
	v_addc_co_u32_e32 v15, vcc, v7, v15, vcc
	v_mov_b32_e32 v12, v29
	global_store_dwordx2 v[14:15], v[12:13], off
	s_or_b64 exec, exec, s[36:37]
	s_and_saveexec_b64 s[36:37], s[4:5]
	s_cbranch_execz .LBB402_200
.LBB402_259:
	v_sub_u32_e32 v12, v26, v8
	v_mov_b32_e32 v13, 0
	v_lshlrev_b64 v[14:15], 3, v[12:13]
	v_add_co_u32_e32 v14, vcc, v3, v14
	v_addc_co_u32_e32 v15, vcc, v7, v15, vcc
	v_mov_b32_e32 v12, v27
	global_store_dwordx2 v[14:15], v[12:13], off
	s_or_b64 exec, exec, s[36:37]
	s_and_saveexec_b64 s[36:37], s[2:3]
	s_cbranch_execnz .LBB402_201
	s_branch .LBB402_202
.LBB402_260:
	v_sub_u32_e32 v9, v50, v8
	v_lshlrev_b32_e32 v9, 2, v9
	ds_write_b32 v9, v51
	s_or_b64 exec, exec, s[36:37]
	s_and_saveexec_b64 s[28:29], s[26:27]
	s_cbranch_execz .LBB402_206
.LBB402_261:
	v_sub_u32_e32 v9, v48, v8
	v_lshlrev_b32_e32 v9, 2, v9
	ds_write_b32 v9, v49
	s_or_b64 exec, exec, s[28:29]
	s_and_saveexec_b64 s[26:27], s[24:25]
	s_cbranch_execz .LBB402_207
.LBB402_262:
	v_sub_u32_e32 v9, v46, v8
	v_lshlrev_b32_e32 v9, 2, v9
	ds_write_b32 v9, v47
	s_or_b64 exec, exec, s[26:27]
	s_and_saveexec_b64 s[24:25], s[22:23]
	s_cbranch_execz .LBB402_208
.LBB402_263:
	v_sub_u32_e32 v9, v44, v8
	v_lshlrev_b32_e32 v9, 2, v9
	ds_write_b32 v9, v45
	s_or_b64 exec, exec, s[24:25]
	s_and_saveexec_b64 s[22:23], s[20:21]
	s_cbranch_execz .LBB402_209
.LBB402_264:
	v_sub_u32_e32 v9, v42, v8
	v_lshlrev_b32_e32 v9, 2, v9
	ds_write_b32 v9, v43
	s_or_b64 exec, exec, s[22:23]
	s_and_saveexec_b64 s[20:21], s[18:19]
	s_cbranch_execz .LBB402_210
.LBB402_265:
	v_sub_u32_e32 v9, v40, v8
	v_lshlrev_b32_e32 v9, 2, v9
	ds_write_b32 v9, v41
	s_or_b64 exec, exec, s[20:21]
	s_and_saveexec_b64 s[18:19], s[16:17]
	s_cbranch_execz .LBB402_211
.LBB402_266:
	v_sub_u32_e32 v9, v38, v8
	v_lshlrev_b32_e32 v9, 2, v9
	ds_write_b32 v9, v39
	s_or_b64 exec, exec, s[18:19]
	s_and_saveexec_b64 s[16:17], s[14:15]
	s_cbranch_execz .LBB402_212
.LBB402_267:
	v_sub_u32_e32 v9, v36, v8
	v_lshlrev_b32_e32 v9, 2, v9
	ds_write_b32 v9, v37
	s_or_b64 exec, exec, s[16:17]
	s_and_saveexec_b64 s[14:15], s[12:13]
	s_cbranch_execz .LBB402_213
.LBB402_268:
	v_sub_u32_e32 v9, v34, v8
	v_lshlrev_b32_e32 v9, 2, v9
	ds_write_b32 v9, v35
	s_or_b64 exec, exec, s[14:15]
	s_and_saveexec_b64 s[12:13], s[10:11]
	s_cbranch_execz .LBB402_214
.LBB402_269:
	v_sub_u32_e32 v9, v32, v8
	v_lshlrev_b32_e32 v9, 2, v9
	ds_write_b32 v9, v33
	s_or_b64 exec, exec, s[12:13]
	s_and_saveexec_b64 s[10:11], s[8:9]
	s_cbranch_execz .LBB402_215
.LBB402_270:
	v_sub_u32_e32 v9, v30, v8
	v_lshlrev_b32_e32 v9, 2, v9
	ds_write_b32 v9, v31
	s_or_b64 exec, exec, s[10:11]
	s_and_saveexec_b64 s[8:9], s[6:7]
	s_cbranch_execz .LBB402_216
.LBB402_271:
	v_sub_u32_e32 v9, v28, v8
	v_lshlrev_b32_e32 v9, 2, v9
	ds_write_b32 v9, v29
	s_or_b64 exec, exec, s[8:9]
	s_and_saveexec_b64 s[6:7], s[4:5]
	s_cbranch_execz .LBB402_217
.LBB402_272:
	v_sub_u32_e32 v9, v26, v8
	v_lshlrev_b32_e32 v9, 2, v9
	ds_write_b32 v9, v27
	s_or_b64 exec, exec, s[6:7]
	s_and_saveexec_b64 s[4:5], s[2:3]
	s_cbranch_execnz .LBB402_218
	s_branch .LBB402_219
	.section	.rodata,"a",@progbits
	.p2align	6, 0x0
	.amdhsa_kernel _ZN7rocprim17ROCPRIM_400000_NS6detail17trampoline_kernelINS0_14default_configENS1_33run_length_encode_config_selectorIfjNS0_4plusIjEEEEZZNS1_33reduce_by_key_impl_wrapped_configILNS1_25lookback_scan_determinismE0ES3_S7_PKfNS0_17constant_iteratorIjlEEPfPlSF_S6_NS0_8equal_toIfEEEE10hipError_tPvRmT2_T3_mT4_T5_T6_T7_T8_P12ihipStream_tbENKUlT_T0_E_clISt17integral_constantIbLb0EESY_IbLb1EEEEDaSU_SV_EUlSU_E_NS1_11comp_targetILNS1_3genE4ELNS1_11target_archE910ELNS1_3gpuE8ELNS1_3repE0EEENS1_30default_config_static_selectorELNS0_4arch9wavefront6targetE1EEEvT1_
		.amdhsa_group_segment_fixed_size 15360
		.amdhsa_private_segment_fixed_size 0
		.amdhsa_kernarg_size 128
		.amdhsa_user_sgpr_count 6
		.amdhsa_user_sgpr_private_segment_buffer 1
		.amdhsa_user_sgpr_dispatch_ptr 0
		.amdhsa_user_sgpr_queue_ptr 0
		.amdhsa_user_sgpr_kernarg_segment_ptr 1
		.amdhsa_user_sgpr_dispatch_id 0
		.amdhsa_user_sgpr_flat_scratch_init 0
		.amdhsa_user_sgpr_kernarg_preload_length 0
		.amdhsa_user_sgpr_kernarg_preload_offset 0
		.amdhsa_user_sgpr_private_segment_size 0
		.amdhsa_uses_dynamic_stack 0
		.amdhsa_system_sgpr_private_segment_wavefront_offset 0
		.amdhsa_system_sgpr_workgroup_id_x 1
		.amdhsa_system_sgpr_workgroup_id_y 0
		.amdhsa_system_sgpr_workgroup_id_z 0
		.amdhsa_system_sgpr_workgroup_info 0
		.amdhsa_system_vgpr_workitem_id 0
		.amdhsa_next_free_vgpr 104
		.amdhsa_next_free_sgpr 66
		.amdhsa_accum_offset 104
		.amdhsa_reserve_vcc 1
		.amdhsa_reserve_flat_scratch 0
		.amdhsa_float_round_mode_32 0
		.amdhsa_float_round_mode_16_64 0
		.amdhsa_float_denorm_mode_32 3
		.amdhsa_float_denorm_mode_16_64 3
		.amdhsa_dx10_clamp 1
		.amdhsa_ieee_mode 1
		.amdhsa_fp16_overflow 0
		.amdhsa_tg_split 0
		.amdhsa_exception_fp_ieee_invalid_op 0
		.amdhsa_exception_fp_denorm_src 0
		.amdhsa_exception_fp_ieee_div_zero 0
		.amdhsa_exception_fp_ieee_overflow 0
		.amdhsa_exception_fp_ieee_underflow 0
		.amdhsa_exception_fp_ieee_inexact 0
		.amdhsa_exception_int_div_zero 0
	.end_amdhsa_kernel
	.section	.text._ZN7rocprim17ROCPRIM_400000_NS6detail17trampoline_kernelINS0_14default_configENS1_33run_length_encode_config_selectorIfjNS0_4plusIjEEEEZZNS1_33reduce_by_key_impl_wrapped_configILNS1_25lookback_scan_determinismE0ES3_S7_PKfNS0_17constant_iteratorIjlEEPfPlSF_S6_NS0_8equal_toIfEEEE10hipError_tPvRmT2_T3_mT4_T5_T6_T7_T8_P12ihipStream_tbENKUlT_T0_E_clISt17integral_constantIbLb0EESY_IbLb1EEEEDaSU_SV_EUlSU_E_NS1_11comp_targetILNS1_3genE4ELNS1_11target_archE910ELNS1_3gpuE8ELNS1_3repE0EEENS1_30default_config_static_selectorELNS0_4arch9wavefront6targetE1EEEvT1_,"axG",@progbits,_ZN7rocprim17ROCPRIM_400000_NS6detail17trampoline_kernelINS0_14default_configENS1_33run_length_encode_config_selectorIfjNS0_4plusIjEEEEZZNS1_33reduce_by_key_impl_wrapped_configILNS1_25lookback_scan_determinismE0ES3_S7_PKfNS0_17constant_iteratorIjlEEPfPlSF_S6_NS0_8equal_toIfEEEE10hipError_tPvRmT2_T3_mT4_T5_T6_T7_T8_P12ihipStream_tbENKUlT_T0_E_clISt17integral_constantIbLb0EESY_IbLb1EEEEDaSU_SV_EUlSU_E_NS1_11comp_targetILNS1_3genE4ELNS1_11target_archE910ELNS1_3gpuE8ELNS1_3repE0EEENS1_30default_config_static_selectorELNS0_4arch9wavefront6targetE1EEEvT1_,comdat
.Lfunc_end402:
	.size	_ZN7rocprim17ROCPRIM_400000_NS6detail17trampoline_kernelINS0_14default_configENS1_33run_length_encode_config_selectorIfjNS0_4plusIjEEEEZZNS1_33reduce_by_key_impl_wrapped_configILNS1_25lookback_scan_determinismE0ES3_S7_PKfNS0_17constant_iteratorIjlEEPfPlSF_S6_NS0_8equal_toIfEEEE10hipError_tPvRmT2_T3_mT4_T5_T6_T7_T8_P12ihipStream_tbENKUlT_T0_E_clISt17integral_constantIbLb0EESY_IbLb1EEEEDaSU_SV_EUlSU_E_NS1_11comp_targetILNS1_3genE4ELNS1_11target_archE910ELNS1_3gpuE8ELNS1_3repE0EEENS1_30default_config_static_selectorELNS0_4arch9wavefront6targetE1EEEvT1_, .Lfunc_end402-_ZN7rocprim17ROCPRIM_400000_NS6detail17trampoline_kernelINS0_14default_configENS1_33run_length_encode_config_selectorIfjNS0_4plusIjEEEEZZNS1_33reduce_by_key_impl_wrapped_configILNS1_25lookback_scan_determinismE0ES3_S7_PKfNS0_17constant_iteratorIjlEEPfPlSF_S6_NS0_8equal_toIfEEEE10hipError_tPvRmT2_T3_mT4_T5_T6_T7_T8_P12ihipStream_tbENKUlT_T0_E_clISt17integral_constantIbLb0EESY_IbLb1EEEEDaSU_SV_EUlSU_E_NS1_11comp_targetILNS1_3genE4ELNS1_11target_archE910ELNS1_3gpuE8ELNS1_3repE0EEENS1_30default_config_static_selectorELNS0_4arch9wavefront6targetE1EEEvT1_
                                        ; -- End function
	.section	.AMDGPU.csdata,"",@progbits
; Kernel info:
; codeLenInByte = 15200
; NumSgprs: 70
; NumVgprs: 104
; NumAgprs: 0
; TotalNumVgprs: 104
; ScratchSize: 0
; MemoryBound: 0
; FloatMode: 240
; IeeeMode: 1
; LDSByteSize: 15360 bytes/workgroup (compile time only)
; SGPRBlocks: 8
; VGPRBlocks: 12
; NumSGPRsForWavesPerEU: 70
; NumVGPRsForWavesPerEU: 104
; AccumOffset: 104
; Occupancy: 4
; WaveLimiterHint : 1
; COMPUTE_PGM_RSRC2:SCRATCH_EN: 0
; COMPUTE_PGM_RSRC2:USER_SGPR: 6
; COMPUTE_PGM_RSRC2:TRAP_HANDLER: 0
; COMPUTE_PGM_RSRC2:TGID_X_EN: 1
; COMPUTE_PGM_RSRC2:TGID_Y_EN: 0
; COMPUTE_PGM_RSRC2:TGID_Z_EN: 0
; COMPUTE_PGM_RSRC2:TIDIG_COMP_CNT: 0
; COMPUTE_PGM_RSRC3_GFX90A:ACCUM_OFFSET: 25
; COMPUTE_PGM_RSRC3_GFX90A:TG_SPLIT: 0
	.section	.text._ZN7rocprim17ROCPRIM_400000_NS6detail17trampoline_kernelINS0_14default_configENS1_33run_length_encode_config_selectorIfjNS0_4plusIjEEEEZZNS1_33reduce_by_key_impl_wrapped_configILNS1_25lookback_scan_determinismE0ES3_S7_PKfNS0_17constant_iteratorIjlEEPfPlSF_S6_NS0_8equal_toIfEEEE10hipError_tPvRmT2_T3_mT4_T5_T6_T7_T8_P12ihipStream_tbENKUlT_T0_E_clISt17integral_constantIbLb0EESY_IbLb1EEEEDaSU_SV_EUlSU_E_NS1_11comp_targetILNS1_3genE3ELNS1_11target_archE908ELNS1_3gpuE7ELNS1_3repE0EEENS1_30default_config_static_selectorELNS0_4arch9wavefront6targetE1EEEvT1_,"axG",@progbits,_ZN7rocprim17ROCPRIM_400000_NS6detail17trampoline_kernelINS0_14default_configENS1_33run_length_encode_config_selectorIfjNS0_4plusIjEEEEZZNS1_33reduce_by_key_impl_wrapped_configILNS1_25lookback_scan_determinismE0ES3_S7_PKfNS0_17constant_iteratorIjlEEPfPlSF_S6_NS0_8equal_toIfEEEE10hipError_tPvRmT2_T3_mT4_T5_T6_T7_T8_P12ihipStream_tbENKUlT_T0_E_clISt17integral_constantIbLb0EESY_IbLb1EEEEDaSU_SV_EUlSU_E_NS1_11comp_targetILNS1_3genE3ELNS1_11target_archE908ELNS1_3gpuE7ELNS1_3repE0EEENS1_30default_config_static_selectorELNS0_4arch9wavefront6targetE1EEEvT1_,comdat
	.protected	_ZN7rocprim17ROCPRIM_400000_NS6detail17trampoline_kernelINS0_14default_configENS1_33run_length_encode_config_selectorIfjNS0_4plusIjEEEEZZNS1_33reduce_by_key_impl_wrapped_configILNS1_25lookback_scan_determinismE0ES3_S7_PKfNS0_17constant_iteratorIjlEEPfPlSF_S6_NS0_8equal_toIfEEEE10hipError_tPvRmT2_T3_mT4_T5_T6_T7_T8_P12ihipStream_tbENKUlT_T0_E_clISt17integral_constantIbLb0EESY_IbLb1EEEEDaSU_SV_EUlSU_E_NS1_11comp_targetILNS1_3genE3ELNS1_11target_archE908ELNS1_3gpuE7ELNS1_3repE0EEENS1_30default_config_static_selectorELNS0_4arch9wavefront6targetE1EEEvT1_ ; -- Begin function _ZN7rocprim17ROCPRIM_400000_NS6detail17trampoline_kernelINS0_14default_configENS1_33run_length_encode_config_selectorIfjNS0_4plusIjEEEEZZNS1_33reduce_by_key_impl_wrapped_configILNS1_25lookback_scan_determinismE0ES3_S7_PKfNS0_17constant_iteratorIjlEEPfPlSF_S6_NS0_8equal_toIfEEEE10hipError_tPvRmT2_T3_mT4_T5_T6_T7_T8_P12ihipStream_tbENKUlT_T0_E_clISt17integral_constantIbLb0EESY_IbLb1EEEEDaSU_SV_EUlSU_E_NS1_11comp_targetILNS1_3genE3ELNS1_11target_archE908ELNS1_3gpuE7ELNS1_3repE0EEENS1_30default_config_static_selectorELNS0_4arch9wavefront6targetE1EEEvT1_
	.globl	_ZN7rocprim17ROCPRIM_400000_NS6detail17trampoline_kernelINS0_14default_configENS1_33run_length_encode_config_selectorIfjNS0_4plusIjEEEEZZNS1_33reduce_by_key_impl_wrapped_configILNS1_25lookback_scan_determinismE0ES3_S7_PKfNS0_17constant_iteratorIjlEEPfPlSF_S6_NS0_8equal_toIfEEEE10hipError_tPvRmT2_T3_mT4_T5_T6_T7_T8_P12ihipStream_tbENKUlT_T0_E_clISt17integral_constantIbLb0EESY_IbLb1EEEEDaSU_SV_EUlSU_E_NS1_11comp_targetILNS1_3genE3ELNS1_11target_archE908ELNS1_3gpuE7ELNS1_3repE0EEENS1_30default_config_static_selectorELNS0_4arch9wavefront6targetE1EEEvT1_
	.p2align	8
	.type	_ZN7rocprim17ROCPRIM_400000_NS6detail17trampoline_kernelINS0_14default_configENS1_33run_length_encode_config_selectorIfjNS0_4plusIjEEEEZZNS1_33reduce_by_key_impl_wrapped_configILNS1_25lookback_scan_determinismE0ES3_S7_PKfNS0_17constant_iteratorIjlEEPfPlSF_S6_NS0_8equal_toIfEEEE10hipError_tPvRmT2_T3_mT4_T5_T6_T7_T8_P12ihipStream_tbENKUlT_T0_E_clISt17integral_constantIbLb0EESY_IbLb1EEEEDaSU_SV_EUlSU_E_NS1_11comp_targetILNS1_3genE3ELNS1_11target_archE908ELNS1_3gpuE7ELNS1_3repE0EEENS1_30default_config_static_selectorELNS0_4arch9wavefront6targetE1EEEvT1_,@function
_ZN7rocprim17ROCPRIM_400000_NS6detail17trampoline_kernelINS0_14default_configENS1_33run_length_encode_config_selectorIfjNS0_4plusIjEEEEZZNS1_33reduce_by_key_impl_wrapped_configILNS1_25lookback_scan_determinismE0ES3_S7_PKfNS0_17constant_iteratorIjlEEPfPlSF_S6_NS0_8equal_toIfEEEE10hipError_tPvRmT2_T3_mT4_T5_T6_T7_T8_P12ihipStream_tbENKUlT_T0_E_clISt17integral_constantIbLb0EESY_IbLb1EEEEDaSU_SV_EUlSU_E_NS1_11comp_targetILNS1_3genE3ELNS1_11target_archE908ELNS1_3gpuE7ELNS1_3repE0EEENS1_30default_config_static_selectorELNS0_4arch9wavefront6targetE1EEEvT1_: ; @_ZN7rocprim17ROCPRIM_400000_NS6detail17trampoline_kernelINS0_14default_configENS1_33run_length_encode_config_selectorIfjNS0_4plusIjEEEEZZNS1_33reduce_by_key_impl_wrapped_configILNS1_25lookback_scan_determinismE0ES3_S7_PKfNS0_17constant_iteratorIjlEEPfPlSF_S6_NS0_8equal_toIfEEEE10hipError_tPvRmT2_T3_mT4_T5_T6_T7_T8_P12ihipStream_tbENKUlT_T0_E_clISt17integral_constantIbLb0EESY_IbLb1EEEEDaSU_SV_EUlSU_E_NS1_11comp_targetILNS1_3genE3ELNS1_11target_archE908ELNS1_3gpuE7ELNS1_3repE0EEENS1_30default_config_static_selectorELNS0_4arch9wavefront6targetE1EEEvT1_
; %bb.0:
	.section	.rodata,"a",@progbits
	.p2align	6, 0x0
	.amdhsa_kernel _ZN7rocprim17ROCPRIM_400000_NS6detail17trampoline_kernelINS0_14default_configENS1_33run_length_encode_config_selectorIfjNS0_4plusIjEEEEZZNS1_33reduce_by_key_impl_wrapped_configILNS1_25lookback_scan_determinismE0ES3_S7_PKfNS0_17constant_iteratorIjlEEPfPlSF_S6_NS0_8equal_toIfEEEE10hipError_tPvRmT2_T3_mT4_T5_T6_T7_T8_P12ihipStream_tbENKUlT_T0_E_clISt17integral_constantIbLb0EESY_IbLb1EEEEDaSU_SV_EUlSU_E_NS1_11comp_targetILNS1_3genE3ELNS1_11target_archE908ELNS1_3gpuE7ELNS1_3repE0EEENS1_30default_config_static_selectorELNS0_4arch9wavefront6targetE1EEEvT1_
		.amdhsa_group_segment_fixed_size 0
		.amdhsa_private_segment_fixed_size 0
		.amdhsa_kernarg_size 128
		.amdhsa_user_sgpr_count 6
		.amdhsa_user_sgpr_private_segment_buffer 1
		.amdhsa_user_sgpr_dispatch_ptr 0
		.amdhsa_user_sgpr_queue_ptr 0
		.amdhsa_user_sgpr_kernarg_segment_ptr 1
		.amdhsa_user_sgpr_dispatch_id 0
		.amdhsa_user_sgpr_flat_scratch_init 0
		.amdhsa_user_sgpr_kernarg_preload_length 0
		.amdhsa_user_sgpr_kernarg_preload_offset 0
		.amdhsa_user_sgpr_private_segment_size 0
		.amdhsa_uses_dynamic_stack 0
		.amdhsa_system_sgpr_private_segment_wavefront_offset 0
		.amdhsa_system_sgpr_workgroup_id_x 1
		.amdhsa_system_sgpr_workgroup_id_y 0
		.amdhsa_system_sgpr_workgroup_id_z 0
		.amdhsa_system_sgpr_workgroup_info 0
		.amdhsa_system_vgpr_workitem_id 0
		.amdhsa_next_free_vgpr 1
		.amdhsa_next_free_sgpr 0
		.amdhsa_accum_offset 4
		.amdhsa_reserve_vcc 0
		.amdhsa_reserve_flat_scratch 0
		.amdhsa_float_round_mode_32 0
		.amdhsa_float_round_mode_16_64 0
		.amdhsa_float_denorm_mode_32 3
		.amdhsa_float_denorm_mode_16_64 3
		.amdhsa_dx10_clamp 1
		.amdhsa_ieee_mode 1
		.amdhsa_fp16_overflow 0
		.amdhsa_tg_split 0
		.amdhsa_exception_fp_ieee_invalid_op 0
		.amdhsa_exception_fp_denorm_src 0
		.amdhsa_exception_fp_ieee_div_zero 0
		.amdhsa_exception_fp_ieee_overflow 0
		.amdhsa_exception_fp_ieee_underflow 0
		.amdhsa_exception_fp_ieee_inexact 0
		.amdhsa_exception_int_div_zero 0
	.end_amdhsa_kernel
	.section	.text._ZN7rocprim17ROCPRIM_400000_NS6detail17trampoline_kernelINS0_14default_configENS1_33run_length_encode_config_selectorIfjNS0_4plusIjEEEEZZNS1_33reduce_by_key_impl_wrapped_configILNS1_25lookback_scan_determinismE0ES3_S7_PKfNS0_17constant_iteratorIjlEEPfPlSF_S6_NS0_8equal_toIfEEEE10hipError_tPvRmT2_T3_mT4_T5_T6_T7_T8_P12ihipStream_tbENKUlT_T0_E_clISt17integral_constantIbLb0EESY_IbLb1EEEEDaSU_SV_EUlSU_E_NS1_11comp_targetILNS1_3genE3ELNS1_11target_archE908ELNS1_3gpuE7ELNS1_3repE0EEENS1_30default_config_static_selectorELNS0_4arch9wavefront6targetE1EEEvT1_,"axG",@progbits,_ZN7rocprim17ROCPRIM_400000_NS6detail17trampoline_kernelINS0_14default_configENS1_33run_length_encode_config_selectorIfjNS0_4plusIjEEEEZZNS1_33reduce_by_key_impl_wrapped_configILNS1_25lookback_scan_determinismE0ES3_S7_PKfNS0_17constant_iteratorIjlEEPfPlSF_S6_NS0_8equal_toIfEEEE10hipError_tPvRmT2_T3_mT4_T5_T6_T7_T8_P12ihipStream_tbENKUlT_T0_E_clISt17integral_constantIbLb0EESY_IbLb1EEEEDaSU_SV_EUlSU_E_NS1_11comp_targetILNS1_3genE3ELNS1_11target_archE908ELNS1_3gpuE7ELNS1_3repE0EEENS1_30default_config_static_selectorELNS0_4arch9wavefront6targetE1EEEvT1_,comdat
.Lfunc_end403:
	.size	_ZN7rocprim17ROCPRIM_400000_NS6detail17trampoline_kernelINS0_14default_configENS1_33run_length_encode_config_selectorIfjNS0_4plusIjEEEEZZNS1_33reduce_by_key_impl_wrapped_configILNS1_25lookback_scan_determinismE0ES3_S7_PKfNS0_17constant_iteratorIjlEEPfPlSF_S6_NS0_8equal_toIfEEEE10hipError_tPvRmT2_T3_mT4_T5_T6_T7_T8_P12ihipStream_tbENKUlT_T0_E_clISt17integral_constantIbLb0EESY_IbLb1EEEEDaSU_SV_EUlSU_E_NS1_11comp_targetILNS1_3genE3ELNS1_11target_archE908ELNS1_3gpuE7ELNS1_3repE0EEENS1_30default_config_static_selectorELNS0_4arch9wavefront6targetE1EEEvT1_, .Lfunc_end403-_ZN7rocprim17ROCPRIM_400000_NS6detail17trampoline_kernelINS0_14default_configENS1_33run_length_encode_config_selectorIfjNS0_4plusIjEEEEZZNS1_33reduce_by_key_impl_wrapped_configILNS1_25lookback_scan_determinismE0ES3_S7_PKfNS0_17constant_iteratorIjlEEPfPlSF_S6_NS0_8equal_toIfEEEE10hipError_tPvRmT2_T3_mT4_T5_T6_T7_T8_P12ihipStream_tbENKUlT_T0_E_clISt17integral_constantIbLb0EESY_IbLb1EEEEDaSU_SV_EUlSU_E_NS1_11comp_targetILNS1_3genE3ELNS1_11target_archE908ELNS1_3gpuE7ELNS1_3repE0EEENS1_30default_config_static_selectorELNS0_4arch9wavefront6targetE1EEEvT1_
                                        ; -- End function
	.section	.AMDGPU.csdata,"",@progbits
; Kernel info:
; codeLenInByte = 0
; NumSgprs: 4
; NumVgprs: 0
; NumAgprs: 0
; TotalNumVgprs: 0
; ScratchSize: 0
; MemoryBound: 0
; FloatMode: 240
; IeeeMode: 1
; LDSByteSize: 0 bytes/workgroup (compile time only)
; SGPRBlocks: 0
; VGPRBlocks: 0
; NumSGPRsForWavesPerEU: 4
; NumVGPRsForWavesPerEU: 1
; AccumOffset: 4
; Occupancy: 8
; WaveLimiterHint : 0
; COMPUTE_PGM_RSRC2:SCRATCH_EN: 0
; COMPUTE_PGM_RSRC2:USER_SGPR: 6
; COMPUTE_PGM_RSRC2:TRAP_HANDLER: 0
; COMPUTE_PGM_RSRC2:TGID_X_EN: 1
; COMPUTE_PGM_RSRC2:TGID_Y_EN: 0
; COMPUTE_PGM_RSRC2:TGID_Z_EN: 0
; COMPUTE_PGM_RSRC2:TIDIG_COMP_CNT: 0
; COMPUTE_PGM_RSRC3_GFX90A:ACCUM_OFFSET: 0
; COMPUTE_PGM_RSRC3_GFX90A:TG_SPLIT: 0
	.section	.text._ZN7rocprim17ROCPRIM_400000_NS6detail17trampoline_kernelINS0_14default_configENS1_33run_length_encode_config_selectorIfjNS0_4plusIjEEEEZZNS1_33reduce_by_key_impl_wrapped_configILNS1_25lookback_scan_determinismE0ES3_S7_PKfNS0_17constant_iteratorIjlEEPfPlSF_S6_NS0_8equal_toIfEEEE10hipError_tPvRmT2_T3_mT4_T5_T6_T7_T8_P12ihipStream_tbENKUlT_T0_E_clISt17integral_constantIbLb0EESY_IbLb1EEEEDaSU_SV_EUlSU_E_NS1_11comp_targetILNS1_3genE2ELNS1_11target_archE906ELNS1_3gpuE6ELNS1_3repE0EEENS1_30default_config_static_selectorELNS0_4arch9wavefront6targetE1EEEvT1_,"axG",@progbits,_ZN7rocprim17ROCPRIM_400000_NS6detail17trampoline_kernelINS0_14default_configENS1_33run_length_encode_config_selectorIfjNS0_4plusIjEEEEZZNS1_33reduce_by_key_impl_wrapped_configILNS1_25lookback_scan_determinismE0ES3_S7_PKfNS0_17constant_iteratorIjlEEPfPlSF_S6_NS0_8equal_toIfEEEE10hipError_tPvRmT2_T3_mT4_T5_T6_T7_T8_P12ihipStream_tbENKUlT_T0_E_clISt17integral_constantIbLb0EESY_IbLb1EEEEDaSU_SV_EUlSU_E_NS1_11comp_targetILNS1_3genE2ELNS1_11target_archE906ELNS1_3gpuE6ELNS1_3repE0EEENS1_30default_config_static_selectorELNS0_4arch9wavefront6targetE1EEEvT1_,comdat
	.protected	_ZN7rocprim17ROCPRIM_400000_NS6detail17trampoline_kernelINS0_14default_configENS1_33run_length_encode_config_selectorIfjNS0_4plusIjEEEEZZNS1_33reduce_by_key_impl_wrapped_configILNS1_25lookback_scan_determinismE0ES3_S7_PKfNS0_17constant_iteratorIjlEEPfPlSF_S6_NS0_8equal_toIfEEEE10hipError_tPvRmT2_T3_mT4_T5_T6_T7_T8_P12ihipStream_tbENKUlT_T0_E_clISt17integral_constantIbLb0EESY_IbLb1EEEEDaSU_SV_EUlSU_E_NS1_11comp_targetILNS1_3genE2ELNS1_11target_archE906ELNS1_3gpuE6ELNS1_3repE0EEENS1_30default_config_static_selectorELNS0_4arch9wavefront6targetE1EEEvT1_ ; -- Begin function _ZN7rocprim17ROCPRIM_400000_NS6detail17trampoline_kernelINS0_14default_configENS1_33run_length_encode_config_selectorIfjNS0_4plusIjEEEEZZNS1_33reduce_by_key_impl_wrapped_configILNS1_25lookback_scan_determinismE0ES3_S7_PKfNS0_17constant_iteratorIjlEEPfPlSF_S6_NS0_8equal_toIfEEEE10hipError_tPvRmT2_T3_mT4_T5_T6_T7_T8_P12ihipStream_tbENKUlT_T0_E_clISt17integral_constantIbLb0EESY_IbLb1EEEEDaSU_SV_EUlSU_E_NS1_11comp_targetILNS1_3genE2ELNS1_11target_archE906ELNS1_3gpuE6ELNS1_3repE0EEENS1_30default_config_static_selectorELNS0_4arch9wavefront6targetE1EEEvT1_
	.globl	_ZN7rocprim17ROCPRIM_400000_NS6detail17trampoline_kernelINS0_14default_configENS1_33run_length_encode_config_selectorIfjNS0_4plusIjEEEEZZNS1_33reduce_by_key_impl_wrapped_configILNS1_25lookback_scan_determinismE0ES3_S7_PKfNS0_17constant_iteratorIjlEEPfPlSF_S6_NS0_8equal_toIfEEEE10hipError_tPvRmT2_T3_mT4_T5_T6_T7_T8_P12ihipStream_tbENKUlT_T0_E_clISt17integral_constantIbLb0EESY_IbLb1EEEEDaSU_SV_EUlSU_E_NS1_11comp_targetILNS1_3genE2ELNS1_11target_archE906ELNS1_3gpuE6ELNS1_3repE0EEENS1_30default_config_static_selectorELNS0_4arch9wavefront6targetE1EEEvT1_
	.p2align	8
	.type	_ZN7rocprim17ROCPRIM_400000_NS6detail17trampoline_kernelINS0_14default_configENS1_33run_length_encode_config_selectorIfjNS0_4plusIjEEEEZZNS1_33reduce_by_key_impl_wrapped_configILNS1_25lookback_scan_determinismE0ES3_S7_PKfNS0_17constant_iteratorIjlEEPfPlSF_S6_NS0_8equal_toIfEEEE10hipError_tPvRmT2_T3_mT4_T5_T6_T7_T8_P12ihipStream_tbENKUlT_T0_E_clISt17integral_constantIbLb0EESY_IbLb1EEEEDaSU_SV_EUlSU_E_NS1_11comp_targetILNS1_3genE2ELNS1_11target_archE906ELNS1_3gpuE6ELNS1_3repE0EEENS1_30default_config_static_selectorELNS0_4arch9wavefront6targetE1EEEvT1_,@function
_ZN7rocprim17ROCPRIM_400000_NS6detail17trampoline_kernelINS0_14default_configENS1_33run_length_encode_config_selectorIfjNS0_4plusIjEEEEZZNS1_33reduce_by_key_impl_wrapped_configILNS1_25lookback_scan_determinismE0ES3_S7_PKfNS0_17constant_iteratorIjlEEPfPlSF_S6_NS0_8equal_toIfEEEE10hipError_tPvRmT2_T3_mT4_T5_T6_T7_T8_P12ihipStream_tbENKUlT_T0_E_clISt17integral_constantIbLb0EESY_IbLb1EEEEDaSU_SV_EUlSU_E_NS1_11comp_targetILNS1_3genE2ELNS1_11target_archE906ELNS1_3gpuE6ELNS1_3repE0EEENS1_30default_config_static_selectorELNS0_4arch9wavefront6targetE1EEEvT1_: ; @_ZN7rocprim17ROCPRIM_400000_NS6detail17trampoline_kernelINS0_14default_configENS1_33run_length_encode_config_selectorIfjNS0_4plusIjEEEEZZNS1_33reduce_by_key_impl_wrapped_configILNS1_25lookback_scan_determinismE0ES3_S7_PKfNS0_17constant_iteratorIjlEEPfPlSF_S6_NS0_8equal_toIfEEEE10hipError_tPvRmT2_T3_mT4_T5_T6_T7_T8_P12ihipStream_tbENKUlT_T0_E_clISt17integral_constantIbLb0EESY_IbLb1EEEEDaSU_SV_EUlSU_E_NS1_11comp_targetILNS1_3genE2ELNS1_11target_archE906ELNS1_3gpuE6ELNS1_3repE0EEENS1_30default_config_static_selectorELNS0_4arch9wavefront6targetE1EEEvT1_
; %bb.0:
	.section	.rodata,"a",@progbits
	.p2align	6, 0x0
	.amdhsa_kernel _ZN7rocprim17ROCPRIM_400000_NS6detail17trampoline_kernelINS0_14default_configENS1_33run_length_encode_config_selectorIfjNS0_4plusIjEEEEZZNS1_33reduce_by_key_impl_wrapped_configILNS1_25lookback_scan_determinismE0ES3_S7_PKfNS0_17constant_iteratorIjlEEPfPlSF_S6_NS0_8equal_toIfEEEE10hipError_tPvRmT2_T3_mT4_T5_T6_T7_T8_P12ihipStream_tbENKUlT_T0_E_clISt17integral_constantIbLb0EESY_IbLb1EEEEDaSU_SV_EUlSU_E_NS1_11comp_targetILNS1_3genE2ELNS1_11target_archE906ELNS1_3gpuE6ELNS1_3repE0EEENS1_30default_config_static_selectorELNS0_4arch9wavefront6targetE1EEEvT1_
		.amdhsa_group_segment_fixed_size 0
		.amdhsa_private_segment_fixed_size 0
		.amdhsa_kernarg_size 128
		.amdhsa_user_sgpr_count 6
		.amdhsa_user_sgpr_private_segment_buffer 1
		.amdhsa_user_sgpr_dispatch_ptr 0
		.amdhsa_user_sgpr_queue_ptr 0
		.amdhsa_user_sgpr_kernarg_segment_ptr 1
		.amdhsa_user_sgpr_dispatch_id 0
		.amdhsa_user_sgpr_flat_scratch_init 0
		.amdhsa_user_sgpr_kernarg_preload_length 0
		.amdhsa_user_sgpr_kernarg_preload_offset 0
		.amdhsa_user_sgpr_private_segment_size 0
		.amdhsa_uses_dynamic_stack 0
		.amdhsa_system_sgpr_private_segment_wavefront_offset 0
		.amdhsa_system_sgpr_workgroup_id_x 1
		.amdhsa_system_sgpr_workgroup_id_y 0
		.amdhsa_system_sgpr_workgroup_id_z 0
		.amdhsa_system_sgpr_workgroup_info 0
		.amdhsa_system_vgpr_workitem_id 0
		.amdhsa_next_free_vgpr 1
		.amdhsa_next_free_sgpr 0
		.amdhsa_accum_offset 4
		.amdhsa_reserve_vcc 0
		.amdhsa_reserve_flat_scratch 0
		.amdhsa_float_round_mode_32 0
		.amdhsa_float_round_mode_16_64 0
		.amdhsa_float_denorm_mode_32 3
		.amdhsa_float_denorm_mode_16_64 3
		.amdhsa_dx10_clamp 1
		.amdhsa_ieee_mode 1
		.amdhsa_fp16_overflow 0
		.amdhsa_tg_split 0
		.amdhsa_exception_fp_ieee_invalid_op 0
		.amdhsa_exception_fp_denorm_src 0
		.amdhsa_exception_fp_ieee_div_zero 0
		.amdhsa_exception_fp_ieee_overflow 0
		.amdhsa_exception_fp_ieee_underflow 0
		.amdhsa_exception_fp_ieee_inexact 0
		.amdhsa_exception_int_div_zero 0
	.end_amdhsa_kernel
	.section	.text._ZN7rocprim17ROCPRIM_400000_NS6detail17trampoline_kernelINS0_14default_configENS1_33run_length_encode_config_selectorIfjNS0_4plusIjEEEEZZNS1_33reduce_by_key_impl_wrapped_configILNS1_25lookback_scan_determinismE0ES3_S7_PKfNS0_17constant_iteratorIjlEEPfPlSF_S6_NS0_8equal_toIfEEEE10hipError_tPvRmT2_T3_mT4_T5_T6_T7_T8_P12ihipStream_tbENKUlT_T0_E_clISt17integral_constantIbLb0EESY_IbLb1EEEEDaSU_SV_EUlSU_E_NS1_11comp_targetILNS1_3genE2ELNS1_11target_archE906ELNS1_3gpuE6ELNS1_3repE0EEENS1_30default_config_static_selectorELNS0_4arch9wavefront6targetE1EEEvT1_,"axG",@progbits,_ZN7rocprim17ROCPRIM_400000_NS6detail17trampoline_kernelINS0_14default_configENS1_33run_length_encode_config_selectorIfjNS0_4plusIjEEEEZZNS1_33reduce_by_key_impl_wrapped_configILNS1_25lookback_scan_determinismE0ES3_S7_PKfNS0_17constant_iteratorIjlEEPfPlSF_S6_NS0_8equal_toIfEEEE10hipError_tPvRmT2_T3_mT4_T5_T6_T7_T8_P12ihipStream_tbENKUlT_T0_E_clISt17integral_constantIbLb0EESY_IbLb1EEEEDaSU_SV_EUlSU_E_NS1_11comp_targetILNS1_3genE2ELNS1_11target_archE906ELNS1_3gpuE6ELNS1_3repE0EEENS1_30default_config_static_selectorELNS0_4arch9wavefront6targetE1EEEvT1_,comdat
.Lfunc_end404:
	.size	_ZN7rocprim17ROCPRIM_400000_NS6detail17trampoline_kernelINS0_14default_configENS1_33run_length_encode_config_selectorIfjNS0_4plusIjEEEEZZNS1_33reduce_by_key_impl_wrapped_configILNS1_25lookback_scan_determinismE0ES3_S7_PKfNS0_17constant_iteratorIjlEEPfPlSF_S6_NS0_8equal_toIfEEEE10hipError_tPvRmT2_T3_mT4_T5_T6_T7_T8_P12ihipStream_tbENKUlT_T0_E_clISt17integral_constantIbLb0EESY_IbLb1EEEEDaSU_SV_EUlSU_E_NS1_11comp_targetILNS1_3genE2ELNS1_11target_archE906ELNS1_3gpuE6ELNS1_3repE0EEENS1_30default_config_static_selectorELNS0_4arch9wavefront6targetE1EEEvT1_, .Lfunc_end404-_ZN7rocprim17ROCPRIM_400000_NS6detail17trampoline_kernelINS0_14default_configENS1_33run_length_encode_config_selectorIfjNS0_4plusIjEEEEZZNS1_33reduce_by_key_impl_wrapped_configILNS1_25lookback_scan_determinismE0ES3_S7_PKfNS0_17constant_iteratorIjlEEPfPlSF_S6_NS0_8equal_toIfEEEE10hipError_tPvRmT2_T3_mT4_T5_T6_T7_T8_P12ihipStream_tbENKUlT_T0_E_clISt17integral_constantIbLb0EESY_IbLb1EEEEDaSU_SV_EUlSU_E_NS1_11comp_targetILNS1_3genE2ELNS1_11target_archE906ELNS1_3gpuE6ELNS1_3repE0EEENS1_30default_config_static_selectorELNS0_4arch9wavefront6targetE1EEEvT1_
                                        ; -- End function
	.section	.AMDGPU.csdata,"",@progbits
; Kernel info:
; codeLenInByte = 0
; NumSgprs: 4
; NumVgprs: 0
; NumAgprs: 0
; TotalNumVgprs: 0
; ScratchSize: 0
; MemoryBound: 0
; FloatMode: 240
; IeeeMode: 1
; LDSByteSize: 0 bytes/workgroup (compile time only)
; SGPRBlocks: 0
; VGPRBlocks: 0
; NumSGPRsForWavesPerEU: 4
; NumVGPRsForWavesPerEU: 1
; AccumOffset: 4
; Occupancy: 8
; WaveLimiterHint : 0
; COMPUTE_PGM_RSRC2:SCRATCH_EN: 0
; COMPUTE_PGM_RSRC2:USER_SGPR: 6
; COMPUTE_PGM_RSRC2:TRAP_HANDLER: 0
; COMPUTE_PGM_RSRC2:TGID_X_EN: 1
; COMPUTE_PGM_RSRC2:TGID_Y_EN: 0
; COMPUTE_PGM_RSRC2:TGID_Z_EN: 0
; COMPUTE_PGM_RSRC2:TIDIG_COMP_CNT: 0
; COMPUTE_PGM_RSRC3_GFX90A:ACCUM_OFFSET: 0
; COMPUTE_PGM_RSRC3_GFX90A:TG_SPLIT: 0
	.section	.text._ZN7rocprim17ROCPRIM_400000_NS6detail17trampoline_kernelINS0_14default_configENS1_33run_length_encode_config_selectorIfjNS0_4plusIjEEEEZZNS1_33reduce_by_key_impl_wrapped_configILNS1_25lookback_scan_determinismE0ES3_S7_PKfNS0_17constant_iteratorIjlEEPfPlSF_S6_NS0_8equal_toIfEEEE10hipError_tPvRmT2_T3_mT4_T5_T6_T7_T8_P12ihipStream_tbENKUlT_T0_E_clISt17integral_constantIbLb0EESY_IbLb1EEEEDaSU_SV_EUlSU_E_NS1_11comp_targetILNS1_3genE10ELNS1_11target_archE1201ELNS1_3gpuE5ELNS1_3repE0EEENS1_30default_config_static_selectorELNS0_4arch9wavefront6targetE1EEEvT1_,"axG",@progbits,_ZN7rocprim17ROCPRIM_400000_NS6detail17trampoline_kernelINS0_14default_configENS1_33run_length_encode_config_selectorIfjNS0_4plusIjEEEEZZNS1_33reduce_by_key_impl_wrapped_configILNS1_25lookback_scan_determinismE0ES3_S7_PKfNS0_17constant_iteratorIjlEEPfPlSF_S6_NS0_8equal_toIfEEEE10hipError_tPvRmT2_T3_mT4_T5_T6_T7_T8_P12ihipStream_tbENKUlT_T0_E_clISt17integral_constantIbLb0EESY_IbLb1EEEEDaSU_SV_EUlSU_E_NS1_11comp_targetILNS1_3genE10ELNS1_11target_archE1201ELNS1_3gpuE5ELNS1_3repE0EEENS1_30default_config_static_selectorELNS0_4arch9wavefront6targetE1EEEvT1_,comdat
	.protected	_ZN7rocprim17ROCPRIM_400000_NS6detail17trampoline_kernelINS0_14default_configENS1_33run_length_encode_config_selectorIfjNS0_4plusIjEEEEZZNS1_33reduce_by_key_impl_wrapped_configILNS1_25lookback_scan_determinismE0ES3_S7_PKfNS0_17constant_iteratorIjlEEPfPlSF_S6_NS0_8equal_toIfEEEE10hipError_tPvRmT2_T3_mT4_T5_T6_T7_T8_P12ihipStream_tbENKUlT_T0_E_clISt17integral_constantIbLb0EESY_IbLb1EEEEDaSU_SV_EUlSU_E_NS1_11comp_targetILNS1_3genE10ELNS1_11target_archE1201ELNS1_3gpuE5ELNS1_3repE0EEENS1_30default_config_static_selectorELNS0_4arch9wavefront6targetE1EEEvT1_ ; -- Begin function _ZN7rocprim17ROCPRIM_400000_NS6detail17trampoline_kernelINS0_14default_configENS1_33run_length_encode_config_selectorIfjNS0_4plusIjEEEEZZNS1_33reduce_by_key_impl_wrapped_configILNS1_25lookback_scan_determinismE0ES3_S7_PKfNS0_17constant_iteratorIjlEEPfPlSF_S6_NS0_8equal_toIfEEEE10hipError_tPvRmT2_T3_mT4_T5_T6_T7_T8_P12ihipStream_tbENKUlT_T0_E_clISt17integral_constantIbLb0EESY_IbLb1EEEEDaSU_SV_EUlSU_E_NS1_11comp_targetILNS1_3genE10ELNS1_11target_archE1201ELNS1_3gpuE5ELNS1_3repE0EEENS1_30default_config_static_selectorELNS0_4arch9wavefront6targetE1EEEvT1_
	.globl	_ZN7rocprim17ROCPRIM_400000_NS6detail17trampoline_kernelINS0_14default_configENS1_33run_length_encode_config_selectorIfjNS0_4plusIjEEEEZZNS1_33reduce_by_key_impl_wrapped_configILNS1_25lookback_scan_determinismE0ES3_S7_PKfNS0_17constant_iteratorIjlEEPfPlSF_S6_NS0_8equal_toIfEEEE10hipError_tPvRmT2_T3_mT4_T5_T6_T7_T8_P12ihipStream_tbENKUlT_T0_E_clISt17integral_constantIbLb0EESY_IbLb1EEEEDaSU_SV_EUlSU_E_NS1_11comp_targetILNS1_3genE10ELNS1_11target_archE1201ELNS1_3gpuE5ELNS1_3repE0EEENS1_30default_config_static_selectorELNS0_4arch9wavefront6targetE1EEEvT1_
	.p2align	8
	.type	_ZN7rocprim17ROCPRIM_400000_NS6detail17trampoline_kernelINS0_14default_configENS1_33run_length_encode_config_selectorIfjNS0_4plusIjEEEEZZNS1_33reduce_by_key_impl_wrapped_configILNS1_25lookback_scan_determinismE0ES3_S7_PKfNS0_17constant_iteratorIjlEEPfPlSF_S6_NS0_8equal_toIfEEEE10hipError_tPvRmT2_T3_mT4_T5_T6_T7_T8_P12ihipStream_tbENKUlT_T0_E_clISt17integral_constantIbLb0EESY_IbLb1EEEEDaSU_SV_EUlSU_E_NS1_11comp_targetILNS1_3genE10ELNS1_11target_archE1201ELNS1_3gpuE5ELNS1_3repE0EEENS1_30default_config_static_selectorELNS0_4arch9wavefront6targetE1EEEvT1_,@function
_ZN7rocprim17ROCPRIM_400000_NS6detail17trampoline_kernelINS0_14default_configENS1_33run_length_encode_config_selectorIfjNS0_4plusIjEEEEZZNS1_33reduce_by_key_impl_wrapped_configILNS1_25lookback_scan_determinismE0ES3_S7_PKfNS0_17constant_iteratorIjlEEPfPlSF_S6_NS0_8equal_toIfEEEE10hipError_tPvRmT2_T3_mT4_T5_T6_T7_T8_P12ihipStream_tbENKUlT_T0_E_clISt17integral_constantIbLb0EESY_IbLb1EEEEDaSU_SV_EUlSU_E_NS1_11comp_targetILNS1_3genE10ELNS1_11target_archE1201ELNS1_3gpuE5ELNS1_3repE0EEENS1_30default_config_static_selectorELNS0_4arch9wavefront6targetE1EEEvT1_: ; @_ZN7rocprim17ROCPRIM_400000_NS6detail17trampoline_kernelINS0_14default_configENS1_33run_length_encode_config_selectorIfjNS0_4plusIjEEEEZZNS1_33reduce_by_key_impl_wrapped_configILNS1_25lookback_scan_determinismE0ES3_S7_PKfNS0_17constant_iteratorIjlEEPfPlSF_S6_NS0_8equal_toIfEEEE10hipError_tPvRmT2_T3_mT4_T5_T6_T7_T8_P12ihipStream_tbENKUlT_T0_E_clISt17integral_constantIbLb0EESY_IbLb1EEEEDaSU_SV_EUlSU_E_NS1_11comp_targetILNS1_3genE10ELNS1_11target_archE1201ELNS1_3gpuE5ELNS1_3repE0EEENS1_30default_config_static_selectorELNS0_4arch9wavefront6targetE1EEEvT1_
; %bb.0:
	.section	.rodata,"a",@progbits
	.p2align	6, 0x0
	.amdhsa_kernel _ZN7rocprim17ROCPRIM_400000_NS6detail17trampoline_kernelINS0_14default_configENS1_33run_length_encode_config_selectorIfjNS0_4plusIjEEEEZZNS1_33reduce_by_key_impl_wrapped_configILNS1_25lookback_scan_determinismE0ES3_S7_PKfNS0_17constant_iteratorIjlEEPfPlSF_S6_NS0_8equal_toIfEEEE10hipError_tPvRmT2_T3_mT4_T5_T6_T7_T8_P12ihipStream_tbENKUlT_T0_E_clISt17integral_constantIbLb0EESY_IbLb1EEEEDaSU_SV_EUlSU_E_NS1_11comp_targetILNS1_3genE10ELNS1_11target_archE1201ELNS1_3gpuE5ELNS1_3repE0EEENS1_30default_config_static_selectorELNS0_4arch9wavefront6targetE1EEEvT1_
		.amdhsa_group_segment_fixed_size 0
		.amdhsa_private_segment_fixed_size 0
		.amdhsa_kernarg_size 128
		.amdhsa_user_sgpr_count 6
		.amdhsa_user_sgpr_private_segment_buffer 1
		.amdhsa_user_sgpr_dispatch_ptr 0
		.amdhsa_user_sgpr_queue_ptr 0
		.amdhsa_user_sgpr_kernarg_segment_ptr 1
		.amdhsa_user_sgpr_dispatch_id 0
		.amdhsa_user_sgpr_flat_scratch_init 0
		.amdhsa_user_sgpr_kernarg_preload_length 0
		.amdhsa_user_sgpr_kernarg_preload_offset 0
		.amdhsa_user_sgpr_private_segment_size 0
		.amdhsa_uses_dynamic_stack 0
		.amdhsa_system_sgpr_private_segment_wavefront_offset 0
		.amdhsa_system_sgpr_workgroup_id_x 1
		.amdhsa_system_sgpr_workgroup_id_y 0
		.amdhsa_system_sgpr_workgroup_id_z 0
		.amdhsa_system_sgpr_workgroup_info 0
		.amdhsa_system_vgpr_workitem_id 0
		.amdhsa_next_free_vgpr 1
		.amdhsa_next_free_sgpr 0
		.amdhsa_accum_offset 4
		.amdhsa_reserve_vcc 0
		.amdhsa_reserve_flat_scratch 0
		.amdhsa_float_round_mode_32 0
		.amdhsa_float_round_mode_16_64 0
		.amdhsa_float_denorm_mode_32 3
		.amdhsa_float_denorm_mode_16_64 3
		.amdhsa_dx10_clamp 1
		.amdhsa_ieee_mode 1
		.amdhsa_fp16_overflow 0
		.amdhsa_tg_split 0
		.amdhsa_exception_fp_ieee_invalid_op 0
		.amdhsa_exception_fp_denorm_src 0
		.amdhsa_exception_fp_ieee_div_zero 0
		.amdhsa_exception_fp_ieee_overflow 0
		.amdhsa_exception_fp_ieee_underflow 0
		.amdhsa_exception_fp_ieee_inexact 0
		.amdhsa_exception_int_div_zero 0
	.end_amdhsa_kernel
	.section	.text._ZN7rocprim17ROCPRIM_400000_NS6detail17trampoline_kernelINS0_14default_configENS1_33run_length_encode_config_selectorIfjNS0_4plusIjEEEEZZNS1_33reduce_by_key_impl_wrapped_configILNS1_25lookback_scan_determinismE0ES3_S7_PKfNS0_17constant_iteratorIjlEEPfPlSF_S6_NS0_8equal_toIfEEEE10hipError_tPvRmT2_T3_mT4_T5_T6_T7_T8_P12ihipStream_tbENKUlT_T0_E_clISt17integral_constantIbLb0EESY_IbLb1EEEEDaSU_SV_EUlSU_E_NS1_11comp_targetILNS1_3genE10ELNS1_11target_archE1201ELNS1_3gpuE5ELNS1_3repE0EEENS1_30default_config_static_selectorELNS0_4arch9wavefront6targetE1EEEvT1_,"axG",@progbits,_ZN7rocprim17ROCPRIM_400000_NS6detail17trampoline_kernelINS0_14default_configENS1_33run_length_encode_config_selectorIfjNS0_4plusIjEEEEZZNS1_33reduce_by_key_impl_wrapped_configILNS1_25lookback_scan_determinismE0ES3_S7_PKfNS0_17constant_iteratorIjlEEPfPlSF_S6_NS0_8equal_toIfEEEE10hipError_tPvRmT2_T3_mT4_T5_T6_T7_T8_P12ihipStream_tbENKUlT_T0_E_clISt17integral_constantIbLb0EESY_IbLb1EEEEDaSU_SV_EUlSU_E_NS1_11comp_targetILNS1_3genE10ELNS1_11target_archE1201ELNS1_3gpuE5ELNS1_3repE0EEENS1_30default_config_static_selectorELNS0_4arch9wavefront6targetE1EEEvT1_,comdat
.Lfunc_end405:
	.size	_ZN7rocprim17ROCPRIM_400000_NS6detail17trampoline_kernelINS0_14default_configENS1_33run_length_encode_config_selectorIfjNS0_4plusIjEEEEZZNS1_33reduce_by_key_impl_wrapped_configILNS1_25lookback_scan_determinismE0ES3_S7_PKfNS0_17constant_iteratorIjlEEPfPlSF_S6_NS0_8equal_toIfEEEE10hipError_tPvRmT2_T3_mT4_T5_T6_T7_T8_P12ihipStream_tbENKUlT_T0_E_clISt17integral_constantIbLb0EESY_IbLb1EEEEDaSU_SV_EUlSU_E_NS1_11comp_targetILNS1_3genE10ELNS1_11target_archE1201ELNS1_3gpuE5ELNS1_3repE0EEENS1_30default_config_static_selectorELNS0_4arch9wavefront6targetE1EEEvT1_, .Lfunc_end405-_ZN7rocprim17ROCPRIM_400000_NS6detail17trampoline_kernelINS0_14default_configENS1_33run_length_encode_config_selectorIfjNS0_4plusIjEEEEZZNS1_33reduce_by_key_impl_wrapped_configILNS1_25lookback_scan_determinismE0ES3_S7_PKfNS0_17constant_iteratorIjlEEPfPlSF_S6_NS0_8equal_toIfEEEE10hipError_tPvRmT2_T3_mT4_T5_T6_T7_T8_P12ihipStream_tbENKUlT_T0_E_clISt17integral_constantIbLb0EESY_IbLb1EEEEDaSU_SV_EUlSU_E_NS1_11comp_targetILNS1_3genE10ELNS1_11target_archE1201ELNS1_3gpuE5ELNS1_3repE0EEENS1_30default_config_static_selectorELNS0_4arch9wavefront6targetE1EEEvT1_
                                        ; -- End function
	.section	.AMDGPU.csdata,"",@progbits
; Kernel info:
; codeLenInByte = 0
; NumSgprs: 4
; NumVgprs: 0
; NumAgprs: 0
; TotalNumVgprs: 0
; ScratchSize: 0
; MemoryBound: 0
; FloatMode: 240
; IeeeMode: 1
; LDSByteSize: 0 bytes/workgroup (compile time only)
; SGPRBlocks: 0
; VGPRBlocks: 0
; NumSGPRsForWavesPerEU: 4
; NumVGPRsForWavesPerEU: 1
; AccumOffset: 4
; Occupancy: 8
; WaveLimiterHint : 0
; COMPUTE_PGM_RSRC2:SCRATCH_EN: 0
; COMPUTE_PGM_RSRC2:USER_SGPR: 6
; COMPUTE_PGM_RSRC2:TRAP_HANDLER: 0
; COMPUTE_PGM_RSRC2:TGID_X_EN: 1
; COMPUTE_PGM_RSRC2:TGID_Y_EN: 0
; COMPUTE_PGM_RSRC2:TGID_Z_EN: 0
; COMPUTE_PGM_RSRC2:TIDIG_COMP_CNT: 0
; COMPUTE_PGM_RSRC3_GFX90A:ACCUM_OFFSET: 0
; COMPUTE_PGM_RSRC3_GFX90A:TG_SPLIT: 0
	.section	.text._ZN7rocprim17ROCPRIM_400000_NS6detail17trampoline_kernelINS0_14default_configENS1_33run_length_encode_config_selectorIfjNS0_4plusIjEEEEZZNS1_33reduce_by_key_impl_wrapped_configILNS1_25lookback_scan_determinismE0ES3_S7_PKfNS0_17constant_iteratorIjlEEPfPlSF_S6_NS0_8equal_toIfEEEE10hipError_tPvRmT2_T3_mT4_T5_T6_T7_T8_P12ihipStream_tbENKUlT_T0_E_clISt17integral_constantIbLb0EESY_IbLb1EEEEDaSU_SV_EUlSU_E_NS1_11comp_targetILNS1_3genE10ELNS1_11target_archE1200ELNS1_3gpuE4ELNS1_3repE0EEENS1_30default_config_static_selectorELNS0_4arch9wavefront6targetE1EEEvT1_,"axG",@progbits,_ZN7rocprim17ROCPRIM_400000_NS6detail17trampoline_kernelINS0_14default_configENS1_33run_length_encode_config_selectorIfjNS0_4plusIjEEEEZZNS1_33reduce_by_key_impl_wrapped_configILNS1_25lookback_scan_determinismE0ES3_S7_PKfNS0_17constant_iteratorIjlEEPfPlSF_S6_NS0_8equal_toIfEEEE10hipError_tPvRmT2_T3_mT4_T5_T6_T7_T8_P12ihipStream_tbENKUlT_T0_E_clISt17integral_constantIbLb0EESY_IbLb1EEEEDaSU_SV_EUlSU_E_NS1_11comp_targetILNS1_3genE10ELNS1_11target_archE1200ELNS1_3gpuE4ELNS1_3repE0EEENS1_30default_config_static_selectorELNS0_4arch9wavefront6targetE1EEEvT1_,comdat
	.protected	_ZN7rocprim17ROCPRIM_400000_NS6detail17trampoline_kernelINS0_14default_configENS1_33run_length_encode_config_selectorIfjNS0_4plusIjEEEEZZNS1_33reduce_by_key_impl_wrapped_configILNS1_25lookback_scan_determinismE0ES3_S7_PKfNS0_17constant_iteratorIjlEEPfPlSF_S6_NS0_8equal_toIfEEEE10hipError_tPvRmT2_T3_mT4_T5_T6_T7_T8_P12ihipStream_tbENKUlT_T0_E_clISt17integral_constantIbLb0EESY_IbLb1EEEEDaSU_SV_EUlSU_E_NS1_11comp_targetILNS1_3genE10ELNS1_11target_archE1200ELNS1_3gpuE4ELNS1_3repE0EEENS1_30default_config_static_selectorELNS0_4arch9wavefront6targetE1EEEvT1_ ; -- Begin function _ZN7rocprim17ROCPRIM_400000_NS6detail17trampoline_kernelINS0_14default_configENS1_33run_length_encode_config_selectorIfjNS0_4plusIjEEEEZZNS1_33reduce_by_key_impl_wrapped_configILNS1_25lookback_scan_determinismE0ES3_S7_PKfNS0_17constant_iteratorIjlEEPfPlSF_S6_NS0_8equal_toIfEEEE10hipError_tPvRmT2_T3_mT4_T5_T6_T7_T8_P12ihipStream_tbENKUlT_T0_E_clISt17integral_constantIbLb0EESY_IbLb1EEEEDaSU_SV_EUlSU_E_NS1_11comp_targetILNS1_3genE10ELNS1_11target_archE1200ELNS1_3gpuE4ELNS1_3repE0EEENS1_30default_config_static_selectorELNS0_4arch9wavefront6targetE1EEEvT1_
	.globl	_ZN7rocprim17ROCPRIM_400000_NS6detail17trampoline_kernelINS0_14default_configENS1_33run_length_encode_config_selectorIfjNS0_4plusIjEEEEZZNS1_33reduce_by_key_impl_wrapped_configILNS1_25lookback_scan_determinismE0ES3_S7_PKfNS0_17constant_iteratorIjlEEPfPlSF_S6_NS0_8equal_toIfEEEE10hipError_tPvRmT2_T3_mT4_T5_T6_T7_T8_P12ihipStream_tbENKUlT_T0_E_clISt17integral_constantIbLb0EESY_IbLb1EEEEDaSU_SV_EUlSU_E_NS1_11comp_targetILNS1_3genE10ELNS1_11target_archE1200ELNS1_3gpuE4ELNS1_3repE0EEENS1_30default_config_static_selectorELNS0_4arch9wavefront6targetE1EEEvT1_
	.p2align	8
	.type	_ZN7rocprim17ROCPRIM_400000_NS6detail17trampoline_kernelINS0_14default_configENS1_33run_length_encode_config_selectorIfjNS0_4plusIjEEEEZZNS1_33reduce_by_key_impl_wrapped_configILNS1_25lookback_scan_determinismE0ES3_S7_PKfNS0_17constant_iteratorIjlEEPfPlSF_S6_NS0_8equal_toIfEEEE10hipError_tPvRmT2_T3_mT4_T5_T6_T7_T8_P12ihipStream_tbENKUlT_T0_E_clISt17integral_constantIbLb0EESY_IbLb1EEEEDaSU_SV_EUlSU_E_NS1_11comp_targetILNS1_3genE10ELNS1_11target_archE1200ELNS1_3gpuE4ELNS1_3repE0EEENS1_30default_config_static_selectorELNS0_4arch9wavefront6targetE1EEEvT1_,@function
_ZN7rocprim17ROCPRIM_400000_NS6detail17trampoline_kernelINS0_14default_configENS1_33run_length_encode_config_selectorIfjNS0_4plusIjEEEEZZNS1_33reduce_by_key_impl_wrapped_configILNS1_25lookback_scan_determinismE0ES3_S7_PKfNS0_17constant_iteratorIjlEEPfPlSF_S6_NS0_8equal_toIfEEEE10hipError_tPvRmT2_T3_mT4_T5_T6_T7_T8_P12ihipStream_tbENKUlT_T0_E_clISt17integral_constantIbLb0EESY_IbLb1EEEEDaSU_SV_EUlSU_E_NS1_11comp_targetILNS1_3genE10ELNS1_11target_archE1200ELNS1_3gpuE4ELNS1_3repE0EEENS1_30default_config_static_selectorELNS0_4arch9wavefront6targetE1EEEvT1_: ; @_ZN7rocprim17ROCPRIM_400000_NS6detail17trampoline_kernelINS0_14default_configENS1_33run_length_encode_config_selectorIfjNS0_4plusIjEEEEZZNS1_33reduce_by_key_impl_wrapped_configILNS1_25lookback_scan_determinismE0ES3_S7_PKfNS0_17constant_iteratorIjlEEPfPlSF_S6_NS0_8equal_toIfEEEE10hipError_tPvRmT2_T3_mT4_T5_T6_T7_T8_P12ihipStream_tbENKUlT_T0_E_clISt17integral_constantIbLb0EESY_IbLb1EEEEDaSU_SV_EUlSU_E_NS1_11comp_targetILNS1_3genE10ELNS1_11target_archE1200ELNS1_3gpuE4ELNS1_3repE0EEENS1_30default_config_static_selectorELNS0_4arch9wavefront6targetE1EEEvT1_
; %bb.0:
	.section	.rodata,"a",@progbits
	.p2align	6, 0x0
	.amdhsa_kernel _ZN7rocprim17ROCPRIM_400000_NS6detail17trampoline_kernelINS0_14default_configENS1_33run_length_encode_config_selectorIfjNS0_4plusIjEEEEZZNS1_33reduce_by_key_impl_wrapped_configILNS1_25lookback_scan_determinismE0ES3_S7_PKfNS0_17constant_iteratorIjlEEPfPlSF_S6_NS0_8equal_toIfEEEE10hipError_tPvRmT2_T3_mT4_T5_T6_T7_T8_P12ihipStream_tbENKUlT_T0_E_clISt17integral_constantIbLb0EESY_IbLb1EEEEDaSU_SV_EUlSU_E_NS1_11comp_targetILNS1_3genE10ELNS1_11target_archE1200ELNS1_3gpuE4ELNS1_3repE0EEENS1_30default_config_static_selectorELNS0_4arch9wavefront6targetE1EEEvT1_
		.amdhsa_group_segment_fixed_size 0
		.amdhsa_private_segment_fixed_size 0
		.amdhsa_kernarg_size 128
		.amdhsa_user_sgpr_count 6
		.amdhsa_user_sgpr_private_segment_buffer 1
		.amdhsa_user_sgpr_dispatch_ptr 0
		.amdhsa_user_sgpr_queue_ptr 0
		.amdhsa_user_sgpr_kernarg_segment_ptr 1
		.amdhsa_user_sgpr_dispatch_id 0
		.amdhsa_user_sgpr_flat_scratch_init 0
		.amdhsa_user_sgpr_kernarg_preload_length 0
		.amdhsa_user_sgpr_kernarg_preload_offset 0
		.amdhsa_user_sgpr_private_segment_size 0
		.amdhsa_uses_dynamic_stack 0
		.amdhsa_system_sgpr_private_segment_wavefront_offset 0
		.amdhsa_system_sgpr_workgroup_id_x 1
		.amdhsa_system_sgpr_workgroup_id_y 0
		.amdhsa_system_sgpr_workgroup_id_z 0
		.amdhsa_system_sgpr_workgroup_info 0
		.amdhsa_system_vgpr_workitem_id 0
		.amdhsa_next_free_vgpr 1
		.amdhsa_next_free_sgpr 0
		.amdhsa_accum_offset 4
		.amdhsa_reserve_vcc 0
		.amdhsa_reserve_flat_scratch 0
		.amdhsa_float_round_mode_32 0
		.amdhsa_float_round_mode_16_64 0
		.amdhsa_float_denorm_mode_32 3
		.amdhsa_float_denorm_mode_16_64 3
		.amdhsa_dx10_clamp 1
		.amdhsa_ieee_mode 1
		.amdhsa_fp16_overflow 0
		.amdhsa_tg_split 0
		.amdhsa_exception_fp_ieee_invalid_op 0
		.amdhsa_exception_fp_denorm_src 0
		.amdhsa_exception_fp_ieee_div_zero 0
		.amdhsa_exception_fp_ieee_overflow 0
		.amdhsa_exception_fp_ieee_underflow 0
		.amdhsa_exception_fp_ieee_inexact 0
		.amdhsa_exception_int_div_zero 0
	.end_amdhsa_kernel
	.section	.text._ZN7rocprim17ROCPRIM_400000_NS6detail17trampoline_kernelINS0_14default_configENS1_33run_length_encode_config_selectorIfjNS0_4plusIjEEEEZZNS1_33reduce_by_key_impl_wrapped_configILNS1_25lookback_scan_determinismE0ES3_S7_PKfNS0_17constant_iteratorIjlEEPfPlSF_S6_NS0_8equal_toIfEEEE10hipError_tPvRmT2_T3_mT4_T5_T6_T7_T8_P12ihipStream_tbENKUlT_T0_E_clISt17integral_constantIbLb0EESY_IbLb1EEEEDaSU_SV_EUlSU_E_NS1_11comp_targetILNS1_3genE10ELNS1_11target_archE1200ELNS1_3gpuE4ELNS1_3repE0EEENS1_30default_config_static_selectorELNS0_4arch9wavefront6targetE1EEEvT1_,"axG",@progbits,_ZN7rocprim17ROCPRIM_400000_NS6detail17trampoline_kernelINS0_14default_configENS1_33run_length_encode_config_selectorIfjNS0_4plusIjEEEEZZNS1_33reduce_by_key_impl_wrapped_configILNS1_25lookback_scan_determinismE0ES3_S7_PKfNS0_17constant_iteratorIjlEEPfPlSF_S6_NS0_8equal_toIfEEEE10hipError_tPvRmT2_T3_mT4_T5_T6_T7_T8_P12ihipStream_tbENKUlT_T0_E_clISt17integral_constantIbLb0EESY_IbLb1EEEEDaSU_SV_EUlSU_E_NS1_11comp_targetILNS1_3genE10ELNS1_11target_archE1200ELNS1_3gpuE4ELNS1_3repE0EEENS1_30default_config_static_selectorELNS0_4arch9wavefront6targetE1EEEvT1_,comdat
.Lfunc_end406:
	.size	_ZN7rocprim17ROCPRIM_400000_NS6detail17trampoline_kernelINS0_14default_configENS1_33run_length_encode_config_selectorIfjNS0_4plusIjEEEEZZNS1_33reduce_by_key_impl_wrapped_configILNS1_25lookback_scan_determinismE0ES3_S7_PKfNS0_17constant_iteratorIjlEEPfPlSF_S6_NS0_8equal_toIfEEEE10hipError_tPvRmT2_T3_mT4_T5_T6_T7_T8_P12ihipStream_tbENKUlT_T0_E_clISt17integral_constantIbLb0EESY_IbLb1EEEEDaSU_SV_EUlSU_E_NS1_11comp_targetILNS1_3genE10ELNS1_11target_archE1200ELNS1_3gpuE4ELNS1_3repE0EEENS1_30default_config_static_selectorELNS0_4arch9wavefront6targetE1EEEvT1_, .Lfunc_end406-_ZN7rocprim17ROCPRIM_400000_NS6detail17trampoline_kernelINS0_14default_configENS1_33run_length_encode_config_selectorIfjNS0_4plusIjEEEEZZNS1_33reduce_by_key_impl_wrapped_configILNS1_25lookback_scan_determinismE0ES3_S7_PKfNS0_17constant_iteratorIjlEEPfPlSF_S6_NS0_8equal_toIfEEEE10hipError_tPvRmT2_T3_mT4_T5_T6_T7_T8_P12ihipStream_tbENKUlT_T0_E_clISt17integral_constantIbLb0EESY_IbLb1EEEEDaSU_SV_EUlSU_E_NS1_11comp_targetILNS1_3genE10ELNS1_11target_archE1200ELNS1_3gpuE4ELNS1_3repE0EEENS1_30default_config_static_selectorELNS0_4arch9wavefront6targetE1EEEvT1_
                                        ; -- End function
	.section	.AMDGPU.csdata,"",@progbits
; Kernel info:
; codeLenInByte = 0
; NumSgprs: 4
; NumVgprs: 0
; NumAgprs: 0
; TotalNumVgprs: 0
; ScratchSize: 0
; MemoryBound: 0
; FloatMode: 240
; IeeeMode: 1
; LDSByteSize: 0 bytes/workgroup (compile time only)
; SGPRBlocks: 0
; VGPRBlocks: 0
; NumSGPRsForWavesPerEU: 4
; NumVGPRsForWavesPerEU: 1
; AccumOffset: 4
; Occupancy: 8
; WaveLimiterHint : 0
; COMPUTE_PGM_RSRC2:SCRATCH_EN: 0
; COMPUTE_PGM_RSRC2:USER_SGPR: 6
; COMPUTE_PGM_RSRC2:TRAP_HANDLER: 0
; COMPUTE_PGM_RSRC2:TGID_X_EN: 1
; COMPUTE_PGM_RSRC2:TGID_Y_EN: 0
; COMPUTE_PGM_RSRC2:TGID_Z_EN: 0
; COMPUTE_PGM_RSRC2:TIDIG_COMP_CNT: 0
; COMPUTE_PGM_RSRC3_GFX90A:ACCUM_OFFSET: 0
; COMPUTE_PGM_RSRC3_GFX90A:TG_SPLIT: 0
	.section	.text._ZN7rocprim17ROCPRIM_400000_NS6detail17trampoline_kernelINS0_14default_configENS1_33run_length_encode_config_selectorIfjNS0_4plusIjEEEEZZNS1_33reduce_by_key_impl_wrapped_configILNS1_25lookback_scan_determinismE0ES3_S7_PKfNS0_17constant_iteratorIjlEEPfPlSF_S6_NS0_8equal_toIfEEEE10hipError_tPvRmT2_T3_mT4_T5_T6_T7_T8_P12ihipStream_tbENKUlT_T0_E_clISt17integral_constantIbLb0EESY_IbLb1EEEEDaSU_SV_EUlSU_E_NS1_11comp_targetILNS1_3genE9ELNS1_11target_archE1100ELNS1_3gpuE3ELNS1_3repE0EEENS1_30default_config_static_selectorELNS0_4arch9wavefront6targetE1EEEvT1_,"axG",@progbits,_ZN7rocprim17ROCPRIM_400000_NS6detail17trampoline_kernelINS0_14default_configENS1_33run_length_encode_config_selectorIfjNS0_4plusIjEEEEZZNS1_33reduce_by_key_impl_wrapped_configILNS1_25lookback_scan_determinismE0ES3_S7_PKfNS0_17constant_iteratorIjlEEPfPlSF_S6_NS0_8equal_toIfEEEE10hipError_tPvRmT2_T3_mT4_T5_T6_T7_T8_P12ihipStream_tbENKUlT_T0_E_clISt17integral_constantIbLb0EESY_IbLb1EEEEDaSU_SV_EUlSU_E_NS1_11comp_targetILNS1_3genE9ELNS1_11target_archE1100ELNS1_3gpuE3ELNS1_3repE0EEENS1_30default_config_static_selectorELNS0_4arch9wavefront6targetE1EEEvT1_,comdat
	.protected	_ZN7rocprim17ROCPRIM_400000_NS6detail17trampoline_kernelINS0_14default_configENS1_33run_length_encode_config_selectorIfjNS0_4plusIjEEEEZZNS1_33reduce_by_key_impl_wrapped_configILNS1_25lookback_scan_determinismE0ES3_S7_PKfNS0_17constant_iteratorIjlEEPfPlSF_S6_NS0_8equal_toIfEEEE10hipError_tPvRmT2_T3_mT4_T5_T6_T7_T8_P12ihipStream_tbENKUlT_T0_E_clISt17integral_constantIbLb0EESY_IbLb1EEEEDaSU_SV_EUlSU_E_NS1_11comp_targetILNS1_3genE9ELNS1_11target_archE1100ELNS1_3gpuE3ELNS1_3repE0EEENS1_30default_config_static_selectorELNS0_4arch9wavefront6targetE1EEEvT1_ ; -- Begin function _ZN7rocprim17ROCPRIM_400000_NS6detail17trampoline_kernelINS0_14default_configENS1_33run_length_encode_config_selectorIfjNS0_4plusIjEEEEZZNS1_33reduce_by_key_impl_wrapped_configILNS1_25lookback_scan_determinismE0ES3_S7_PKfNS0_17constant_iteratorIjlEEPfPlSF_S6_NS0_8equal_toIfEEEE10hipError_tPvRmT2_T3_mT4_T5_T6_T7_T8_P12ihipStream_tbENKUlT_T0_E_clISt17integral_constantIbLb0EESY_IbLb1EEEEDaSU_SV_EUlSU_E_NS1_11comp_targetILNS1_3genE9ELNS1_11target_archE1100ELNS1_3gpuE3ELNS1_3repE0EEENS1_30default_config_static_selectorELNS0_4arch9wavefront6targetE1EEEvT1_
	.globl	_ZN7rocprim17ROCPRIM_400000_NS6detail17trampoline_kernelINS0_14default_configENS1_33run_length_encode_config_selectorIfjNS0_4plusIjEEEEZZNS1_33reduce_by_key_impl_wrapped_configILNS1_25lookback_scan_determinismE0ES3_S7_PKfNS0_17constant_iteratorIjlEEPfPlSF_S6_NS0_8equal_toIfEEEE10hipError_tPvRmT2_T3_mT4_T5_T6_T7_T8_P12ihipStream_tbENKUlT_T0_E_clISt17integral_constantIbLb0EESY_IbLb1EEEEDaSU_SV_EUlSU_E_NS1_11comp_targetILNS1_3genE9ELNS1_11target_archE1100ELNS1_3gpuE3ELNS1_3repE0EEENS1_30default_config_static_selectorELNS0_4arch9wavefront6targetE1EEEvT1_
	.p2align	8
	.type	_ZN7rocprim17ROCPRIM_400000_NS6detail17trampoline_kernelINS0_14default_configENS1_33run_length_encode_config_selectorIfjNS0_4plusIjEEEEZZNS1_33reduce_by_key_impl_wrapped_configILNS1_25lookback_scan_determinismE0ES3_S7_PKfNS0_17constant_iteratorIjlEEPfPlSF_S6_NS0_8equal_toIfEEEE10hipError_tPvRmT2_T3_mT4_T5_T6_T7_T8_P12ihipStream_tbENKUlT_T0_E_clISt17integral_constantIbLb0EESY_IbLb1EEEEDaSU_SV_EUlSU_E_NS1_11comp_targetILNS1_3genE9ELNS1_11target_archE1100ELNS1_3gpuE3ELNS1_3repE0EEENS1_30default_config_static_selectorELNS0_4arch9wavefront6targetE1EEEvT1_,@function
_ZN7rocprim17ROCPRIM_400000_NS6detail17trampoline_kernelINS0_14default_configENS1_33run_length_encode_config_selectorIfjNS0_4plusIjEEEEZZNS1_33reduce_by_key_impl_wrapped_configILNS1_25lookback_scan_determinismE0ES3_S7_PKfNS0_17constant_iteratorIjlEEPfPlSF_S6_NS0_8equal_toIfEEEE10hipError_tPvRmT2_T3_mT4_T5_T6_T7_T8_P12ihipStream_tbENKUlT_T0_E_clISt17integral_constantIbLb0EESY_IbLb1EEEEDaSU_SV_EUlSU_E_NS1_11comp_targetILNS1_3genE9ELNS1_11target_archE1100ELNS1_3gpuE3ELNS1_3repE0EEENS1_30default_config_static_selectorELNS0_4arch9wavefront6targetE1EEEvT1_: ; @_ZN7rocprim17ROCPRIM_400000_NS6detail17trampoline_kernelINS0_14default_configENS1_33run_length_encode_config_selectorIfjNS0_4plusIjEEEEZZNS1_33reduce_by_key_impl_wrapped_configILNS1_25lookback_scan_determinismE0ES3_S7_PKfNS0_17constant_iteratorIjlEEPfPlSF_S6_NS0_8equal_toIfEEEE10hipError_tPvRmT2_T3_mT4_T5_T6_T7_T8_P12ihipStream_tbENKUlT_T0_E_clISt17integral_constantIbLb0EESY_IbLb1EEEEDaSU_SV_EUlSU_E_NS1_11comp_targetILNS1_3genE9ELNS1_11target_archE1100ELNS1_3gpuE3ELNS1_3repE0EEENS1_30default_config_static_selectorELNS0_4arch9wavefront6targetE1EEEvT1_
; %bb.0:
	.section	.rodata,"a",@progbits
	.p2align	6, 0x0
	.amdhsa_kernel _ZN7rocprim17ROCPRIM_400000_NS6detail17trampoline_kernelINS0_14default_configENS1_33run_length_encode_config_selectorIfjNS0_4plusIjEEEEZZNS1_33reduce_by_key_impl_wrapped_configILNS1_25lookback_scan_determinismE0ES3_S7_PKfNS0_17constant_iteratorIjlEEPfPlSF_S6_NS0_8equal_toIfEEEE10hipError_tPvRmT2_T3_mT4_T5_T6_T7_T8_P12ihipStream_tbENKUlT_T0_E_clISt17integral_constantIbLb0EESY_IbLb1EEEEDaSU_SV_EUlSU_E_NS1_11comp_targetILNS1_3genE9ELNS1_11target_archE1100ELNS1_3gpuE3ELNS1_3repE0EEENS1_30default_config_static_selectorELNS0_4arch9wavefront6targetE1EEEvT1_
		.amdhsa_group_segment_fixed_size 0
		.amdhsa_private_segment_fixed_size 0
		.amdhsa_kernarg_size 128
		.amdhsa_user_sgpr_count 6
		.amdhsa_user_sgpr_private_segment_buffer 1
		.amdhsa_user_sgpr_dispatch_ptr 0
		.amdhsa_user_sgpr_queue_ptr 0
		.amdhsa_user_sgpr_kernarg_segment_ptr 1
		.amdhsa_user_sgpr_dispatch_id 0
		.amdhsa_user_sgpr_flat_scratch_init 0
		.amdhsa_user_sgpr_kernarg_preload_length 0
		.amdhsa_user_sgpr_kernarg_preload_offset 0
		.amdhsa_user_sgpr_private_segment_size 0
		.amdhsa_uses_dynamic_stack 0
		.amdhsa_system_sgpr_private_segment_wavefront_offset 0
		.amdhsa_system_sgpr_workgroup_id_x 1
		.amdhsa_system_sgpr_workgroup_id_y 0
		.amdhsa_system_sgpr_workgroup_id_z 0
		.amdhsa_system_sgpr_workgroup_info 0
		.amdhsa_system_vgpr_workitem_id 0
		.amdhsa_next_free_vgpr 1
		.amdhsa_next_free_sgpr 0
		.amdhsa_accum_offset 4
		.amdhsa_reserve_vcc 0
		.amdhsa_reserve_flat_scratch 0
		.amdhsa_float_round_mode_32 0
		.amdhsa_float_round_mode_16_64 0
		.amdhsa_float_denorm_mode_32 3
		.amdhsa_float_denorm_mode_16_64 3
		.amdhsa_dx10_clamp 1
		.amdhsa_ieee_mode 1
		.amdhsa_fp16_overflow 0
		.amdhsa_tg_split 0
		.amdhsa_exception_fp_ieee_invalid_op 0
		.amdhsa_exception_fp_denorm_src 0
		.amdhsa_exception_fp_ieee_div_zero 0
		.amdhsa_exception_fp_ieee_overflow 0
		.amdhsa_exception_fp_ieee_underflow 0
		.amdhsa_exception_fp_ieee_inexact 0
		.amdhsa_exception_int_div_zero 0
	.end_amdhsa_kernel
	.section	.text._ZN7rocprim17ROCPRIM_400000_NS6detail17trampoline_kernelINS0_14default_configENS1_33run_length_encode_config_selectorIfjNS0_4plusIjEEEEZZNS1_33reduce_by_key_impl_wrapped_configILNS1_25lookback_scan_determinismE0ES3_S7_PKfNS0_17constant_iteratorIjlEEPfPlSF_S6_NS0_8equal_toIfEEEE10hipError_tPvRmT2_T3_mT4_T5_T6_T7_T8_P12ihipStream_tbENKUlT_T0_E_clISt17integral_constantIbLb0EESY_IbLb1EEEEDaSU_SV_EUlSU_E_NS1_11comp_targetILNS1_3genE9ELNS1_11target_archE1100ELNS1_3gpuE3ELNS1_3repE0EEENS1_30default_config_static_selectorELNS0_4arch9wavefront6targetE1EEEvT1_,"axG",@progbits,_ZN7rocprim17ROCPRIM_400000_NS6detail17trampoline_kernelINS0_14default_configENS1_33run_length_encode_config_selectorIfjNS0_4plusIjEEEEZZNS1_33reduce_by_key_impl_wrapped_configILNS1_25lookback_scan_determinismE0ES3_S7_PKfNS0_17constant_iteratorIjlEEPfPlSF_S6_NS0_8equal_toIfEEEE10hipError_tPvRmT2_T3_mT4_T5_T6_T7_T8_P12ihipStream_tbENKUlT_T0_E_clISt17integral_constantIbLb0EESY_IbLb1EEEEDaSU_SV_EUlSU_E_NS1_11comp_targetILNS1_3genE9ELNS1_11target_archE1100ELNS1_3gpuE3ELNS1_3repE0EEENS1_30default_config_static_selectorELNS0_4arch9wavefront6targetE1EEEvT1_,comdat
.Lfunc_end407:
	.size	_ZN7rocprim17ROCPRIM_400000_NS6detail17trampoline_kernelINS0_14default_configENS1_33run_length_encode_config_selectorIfjNS0_4plusIjEEEEZZNS1_33reduce_by_key_impl_wrapped_configILNS1_25lookback_scan_determinismE0ES3_S7_PKfNS0_17constant_iteratorIjlEEPfPlSF_S6_NS0_8equal_toIfEEEE10hipError_tPvRmT2_T3_mT4_T5_T6_T7_T8_P12ihipStream_tbENKUlT_T0_E_clISt17integral_constantIbLb0EESY_IbLb1EEEEDaSU_SV_EUlSU_E_NS1_11comp_targetILNS1_3genE9ELNS1_11target_archE1100ELNS1_3gpuE3ELNS1_3repE0EEENS1_30default_config_static_selectorELNS0_4arch9wavefront6targetE1EEEvT1_, .Lfunc_end407-_ZN7rocprim17ROCPRIM_400000_NS6detail17trampoline_kernelINS0_14default_configENS1_33run_length_encode_config_selectorIfjNS0_4plusIjEEEEZZNS1_33reduce_by_key_impl_wrapped_configILNS1_25lookback_scan_determinismE0ES3_S7_PKfNS0_17constant_iteratorIjlEEPfPlSF_S6_NS0_8equal_toIfEEEE10hipError_tPvRmT2_T3_mT4_T5_T6_T7_T8_P12ihipStream_tbENKUlT_T0_E_clISt17integral_constantIbLb0EESY_IbLb1EEEEDaSU_SV_EUlSU_E_NS1_11comp_targetILNS1_3genE9ELNS1_11target_archE1100ELNS1_3gpuE3ELNS1_3repE0EEENS1_30default_config_static_selectorELNS0_4arch9wavefront6targetE1EEEvT1_
                                        ; -- End function
	.section	.AMDGPU.csdata,"",@progbits
; Kernel info:
; codeLenInByte = 0
; NumSgprs: 4
; NumVgprs: 0
; NumAgprs: 0
; TotalNumVgprs: 0
; ScratchSize: 0
; MemoryBound: 0
; FloatMode: 240
; IeeeMode: 1
; LDSByteSize: 0 bytes/workgroup (compile time only)
; SGPRBlocks: 0
; VGPRBlocks: 0
; NumSGPRsForWavesPerEU: 4
; NumVGPRsForWavesPerEU: 1
; AccumOffset: 4
; Occupancy: 8
; WaveLimiterHint : 0
; COMPUTE_PGM_RSRC2:SCRATCH_EN: 0
; COMPUTE_PGM_RSRC2:USER_SGPR: 6
; COMPUTE_PGM_RSRC2:TRAP_HANDLER: 0
; COMPUTE_PGM_RSRC2:TGID_X_EN: 1
; COMPUTE_PGM_RSRC2:TGID_Y_EN: 0
; COMPUTE_PGM_RSRC2:TGID_Z_EN: 0
; COMPUTE_PGM_RSRC2:TIDIG_COMP_CNT: 0
; COMPUTE_PGM_RSRC3_GFX90A:ACCUM_OFFSET: 0
; COMPUTE_PGM_RSRC3_GFX90A:TG_SPLIT: 0
	.section	.text._ZN7rocprim17ROCPRIM_400000_NS6detail17trampoline_kernelINS0_14default_configENS1_33run_length_encode_config_selectorIfjNS0_4plusIjEEEEZZNS1_33reduce_by_key_impl_wrapped_configILNS1_25lookback_scan_determinismE0ES3_S7_PKfNS0_17constant_iteratorIjlEEPfPlSF_S6_NS0_8equal_toIfEEEE10hipError_tPvRmT2_T3_mT4_T5_T6_T7_T8_P12ihipStream_tbENKUlT_T0_E_clISt17integral_constantIbLb0EESY_IbLb1EEEEDaSU_SV_EUlSU_E_NS1_11comp_targetILNS1_3genE8ELNS1_11target_archE1030ELNS1_3gpuE2ELNS1_3repE0EEENS1_30default_config_static_selectorELNS0_4arch9wavefront6targetE1EEEvT1_,"axG",@progbits,_ZN7rocprim17ROCPRIM_400000_NS6detail17trampoline_kernelINS0_14default_configENS1_33run_length_encode_config_selectorIfjNS0_4plusIjEEEEZZNS1_33reduce_by_key_impl_wrapped_configILNS1_25lookback_scan_determinismE0ES3_S7_PKfNS0_17constant_iteratorIjlEEPfPlSF_S6_NS0_8equal_toIfEEEE10hipError_tPvRmT2_T3_mT4_T5_T6_T7_T8_P12ihipStream_tbENKUlT_T0_E_clISt17integral_constantIbLb0EESY_IbLb1EEEEDaSU_SV_EUlSU_E_NS1_11comp_targetILNS1_3genE8ELNS1_11target_archE1030ELNS1_3gpuE2ELNS1_3repE0EEENS1_30default_config_static_selectorELNS0_4arch9wavefront6targetE1EEEvT1_,comdat
	.protected	_ZN7rocprim17ROCPRIM_400000_NS6detail17trampoline_kernelINS0_14default_configENS1_33run_length_encode_config_selectorIfjNS0_4plusIjEEEEZZNS1_33reduce_by_key_impl_wrapped_configILNS1_25lookback_scan_determinismE0ES3_S7_PKfNS0_17constant_iteratorIjlEEPfPlSF_S6_NS0_8equal_toIfEEEE10hipError_tPvRmT2_T3_mT4_T5_T6_T7_T8_P12ihipStream_tbENKUlT_T0_E_clISt17integral_constantIbLb0EESY_IbLb1EEEEDaSU_SV_EUlSU_E_NS1_11comp_targetILNS1_3genE8ELNS1_11target_archE1030ELNS1_3gpuE2ELNS1_3repE0EEENS1_30default_config_static_selectorELNS0_4arch9wavefront6targetE1EEEvT1_ ; -- Begin function _ZN7rocprim17ROCPRIM_400000_NS6detail17trampoline_kernelINS0_14default_configENS1_33run_length_encode_config_selectorIfjNS0_4plusIjEEEEZZNS1_33reduce_by_key_impl_wrapped_configILNS1_25lookback_scan_determinismE0ES3_S7_PKfNS0_17constant_iteratorIjlEEPfPlSF_S6_NS0_8equal_toIfEEEE10hipError_tPvRmT2_T3_mT4_T5_T6_T7_T8_P12ihipStream_tbENKUlT_T0_E_clISt17integral_constantIbLb0EESY_IbLb1EEEEDaSU_SV_EUlSU_E_NS1_11comp_targetILNS1_3genE8ELNS1_11target_archE1030ELNS1_3gpuE2ELNS1_3repE0EEENS1_30default_config_static_selectorELNS0_4arch9wavefront6targetE1EEEvT1_
	.globl	_ZN7rocprim17ROCPRIM_400000_NS6detail17trampoline_kernelINS0_14default_configENS1_33run_length_encode_config_selectorIfjNS0_4plusIjEEEEZZNS1_33reduce_by_key_impl_wrapped_configILNS1_25lookback_scan_determinismE0ES3_S7_PKfNS0_17constant_iteratorIjlEEPfPlSF_S6_NS0_8equal_toIfEEEE10hipError_tPvRmT2_T3_mT4_T5_T6_T7_T8_P12ihipStream_tbENKUlT_T0_E_clISt17integral_constantIbLb0EESY_IbLb1EEEEDaSU_SV_EUlSU_E_NS1_11comp_targetILNS1_3genE8ELNS1_11target_archE1030ELNS1_3gpuE2ELNS1_3repE0EEENS1_30default_config_static_selectorELNS0_4arch9wavefront6targetE1EEEvT1_
	.p2align	8
	.type	_ZN7rocprim17ROCPRIM_400000_NS6detail17trampoline_kernelINS0_14default_configENS1_33run_length_encode_config_selectorIfjNS0_4plusIjEEEEZZNS1_33reduce_by_key_impl_wrapped_configILNS1_25lookback_scan_determinismE0ES3_S7_PKfNS0_17constant_iteratorIjlEEPfPlSF_S6_NS0_8equal_toIfEEEE10hipError_tPvRmT2_T3_mT4_T5_T6_T7_T8_P12ihipStream_tbENKUlT_T0_E_clISt17integral_constantIbLb0EESY_IbLb1EEEEDaSU_SV_EUlSU_E_NS1_11comp_targetILNS1_3genE8ELNS1_11target_archE1030ELNS1_3gpuE2ELNS1_3repE0EEENS1_30default_config_static_selectorELNS0_4arch9wavefront6targetE1EEEvT1_,@function
_ZN7rocprim17ROCPRIM_400000_NS6detail17trampoline_kernelINS0_14default_configENS1_33run_length_encode_config_selectorIfjNS0_4plusIjEEEEZZNS1_33reduce_by_key_impl_wrapped_configILNS1_25lookback_scan_determinismE0ES3_S7_PKfNS0_17constant_iteratorIjlEEPfPlSF_S6_NS0_8equal_toIfEEEE10hipError_tPvRmT2_T3_mT4_T5_T6_T7_T8_P12ihipStream_tbENKUlT_T0_E_clISt17integral_constantIbLb0EESY_IbLb1EEEEDaSU_SV_EUlSU_E_NS1_11comp_targetILNS1_3genE8ELNS1_11target_archE1030ELNS1_3gpuE2ELNS1_3repE0EEENS1_30default_config_static_selectorELNS0_4arch9wavefront6targetE1EEEvT1_: ; @_ZN7rocprim17ROCPRIM_400000_NS6detail17trampoline_kernelINS0_14default_configENS1_33run_length_encode_config_selectorIfjNS0_4plusIjEEEEZZNS1_33reduce_by_key_impl_wrapped_configILNS1_25lookback_scan_determinismE0ES3_S7_PKfNS0_17constant_iteratorIjlEEPfPlSF_S6_NS0_8equal_toIfEEEE10hipError_tPvRmT2_T3_mT4_T5_T6_T7_T8_P12ihipStream_tbENKUlT_T0_E_clISt17integral_constantIbLb0EESY_IbLb1EEEEDaSU_SV_EUlSU_E_NS1_11comp_targetILNS1_3genE8ELNS1_11target_archE1030ELNS1_3gpuE2ELNS1_3repE0EEENS1_30default_config_static_selectorELNS0_4arch9wavefront6targetE1EEEvT1_
; %bb.0:
	.section	.rodata,"a",@progbits
	.p2align	6, 0x0
	.amdhsa_kernel _ZN7rocprim17ROCPRIM_400000_NS6detail17trampoline_kernelINS0_14default_configENS1_33run_length_encode_config_selectorIfjNS0_4plusIjEEEEZZNS1_33reduce_by_key_impl_wrapped_configILNS1_25lookback_scan_determinismE0ES3_S7_PKfNS0_17constant_iteratorIjlEEPfPlSF_S6_NS0_8equal_toIfEEEE10hipError_tPvRmT2_T3_mT4_T5_T6_T7_T8_P12ihipStream_tbENKUlT_T0_E_clISt17integral_constantIbLb0EESY_IbLb1EEEEDaSU_SV_EUlSU_E_NS1_11comp_targetILNS1_3genE8ELNS1_11target_archE1030ELNS1_3gpuE2ELNS1_3repE0EEENS1_30default_config_static_selectorELNS0_4arch9wavefront6targetE1EEEvT1_
		.amdhsa_group_segment_fixed_size 0
		.amdhsa_private_segment_fixed_size 0
		.amdhsa_kernarg_size 128
		.amdhsa_user_sgpr_count 6
		.amdhsa_user_sgpr_private_segment_buffer 1
		.amdhsa_user_sgpr_dispatch_ptr 0
		.amdhsa_user_sgpr_queue_ptr 0
		.amdhsa_user_sgpr_kernarg_segment_ptr 1
		.amdhsa_user_sgpr_dispatch_id 0
		.amdhsa_user_sgpr_flat_scratch_init 0
		.amdhsa_user_sgpr_kernarg_preload_length 0
		.amdhsa_user_sgpr_kernarg_preload_offset 0
		.amdhsa_user_sgpr_private_segment_size 0
		.amdhsa_uses_dynamic_stack 0
		.amdhsa_system_sgpr_private_segment_wavefront_offset 0
		.amdhsa_system_sgpr_workgroup_id_x 1
		.amdhsa_system_sgpr_workgroup_id_y 0
		.amdhsa_system_sgpr_workgroup_id_z 0
		.amdhsa_system_sgpr_workgroup_info 0
		.amdhsa_system_vgpr_workitem_id 0
		.amdhsa_next_free_vgpr 1
		.amdhsa_next_free_sgpr 0
		.amdhsa_accum_offset 4
		.amdhsa_reserve_vcc 0
		.amdhsa_reserve_flat_scratch 0
		.amdhsa_float_round_mode_32 0
		.amdhsa_float_round_mode_16_64 0
		.amdhsa_float_denorm_mode_32 3
		.amdhsa_float_denorm_mode_16_64 3
		.amdhsa_dx10_clamp 1
		.amdhsa_ieee_mode 1
		.amdhsa_fp16_overflow 0
		.amdhsa_tg_split 0
		.amdhsa_exception_fp_ieee_invalid_op 0
		.amdhsa_exception_fp_denorm_src 0
		.amdhsa_exception_fp_ieee_div_zero 0
		.amdhsa_exception_fp_ieee_overflow 0
		.amdhsa_exception_fp_ieee_underflow 0
		.amdhsa_exception_fp_ieee_inexact 0
		.amdhsa_exception_int_div_zero 0
	.end_amdhsa_kernel
	.section	.text._ZN7rocprim17ROCPRIM_400000_NS6detail17trampoline_kernelINS0_14default_configENS1_33run_length_encode_config_selectorIfjNS0_4plusIjEEEEZZNS1_33reduce_by_key_impl_wrapped_configILNS1_25lookback_scan_determinismE0ES3_S7_PKfNS0_17constant_iteratorIjlEEPfPlSF_S6_NS0_8equal_toIfEEEE10hipError_tPvRmT2_T3_mT4_T5_T6_T7_T8_P12ihipStream_tbENKUlT_T0_E_clISt17integral_constantIbLb0EESY_IbLb1EEEEDaSU_SV_EUlSU_E_NS1_11comp_targetILNS1_3genE8ELNS1_11target_archE1030ELNS1_3gpuE2ELNS1_3repE0EEENS1_30default_config_static_selectorELNS0_4arch9wavefront6targetE1EEEvT1_,"axG",@progbits,_ZN7rocprim17ROCPRIM_400000_NS6detail17trampoline_kernelINS0_14default_configENS1_33run_length_encode_config_selectorIfjNS0_4plusIjEEEEZZNS1_33reduce_by_key_impl_wrapped_configILNS1_25lookback_scan_determinismE0ES3_S7_PKfNS0_17constant_iteratorIjlEEPfPlSF_S6_NS0_8equal_toIfEEEE10hipError_tPvRmT2_T3_mT4_T5_T6_T7_T8_P12ihipStream_tbENKUlT_T0_E_clISt17integral_constantIbLb0EESY_IbLb1EEEEDaSU_SV_EUlSU_E_NS1_11comp_targetILNS1_3genE8ELNS1_11target_archE1030ELNS1_3gpuE2ELNS1_3repE0EEENS1_30default_config_static_selectorELNS0_4arch9wavefront6targetE1EEEvT1_,comdat
.Lfunc_end408:
	.size	_ZN7rocprim17ROCPRIM_400000_NS6detail17trampoline_kernelINS0_14default_configENS1_33run_length_encode_config_selectorIfjNS0_4plusIjEEEEZZNS1_33reduce_by_key_impl_wrapped_configILNS1_25lookback_scan_determinismE0ES3_S7_PKfNS0_17constant_iteratorIjlEEPfPlSF_S6_NS0_8equal_toIfEEEE10hipError_tPvRmT2_T3_mT4_T5_T6_T7_T8_P12ihipStream_tbENKUlT_T0_E_clISt17integral_constantIbLb0EESY_IbLb1EEEEDaSU_SV_EUlSU_E_NS1_11comp_targetILNS1_3genE8ELNS1_11target_archE1030ELNS1_3gpuE2ELNS1_3repE0EEENS1_30default_config_static_selectorELNS0_4arch9wavefront6targetE1EEEvT1_, .Lfunc_end408-_ZN7rocprim17ROCPRIM_400000_NS6detail17trampoline_kernelINS0_14default_configENS1_33run_length_encode_config_selectorIfjNS0_4plusIjEEEEZZNS1_33reduce_by_key_impl_wrapped_configILNS1_25lookback_scan_determinismE0ES3_S7_PKfNS0_17constant_iteratorIjlEEPfPlSF_S6_NS0_8equal_toIfEEEE10hipError_tPvRmT2_T3_mT4_T5_T6_T7_T8_P12ihipStream_tbENKUlT_T0_E_clISt17integral_constantIbLb0EESY_IbLb1EEEEDaSU_SV_EUlSU_E_NS1_11comp_targetILNS1_3genE8ELNS1_11target_archE1030ELNS1_3gpuE2ELNS1_3repE0EEENS1_30default_config_static_selectorELNS0_4arch9wavefront6targetE1EEEvT1_
                                        ; -- End function
	.section	.AMDGPU.csdata,"",@progbits
; Kernel info:
; codeLenInByte = 0
; NumSgprs: 4
; NumVgprs: 0
; NumAgprs: 0
; TotalNumVgprs: 0
; ScratchSize: 0
; MemoryBound: 0
; FloatMode: 240
; IeeeMode: 1
; LDSByteSize: 0 bytes/workgroup (compile time only)
; SGPRBlocks: 0
; VGPRBlocks: 0
; NumSGPRsForWavesPerEU: 4
; NumVGPRsForWavesPerEU: 1
; AccumOffset: 4
; Occupancy: 8
; WaveLimiterHint : 0
; COMPUTE_PGM_RSRC2:SCRATCH_EN: 0
; COMPUTE_PGM_RSRC2:USER_SGPR: 6
; COMPUTE_PGM_RSRC2:TRAP_HANDLER: 0
; COMPUTE_PGM_RSRC2:TGID_X_EN: 1
; COMPUTE_PGM_RSRC2:TGID_Y_EN: 0
; COMPUTE_PGM_RSRC2:TGID_Z_EN: 0
; COMPUTE_PGM_RSRC2:TIDIG_COMP_CNT: 0
; COMPUTE_PGM_RSRC3_GFX90A:ACCUM_OFFSET: 0
; COMPUTE_PGM_RSRC3_GFX90A:TG_SPLIT: 0
	.section	.text._ZN2at6native8internal12_GLOBAL__N_126adjacent_difference_kernelIPKiEEvlT_Pi,"axG",@progbits,_ZN2at6native8internal12_GLOBAL__N_126adjacent_difference_kernelIPKiEEvlT_Pi,comdat
	.globl	_ZN2at6native8internal12_GLOBAL__N_126adjacent_difference_kernelIPKiEEvlT_Pi ; -- Begin function _ZN2at6native8internal12_GLOBAL__N_126adjacent_difference_kernelIPKiEEvlT_Pi
	.p2align	8
	.type	_ZN2at6native8internal12_GLOBAL__N_126adjacent_difference_kernelIPKiEEvlT_Pi,@function
_ZN2at6native8internal12_GLOBAL__N_126adjacent_difference_kernelIPKiEEvlT_Pi: ; @_ZN2at6native8internal12_GLOBAL__N_126adjacent_difference_kernelIPKiEEvlT_Pi
; %bb.0:
	s_load_dword s7, s[4:5], 0x24
	s_load_dwordx4 s[0:3], s[4:5], 0x0
	s_add_u32 s10, s4, 24
	s_addc_u32 s11, s5, 0
	v_mov_b32_e32 v1, 0
	s_waitcnt lgkmcnt(0)
	s_and_b32 s7, s7, 0xffff
	v_mov_b32_e32 v2, s6
	v_mad_u64_u32 v[4:5], s[8:9], s7, v2, v[0:1]
	v_cmp_gt_i64_e32 vcc, s[0:1], v[4:5]
	s_and_saveexec_b64 s[8:9], vcc
	s_cbranch_execz .LBB409_5
; %bb.1:
	s_load_dword s12, s[10:11], 0x0
	s_load_dwordx2 s[8:9], s[4:5], 0x10
	s_mul_hi_u32 s13, s7, s6
	s_mul_i32 s10, s7, s6
	s_mov_b32 s6, 0
	s_waitcnt lgkmcnt(0)
	s_mul_i32 s11, s12, s7
	v_mov_b32_e32 v2, v1
	v_mov_b32_e32 v3, v4
	s_mov_b64 s[4:5], 0
	v_mov_b32_e32 v6, s9
	v_mov_b32_e32 v7, s6
	;; [unrolled: 1-line block ×4, first 2 shown]
	v_pk_mov_b32 v[4:5], v[0:1], v[0:1] op_sel:[0,1]
	s_branch .LBB409_3
.LBB409_2:                              ;   in Loop: Header=BB409_3 Depth=1
	s_or_b64 exec, exec, s[6:7]
	v_ashrrev_i64 v[10:11], 30, v[2:3]
	v_add_co_u32_e32 v10, vcc, s8, v10
	v_addc_co_u32_e32 v11, vcc, v6, v11, vcc
	v_add_co_u32_e32 v4, vcc, s11, v4
	v_addc_co_u32_e32 v5, vcc, v5, v7, vcc
	global_store_dword v[10:11], v0, off
	v_add_co_u32_e32 v10, vcc, s10, v4
	v_addc_co_u32_e32 v11, vcc, v8, v5, vcc
	v_cmp_le_i64_e32 vcc, s[0:1], v[10:11]
	s_or_b64 s[4:5], vcc, s[4:5]
	v_add_co_u32_e32 v2, vcc, 0, v2
	v_addc_co_u32_e32 v3, vcc, v3, v9, vcc
	s_andn2_b64 exec, exec, s[4:5]
	s_cbranch_execz .LBB409_5
.LBB409_3:                              ; =>This Inner Loop Header: Depth=1
	v_add_u32_e32 v0, s10, v4
	v_cmp_lt_i32_e32 vcc, 0, v0
	v_mov_b32_e32 v0, 0
	s_and_saveexec_b64 s[6:7], vcc
	s_cbranch_execz .LBB409_2
; %bb.4:                                ;   in Loop: Header=BB409_3 Depth=1
	v_add_u32_e32 v12, s10, v4
	v_and_b32_e32 v0, 0x7fffffff, v12
	v_lshlrev_b64 v[10:11], 2, v[0:1]
	v_mov_b32_e32 v14, s3
	v_add_co_u32_e32 v10, vcc, s2, v10
	v_add_u32_e32 v0, -1, v12
	v_addc_co_u32_e32 v11, vcc, v14, v11, vcc
	v_lshlrev_b64 v[12:13], 2, v[0:1]
	v_add_co_u32_e32 v12, vcc, s2, v12
	v_addc_co_u32_e32 v13, vcc, v14, v13, vcc
	global_load_dword v0, v[10:11], off
	global_load_dword v14, v[12:13], off
	s_waitcnt vmcnt(0)
	v_cmp_ne_u32_e32 vcc, v0, v14
	v_cndmask_b32_e64 v0, 0, 1, vcc
	s_branch .LBB409_2
.LBB409_5:
	s_endpgm
	.section	.rodata,"a",@progbits
	.p2align	6, 0x0
	.amdhsa_kernel _ZN2at6native8internal12_GLOBAL__N_126adjacent_difference_kernelIPKiEEvlT_Pi
		.amdhsa_group_segment_fixed_size 0
		.amdhsa_private_segment_fixed_size 0
		.amdhsa_kernarg_size 280
		.amdhsa_user_sgpr_count 6
		.amdhsa_user_sgpr_private_segment_buffer 1
		.amdhsa_user_sgpr_dispatch_ptr 0
		.amdhsa_user_sgpr_queue_ptr 0
		.amdhsa_user_sgpr_kernarg_segment_ptr 1
		.amdhsa_user_sgpr_dispatch_id 0
		.amdhsa_user_sgpr_flat_scratch_init 0
		.amdhsa_user_sgpr_kernarg_preload_length 0
		.amdhsa_user_sgpr_kernarg_preload_offset 0
		.amdhsa_user_sgpr_private_segment_size 0
		.amdhsa_uses_dynamic_stack 0
		.amdhsa_system_sgpr_private_segment_wavefront_offset 0
		.amdhsa_system_sgpr_workgroup_id_x 1
		.amdhsa_system_sgpr_workgroup_id_y 0
		.amdhsa_system_sgpr_workgroup_id_z 0
		.amdhsa_system_sgpr_workgroup_info 0
		.amdhsa_system_vgpr_workitem_id 0
		.amdhsa_next_free_vgpr 15
		.amdhsa_next_free_sgpr 14
		.amdhsa_accum_offset 16
		.amdhsa_reserve_vcc 1
		.amdhsa_reserve_flat_scratch 0
		.amdhsa_float_round_mode_32 0
		.amdhsa_float_round_mode_16_64 0
		.amdhsa_float_denorm_mode_32 3
		.amdhsa_float_denorm_mode_16_64 3
		.amdhsa_dx10_clamp 1
		.amdhsa_ieee_mode 1
		.amdhsa_fp16_overflow 0
		.amdhsa_tg_split 0
		.amdhsa_exception_fp_ieee_invalid_op 0
		.amdhsa_exception_fp_denorm_src 0
		.amdhsa_exception_fp_ieee_div_zero 0
		.amdhsa_exception_fp_ieee_overflow 0
		.amdhsa_exception_fp_ieee_underflow 0
		.amdhsa_exception_fp_ieee_inexact 0
		.amdhsa_exception_int_div_zero 0
	.end_amdhsa_kernel
	.section	.text._ZN2at6native8internal12_GLOBAL__N_126adjacent_difference_kernelIPKiEEvlT_Pi,"axG",@progbits,_ZN2at6native8internal12_GLOBAL__N_126adjacent_difference_kernelIPKiEEvlT_Pi,comdat
.Lfunc_end409:
	.size	_ZN2at6native8internal12_GLOBAL__N_126adjacent_difference_kernelIPKiEEvlT_Pi, .Lfunc_end409-_ZN2at6native8internal12_GLOBAL__N_126adjacent_difference_kernelIPKiEEvlT_Pi
                                        ; -- End function
	.section	.AMDGPU.csdata,"",@progbits
; Kernel info:
; codeLenInByte = 320
; NumSgprs: 18
; NumVgprs: 15
; NumAgprs: 0
; TotalNumVgprs: 15
; ScratchSize: 0
; MemoryBound: 0
; FloatMode: 240
; IeeeMode: 1
; LDSByteSize: 0 bytes/workgroup (compile time only)
; SGPRBlocks: 2
; VGPRBlocks: 1
; NumSGPRsForWavesPerEU: 18
; NumVGPRsForWavesPerEU: 15
; AccumOffset: 16
; Occupancy: 8
; WaveLimiterHint : 0
; COMPUTE_PGM_RSRC2:SCRATCH_EN: 0
; COMPUTE_PGM_RSRC2:USER_SGPR: 6
; COMPUTE_PGM_RSRC2:TRAP_HANDLER: 0
; COMPUTE_PGM_RSRC2:TGID_X_EN: 1
; COMPUTE_PGM_RSRC2:TGID_Y_EN: 0
; COMPUTE_PGM_RSRC2:TGID_Z_EN: 0
; COMPUTE_PGM_RSRC2:TIDIG_COMP_CNT: 0
; COMPUTE_PGM_RSRC3_GFX90A:ACCUM_OFFSET: 3
; COMPUTE_PGM_RSRC3_GFX90A:TG_SPLIT: 0
	.section	.text._ZN7rocprim17ROCPRIM_400000_NS6detail17trampoline_kernelINS0_14default_configENS1_25partition_config_selectorILNS1_17partition_subalgoE8EiNS0_10empty_typeEbEEZZNS1_14partition_implILS5_8ELb0ES3_jPKiPS6_PKS6_NS0_5tupleIJPiS6_EEENSE_IJSB_SB_EEENS0_18inequality_wrapperIN6hipcub16HIPCUB_304000_NS8EqualityEEEPlJS6_EEE10hipError_tPvRmT3_T4_T5_T6_T7_T9_mT8_P12ihipStream_tbDpT10_ENKUlT_T0_E_clISt17integral_constantIbLb0EES17_EEDaS12_S13_EUlS12_E_NS1_11comp_targetILNS1_3genE0ELNS1_11target_archE4294967295ELNS1_3gpuE0ELNS1_3repE0EEENS1_30default_config_static_selectorELNS0_4arch9wavefront6targetE1EEEvT1_,"axG",@progbits,_ZN7rocprim17ROCPRIM_400000_NS6detail17trampoline_kernelINS0_14default_configENS1_25partition_config_selectorILNS1_17partition_subalgoE8EiNS0_10empty_typeEbEEZZNS1_14partition_implILS5_8ELb0ES3_jPKiPS6_PKS6_NS0_5tupleIJPiS6_EEENSE_IJSB_SB_EEENS0_18inequality_wrapperIN6hipcub16HIPCUB_304000_NS8EqualityEEEPlJS6_EEE10hipError_tPvRmT3_T4_T5_T6_T7_T9_mT8_P12ihipStream_tbDpT10_ENKUlT_T0_E_clISt17integral_constantIbLb0EES17_EEDaS12_S13_EUlS12_E_NS1_11comp_targetILNS1_3genE0ELNS1_11target_archE4294967295ELNS1_3gpuE0ELNS1_3repE0EEENS1_30default_config_static_selectorELNS0_4arch9wavefront6targetE1EEEvT1_,comdat
	.protected	_ZN7rocprim17ROCPRIM_400000_NS6detail17trampoline_kernelINS0_14default_configENS1_25partition_config_selectorILNS1_17partition_subalgoE8EiNS0_10empty_typeEbEEZZNS1_14partition_implILS5_8ELb0ES3_jPKiPS6_PKS6_NS0_5tupleIJPiS6_EEENSE_IJSB_SB_EEENS0_18inequality_wrapperIN6hipcub16HIPCUB_304000_NS8EqualityEEEPlJS6_EEE10hipError_tPvRmT3_T4_T5_T6_T7_T9_mT8_P12ihipStream_tbDpT10_ENKUlT_T0_E_clISt17integral_constantIbLb0EES17_EEDaS12_S13_EUlS12_E_NS1_11comp_targetILNS1_3genE0ELNS1_11target_archE4294967295ELNS1_3gpuE0ELNS1_3repE0EEENS1_30default_config_static_selectorELNS0_4arch9wavefront6targetE1EEEvT1_ ; -- Begin function _ZN7rocprim17ROCPRIM_400000_NS6detail17trampoline_kernelINS0_14default_configENS1_25partition_config_selectorILNS1_17partition_subalgoE8EiNS0_10empty_typeEbEEZZNS1_14partition_implILS5_8ELb0ES3_jPKiPS6_PKS6_NS0_5tupleIJPiS6_EEENSE_IJSB_SB_EEENS0_18inequality_wrapperIN6hipcub16HIPCUB_304000_NS8EqualityEEEPlJS6_EEE10hipError_tPvRmT3_T4_T5_T6_T7_T9_mT8_P12ihipStream_tbDpT10_ENKUlT_T0_E_clISt17integral_constantIbLb0EES17_EEDaS12_S13_EUlS12_E_NS1_11comp_targetILNS1_3genE0ELNS1_11target_archE4294967295ELNS1_3gpuE0ELNS1_3repE0EEENS1_30default_config_static_selectorELNS0_4arch9wavefront6targetE1EEEvT1_
	.globl	_ZN7rocprim17ROCPRIM_400000_NS6detail17trampoline_kernelINS0_14default_configENS1_25partition_config_selectorILNS1_17partition_subalgoE8EiNS0_10empty_typeEbEEZZNS1_14partition_implILS5_8ELb0ES3_jPKiPS6_PKS6_NS0_5tupleIJPiS6_EEENSE_IJSB_SB_EEENS0_18inequality_wrapperIN6hipcub16HIPCUB_304000_NS8EqualityEEEPlJS6_EEE10hipError_tPvRmT3_T4_T5_T6_T7_T9_mT8_P12ihipStream_tbDpT10_ENKUlT_T0_E_clISt17integral_constantIbLb0EES17_EEDaS12_S13_EUlS12_E_NS1_11comp_targetILNS1_3genE0ELNS1_11target_archE4294967295ELNS1_3gpuE0ELNS1_3repE0EEENS1_30default_config_static_selectorELNS0_4arch9wavefront6targetE1EEEvT1_
	.p2align	8
	.type	_ZN7rocprim17ROCPRIM_400000_NS6detail17trampoline_kernelINS0_14default_configENS1_25partition_config_selectorILNS1_17partition_subalgoE8EiNS0_10empty_typeEbEEZZNS1_14partition_implILS5_8ELb0ES3_jPKiPS6_PKS6_NS0_5tupleIJPiS6_EEENSE_IJSB_SB_EEENS0_18inequality_wrapperIN6hipcub16HIPCUB_304000_NS8EqualityEEEPlJS6_EEE10hipError_tPvRmT3_T4_T5_T6_T7_T9_mT8_P12ihipStream_tbDpT10_ENKUlT_T0_E_clISt17integral_constantIbLb0EES17_EEDaS12_S13_EUlS12_E_NS1_11comp_targetILNS1_3genE0ELNS1_11target_archE4294967295ELNS1_3gpuE0ELNS1_3repE0EEENS1_30default_config_static_selectorELNS0_4arch9wavefront6targetE1EEEvT1_,@function
_ZN7rocprim17ROCPRIM_400000_NS6detail17trampoline_kernelINS0_14default_configENS1_25partition_config_selectorILNS1_17partition_subalgoE8EiNS0_10empty_typeEbEEZZNS1_14partition_implILS5_8ELb0ES3_jPKiPS6_PKS6_NS0_5tupleIJPiS6_EEENSE_IJSB_SB_EEENS0_18inequality_wrapperIN6hipcub16HIPCUB_304000_NS8EqualityEEEPlJS6_EEE10hipError_tPvRmT3_T4_T5_T6_T7_T9_mT8_P12ihipStream_tbDpT10_ENKUlT_T0_E_clISt17integral_constantIbLb0EES17_EEDaS12_S13_EUlS12_E_NS1_11comp_targetILNS1_3genE0ELNS1_11target_archE4294967295ELNS1_3gpuE0ELNS1_3repE0EEENS1_30default_config_static_selectorELNS0_4arch9wavefront6targetE1EEEvT1_: ; @_ZN7rocprim17ROCPRIM_400000_NS6detail17trampoline_kernelINS0_14default_configENS1_25partition_config_selectorILNS1_17partition_subalgoE8EiNS0_10empty_typeEbEEZZNS1_14partition_implILS5_8ELb0ES3_jPKiPS6_PKS6_NS0_5tupleIJPiS6_EEENSE_IJSB_SB_EEENS0_18inequality_wrapperIN6hipcub16HIPCUB_304000_NS8EqualityEEEPlJS6_EEE10hipError_tPvRmT3_T4_T5_T6_T7_T9_mT8_P12ihipStream_tbDpT10_ENKUlT_T0_E_clISt17integral_constantIbLb0EES17_EEDaS12_S13_EUlS12_E_NS1_11comp_targetILNS1_3genE0ELNS1_11target_archE4294967295ELNS1_3gpuE0ELNS1_3repE0EEENS1_30default_config_static_selectorELNS0_4arch9wavefront6targetE1EEEvT1_
; %bb.0:
	.section	.rodata,"a",@progbits
	.p2align	6, 0x0
	.amdhsa_kernel _ZN7rocprim17ROCPRIM_400000_NS6detail17trampoline_kernelINS0_14default_configENS1_25partition_config_selectorILNS1_17partition_subalgoE8EiNS0_10empty_typeEbEEZZNS1_14partition_implILS5_8ELb0ES3_jPKiPS6_PKS6_NS0_5tupleIJPiS6_EEENSE_IJSB_SB_EEENS0_18inequality_wrapperIN6hipcub16HIPCUB_304000_NS8EqualityEEEPlJS6_EEE10hipError_tPvRmT3_T4_T5_T6_T7_T9_mT8_P12ihipStream_tbDpT10_ENKUlT_T0_E_clISt17integral_constantIbLb0EES17_EEDaS12_S13_EUlS12_E_NS1_11comp_targetILNS1_3genE0ELNS1_11target_archE4294967295ELNS1_3gpuE0ELNS1_3repE0EEENS1_30default_config_static_selectorELNS0_4arch9wavefront6targetE1EEEvT1_
		.amdhsa_group_segment_fixed_size 0
		.amdhsa_private_segment_fixed_size 0
		.amdhsa_kernarg_size 112
		.amdhsa_user_sgpr_count 6
		.amdhsa_user_sgpr_private_segment_buffer 1
		.amdhsa_user_sgpr_dispatch_ptr 0
		.amdhsa_user_sgpr_queue_ptr 0
		.amdhsa_user_sgpr_kernarg_segment_ptr 1
		.amdhsa_user_sgpr_dispatch_id 0
		.amdhsa_user_sgpr_flat_scratch_init 0
		.amdhsa_user_sgpr_kernarg_preload_length 0
		.amdhsa_user_sgpr_kernarg_preload_offset 0
		.amdhsa_user_sgpr_private_segment_size 0
		.amdhsa_uses_dynamic_stack 0
		.amdhsa_system_sgpr_private_segment_wavefront_offset 0
		.amdhsa_system_sgpr_workgroup_id_x 1
		.amdhsa_system_sgpr_workgroup_id_y 0
		.amdhsa_system_sgpr_workgroup_id_z 0
		.amdhsa_system_sgpr_workgroup_info 0
		.amdhsa_system_vgpr_workitem_id 0
		.amdhsa_next_free_vgpr 1
		.amdhsa_next_free_sgpr 0
		.amdhsa_accum_offset 4
		.amdhsa_reserve_vcc 0
		.amdhsa_reserve_flat_scratch 0
		.amdhsa_float_round_mode_32 0
		.amdhsa_float_round_mode_16_64 0
		.amdhsa_float_denorm_mode_32 3
		.amdhsa_float_denorm_mode_16_64 3
		.amdhsa_dx10_clamp 1
		.amdhsa_ieee_mode 1
		.amdhsa_fp16_overflow 0
		.amdhsa_tg_split 0
		.amdhsa_exception_fp_ieee_invalid_op 0
		.amdhsa_exception_fp_denorm_src 0
		.amdhsa_exception_fp_ieee_div_zero 0
		.amdhsa_exception_fp_ieee_overflow 0
		.amdhsa_exception_fp_ieee_underflow 0
		.amdhsa_exception_fp_ieee_inexact 0
		.amdhsa_exception_int_div_zero 0
	.end_amdhsa_kernel
	.section	.text._ZN7rocprim17ROCPRIM_400000_NS6detail17trampoline_kernelINS0_14default_configENS1_25partition_config_selectorILNS1_17partition_subalgoE8EiNS0_10empty_typeEbEEZZNS1_14partition_implILS5_8ELb0ES3_jPKiPS6_PKS6_NS0_5tupleIJPiS6_EEENSE_IJSB_SB_EEENS0_18inequality_wrapperIN6hipcub16HIPCUB_304000_NS8EqualityEEEPlJS6_EEE10hipError_tPvRmT3_T4_T5_T6_T7_T9_mT8_P12ihipStream_tbDpT10_ENKUlT_T0_E_clISt17integral_constantIbLb0EES17_EEDaS12_S13_EUlS12_E_NS1_11comp_targetILNS1_3genE0ELNS1_11target_archE4294967295ELNS1_3gpuE0ELNS1_3repE0EEENS1_30default_config_static_selectorELNS0_4arch9wavefront6targetE1EEEvT1_,"axG",@progbits,_ZN7rocprim17ROCPRIM_400000_NS6detail17trampoline_kernelINS0_14default_configENS1_25partition_config_selectorILNS1_17partition_subalgoE8EiNS0_10empty_typeEbEEZZNS1_14partition_implILS5_8ELb0ES3_jPKiPS6_PKS6_NS0_5tupleIJPiS6_EEENSE_IJSB_SB_EEENS0_18inequality_wrapperIN6hipcub16HIPCUB_304000_NS8EqualityEEEPlJS6_EEE10hipError_tPvRmT3_T4_T5_T6_T7_T9_mT8_P12ihipStream_tbDpT10_ENKUlT_T0_E_clISt17integral_constantIbLb0EES17_EEDaS12_S13_EUlS12_E_NS1_11comp_targetILNS1_3genE0ELNS1_11target_archE4294967295ELNS1_3gpuE0ELNS1_3repE0EEENS1_30default_config_static_selectorELNS0_4arch9wavefront6targetE1EEEvT1_,comdat
.Lfunc_end410:
	.size	_ZN7rocprim17ROCPRIM_400000_NS6detail17trampoline_kernelINS0_14default_configENS1_25partition_config_selectorILNS1_17partition_subalgoE8EiNS0_10empty_typeEbEEZZNS1_14partition_implILS5_8ELb0ES3_jPKiPS6_PKS6_NS0_5tupleIJPiS6_EEENSE_IJSB_SB_EEENS0_18inequality_wrapperIN6hipcub16HIPCUB_304000_NS8EqualityEEEPlJS6_EEE10hipError_tPvRmT3_T4_T5_T6_T7_T9_mT8_P12ihipStream_tbDpT10_ENKUlT_T0_E_clISt17integral_constantIbLb0EES17_EEDaS12_S13_EUlS12_E_NS1_11comp_targetILNS1_3genE0ELNS1_11target_archE4294967295ELNS1_3gpuE0ELNS1_3repE0EEENS1_30default_config_static_selectorELNS0_4arch9wavefront6targetE1EEEvT1_, .Lfunc_end410-_ZN7rocprim17ROCPRIM_400000_NS6detail17trampoline_kernelINS0_14default_configENS1_25partition_config_selectorILNS1_17partition_subalgoE8EiNS0_10empty_typeEbEEZZNS1_14partition_implILS5_8ELb0ES3_jPKiPS6_PKS6_NS0_5tupleIJPiS6_EEENSE_IJSB_SB_EEENS0_18inequality_wrapperIN6hipcub16HIPCUB_304000_NS8EqualityEEEPlJS6_EEE10hipError_tPvRmT3_T4_T5_T6_T7_T9_mT8_P12ihipStream_tbDpT10_ENKUlT_T0_E_clISt17integral_constantIbLb0EES17_EEDaS12_S13_EUlS12_E_NS1_11comp_targetILNS1_3genE0ELNS1_11target_archE4294967295ELNS1_3gpuE0ELNS1_3repE0EEENS1_30default_config_static_selectorELNS0_4arch9wavefront6targetE1EEEvT1_
                                        ; -- End function
	.section	.AMDGPU.csdata,"",@progbits
; Kernel info:
; codeLenInByte = 0
; NumSgprs: 4
; NumVgprs: 0
; NumAgprs: 0
; TotalNumVgprs: 0
; ScratchSize: 0
; MemoryBound: 0
; FloatMode: 240
; IeeeMode: 1
; LDSByteSize: 0 bytes/workgroup (compile time only)
; SGPRBlocks: 0
; VGPRBlocks: 0
; NumSGPRsForWavesPerEU: 4
; NumVGPRsForWavesPerEU: 1
; AccumOffset: 4
; Occupancy: 8
; WaveLimiterHint : 0
; COMPUTE_PGM_RSRC2:SCRATCH_EN: 0
; COMPUTE_PGM_RSRC2:USER_SGPR: 6
; COMPUTE_PGM_RSRC2:TRAP_HANDLER: 0
; COMPUTE_PGM_RSRC2:TGID_X_EN: 1
; COMPUTE_PGM_RSRC2:TGID_Y_EN: 0
; COMPUTE_PGM_RSRC2:TGID_Z_EN: 0
; COMPUTE_PGM_RSRC2:TIDIG_COMP_CNT: 0
; COMPUTE_PGM_RSRC3_GFX90A:ACCUM_OFFSET: 0
; COMPUTE_PGM_RSRC3_GFX90A:TG_SPLIT: 0
	.section	.text._ZN7rocprim17ROCPRIM_400000_NS6detail17trampoline_kernelINS0_14default_configENS1_25partition_config_selectorILNS1_17partition_subalgoE8EiNS0_10empty_typeEbEEZZNS1_14partition_implILS5_8ELb0ES3_jPKiPS6_PKS6_NS0_5tupleIJPiS6_EEENSE_IJSB_SB_EEENS0_18inequality_wrapperIN6hipcub16HIPCUB_304000_NS8EqualityEEEPlJS6_EEE10hipError_tPvRmT3_T4_T5_T6_T7_T9_mT8_P12ihipStream_tbDpT10_ENKUlT_T0_E_clISt17integral_constantIbLb0EES17_EEDaS12_S13_EUlS12_E_NS1_11comp_targetILNS1_3genE5ELNS1_11target_archE942ELNS1_3gpuE9ELNS1_3repE0EEENS1_30default_config_static_selectorELNS0_4arch9wavefront6targetE1EEEvT1_,"axG",@progbits,_ZN7rocprim17ROCPRIM_400000_NS6detail17trampoline_kernelINS0_14default_configENS1_25partition_config_selectorILNS1_17partition_subalgoE8EiNS0_10empty_typeEbEEZZNS1_14partition_implILS5_8ELb0ES3_jPKiPS6_PKS6_NS0_5tupleIJPiS6_EEENSE_IJSB_SB_EEENS0_18inequality_wrapperIN6hipcub16HIPCUB_304000_NS8EqualityEEEPlJS6_EEE10hipError_tPvRmT3_T4_T5_T6_T7_T9_mT8_P12ihipStream_tbDpT10_ENKUlT_T0_E_clISt17integral_constantIbLb0EES17_EEDaS12_S13_EUlS12_E_NS1_11comp_targetILNS1_3genE5ELNS1_11target_archE942ELNS1_3gpuE9ELNS1_3repE0EEENS1_30default_config_static_selectorELNS0_4arch9wavefront6targetE1EEEvT1_,comdat
	.protected	_ZN7rocprim17ROCPRIM_400000_NS6detail17trampoline_kernelINS0_14default_configENS1_25partition_config_selectorILNS1_17partition_subalgoE8EiNS0_10empty_typeEbEEZZNS1_14partition_implILS5_8ELb0ES3_jPKiPS6_PKS6_NS0_5tupleIJPiS6_EEENSE_IJSB_SB_EEENS0_18inequality_wrapperIN6hipcub16HIPCUB_304000_NS8EqualityEEEPlJS6_EEE10hipError_tPvRmT3_T4_T5_T6_T7_T9_mT8_P12ihipStream_tbDpT10_ENKUlT_T0_E_clISt17integral_constantIbLb0EES17_EEDaS12_S13_EUlS12_E_NS1_11comp_targetILNS1_3genE5ELNS1_11target_archE942ELNS1_3gpuE9ELNS1_3repE0EEENS1_30default_config_static_selectorELNS0_4arch9wavefront6targetE1EEEvT1_ ; -- Begin function _ZN7rocprim17ROCPRIM_400000_NS6detail17trampoline_kernelINS0_14default_configENS1_25partition_config_selectorILNS1_17partition_subalgoE8EiNS0_10empty_typeEbEEZZNS1_14partition_implILS5_8ELb0ES3_jPKiPS6_PKS6_NS0_5tupleIJPiS6_EEENSE_IJSB_SB_EEENS0_18inequality_wrapperIN6hipcub16HIPCUB_304000_NS8EqualityEEEPlJS6_EEE10hipError_tPvRmT3_T4_T5_T6_T7_T9_mT8_P12ihipStream_tbDpT10_ENKUlT_T0_E_clISt17integral_constantIbLb0EES17_EEDaS12_S13_EUlS12_E_NS1_11comp_targetILNS1_3genE5ELNS1_11target_archE942ELNS1_3gpuE9ELNS1_3repE0EEENS1_30default_config_static_selectorELNS0_4arch9wavefront6targetE1EEEvT1_
	.globl	_ZN7rocprim17ROCPRIM_400000_NS6detail17trampoline_kernelINS0_14default_configENS1_25partition_config_selectorILNS1_17partition_subalgoE8EiNS0_10empty_typeEbEEZZNS1_14partition_implILS5_8ELb0ES3_jPKiPS6_PKS6_NS0_5tupleIJPiS6_EEENSE_IJSB_SB_EEENS0_18inequality_wrapperIN6hipcub16HIPCUB_304000_NS8EqualityEEEPlJS6_EEE10hipError_tPvRmT3_T4_T5_T6_T7_T9_mT8_P12ihipStream_tbDpT10_ENKUlT_T0_E_clISt17integral_constantIbLb0EES17_EEDaS12_S13_EUlS12_E_NS1_11comp_targetILNS1_3genE5ELNS1_11target_archE942ELNS1_3gpuE9ELNS1_3repE0EEENS1_30default_config_static_selectorELNS0_4arch9wavefront6targetE1EEEvT1_
	.p2align	8
	.type	_ZN7rocprim17ROCPRIM_400000_NS6detail17trampoline_kernelINS0_14default_configENS1_25partition_config_selectorILNS1_17partition_subalgoE8EiNS0_10empty_typeEbEEZZNS1_14partition_implILS5_8ELb0ES3_jPKiPS6_PKS6_NS0_5tupleIJPiS6_EEENSE_IJSB_SB_EEENS0_18inequality_wrapperIN6hipcub16HIPCUB_304000_NS8EqualityEEEPlJS6_EEE10hipError_tPvRmT3_T4_T5_T6_T7_T9_mT8_P12ihipStream_tbDpT10_ENKUlT_T0_E_clISt17integral_constantIbLb0EES17_EEDaS12_S13_EUlS12_E_NS1_11comp_targetILNS1_3genE5ELNS1_11target_archE942ELNS1_3gpuE9ELNS1_3repE0EEENS1_30default_config_static_selectorELNS0_4arch9wavefront6targetE1EEEvT1_,@function
_ZN7rocprim17ROCPRIM_400000_NS6detail17trampoline_kernelINS0_14default_configENS1_25partition_config_selectorILNS1_17partition_subalgoE8EiNS0_10empty_typeEbEEZZNS1_14partition_implILS5_8ELb0ES3_jPKiPS6_PKS6_NS0_5tupleIJPiS6_EEENSE_IJSB_SB_EEENS0_18inequality_wrapperIN6hipcub16HIPCUB_304000_NS8EqualityEEEPlJS6_EEE10hipError_tPvRmT3_T4_T5_T6_T7_T9_mT8_P12ihipStream_tbDpT10_ENKUlT_T0_E_clISt17integral_constantIbLb0EES17_EEDaS12_S13_EUlS12_E_NS1_11comp_targetILNS1_3genE5ELNS1_11target_archE942ELNS1_3gpuE9ELNS1_3repE0EEENS1_30default_config_static_selectorELNS0_4arch9wavefront6targetE1EEEvT1_: ; @_ZN7rocprim17ROCPRIM_400000_NS6detail17trampoline_kernelINS0_14default_configENS1_25partition_config_selectorILNS1_17partition_subalgoE8EiNS0_10empty_typeEbEEZZNS1_14partition_implILS5_8ELb0ES3_jPKiPS6_PKS6_NS0_5tupleIJPiS6_EEENSE_IJSB_SB_EEENS0_18inequality_wrapperIN6hipcub16HIPCUB_304000_NS8EqualityEEEPlJS6_EEE10hipError_tPvRmT3_T4_T5_T6_T7_T9_mT8_P12ihipStream_tbDpT10_ENKUlT_T0_E_clISt17integral_constantIbLb0EES17_EEDaS12_S13_EUlS12_E_NS1_11comp_targetILNS1_3genE5ELNS1_11target_archE942ELNS1_3gpuE9ELNS1_3repE0EEENS1_30default_config_static_selectorELNS0_4arch9wavefront6targetE1EEEvT1_
; %bb.0:
	.section	.rodata,"a",@progbits
	.p2align	6, 0x0
	.amdhsa_kernel _ZN7rocprim17ROCPRIM_400000_NS6detail17trampoline_kernelINS0_14default_configENS1_25partition_config_selectorILNS1_17partition_subalgoE8EiNS0_10empty_typeEbEEZZNS1_14partition_implILS5_8ELb0ES3_jPKiPS6_PKS6_NS0_5tupleIJPiS6_EEENSE_IJSB_SB_EEENS0_18inequality_wrapperIN6hipcub16HIPCUB_304000_NS8EqualityEEEPlJS6_EEE10hipError_tPvRmT3_T4_T5_T6_T7_T9_mT8_P12ihipStream_tbDpT10_ENKUlT_T0_E_clISt17integral_constantIbLb0EES17_EEDaS12_S13_EUlS12_E_NS1_11comp_targetILNS1_3genE5ELNS1_11target_archE942ELNS1_3gpuE9ELNS1_3repE0EEENS1_30default_config_static_selectorELNS0_4arch9wavefront6targetE1EEEvT1_
		.amdhsa_group_segment_fixed_size 0
		.amdhsa_private_segment_fixed_size 0
		.amdhsa_kernarg_size 112
		.amdhsa_user_sgpr_count 6
		.amdhsa_user_sgpr_private_segment_buffer 1
		.amdhsa_user_sgpr_dispatch_ptr 0
		.amdhsa_user_sgpr_queue_ptr 0
		.amdhsa_user_sgpr_kernarg_segment_ptr 1
		.amdhsa_user_sgpr_dispatch_id 0
		.amdhsa_user_sgpr_flat_scratch_init 0
		.amdhsa_user_sgpr_kernarg_preload_length 0
		.amdhsa_user_sgpr_kernarg_preload_offset 0
		.amdhsa_user_sgpr_private_segment_size 0
		.amdhsa_uses_dynamic_stack 0
		.amdhsa_system_sgpr_private_segment_wavefront_offset 0
		.amdhsa_system_sgpr_workgroup_id_x 1
		.amdhsa_system_sgpr_workgroup_id_y 0
		.amdhsa_system_sgpr_workgroup_id_z 0
		.amdhsa_system_sgpr_workgroup_info 0
		.amdhsa_system_vgpr_workitem_id 0
		.amdhsa_next_free_vgpr 1
		.amdhsa_next_free_sgpr 0
		.amdhsa_accum_offset 4
		.amdhsa_reserve_vcc 0
		.amdhsa_reserve_flat_scratch 0
		.amdhsa_float_round_mode_32 0
		.amdhsa_float_round_mode_16_64 0
		.amdhsa_float_denorm_mode_32 3
		.amdhsa_float_denorm_mode_16_64 3
		.amdhsa_dx10_clamp 1
		.amdhsa_ieee_mode 1
		.amdhsa_fp16_overflow 0
		.amdhsa_tg_split 0
		.amdhsa_exception_fp_ieee_invalid_op 0
		.amdhsa_exception_fp_denorm_src 0
		.amdhsa_exception_fp_ieee_div_zero 0
		.amdhsa_exception_fp_ieee_overflow 0
		.amdhsa_exception_fp_ieee_underflow 0
		.amdhsa_exception_fp_ieee_inexact 0
		.amdhsa_exception_int_div_zero 0
	.end_amdhsa_kernel
	.section	.text._ZN7rocprim17ROCPRIM_400000_NS6detail17trampoline_kernelINS0_14default_configENS1_25partition_config_selectorILNS1_17partition_subalgoE8EiNS0_10empty_typeEbEEZZNS1_14partition_implILS5_8ELb0ES3_jPKiPS6_PKS6_NS0_5tupleIJPiS6_EEENSE_IJSB_SB_EEENS0_18inequality_wrapperIN6hipcub16HIPCUB_304000_NS8EqualityEEEPlJS6_EEE10hipError_tPvRmT3_T4_T5_T6_T7_T9_mT8_P12ihipStream_tbDpT10_ENKUlT_T0_E_clISt17integral_constantIbLb0EES17_EEDaS12_S13_EUlS12_E_NS1_11comp_targetILNS1_3genE5ELNS1_11target_archE942ELNS1_3gpuE9ELNS1_3repE0EEENS1_30default_config_static_selectorELNS0_4arch9wavefront6targetE1EEEvT1_,"axG",@progbits,_ZN7rocprim17ROCPRIM_400000_NS6detail17trampoline_kernelINS0_14default_configENS1_25partition_config_selectorILNS1_17partition_subalgoE8EiNS0_10empty_typeEbEEZZNS1_14partition_implILS5_8ELb0ES3_jPKiPS6_PKS6_NS0_5tupleIJPiS6_EEENSE_IJSB_SB_EEENS0_18inequality_wrapperIN6hipcub16HIPCUB_304000_NS8EqualityEEEPlJS6_EEE10hipError_tPvRmT3_T4_T5_T6_T7_T9_mT8_P12ihipStream_tbDpT10_ENKUlT_T0_E_clISt17integral_constantIbLb0EES17_EEDaS12_S13_EUlS12_E_NS1_11comp_targetILNS1_3genE5ELNS1_11target_archE942ELNS1_3gpuE9ELNS1_3repE0EEENS1_30default_config_static_selectorELNS0_4arch9wavefront6targetE1EEEvT1_,comdat
.Lfunc_end411:
	.size	_ZN7rocprim17ROCPRIM_400000_NS6detail17trampoline_kernelINS0_14default_configENS1_25partition_config_selectorILNS1_17partition_subalgoE8EiNS0_10empty_typeEbEEZZNS1_14partition_implILS5_8ELb0ES3_jPKiPS6_PKS6_NS0_5tupleIJPiS6_EEENSE_IJSB_SB_EEENS0_18inequality_wrapperIN6hipcub16HIPCUB_304000_NS8EqualityEEEPlJS6_EEE10hipError_tPvRmT3_T4_T5_T6_T7_T9_mT8_P12ihipStream_tbDpT10_ENKUlT_T0_E_clISt17integral_constantIbLb0EES17_EEDaS12_S13_EUlS12_E_NS1_11comp_targetILNS1_3genE5ELNS1_11target_archE942ELNS1_3gpuE9ELNS1_3repE0EEENS1_30default_config_static_selectorELNS0_4arch9wavefront6targetE1EEEvT1_, .Lfunc_end411-_ZN7rocprim17ROCPRIM_400000_NS6detail17trampoline_kernelINS0_14default_configENS1_25partition_config_selectorILNS1_17partition_subalgoE8EiNS0_10empty_typeEbEEZZNS1_14partition_implILS5_8ELb0ES3_jPKiPS6_PKS6_NS0_5tupleIJPiS6_EEENSE_IJSB_SB_EEENS0_18inequality_wrapperIN6hipcub16HIPCUB_304000_NS8EqualityEEEPlJS6_EEE10hipError_tPvRmT3_T4_T5_T6_T7_T9_mT8_P12ihipStream_tbDpT10_ENKUlT_T0_E_clISt17integral_constantIbLb0EES17_EEDaS12_S13_EUlS12_E_NS1_11comp_targetILNS1_3genE5ELNS1_11target_archE942ELNS1_3gpuE9ELNS1_3repE0EEENS1_30default_config_static_selectorELNS0_4arch9wavefront6targetE1EEEvT1_
                                        ; -- End function
	.section	.AMDGPU.csdata,"",@progbits
; Kernel info:
; codeLenInByte = 0
; NumSgprs: 4
; NumVgprs: 0
; NumAgprs: 0
; TotalNumVgprs: 0
; ScratchSize: 0
; MemoryBound: 0
; FloatMode: 240
; IeeeMode: 1
; LDSByteSize: 0 bytes/workgroup (compile time only)
; SGPRBlocks: 0
; VGPRBlocks: 0
; NumSGPRsForWavesPerEU: 4
; NumVGPRsForWavesPerEU: 1
; AccumOffset: 4
; Occupancy: 8
; WaveLimiterHint : 0
; COMPUTE_PGM_RSRC2:SCRATCH_EN: 0
; COMPUTE_PGM_RSRC2:USER_SGPR: 6
; COMPUTE_PGM_RSRC2:TRAP_HANDLER: 0
; COMPUTE_PGM_RSRC2:TGID_X_EN: 1
; COMPUTE_PGM_RSRC2:TGID_Y_EN: 0
; COMPUTE_PGM_RSRC2:TGID_Z_EN: 0
; COMPUTE_PGM_RSRC2:TIDIG_COMP_CNT: 0
; COMPUTE_PGM_RSRC3_GFX90A:ACCUM_OFFSET: 0
; COMPUTE_PGM_RSRC3_GFX90A:TG_SPLIT: 0
	.section	.text._ZN7rocprim17ROCPRIM_400000_NS6detail17trampoline_kernelINS0_14default_configENS1_25partition_config_selectorILNS1_17partition_subalgoE8EiNS0_10empty_typeEbEEZZNS1_14partition_implILS5_8ELb0ES3_jPKiPS6_PKS6_NS0_5tupleIJPiS6_EEENSE_IJSB_SB_EEENS0_18inequality_wrapperIN6hipcub16HIPCUB_304000_NS8EqualityEEEPlJS6_EEE10hipError_tPvRmT3_T4_T5_T6_T7_T9_mT8_P12ihipStream_tbDpT10_ENKUlT_T0_E_clISt17integral_constantIbLb0EES17_EEDaS12_S13_EUlS12_E_NS1_11comp_targetILNS1_3genE4ELNS1_11target_archE910ELNS1_3gpuE8ELNS1_3repE0EEENS1_30default_config_static_selectorELNS0_4arch9wavefront6targetE1EEEvT1_,"axG",@progbits,_ZN7rocprim17ROCPRIM_400000_NS6detail17trampoline_kernelINS0_14default_configENS1_25partition_config_selectorILNS1_17partition_subalgoE8EiNS0_10empty_typeEbEEZZNS1_14partition_implILS5_8ELb0ES3_jPKiPS6_PKS6_NS0_5tupleIJPiS6_EEENSE_IJSB_SB_EEENS0_18inequality_wrapperIN6hipcub16HIPCUB_304000_NS8EqualityEEEPlJS6_EEE10hipError_tPvRmT3_T4_T5_T6_T7_T9_mT8_P12ihipStream_tbDpT10_ENKUlT_T0_E_clISt17integral_constantIbLb0EES17_EEDaS12_S13_EUlS12_E_NS1_11comp_targetILNS1_3genE4ELNS1_11target_archE910ELNS1_3gpuE8ELNS1_3repE0EEENS1_30default_config_static_selectorELNS0_4arch9wavefront6targetE1EEEvT1_,comdat
	.protected	_ZN7rocprim17ROCPRIM_400000_NS6detail17trampoline_kernelINS0_14default_configENS1_25partition_config_selectorILNS1_17partition_subalgoE8EiNS0_10empty_typeEbEEZZNS1_14partition_implILS5_8ELb0ES3_jPKiPS6_PKS6_NS0_5tupleIJPiS6_EEENSE_IJSB_SB_EEENS0_18inequality_wrapperIN6hipcub16HIPCUB_304000_NS8EqualityEEEPlJS6_EEE10hipError_tPvRmT3_T4_T5_T6_T7_T9_mT8_P12ihipStream_tbDpT10_ENKUlT_T0_E_clISt17integral_constantIbLb0EES17_EEDaS12_S13_EUlS12_E_NS1_11comp_targetILNS1_3genE4ELNS1_11target_archE910ELNS1_3gpuE8ELNS1_3repE0EEENS1_30default_config_static_selectorELNS0_4arch9wavefront6targetE1EEEvT1_ ; -- Begin function _ZN7rocprim17ROCPRIM_400000_NS6detail17trampoline_kernelINS0_14default_configENS1_25partition_config_selectorILNS1_17partition_subalgoE8EiNS0_10empty_typeEbEEZZNS1_14partition_implILS5_8ELb0ES3_jPKiPS6_PKS6_NS0_5tupleIJPiS6_EEENSE_IJSB_SB_EEENS0_18inequality_wrapperIN6hipcub16HIPCUB_304000_NS8EqualityEEEPlJS6_EEE10hipError_tPvRmT3_T4_T5_T6_T7_T9_mT8_P12ihipStream_tbDpT10_ENKUlT_T0_E_clISt17integral_constantIbLb0EES17_EEDaS12_S13_EUlS12_E_NS1_11comp_targetILNS1_3genE4ELNS1_11target_archE910ELNS1_3gpuE8ELNS1_3repE0EEENS1_30default_config_static_selectorELNS0_4arch9wavefront6targetE1EEEvT1_
	.globl	_ZN7rocprim17ROCPRIM_400000_NS6detail17trampoline_kernelINS0_14default_configENS1_25partition_config_selectorILNS1_17partition_subalgoE8EiNS0_10empty_typeEbEEZZNS1_14partition_implILS5_8ELb0ES3_jPKiPS6_PKS6_NS0_5tupleIJPiS6_EEENSE_IJSB_SB_EEENS0_18inequality_wrapperIN6hipcub16HIPCUB_304000_NS8EqualityEEEPlJS6_EEE10hipError_tPvRmT3_T4_T5_T6_T7_T9_mT8_P12ihipStream_tbDpT10_ENKUlT_T0_E_clISt17integral_constantIbLb0EES17_EEDaS12_S13_EUlS12_E_NS1_11comp_targetILNS1_3genE4ELNS1_11target_archE910ELNS1_3gpuE8ELNS1_3repE0EEENS1_30default_config_static_selectorELNS0_4arch9wavefront6targetE1EEEvT1_
	.p2align	8
	.type	_ZN7rocprim17ROCPRIM_400000_NS6detail17trampoline_kernelINS0_14default_configENS1_25partition_config_selectorILNS1_17partition_subalgoE8EiNS0_10empty_typeEbEEZZNS1_14partition_implILS5_8ELb0ES3_jPKiPS6_PKS6_NS0_5tupleIJPiS6_EEENSE_IJSB_SB_EEENS0_18inequality_wrapperIN6hipcub16HIPCUB_304000_NS8EqualityEEEPlJS6_EEE10hipError_tPvRmT3_T4_T5_T6_T7_T9_mT8_P12ihipStream_tbDpT10_ENKUlT_T0_E_clISt17integral_constantIbLb0EES17_EEDaS12_S13_EUlS12_E_NS1_11comp_targetILNS1_3genE4ELNS1_11target_archE910ELNS1_3gpuE8ELNS1_3repE0EEENS1_30default_config_static_selectorELNS0_4arch9wavefront6targetE1EEEvT1_,@function
_ZN7rocprim17ROCPRIM_400000_NS6detail17trampoline_kernelINS0_14default_configENS1_25partition_config_selectorILNS1_17partition_subalgoE8EiNS0_10empty_typeEbEEZZNS1_14partition_implILS5_8ELb0ES3_jPKiPS6_PKS6_NS0_5tupleIJPiS6_EEENSE_IJSB_SB_EEENS0_18inequality_wrapperIN6hipcub16HIPCUB_304000_NS8EqualityEEEPlJS6_EEE10hipError_tPvRmT3_T4_T5_T6_T7_T9_mT8_P12ihipStream_tbDpT10_ENKUlT_T0_E_clISt17integral_constantIbLb0EES17_EEDaS12_S13_EUlS12_E_NS1_11comp_targetILNS1_3genE4ELNS1_11target_archE910ELNS1_3gpuE8ELNS1_3repE0EEENS1_30default_config_static_selectorELNS0_4arch9wavefront6targetE1EEEvT1_: ; @_ZN7rocprim17ROCPRIM_400000_NS6detail17trampoline_kernelINS0_14default_configENS1_25partition_config_selectorILNS1_17partition_subalgoE8EiNS0_10empty_typeEbEEZZNS1_14partition_implILS5_8ELb0ES3_jPKiPS6_PKS6_NS0_5tupleIJPiS6_EEENSE_IJSB_SB_EEENS0_18inequality_wrapperIN6hipcub16HIPCUB_304000_NS8EqualityEEEPlJS6_EEE10hipError_tPvRmT3_T4_T5_T6_T7_T9_mT8_P12ihipStream_tbDpT10_ENKUlT_T0_E_clISt17integral_constantIbLb0EES17_EEDaS12_S13_EUlS12_E_NS1_11comp_targetILNS1_3genE4ELNS1_11target_archE910ELNS1_3gpuE8ELNS1_3repE0EEENS1_30default_config_static_selectorELNS0_4arch9wavefront6targetE1EEEvT1_
; %bb.0:
	s_load_dwordx2 s[8:9], s[4:5], 0x50
	s_load_dwordx4 s[0:3], s[4:5], 0x8
	s_load_dwordx4 s[24:27], s[4:5], 0x40
	s_load_dword s7, s[4:5], 0x68
	s_waitcnt lgkmcnt(0)
	v_mov_b32_e32 v3, s9
	s_lshl_b64 s[10:11], s[2:3], 2
	s_add_u32 s10, s0, s10
	s_mul_i32 s9, s7, 0xa00
	s_addc_u32 s11, s1, s11
	s_add_i32 s1, s9, s2
	s_add_i32 s12, s7, -1
	s_sub_i32 s7, s8, s1
	v_mov_b32_e32 v2, s8
	s_add_u32 s8, s2, s9
	s_addc_u32 s9, s3, 0
	s_cmp_eq_u32 s6, s12
	s_load_dwordx2 s[22:23], s[26:27], 0x0
	v_cmp_ge_u64_e32 vcc, s[8:9], v[2:3]
	s_cselect_b64 s[26:27], -1, 0
	s_mul_i32 s0, s6, 0xa00
	s_mov_b32 s1, 0
	s_and_b64 s[30:31], s[26:27], vcc
	s_xor_b64 s[28:29], s[30:31], -1
	s_lshl_b64 s[0:1], s[0:1], 2
	s_add_u32 s0, s10, s0
	s_mov_b64 s[8:9], -1
	s_addc_u32 s1, s11, s1
	s_and_b64 vcc, exec, s[28:29]
	s_cbranch_vccz .LBB412_2
; %bb.1:
	v_lshlrev_b32_e32 v1, 2, v0
	v_mov_b32_e32 v2, s1
	v_add_co_u32_e32 v4, vcc, s0, v1
	v_addc_co_u32_e32 v5, vcc, 0, v2, vcc
	v_add_co_u32_e32 v2, vcc, 0x1000, v4
	v_addc_co_u32_e32 v3, vcc, 0, v5, vcc
	global_load_dword v6, v1, s[0:1]
	global_load_dword v7, v1, s[0:1] offset:1024
	global_load_dword v8, v1, s[0:1] offset:2048
	;; [unrolled: 1-line block ×3, first 2 shown]
	global_load_dword v10, v[2:3], off
	global_load_dword v11, v[2:3], off offset:1024
	global_load_dword v12, v[2:3], off offset:2048
	;; [unrolled: 1-line block ×3, first 2 shown]
	v_add_co_u32_e32 v2, vcc, 0x2000, v4
	v_addc_co_u32_e32 v3, vcc, 0, v5, vcc
	global_load_dword v4, v[2:3], off
	global_load_dword v5, v[2:3], off offset:1024
	s_mov_b64 s[8:9], 0
	s_waitcnt vmcnt(8)
	ds_write2st64_b32 v1, v6, v7 offset1:4
	s_waitcnt vmcnt(6)
	ds_write2st64_b32 v1, v8, v9 offset0:8 offset1:12
	s_waitcnt vmcnt(4)
	ds_write2st64_b32 v1, v10, v11 offset0:16 offset1:20
	;; [unrolled: 2-line block ×4, first 2 shown]
	s_waitcnt lgkmcnt(0)
	s_barrier
.LBB412_2:
	s_andn2_b64 vcc, exec, s[8:9]
	s_addk_i32 s7, 0xa00
	s_cbranch_vccnz .LBB412_24
; %bb.3:
	v_cmp_gt_u32_e32 vcc, s7, v0
                                        ; implicit-def: $vgpr2_vgpr3_vgpr4_vgpr5_vgpr6_vgpr7_vgpr8_vgpr9_vgpr10_vgpr11
	s_and_saveexec_b64 s[8:9], vcc
	s_cbranch_execz .LBB412_5
; %bb.4:
	v_lshlrev_b32_e32 v1, 2, v0
	global_load_dword v2, v1, s[0:1]
.LBB412_5:
	s_or_b64 exec, exec, s[8:9]
	v_or_b32_e32 v1, 0x100, v0
	v_cmp_gt_u32_e32 vcc, s7, v1
	s_and_saveexec_b64 s[8:9], vcc
	s_cbranch_execz .LBB412_7
; %bb.6:
	v_lshlrev_b32_e32 v1, 2, v0
	global_load_dword v3, v1, s[0:1] offset:1024
.LBB412_7:
	s_or_b64 exec, exec, s[8:9]
	v_or_b32_e32 v1, 0x200, v0
	v_cmp_gt_u32_e32 vcc, s7, v1
	s_and_saveexec_b64 s[8:9], vcc
	s_cbranch_execz .LBB412_9
; %bb.8:
	v_lshlrev_b32_e32 v1, 2, v0
	global_load_dword v4, v1, s[0:1] offset:2048
.LBB412_9:
	;; [unrolled: 9-line block ×3, first 2 shown]
	s_or_b64 exec, exec, s[8:9]
	v_or_b32_e32 v1, 0x400, v0
	v_cmp_gt_u32_e32 vcc, s7, v1
	s_and_saveexec_b64 s[8:9], vcc
	s_cbranch_execz .LBB412_13
; %bb.12:
	v_lshlrev_b32_e32 v1, 2, v1
	global_load_dword v6, v1, s[0:1]
.LBB412_13:
	s_or_b64 exec, exec, s[8:9]
	v_or_b32_e32 v1, 0x500, v0
	v_cmp_gt_u32_e32 vcc, s7, v1
	s_and_saveexec_b64 s[8:9], vcc
	s_cbranch_execz .LBB412_15
; %bb.14:
	v_lshlrev_b32_e32 v1, 2, v1
	global_load_dword v7, v1, s[0:1]
.LBB412_15:
	;; [unrolled: 9-line block ×6, first 2 shown]
	s_or_b64 exec, exec, s[8:9]
	v_lshlrev_b32_e32 v1, 2, v0
	s_waitcnt vmcnt(0)
	ds_write2st64_b32 v1, v2, v3 offset1:4
	ds_write2st64_b32 v1, v4, v5 offset0:8 offset1:12
	ds_write2st64_b32 v1, v6, v7 offset0:16 offset1:20
	;; [unrolled: 1-line block ×4, first 2 shown]
	s_waitcnt lgkmcnt(0)
	s_barrier
.LBB412_24:
	v_mul_u32_u24_e32 v25, 10, v0
	v_lshlrev_b32_e32 v1, 2, v25
	s_waitcnt lgkmcnt(0)
	ds_read2_b64 v[6:9], v1 offset1:1
	ds_read2_b64 v[2:5], v1 offset0:2 offset1:3
	ds_read_b64 v[14:15], v1 offset:32
	s_cmp_lg_u32 s6, 0
	s_cselect_b64 s[34:35], -1, 0
	s_cmp_lg_u64 s[2:3], 0
	s_cselect_b64 s[2:3], -1, 0
	s_or_b64 s[2:3], s[34:35], s[2:3]
	v_or_b32_e32 v26, 1, v25
	v_mad_u32_u24 v24, v0, 10, 2
	v_mad_u32_u24 v23, v0, 10, 3
	;; [unrolled: 1-line block ×8, first 2 shown]
	s_mov_b64 s[36:37], 0
	s_and_b64 vcc, exec, s[2:3]
	s_waitcnt lgkmcnt(0)
	s_barrier
	s_cbranch_vccz .LBB412_29
; %bb.25:
	s_add_u32 s0, s0, -4
	s_addc_u32 s1, s1, -1
	s_load_dword s8, s[0:1], 0x0
	v_lshlrev_b32_e32 v10, 2, v0
	s_and_b64 vcc, exec, s[28:29]
	ds_write_b32 v10, v15
	s_cbranch_vccz .LBB412_31
; %bb.26:
	v_cmp_ne_u32_e32 vcc, 0, v0
	s_waitcnt lgkmcnt(0)
	v_mov_b32_e32 v11, s8
	s_barrier
	s_and_saveexec_b64 s[0:1], vcc
	s_cbranch_execz .LBB412_28
; %bb.27:
	v_add_u32_e32 v11, -4, v10
	ds_read_b32 v11, v11
.LBB412_28:
	s_or_b64 exec, exec, s[0:1]
	v_cmp_ne_u32_e32 vcc, v14, v15
	v_cndmask_b32_e64 v27, 0, 1, vcc
	v_cmp_ne_u32_e32 vcc, v5, v14
	v_cndmask_b32_e64 v28, 0, 1, vcc
	;; [unrolled: 2-line block ×9, first 2 shown]
	s_waitcnt lgkmcnt(0)
	v_cmp_ne_u32_e64 s[0:1], v11, v6
	v_lshlrev_b16_e32 v11, 8, v16
	v_or_b32_sdwa v11, v31, v11 dst_sel:WORD_1 dst_unused:UNUSED_PAD src0_sel:DWORD src1_sel:DWORD
	v_lshlrev_b16_e32 v16, 8, v32
	v_or_b32_e32 v16, v16, v11
	v_lshlrev_b16_e32 v11, 8, v29
	v_lshlrev_b16_e32 v12, 8, v12
	v_or_b32_e32 v11, v30, v11
	v_or_b32_sdwa v12, v17, v12 dst_sel:WORD_1 dst_unused:UNUSED_PAD src0_sel:DWORD src1_sel:DWORD
	v_or_b32_sdwa v17, v11, v12 dst_sel:DWORD dst_unused:UNUSED_PAD src0_sel:WORD_0 src1_sel:DWORD
	s_branch .LBB412_35
.LBB412_29:
                                        ; implicit-def: $sgpr0_sgpr1
                                        ; implicit-def: $vgpr27
                                        ; implicit-def: $vgpr28
                                        ; implicit-def: $vgpr17
	s_branch .LBB412_36
.LBB412_30:
                                        ; implicit-def: $vgpr10_vgpr11_vgpr12
	s_and_saveexec_b64 s[2:3], s[36:37]
	s_cbranch_execnz .LBB412_44
	s_branch .LBB412_45
.LBB412_31:
                                        ; implicit-def: $sgpr0_sgpr1
                                        ; implicit-def: $vgpr27
                                        ; implicit-def: $vgpr28
                                        ; implicit-def: $vgpr17
	s_cbranch_execz .LBB412_35
; %bb.32:
	v_cmp_ne_u32_e32 vcc, 0, v0
	s_waitcnt lgkmcnt(0)
	v_mov_b32_e32 v11, s8
	s_barrier
	s_and_saveexec_b64 s[0:1], vcc
	s_cbranch_execz .LBB412_34
; %bb.33:
	v_add_u32_e32 v10, -4, v10
	ds_read_b32 v11, v10
.LBB412_34:
	s_or_b64 exec, exec, s[0:1]
	v_cmp_gt_u32_e32 vcc, s7, v13
	v_cmp_ne_u32_e64 s[0:1], v14, v15
	s_and_b64 s[0:1], vcc, s[0:1]
	v_cndmask_b32_e64 v27, 0, 1, s[0:1]
	v_cmp_gt_u32_e32 vcc, s7, v18
	v_cmp_ne_u32_e64 s[0:1], v5, v14
	s_and_b64 s[0:1], vcc, s[0:1]
	v_cndmask_b32_e64 v28, 0, 1, s[0:1]
	;; [unrolled: 4-line block ×9, first 2 shown]
	s_waitcnt lgkmcnt(0)
	v_cmp_ne_u32_e64 s[0:1], v11, v6
	v_lshlrev_b16_e32 v11, 8, v16
	v_or_b32_sdwa v11, v30, v11 dst_sel:WORD_1 dst_unused:UNUSED_PAD src0_sel:DWORD src1_sel:DWORD
	v_lshlrev_b16_e32 v16, 8, v31
	v_or_b32_e32 v16, v16, v11
	v_lshlrev_b16_e32 v11, 8, v17
	v_lshlrev_b16_e32 v10, 8, v10
	v_cmp_gt_u32_e32 vcc, s7, v25
	v_or_b32_e32 v11, v29, v11
	v_or_b32_sdwa v10, v12, v10 dst_sel:WORD_1 dst_unused:UNUSED_PAD src0_sel:DWORD src1_sel:DWORD
	s_and_b64 s[0:1], vcc, s[0:1]
	v_or_b32_sdwa v17, v11, v10 dst_sel:DWORD dst_unused:UNUSED_PAD src0_sel:WORD_0 src1_sel:DWORD
.LBB412_35:
	s_mov_b64 s[36:37], -1
	s_cbranch_execnz .LBB412_30
.LBB412_36:
	s_movk_i32 s0, 0xffdc
	v_mad_i32_i24 v29, v0, s0, v1
	s_and_b64 vcc, exec, s[28:29]
	v_cmp_ne_u32_e64 s[0:1], v14, v15
	v_cmp_ne_u32_e64 s[2:3], v5, v14
	;; [unrolled: 1-line block ×3, first 2 shown]
	s_waitcnt lgkmcnt(0)
	v_cmp_ne_u32_e64 s[8:9], v3, v4
	v_cmp_ne_u32_e64 s[10:11], v2, v3
	v_cmp_ne_u32_e64 s[12:13], v9, v2
	v_cmp_ne_u32_e64 s[14:15], v8, v9
	v_cmp_ne_u32_e64 s[16:17], v7, v8
	v_cmp_ne_u32_e64 s[18:19], v6, v7
	ds_write_b32 v29, v15
	s_cbranch_vccz .LBB412_40
; %bb.37:
	v_cndmask_b32_e64 v10, 0, 1, s[20:21]
	v_cndmask_b32_e64 v12, 0, 1, s[10:11]
	v_cndmask_b32_e64 v11, 0, 1, s[8:9]
	v_cndmask_b32_e64 v16, 0, 1, s[12:13]
	v_lshlrev_b16_e32 v12, 8, v12
	v_lshlrev_b16_e32 v10, 8, v10
	v_cndmask_b32_e64 v27, 0, 1, s[0:1]
	v_or_b32_e32 v12, v16, v12
	v_or_b32_sdwa v10, v11, v10 dst_sel:WORD_1 dst_unused:UNUSED_PAD src0_sel:DWORD src1_sel:DWORD
	v_cndmask_b32_e64 v28, 0, 1, s[2:3]
	v_or_b32_sdwa v17, v12, v10 dst_sel:DWORD dst_unused:UNUSED_PAD src0_sel:WORD_0 src1_sel:DWORD
	v_lshlrev_b16_e32 v10, 8, v27
	v_cndmask_b32_e64 v30, 0, 1, s[14:15]
	v_cndmask_b32_e64 v32, 0, 1, s[18:19]
	v_or_b32_e32 v10, v28, v10
	v_cndmask_b32_e64 v31, 0, 1, s[16:17]
	v_and_b32_e32 v12, 0xffff, v10
	v_lshlrev_b16_e32 v10, 8, v30
	v_lshlrev_b16_e32 v11, 8, v32
	v_or_b32_sdwa v10, v31, v10 dst_sel:WORD_1 dst_unused:UNUSED_PAD src0_sel:DWORD src1_sel:DWORD
	v_or_b32_e32 v11, 1, v11
	v_or_b32_sdwa v16, v11, v10 dst_sel:DWORD dst_unused:UNUSED_PAD src0_sel:WORD_0 src1_sel:DWORD
	v_cmp_ne_u32_e32 vcc, 0, v0
	s_waitcnt lgkmcnt(0)
	s_barrier
	s_waitcnt lgkmcnt(0)
                                        ; implicit-def: $sgpr0_sgpr1
	s_and_saveexec_b64 s[2:3], vcc
	s_xor_b64 s[2:3], exec, s[2:3]
	s_cbranch_execz .LBB412_39
; %bb.38:
	v_add_u32_e32 v10, -4, v29
	ds_read_b32 v10, v10
	s_or_b64 s[36:37], s[36:37], exec
	s_waitcnt lgkmcnt(0)
	v_cmp_ne_u32_e32 vcc, v10, v6
	s_and_b64 s[0:1], vcc, exec
                                        ; implicit-def: $vgpr10_vgpr11_vgpr12
.LBB412_39:
	s_or_b64 exec, exec, s[2:3]
	s_branch .LBB412_43
.LBB412_40:
                                        ; implicit-def: $sgpr0_sgpr1
                                        ; implicit-def: $vgpr27
                                        ; implicit-def: $vgpr28
                                        ; implicit-def: $vgpr17
                                        ; implicit-def: $vgpr10_vgpr11_vgpr12
	s_cbranch_execz .LBB412_43
; %bb.41:
	v_cmp_gt_u32_e32 vcc, s7, v13
	v_cmp_ne_u32_e64 s[0:1], v14, v15
	s_and_b64 s[0:1], vcc, s[0:1]
	v_cndmask_b32_e64 v27, 0, 1, s[0:1]
	v_cmp_gt_u32_e32 vcc, s7, v18
	v_cmp_ne_u32_e64 s[0:1], v5, v14
	s_and_b64 s[0:1], vcc, s[0:1]
	v_cndmask_b32_e64 v28, 0, 1, s[0:1]
	;; [unrolled: 4-line block ×7, first 2 shown]
	v_cmp_gt_u32_e32 vcc, s7, v24
	v_cmp_ne_u32_e64 s[0:1], v7, v8
	s_and_b64 s[0:1], vcc, s[0:1]
	v_lshlrev_b16_e32 v12, 8, v12
	v_lshlrev_b16_e32 v10, 8, v10
	v_cndmask_b32_e64 v31, 0, 1, s[0:1]
	v_cmp_gt_u32_e32 vcc, s7, v26
	v_cmp_ne_u32_e64 s[0:1], v6, v7
	v_or_b32_e32 v12, v16, v12
	v_or_b32_sdwa v10, v11, v10 dst_sel:WORD_1 dst_unused:UNUSED_PAD src0_sel:DWORD src1_sel:DWORD
	s_and_b64 s[0:1], vcc, s[0:1]
	v_or_b32_sdwa v17, v12, v10 dst_sel:DWORD dst_unused:UNUSED_PAD src0_sel:WORD_0 src1_sel:DWORD
	v_lshlrev_b16_e32 v10, 8, v27
	v_cndmask_b32_e64 v32, 0, 1, s[0:1]
	v_or_b32_e32 v10, v28, v10
	v_and_b32_e32 v12, 0xffff, v10
	v_lshlrev_b16_e32 v10, 8, v30
	v_lshlrev_b16_e32 v11, 8, v32
	v_or_b32_sdwa v10, v31, v10 dst_sel:WORD_1 dst_unused:UNUSED_PAD src0_sel:DWORD src1_sel:DWORD
	v_or_b32_e32 v11, 1, v11
	v_or_b32_sdwa v16, v11, v10 dst_sel:DWORD dst_unused:UNUSED_PAD src0_sel:WORD_0 src1_sel:DWORD
	v_cmp_ne_u32_e32 vcc, 0, v0
	s_waitcnt lgkmcnt(0)
	s_barrier
	s_waitcnt lgkmcnt(0)
                                        ; implicit-def: $sgpr0_sgpr1
	s_and_saveexec_b64 s[2:3], vcc
	s_cbranch_execz .LBB412_156
; %bb.42:
	v_add_u32_e32 v10, -4, v29
	ds_read_b32 v10, v10
	v_cmp_gt_u32_e32 vcc, s7, v25
	s_or_b64 s[36:37], s[36:37], exec
	s_waitcnt lgkmcnt(0)
	v_cmp_ne_u32_e64 s[0:1], v10, v6
	s_and_b64 s[0:1], vcc, s[0:1]
	s_and_b64 s[0:1], s[0:1], exec
                                        ; implicit-def: $vgpr10_vgpr11_vgpr12
	s_or_b64 exec, exec, s[2:3]
.LBB412_43:
	s_and_saveexec_b64 s[2:3], s[36:37]
	s_cbranch_execz .LBB412_45
.LBB412_44:
	v_lshlrev_b16_e32 v11, 8, v27
	v_or_b32_sdwa v11, v28, v11 dst_sel:DWORD dst_unused:UNUSED_PAD src0_sel:BYTE_0 src1_sel:DWORD
	v_cndmask_b32_e64 v10, 0, 1, s[0:1]
	s_movk_i32 s0, 0xff
	v_and_b32_e32 v12, 0xffff, v11
	v_lshrrev_b32_e32 v11, 24, v16
	v_lshlrev_b16_e32 v11, 8, v11
	v_and_b32_sdwa v27, v16, s0 dst_sel:DWORD dst_unused:UNUSED_PAD src0_sel:WORD_1 src1_sel:DWORD
	v_or_b32_sdwa v11, v27, v11 dst_sel:WORD_1 dst_unused:UNUSED_PAD src0_sel:DWORD src1_sel:DWORD
	v_mov_b32_e32 v27, 8
	v_lshrrev_b32_sdwa v16, v27, v16 dst_sel:BYTE_1 dst_unused:UNUSED_PAD src0_sel:DWORD src1_sel:DWORD
	v_or_b32_e32 v10, v10, v16
	v_or_b32_sdwa v16, v10, v11 dst_sel:DWORD dst_unused:UNUSED_PAD src0_sel:WORD_0 src1_sel:DWORD
.LBB412_45:
	s_or_b64 exec, exec, s[2:3]
	s_load_dwordx2 s[20:21], s[4:5], 0x60
	s_andn2_b64 vcc, exec, s[30:31]
	s_cbranch_vccnz .LBB412_47
; %bb.46:
	v_and_b32_e32 v11, 0xffff0000, v16
	v_cmp_gt_u32_e32 vcc, s7, v25
	v_cndmask_b32_e32 v11, v11, v16, vcc
	v_and_b32_e32 v11, 0xffff00ff, v11
	v_cmp_gt_u32_e32 vcc, s7, v26
	v_cndmask_b32_e32 v11, v11, v16, vcc
	v_lshrrev_b32_e32 v25, 24, v11
	s_mov_b32 s0, 0x40c0100
	v_perm_b32 v11, v25, v11, s0
	v_cmp_gt_u32_e32 vcc, s7, v24
	v_cndmask_b32_e32 v11, v11, v16, vcc
	v_and_b32_e32 v11, 0xffffff, v11
	v_cmp_gt_u32_e32 vcc, s7, v23
	v_cndmask_b32_e32 v11, v11, v16, vcc
	v_and_b32_e32 v23, 0xffffff00, v17
	;; [unrolled: 3-line block ×3, first 2 shown]
	v_cndmask_b32_e32 v11, v11, v16, vcc
	v_cmp_gt_u32_e32 vcc, s7, v21
	v_cndmask_b32_e32 v21, v22, v17, vcc
	v_lshrrev_b32_e32 v22, 24, v21
	v_and_b32_e32 v10, 0xffff0000, v12
	v_cndmask_b32_e32 v11, v11, v16, vcc
	v_perm_b32 v21, v22, v21, s0
	v_cmp_gt_u32_e32 vcc, s7, v20
	v_cmp_gt_u32_e64 s[0:1], s7, v18
	v_cmp_gt_u32_e64 s[2:3], s7, v13
	v_cndmask_b32_e32 v20, v21, v17, vcc
	v_cndmask_b32_e32 v11, v11, v16, vcc
	v_cmp_gt_u32_e32 vcc, s7, v19
	v_cndmask_b32_e64 v10, v10, v12, s[0:1]
	s_or_b64 s[0:1], s[2:3], s[0:1]
	s_or_b64 vcc, s[0:1], vcc
	v_and_b32_e32 v10, 0xffff00ff, v10
	v_cndmask_b32_e32 v11, v11, v16, vcc
	s_mov_b32 s0, 0x3020104
	v_cndmask_b32_e64 v10, v10, v12, s[2:3]
	v_perm_b32 v16, v11, v11, s0
	v_mov_b32_e32 v11, 8
	v_lshrrev_b32_sdwa v11, v11, v10 dst_sel:BYTE_1 dst_unused:UNUSED_PAD src0_sel:DWORD src1_sel:DWORD
	v_and_b32_e32 v19, 0xffffff, v20
	v_or_b32_sdwa v10, v10, v11 dst_sel:DWORD dst_unused:UNUSED_PAD src0_sel:BYTE_0 src1_sel:DWORD
	v_cndmask_b32_e32 v17, v19, v17, vcc
	v_and_b32_e32 v12, 0xffff, v10
.LBB412_47:
	v_alignbit_b32 v10, v17, v16, 24
	v_bfe_u32 v27, v16, 16, 8
	v_and_b32_e32 v29, 0xff, v10
	v_add_u32_sdwa v11, v16, v16 dst_sel:DWORD dst_unused:UNUSED_PAD src0_sel:BYTE_1 src1_sel:BYTE_0
	v_and_b32_e32 v31, 0xff, v17
	v_bfe_u32 v33, v17, 8, 8
	v_add3_u32 v11, v11, v27, v29
	v_bfe_u32 v35, v17, 16, 8
	v_lshrrev_b32_e32 v13, 24, v17
	v_add3_u32 v11, v11, v31, v33
	v_and_b32_e32 v37, 0xff, v12
	v_bfe_u32 v10, v12, 8, 8
	v_add3_u32 v11, v11, v35, v13
	v_add3_u32 v42, v11, v37, v10
	v_mbcnt_lo_u32_b32 v10, -1, 0
	v_mbcnt_hi_u32_b32 v39, -1, v10
	v_and_b32_e32 v10, 15, v39
	v_cmp_eq_u32_e64 s[14:15], 0, v10
	v_cmp_lt_u32_e64 s[12:13], 1, v10
	v_cmp_lt_u32_e64 s[10:11], 3, v10
	s_waitcnt lgkmcnt(0)
	v_cmp_lt_u32_e64 s[8:9], 7, v10
	v_and_b32_e32 v10, 16, v39
	v_cmp_eq_u32_e64 s[18:19], 0, v10
	v_or_b32_e32 v10, 63, v0
	v_cmp_lt_u32_e64 s[0:1], 31, v39
	v_lshrrev_b32_e32 v41, 6, v0
	v_cmp_eq_u32_e64 s[2:3], v10, v0
	s_and_b64 vcc, exec, s[34:35]
	s_barrier
	s_cbranch_vccz .LBB412_74
; %bb.48:
	v_mov_b32_dpp v10, v42 row_shr:1 row_mask:0xf bank_mask:0xf
	v_cndmask_b32_e64 v10, v10, 0, s[14:15]
	v_add_u32_e32 v10, v10, v42
	s_nop 1
	v_mov_b32_dpp v11, v10 row_shr:2 row_mask:0xf bank_mask:0xf
	v_cndmask_b32_e64 v11, 0, v11, s[12:13]
	v_add_u32_e32 v10, v10, v11
	s_nop 1
	;; [unrolled: 4-line block ×4, first 2 shown]
	v_mov_b32_dpp v11, v10 row_bcast:15 row_mask:0xf bank_mask:0xf
	v_cndmask_b32_e64 v11, v11, 0, s[18:19]
	v_add_u32_e32 v10, v10, v11
	s_nop 1
	v_mov_b32_dpp v11, v10 row_bcast:31 row_mask:0xf bank_mask:0xf
	v_cndmask_b32_e64 v11, 0, v11, s[0:1]
	v_add_u32_e32 v10, v10, v11
	s_and_saveexec_b64 s[16:17], s[2:3]
	s_cbranch_execz .LBB412_50
; %bb.49:
	v_lshlrev_b32_e32 v11, 2, v41
	ds_write_b32 v11, v10
.LBB412_50:
	s_or_b64 exec, exec, s[16:17]
	v_cmp_gt_u32_e32 vcc, 4, v0
	s_waitcnt lgkmcnt(0)
	s_barrier
	s_and_saveexec_b64 s[16:17], vcc
	s_cbranch_execz .LBB412_52
; %bb.51:
	v_lshlrev_b32_e32 v11, 2, v0
	ds_read_b32 v18, v11
	v_and_b32_e32 v19, 3, v39
	v_cmp_ne_u32_e32 vcc, 0, v19
	s_waitcnt lgkmcnt(0)
	v_mov_b32_dpp v20, v18 row_shr:1 row_mask:0xf bank_mask:0xf
	v_cndmask_b32_e32 v20, 0, v20, vcc
	v_add_u32_e32 v18, v20, v18
	v_cmp_lt_u32_e32 vcc, 1, v19
	s_nop 0
	v_mov_b32_dpp v20, v18 row_shr:2 row_mask:0xf bank_mask:0xf
	v_cndmask_b32_e32 v19, 0, v20, vcc
	v_add_u32_e32 v18, v18, v19
	ds_write_b32 v11, v18
.LBB412_52:
	s_or_b64 exec, exec, s[16:17]
	v_cmp_gt_u32_e32 vcc, 64, v0
	v_cmp_lt_u32_e64 s[16:17], 63, v0
	s_waitcnt lgkmcnt(0)
	s_barrier
	s_waitcnt lgkmcnt(0)
                                        ; implicit-def: $vgpr26
	s_and_saveexec_b64 s[30:31], s[16:17]
	s_cbranch_execz .LBB412_54
; %bb.53:
	v_lshl_add_u32 v11, v41, 2, -4
	ds_read_b32 v26, v11
	s_waitcnt lgkmcnt(0)
	v_add_u32_e32 v10, v26, v10
.LBB412_54:
	s_or_b64 exec, exec, s[30:31]
	v_add_u32_e32 v11, -1, v39
	v_and_b32_e32 v18, 64, v39
	v_cmp_lt_i32_e64 s[16:17], v11, v18
	v_cndmask_b32_e64 v11, v11, v39, s[16:17]
	v_lshlrev_b32_e32 v11, 2, v11
	ds_bpermute_b32 v28, v11, v10
	v_cmp_eq_u32_e64 s[16:17], 0, v39
	s_and_saveexec_b64 s[30:31], vcc
	s_cbranch_execz .LBB412_73
; %bb.55:
	v_mov_b32_e32 v23, 0
	ds_read_b32 v10, v23 offset:12
	s_and_saveexec_b64 s[34:35], s[16:17]
	s_cbranch_execz .LBB412_57
; %bb.56:
	s_add_i32 s36, s6, 64
	s_mov_b32 s37, 0
	s_lshl_b64 s[36:37], s[36:37], 3
	s_add_u32 s36, s20, s36
	v_mov_b32_e32 v11, 1
	s_addc_u32 s37, s21, s37
	s_waitcnt lgkmcnt(0)
	global_store_dwordx2 v23, v[10:11], s[36:37]
.LBB412_57:
	s_or_b64 exec, exec, s[34:35]
	v_xad_u32 v18, v39, -1, s6
	v_add_u32_e32 v22, 64, v18
	v_lshlrev_b64 v[20:21], 3, v[22:23]
	v_mov_b32_e32 v11, s21
	v_add_co_u32_e32 v24, vcc, s20, v20
	v_addc_co_u32_e32 v25, vcc, v11, v21, vcc
	global_load_dwordx2 v[20:21], v[24:25], off glc
	s_waitcnt vmcnt(0)
	v_cmp_eq_u16_sdwa s[36:37], v21, v23 src0_sel:BYTE_0 src1_sel:DWORD
	s_and_saveexec_b64 s[34:35], s[36:37]
	s_cbranch_execz .LBB412_61
; %bb.58:
	s_mov_b64 s[36:37], 0
	v_mov_b32_e32 v11, 0
.LBB412_59:                             ; =>This Inner Loop Header: Depth=1
	global_load_dwordx2 v[20:21], v[24:25], off glc
	s_waitcnt vmcnt(0)
	v_cmp_ne_u16_sdwa s[38:39], v21, v11 src0_sel:BYTE_0 src1_sel:DWORD
	s_or_b64 s[36:37], s[38:39], s[36:37]
	s_andn2_b64 exec, exec, s[36:37]
	s_cbranch_execnz .LBB412_59
; %bb.60:
	s_or_b64 exec, exec, s[36:37]
.LBB412_61:
	s_or_b64 exec, exec, s[34:35]
	v_and_b32_e32 v32, 63, v39
	v_mov_b32_e32 v30, 2
	v_cmp_ne_u32_e32 vcc, 63, v32
	v_cmp_eq_u16_sdwa s[34:35], v21, v30 src0_sel:BYTE_0 src1_sel:DWORD
	v_lshlrev_b64 v[22:23], v39, -1
	v_addc_co_u32_e32 v24, vcc, 0, v39, vcc
	v_and_b32_e32 v11, s35, v23
	v_lshlrev_b32_e32 v34, 2, v24
	v_or_b32_e32 v11, 0x80000000, v11
	ds_bpermute_b32 v24, v34, v20
	v_and_b32_e32 v19, s34, v22
	v_ffbl_b32_e32 v11, v11
	v_add_u32_e32 v11, 32, v11
	v_ffbl_b32_e32 v19, v19
	v_min_u32_e32 v11, v19, v11
	v_cmp_lt_u32_e32 vcc, v32, v11
	s_waitcnt lgkmcnt(0)
	v_cndmask_b32_e32 v19, 0, v24, vcc
	v_cmp_gt_u32_e32 vcc, 62, v32
	v_add_u32_e32 v19, v19, v20
	v_cndmask_b32_e64 v20, 0, 1, vcc
	v_lshlrev_b32_e32 v20, 1, v20
	v_add_lshl_u32 v36, v20, v39, 2
	ds_bpermute_b32 v20, v36, v19
	v_add_u32_e32 v38, 2, v32
	v_cmp_le_u32_e32 vcc, v38, v11
	v_add_u32_e32 v43, 4, v32
	v_add_u32_e32 v45, 8, v32
	s_waitcnt lgkmcnt(0)
	v_cndmask_b32_e32 v20, 0, v20, vcc
	v_cmp_gt_u32_e32 vcc, 60, v32
	v_add_u32_e32 v19, v19, v20
	v_cndmask_b32_e64 v20, 0, 1, vcc
	v_lshlrev_b32_e32 v20, 2, v20
	v_add_lshl_u32 v40, v20, v39, 2
	ds_bpermute_b32 v20, v40, v19
	v_cmp_le_u32_e32 vcc, v43, v11
	v_add_u32_e32 v47, 16, v32
	v_add_u32_e32 v49, 32, v32
	s_waitcnt lgkmcnt(0)
	v_cndmask_b32_e32 v20, 0, v20, vcc
	v_cmp_gt_u32_e32 vcc, 56, v32
	v_add_u32_e32 v19, v19, v20
	v_cndmask_b32_e64 v20, 0, 1, vcc
	v_lshlrev_b32_e32 v20, 3, v20
	v_add_lshl_u32 v44, v20, v39, 2
	ds_bpermute_b32 v20, v44, v19
	v_cmp_le_u32_e32 vcc, v45, v11
	s_waitcnt lgkmcnt(0)
	v_cndmask_b32_e32 v20, 0, v20, vcc
	v_cmp_gt_u32_e32 vcc, 48, v32
	v_add_u32_e32 v19, v19, v20
	v_cndmask_b32_e64 v20, 0, 1, vcc
	v_lshlrev_b32_e32 v20, 4, v20
	v_add_lshl_u32 v46, v20, v39, 2
	ds_bpermute_b32 v20, v46, v19
	v_cmp_le_u32_e32 vcc, v47, v11
	;; [unrolled: 9-line block ×3, first 2 shown]
	s_waitcnt lgkmcnt(0)
	v_cndmask_b32_e32 v11, 0, v20, vcc
	v_add_u32_e32 v20, v19, v11
	v_mov_b32_e32 v19, 0
	s_branch .LBB412_63
.LBB412_62:                             ;   in Loop: Header=BB412_63 Depth=1
	s_or_b64 exec, exec, s[34:35]
	v_cmp_eq_u16_sdwa s[34:35], v21, v30 src0_sel:BYTE_0 src1_sel:DWORD
	v_and_b32_e32 v24, s35, v23
	v_or_b32_e32 v24, 0x80000000, v24
	ds_bpermute_b32 v50, v34, v20
	v_and_b32_e32 v25, s34, v22
	v_ffbl_b32_e32 v24, v24
	v_add_u32_e32 v24, 32, v24
	v_ffbl_b32_e32 v25, v25
	v_min_u32_e32 v24, v25, v24
	v_cmp_lt_u32_e32 vcc, v32, v24
	s_waitcnt lgkmcnt(0)
	v_cndmask_b32_e32 v25, 0, v50, vcc
	v_add_u32_e32 v20, v25, v20
	ds_bpermute_b32 v25, v36, v20
	v_cmp_le_u32_e32 vcc, v38, v24
	v_subrev_u32_e32 v18, 64, v18
	s_waitcnt lgkmcnt(0)
	v_cndmask_b32_e32 v25, 0, v25, vcc
	v_add_u32_e32 v20, v20, v25
	ds_bpermute_b32 v25, v40, v20
	v_cmp_le_u32_e32 vcc, v43, v24
	s_waitcnt lgkmcnt(0)
	v_cndmask_b32_e32 v25, 0, v25, vcc
	v_add_u32_e32 v20, v20, v25
	ds_bpermute_b32 v25, v44, v20
	v_cmp_le_u32_e32 vcc, v45, v24
	;; [unrolled: 5-line block ×4, first 2 shown]
	s_waitcnt lgkmcnt(0)
	v_cndmask_b32_e32 v24, 0, v25, vcc
	v_add3_u32 v20, v24, v11, v20
.LBB412_63:                             ; =>This Loop Header: Depth=1
                                        ;     Child Loop BB412_66 Depth 2
	v_cmp_ne_u16_sdwa s[34:35], v21, v30 src0_sel:BYTE_0 src1_sel:DWORD
	v_cndmask_b32_e64 v11, 0, 1, s[34:35]
	;;#ASMSTART
	;;#ASMEND
	v_cmp_ne_u32_e32 vcc, 0, v11
	s_cmp_lg_u64 vcc, exec
	v_mov_b32_e32 v11, v20
	s_cbranch_scc1 .LBB412_68
; %bb.64:                               ;   in Loop: Header=BB412_63 Depth=1
	v_lshlrev_b64 v[20:21], 3, v[18:19]
	v_mov_b32_e32 v25, s21
	v_add_co_u32_e32 v24, vcc, s20, v20
	v_addc_co_u32_e32 v25, vcc, v25, v21, vcc
	global_load_dwordx2 v[20:21], v[24:25], off glc
	s_waitcnt vmcnt(0)
	v_cmp_eq_u16_sdwa s[36:37], v21, v19 src0_sel:BYTE_0 src1_sel:DWORD
	s_and_saveexec_b64 s[34:35], s[36:37]
	s_cbranch_execz .LBB412_62
; %bb.65:                               ;   in Loop: Header=BB412_63 Depth=1
	s_mov_b64 s[36:37], 0
.LBB412_66:                             ;   Parent Loop BB412_63 Depth=1
                                        ; =>  This Inner Loop Header: Depth=2
	global_load_dwordx2 v[20:21], v[24:25], off glc
	s_waitcnt vmcnt(0)
	v_cmp_ne_u16_sdwa s[38:39], v21, v19 src0_sel:BYTE_0 src1_sel:DWORD
	s_or_b64 s[36:37], s[38:39], s[36:37]
	s_andn2_b64 exec, exec, s[36:37]
	s_cbranch_execnz .LBB412_66
; %bb.67:                               ;   in Loop: Header=BB412_63 Depth=1
	s_or_b64 exec, exec, s[36:37]
	s_branch .LBB412_62
.LBB412_68:                             ;   in Loop: Header=BB412_63 Depth=1
                                        ; implicit-def: $vgpr20
                                        ; implicit-def: $vgpr21
	s_cbranch_execz .LBB412_63
; %bb.69:
	s_and_saveexec_b64 s[34:35], s[16:17]
	s_cbranch_execz .LBB412_71
; %bb.70:
	s_add_i32 s6, s6, 64
	s_mov_b32 s7, 0
	s_lshl_b64 s[6:7], s[6:7], 3
	s_add_u32 s6, s20, s6
	v_add_u32_e32 v18, v11, v10
	v_mov_b32_e32 v19, 2
	s_addc_u32 s7, s21, s7
	v_mov_b32_e32 v20, 0
	global_store_dwordx2 v20, v[18:19], s[6:7]
	ds_write_b64 v20, v[10:11] offset:10240
.LBB412_71:
	s_or_b64 exec, exec, s[34:35]
	v_cmp_eq_u32_e32 vcc, 0, v0
	s_and_b64 exec, exec, vcc
	s_cbranch_execz .LBB412_73
; %bb.72:
	v_mov_b32_e32 v10, 0
	ds_write_b32 v10, v11 offset:12
.LBB412_73:
	s_or_b64 exec, exec, s[30:31]
	v_mov_b32_e32 v10, 0
	s_waitcnt lgkmcnt(0)
	s_barrier
	ds_read_b32 v11, v10 offset:12
	v_cndmask_b32_e64 v18, v28, v26, s[16:17]
	v_cmp_ne_u32_e32 vcc, 0, v0
	v_cndmask_b32_e32 v18, 0, v18, vcc
	s_waitcnt lgkmcnt(0)
	v_add_u32_e32 v40, v11, v18
	v_add_u32_sdwa v38, v40, v16 dst_sel:DWORD dst_unused:UNUSED_PAD src0_sel:DWORD src1_sel:BYTE_0
	v_add_u32_sdwa v36, v38, v16 dst_sel:DWORD dst_unused:UNUSED_PAD src0_sel:DWORD src1_sel:BYTE_1
	v_add_u32_e32 v34, v36, v27
	v_add_u32_e32 v32, v34, v29
	s_barrier
	ds_read_b64 v[10:11], v10 offset:10240
	v_add_u32_e32 v30, v32, v31
	v_add_u32_e32 v28, v30, v33
	v_add_u32_e32 v26, v28, v35
	v_add_u32_e32 v22, v26, v13
	v_add_u32_e32 v20, v22, v37
	s_waitcnt lgkmcnt(0)
	v_mov_b32_e32 v18, v11
	s_load_dwordx2 s[4:5], s[4:5], 0x28
	v_lshrrev_b64 v[24:25], 24, v[16:17]
	s_branch .LBB412_84
.LBB412_74:
                                        ; implicit-def: $vgpr18
                                        ; implicit-def: $vgpr10
                                        ; implicit-def: $vgpr20
                                        ; implicit-def: $vgpr22
                                        ; implicit-def: $vgpr26
                                        ; implicit-def: $vgpr28
                                        ; implicit-def: $vgpr30
                                        ; implicit-def: $vgpr32
                                        ; implicit-def: $vgpr34
                                        ; implicit-def: $vgpr36
                                        ; implicit-def: $vgpr38
                                        ; implicit-def: $vgpr40
	s_load_dwordx2 s[4:5], s[4:5], 0x28
	v_lshrrev_b64 v[24:25], 24, v[16:17]
	s_cbranch_execz .LBB412_84
; %bb.75:
	v_mov_b32_dpp v10, v42 row_shr:1 row_mask:0xf bank_mask:0xf
	v_cndmask_b32_e64 v10, v10, 0, s[14:15]
	v_add_u32_e32 v10, v10, v42
	s_nop 1
	v_mov_b32_dpp v11, v10 row_shr:2 row_mask:0xf bank_mask:0xf
	v_cndmask_b32_e64 v11, 0, v11, s[12:13]
	v_add_u32_e32 v10, v10, v11
	s_nop 1
	v_mov_b32_dpp v11, v10 row_shr:4 row_mask:0xf bank_mask:0xf
	v_cndmask_b32_e64 v11, 0, v11, s[10:11]
	v_add_u32_e32 v10, v10, v11
	s_nop 1
	v_mov_b32_dpp v11, v10 row_shr:8 row_mask:0xf bank_mask:0xf
	v_cndmask_b32_e64 v11, 0, v11, s[8:9]
	v_add_u32_e32 v10, v10, v11
	s_nop 1
	v_mov_b32_dpp v11, v10 row_bcast:15 row_mask:0xf bank_mask:0xf
	v_cndmask_b32_e64 v11, v11, 0, s[18:19]
	v_add_u32_e32 v10, v10, v11
	s_nop 1
	v_mov_b32_dpp v11, v10 row_bcast:31 row_mask:0xf bank_mask:0xf
	v_cndmask_b32_e64 v11, 0, v11, s[0:1]
	v_add_u32_e32 v10, v10, v11
	s_and_saveexec_b64 s[0:1], s[2:3]
	s_cbranch_execz .LBB412_77
; %bb.76:
	v_lshlrev_b32_e32 v11, 2, v41
	ds_write_b32 v11, v10
.LBB412_77:
	s_or_b64 exec, exec, s[0:1]
	v_cmp_gt_u32_e32 vcc, 4, v0
	s_waitcnt lgkmcnt(0)
	s_barrier
	s_and_saveexec_b64 s[0:1], vcc
	s_cbranch_execz .LBB412_79
; %bb.78:
	s_movk_i32 s2, 0xffdc
	v_mad_i32_i24 v1, v0, s2, v1
	ds_read_b32 v11, v1
	v_and_b32_e32 v18, 3, v39
	v_cmp_ne_u32_e32 vcc, 0, v18
	s_waitcnt lgkmcnt(0)
	v_mov_b32_dpp v19, v11 row_shr:1 row_mask:0xf bank_mask:0xf
	v_cndmask_b32_e32 v19, 0, v19, vcc
	v_add_u32_e32 v11, v19, v11
	v_cmp_lt_u32_e32 vcc, 1, v18
	s_nop 0
	v_mov_b32_dpp v19, v11 row_shr:2 row_mask:0xf bank_mask:0xf
	v_cndmask_b32_e32 v18, 0, v19, vcc
	v_add_u32_e32 v11, v11, v18
	ds_write_b32 v1, v11
.LBB412_79:
	s_or_b64 exec, exec, s[0:1]
	v_cmp_lt_u32_e32 vcc, 63, v0
	v_mov_b32_e32 v11, 0
	v_mov_b32_e32 v1, 0
	s_waitcnt lgkmcnt(0)
	s_barrier
	s_and_saveexec_b64 s[0:1], vcc
	s_cbranch_execz .LBB412_81
; %bb.80:
	v_lshl_add_u32 v1, v41, 2, -4
	ds_read_b32 v1, v1
.LBB412_81:
	s_or_b64 exec, exec, s[0:1]
	v_add_u32_e32 v18, -1, v39
	v_and_b32_e32 v19, 64, v39
	v_cmp_lt_i32_e32 vcc, v18, v19
	v_cndmask_b32_e32 v18, v18, v39, vcc
	s_waitcnt lgkmcnt(0)
	v_add_u32_e32 v10, v1, v10
	v_lshlrev_b32_e32 v18, 2, v18
	ds_bpermute_b32 v18, v18, v10
	ds_read_b32 v10, v11 offset:12
	v_cmp_eq_u32_e32 vcc, 0, v0
	s_and_saveexec_b64 s[0:1], vcc
	s_cbranch_execz .LBB412_83
; %bb.82:
	v_mov_b32_e32 v19, 0
	v_mov_b32_e32 v11, 2
	s_waitcnt lgkmcnt(0)
	global_store_dwordx2 v19, v[10:11], s[20:21] offset:512
.LBB412_83:
	s_or_b64 exec, exec, s[0:1]
	v_cmp_eq_u32_e64 s[0:1], 0, v39
	s_waitcnt lgkmcnt(1)
	v_cndmask_b32_e64 v1, v18, v1, s[0:1]
	v_cndmask_b32_e64 v40, v1, 0, vcc
	v_add_u32_sdwa v38, v40, v16 dst_sel:DWORD dst_unused:UNUSED_PAD src0_sel:DWORD src1_sel:BYTE_0
	v_add_u32_sdwa v36, v38, v16 dst_sel:DWORD dst_unused:UNUSED_PAD src0_sel:DWORD src1_sel:BYTE_1
	v_add_u32_e32 v34, v36, v27
	v_add_u32_e32 v32, v34, v29
	;; [unrolled: 1-line block ×6, first 2 shown]
	v_mov_b32_e32 v18, 0
	v_add_u32_e32 v20, v22, v37
	s_waitcnt lgkmcnt(0)
	s_barrier
.LBB412_84:
	s_movk_i32 s0, 0x101
	v_cmp_gt_u32_e32 vcc, s0, v10
	v_lshrrev_b32_e32 v19, 8, v16
	v_lshrrev_b32_e32 v11, 8, v17
	;; [unrolled: 1-line block ×3, first 2 shown]
	s_mov_b64 s[0:1], -1
	s_cbranch_vccnz .LBB412_88
; %bb.85:
	s_and_b64 vcc, exec, s[0:1]
	s_cbranch_vccnz .LBB412_119
.LBB412_86:
	v_cmp_eq_u32_e32 vcc, 0, v0
	s_and_b64 s[0:1], vcc, s[26:27]
	s_and_saveexec_b64 s[2:3], s[0:1]
	s_cbranch_execnz .LBB412_155
.LBB412_87:
	s_endpgm
.LBB412_88:
	v_add_u32_e32 v21, v18, v10
	s_lshl_b64 s[0:1], s[22:23], 2
	s_waitcnt lgkmcnt(0)
	s_add_u32 s2, s4, s0
	v_cmp_lt_u32_e32 vcc, v40, v21
	s_addc_u32 s3, s5, s1
	s_or_b64 s[6:7], s[28:29], vcc
	s_and_saveexec_b64 s[0:1], s[6:7]
	s_cbranch_execz .LBB412_91
; %bb.89:
	v_and_b32_e32 v23, 1, v16
	v_cmp_eq_u32_e32 vcc, 1, v23
	s_and_b64 exec, exec, vcc
	s_cbranch_execz .LBB412_91
; %bb.90:
	v_mov_b32_e32 v41, 0
	v_lshlrev_b64 v[42:43], 2, v[40:41]
	v_mov_b32_e32 v23, s3
	v_add_co_u32_e32 v42, vcc, s2, v42
	v_addc_co_u32_e32 v43, vcc, v23, v43, vcc
	global_store_dword v[42:43], v6, off
.LBB412_91:
	s_or_b64 exec, exec, s[0:1]
	v_cmp_lt_u32_e32 vcc, v38, v21
	s_or_b64 s[6:7], s[28:29], vcc
	s_and_saveexec_b64 s[0:1], s[6:7]
	s_cbranch_execz .LBB412_94
; %bb.92:
	v_and_b32_e32 v23, 1, v19
	v_cmp_eq_u32_e32 vcc, 1, v23
	s_and_b64 exec, exec, vcc
	s_cbranch_execz .LBB412_94
; %bb.93:
	v_mov_b32_e32 v39, 0
	v_lshlrev_b64 v[42:43], 2, v[38:39]
	v_mov_b32_e32 v23, s3
	v_add_co_u32_e32 v42, vcc, s2, v42
	v_addc_co_u32_e32 v43, vcc, v23, v43, vcc
	global_store_dword v[42:43], v7, off
.LBB412_94:
	s_or_b64 exec, exec, s[0:1]
	v_cmp_lt_u32_e32 vcc, v36, v21
	s_or_b64 s[6:7], s[28:29], vcc
	s_and_saveexec_b64 s[0:1], s[6:7]
	s_cbranch_execz .LBB412_97
; %bb.95:
	v_mov_b32_e32 v23, 1
	v_and_b32_sdwa v23, v23, v16 dst_sel:DWORD dst_unused:UNUSED_PAD src0_sel:DWORD src1_sel:WORD_1
	v_cmp_eq_u32_e32 vcc, 1, v23
	s_and_b64 exec, exec, vcc
	s_cbranch_execz .LBB412_97
; %bb.96:
	v_mov_b32_e32 v37, 0
	v_lshlrev_b64 v[42:43], 2, v[36:37]
	v_mov_b32_e32 v23, s3
	v_add_co_u32_e32 v42, vcc, s2, v42
	v_addc_co_u32_e32 v43, vcc, v23, v43, vcc
	global_store_dword v[42:43], v8, off
.LBB412_97:
	s_or_b64 exec, exec, s[0:1]
	v_cmp_lt_u32_e32 vcc, v34, v21
	s_or_b64 s[6:7], s[28:29], vcc
	s_and_saveexec_b64 s[0:1], s[6:7]
	s_cbranch_execz .LBB412_100
; %bb.98:
	v_and_b32_e32 v23, 1, v24
	v_cmp_eq_u32_e32 vcc, 1, v23
	s_and_b64 exec, exec, vcc
	s_cbranch_execz .LBB412_100
; %bb.99:
	v_mov_b32_e32 v35, 0
	v_lshlrev_b64 v[42:43], 2, v[34:35]
	v_mov_b32_e32 v23, s3
	v_add_co_u32_e32 v42, vcc, s2, v42
	v_addc_co_u32_e32 v43, vcc, v23, v43, vcc
	global_store_dword v[42:43], v9, off
.LBB412_100:
	s_or_b64 exec, exec, s[0:1]
	v_cmp_lt_u32_e32 vcc, v32, v21
	s_or_b64 s[6:7], s[28:29], vcc
	s_and_saveexec_b64 s[0:1], s[6:7]
	s_cbranch_execz .LBB412_103
; %bb.101:
	v_and_b32_e32 v23, 1, v17
	v_cmp_eq_u32_e32 vcc, 1, v23
	s_and_b64 exec, exec, vcc
	s_cbranch_execz .LBB412_103
; %bb.102:
	v_mov_b32_e32 v33, 0
	v_lshlrev_b64 v[42:43], 2, v[32:33]
	v_mov_b32_e32 v23, s3
	v_add_co_u32_e32 v42, vcc, s2, v42
	v_addc_co_u32_e32 v43, vcc, v23, v43, vcc
	global_store_dword v[42:43], v2, off
.LBB412_103:
	s_or_b64 exec, exec, s[0:1]
	v_cmp_lt_u32_e32 vcc, v30, v21
	s_or_b64 s[6:7], s[28:29], vcc
	s_and_saveexec_b64 s[0:1], s[6:7]
	s_cbranch_execz .LBB412_106
; %bb.104:
	v_and_b32_e32 v23, 1, v11
	v_cmp_eq_u32_e32 vcc, 1, v23
	s_and_b64 exec, exec, vcc
	s_cbranch_execz .LBB412_106
; %bb.105:
	v_mov_b32_e32 v31, 0
	v_lshlrev_b64 v[42:43], 2, v[30:31]
	v_mov_b32_e32 v23, s3
	v_add_co_u32_e32 v42, vcc, s2, v42
	v_addc_co_u32_e32 v43, vcc, v23, v43, vcc
	global_store_dword v[42:43], v3, off
.LBB412_106:
	s_or_b64 exec, exec, s[0:1]
	v_cmp_lt_u32_e32 vcc, v28, v21
	s_or_b64 s[6:7], s[28:29], vcc
	s_and_saveexec_b64 s[0:1], s[6:7]
	s_cbranch_execz .LBB412_109
; %bb.107:
	v_mov_b32_e32 v23, 1
	v_and_b32_sdwa v23, v23, v17 dst_sel:DWORD dst_unused:UNUSED_PAD src0_sel:DWORD src1_sel:WORD_1
	v_cmp_eq_u32_e32 vcc, 1, v23
	s_and_b64 exec, exec, vcc
	s_cbranch_execz .LBB412_109
; %bb.108:
	v_mov_b32_e32 v29, 0
	v_lshlrev_b64 v[42:43], 2, v[28:29]
	v_mov_b32_e32 v23, s3
	v_add_co_u32_e32 v42, vcc, s2, v42
	v_addc_co_u32_e32 v43, vcc, v23, v43, vcc
	global_store_dword v[42:43], v4, off
.LBB412_109:
	s_or_b64 exec, exec, s[0:1]
	v_cmp_lt_u32_e32 vcc, v26, v21
	s_or_b64 s[6:7], s[28:29], vcc
	s_and_saveexec_b64 s[0:1], s[6:7]
	s_cbranch_execz .LBB412_112
; %bb.110:
	v_and_b32_e32 v23, 1, v13
	v_cmp_eq_u32_e32 vcc, 1, v23
	s_and_b64 exec, exec, vcc
	s_cbranch_execz .LBB412_112
; %bb.111:
	v_mov_b32_e32 v27, 0
	v_lshlrev_b64 v[42:43], 2, v[26:27]
	v_mov_b32_e32 v23, s3
	v_add_co_u32_e32 v42, vcc, s2, v42
	v_addc_co_u32_e32 v43, vcc, v23, v43, vcc
	global_store_dword v[42:43], v5, off
.LBB412_112:
	s_or_b64 exec, exec, s[0:1]
	v_cmp_lt_u32_e32 vcc, v22, v21
	s_or_b64 s[6:7], s[28:29], vcc
	s_and_saveexec_b64 s[0:1], s[6:7]
	s_cbranch_execz .LBB412_115
; %bb.113:
	v_and_b32_e32 v23, 1, v12
	v_cmp_eq_u32_e32 vcc, 1, v23
	s_and_b64 exec, exec, vcc
	s_cbranch_execz .LBB412_115
; %bb.114:
	v_mov_b32_e32 v23, 0
	v_lshlrev_b64 v[42:43], 2, v[22:23]
	v_mov_b32_e32 v23, s3
	v_add_co_u32_e32 v42, vcc, s2, v42
	v_addc_co_u32_e32 v43, vcc, v23, v43, vcc
	global_store_dword v[42:43], v14, off
.LBB412_115:
	;; [unrolled: 18-line block ×3, first 2 shown]
	s_or_b64 exec, exec, s[0:1]
	s_branch .LBB412_86
.LBB412_119:
	v_and_b32_e32 v21, 1, v16
	v_cmp_eq_u32_e32 vcc, 1, v21
	s_and_saveexec_b64 s[0:1], vcc
	s_cbranch_execz .LBB412_121
; %bb.120:
	v_sub_u32_e32 v21, v40, v18
	v_lshlrev_b32_e32 v21, 2, v21
	ds_write_b32 v21, v6
.LBB412_121:
	s_or_b64 exec, exec, s[0:1]
	v_and_b32_e32 v6, 1, v19
	v_cmp_eq_u32_e32 vcc, 1, v6
	s_and_saveexec_b64 s[0:1], vcc
	s_cbranch_execz .LBB412_123
; %bb.122:
	v_sub_u32_e32 v6, v38, v18
	v_lshlrev_b32_e32 v6, 2, v6
	ds_write_b32 v6, v7
.LBB412_123:
	s_or_b64 exec, exec, s[0:1]
	v_mov_b32_e32 v6, 1
	v_and_b32_sdwa v6, v6, v16 dst_sel:DWORD dst_unused:UNUSED_PAD src0_sel:DWORD src1_sel:WORD_1
	v_cmp_eq_u32_e32 vcc, 1, v6
	s_and_saveexec_b64 s[0:1], vcc
	s_cbranch_execz .LBB412_125
; %bb.124:
	v_sub_u32_e32 v6, v36, v18
	v_lshlrev_b32_e32 v6, 2, v6
	ds_write_b32 v6, v8
.LBB412_125:
	s_or_b64 exec, exec, s[0:1]
	v_and_b32_e32 v6, 1, v24
	v_cmp_eq_u32_e32 vcc, 1, v6
	s_and_saveexec_b64 s[0:1], vcc
	s_cbranch_execz .LBB412_127
; %bb.126:
	v_sub_u32_e32 v6, v34, v18
	v_lshlrev_b32_e32 v6, 2, v6
	ds_write_b32 v6, v9
.LBB412_127:
	s_or_b64 exec, exec, s[0:1]
	v_and_b32_e32 v6, 1, v17
	;; [unrolled: 10-line block ×3, first 2 shown]
	v_cmp_eq_u32_e32 vcc, 1, v2
	s_and_saveexec_b64 s[0:1], vcc
	s_cbranch_execz .LBB412_131
; %bb.130:
	v_sub_u32_e32 v2, v30, v18
	v_lshlrev_b32_e32 v2, 2, v2
	ds_write_b32 v2, v3
.LBB412_131:
	s_or_b64 exec, exec, s[0:1]
	v_mov_b32_e32 v2, 1
	v_and_b32_sdwa v2, v2, v17 dst_sel:DWORD dst_unused:UNUSED_PAD src0_sel:DWORD src1_sel:WORD_1
	v_cmp_eq_u32_e32 vcc, 1, v2
	s_and_saveexec_b64 s[0:1], vcc
	s_cbranch_execz .LBB412_133
; %bb.132:
	v_sub_u32_e32 v2, v28, v18
	v_lshlrev_b32_e32 v2, 2, v2
	ds_write_b32 v2, v4
.LBB412_133:
	s_or_b64 exec, exec, s[0:1]
	v_and_b32_e32 v2, 1, v13
	v_cmp_eq_u32_e32 vcc, 1, v2
	s_and_saveexec_b64 s[0:1], vcc
	s_cbranch_execz .LBB412_135
; %bb.134:
	v_sub_u32_e32 v2, v26, v18
	v_lshlrev_b32_e32 v2, 2, v2
	ds_write_b32 v2, v5
.LBB412_135:
	s_or_b64 exec, exec, s[0:1]
	v_and_b32_e32 v2, 1, v12
	;; [unrolled: 10-line block ×3, first 2 shown]
	v_cmp_eq_u32_e32 vcc, 1, v1
	s_and_saveexec_b64 s[0:1], vcc
	s_cbranch_execz .LBB412_139
; %bb.138:
	v_sub_u32_e32 v1, v20, v18
	v_lshlrev_b32_e32 v1, 2, v1
	ds_write_b32 v1, v15
.LBB412_139:
	s_or_b64 exec, exec, s[0:1]
	v_cmp_lt_u32_e32 vcc, v0, v10
	s_waitcnt lgkmcnt(0)
	s_barrier
	s_and_saveexec_b64 s[6:7], vcc
	s_cbranch_execz .LBB412_154
; %bb.140:
	s_lshl_b64 s[0:1], s[22:23], 2
	v_mov_b32_e32 v19, 0
	s_add_u32 s0, s4, s0
	s_addc_u32 s1, s5, s1
	v_lshlrev_b64 v[2:3], 2, v[18:19]
	v_mov_b32_e32 v1, s1
	v_add_co_u32_e32 v6, vcc, s0, v2
	v_addc_co_u32_e32 v7, vcc, v1, v3, vcc
	v_xad_u32 v1, v0, -1, v10
	s_movk_i32 s0, 0x1700
	v_cmp_gt_u32_e32 vcc, s0, v1
	s_movk_i32 s0, 0x16ff
	v_cmp_lt_u32_e64 s[0:1], s0, v1
	v_mov_b32_e32 v2, v0
	s_and_saveexec_b64 s[4:5], s[0:1]
	s_cbranch_execz .LBB412_151
; %bb.141:
	v_sub_u32_e32 v2, v0, v10
	v_or_b32_e32 v2, 0xff, v2
	v_cmp_ge_u32_e64 s[0:1], v2, v0
	s_mov_b64 s[2:3], -1
	v_mov_b32_e32 v2, v0
	s_and_saveexec_b64 s[8:9], s[0:1]
	s_cbranch_execz .LBB412_150
; %bb.142:
	v_lshrrev_b32_e32 v8, 8, v1
	v_add_u32_e32 v2, -1, v8
	v_or_b32_e32 v1, 0x100, v0
	v_lshrrev_b32_e32 v3, 1, v2
	v_add_u32_e32 v11, 1, v3
	v_cmp_lt_u32_e64 s[0:1], 13, v2
	v_mov_b32_e32 v14, 0
	v_lshlrev_b32_e32 v9, 2, v0
	v_pk_mov_b32 v[2:3], v[0:1], v[0:1] op_sel:[0,1]
	s_and_saveexec_b64 s[10:11], s[0:1]
	s_cbranch_execz .LBB412_146
; %bb.143:
	v_and_b32_e32 v12, -8, v11
	s_mov_b32 s14, 0
	s_mov_b64 s[12:13], 0
	v_mov_b32_e32 v5, 0
	v_mov_b32_e32 v13, v9
	v_pk_mov_b32 v[2:3], v[0:1], v[0:1] op_sel:[0,1]
.LBB412_144:                            ; =>This Inner Loop Header: Depth=1
	v_mov_b32_e32 v4, v2
	v_add_u32_e32 v12, -8, v12
	v_lshlrev_b64 v[46:47], 2, v[4:5]
	v_mov_b32_e32 v4, v3
	ds_read2st64_b32 v[16:17], v13 offset1:4
	s_add_i32 s14, s14, 16
	v_cmp_eq_u32_e64 s[0:1], 0, v12
	v_lshlrev_b64 v[50:51], 2, v[4:5]
	v_add_u32_e32 v4, 0x200, v2
	s_or_b64 s[12:13], s[0:1], s[12:13]
	v_add_co_u32_e64 v50, s[0:1], v6, v50
	v_add_u32_e32 v14, 0x200, v3
	ds_read2st64_b32 v[20:21], v13 offset0:8 offset1:12
	v_mov_b32_e32 v15, v5
	ds_read2st64_b32 v[24:25], v13 offset0:16 offset1:20
	v_add_co_u32_e64 v46, s[2:3], v6, v46
	v_addc_co_u32_e64 v51, s[0:1], v7, v51, s[0:1]
	v_lshlrev_b64 v[52:53], 2, v[4:5]
	v_lshlrev_b64 v[48:49], 2, v[14:15]
	v_addc_co_u32_e64 v47, s[2:3], v7, v47, s[2:3]
	v_add_u32_e32 v4, 0x400, v2
	v_add_co_u32_e64 v52, s[0:1], v6, v52
	v_add_u32_e32 v22, 0x400, v3
	v_mov_b32_e32 v23, v5
	ds_read2st64_b32 v[28:29], v13 offset0:24 offset1:28
	v_add_co_u32_e64 v48, s[2:3], v6, v48
	v_addc_co_u32_e64 v53, s[0:1], v7, v53, s[0:1]
	v_lshlrev_b64 v[54:55], 2, v[4:5]
	ds_read2st64_b32 v[32:33], v13 offset0:32 offset1:36
	ds_read2st64_b32 v[36:37], v13 offset0:40 offset1:44
	;; [unrolled: 1-line block ×4, first 2 shown]
	v_lshlrev_b64 v[22:23], 2, v[22:23]
	v_addc_co_u32_e64 v49, s[2:3], v7, v49, s[2:3]
	v_add_u32_e32 v4, 0x600, v2
	s_waitcnt lgkmcnt(7)
	global_store_dword v[46:47], v16, off
	global_store_dword v[50:51], v17, off
	s_waitcnt lgkmcnt(6)
	global_store_dword v[52:53], v20, off
	global_store_dword v[48:49], v21, off
	v_add_co_u32_e64 v16, s[0:1], v6, v54
	v_add_u32_e32 v26, 0x600, v3
	v_mov_b32_e32 v27, v5
	v_add_co_u32_e64 v22, s[2:3], v6, v22
	v_addc_co_u32_e64 v17, s[0:1], v7, v55, s[0:1]
	v_lshlrev_b64 v[20:21], 2, v[4:5]
	v_lshlrev_b64 v[26:27], 2, v[26:27]
	v_addc_co_u32_e64 v23, s[2:3], v7, v23, s[2:3]
	v_add_u32_e32 v4, 0x800, v2
	s_waitcnt lgkmcnt(5)
	global_store_dword v[16:17], v24, off
	global_store_dword v[22:23], v25, off
	v_add_co_u32_e64 v16, s[0:1], v6, v20
	v_add_u32_e32 v30, 0x800, v3
	v_mov_b32_e32 v31, v5
	v_add_co_u32_e64 v26, s[2:3], v6, v26
	v_addc_co_u32_e64 v17, s[0:1], v7, v21, s[0:1]
	v_lshlrev_b64 v[20:21], 2, v[4:5]
	v_lshlrev_b64 v[30:31], 2, v[30:31]
	v_addc_co_u32_e64 v27, s[2:3], v7, v27, s[2:3]
	v_add_u32_e32 v4, 0xa00, v2
	;; [unrolled: 12-line block ×4, first 2 shown]
	s_waitcnt lgkmcnt(2)
	global_store_dword v[16:17], v36, off
	global_store_dword v[34:35], v37, off
	v_add_co_u32_e64 v16, s[0:1], v6, v20
	v_add_u32_e32 v42, 0xe00, v3
	v_mov_b32_e32 v43, v5
	v_add_co_u32_e64 v38, s[2:3], v6, v38
	v_addc_co_u32_e64 v17, s[0:1], v7, v21, s[0:1]
	v_lshlrev_b64 v[20:21], 2, v[4:5]
	v_lshlrev_b64 v[42:43], 2, v[42:43]
	v_addc_co_u32_e64 v39, s[2:3], v7, v39, s[2:3]
	s_waitcnt lgkmcnt(1)
	global_store_dword v[16:17], v40, off
	global_store_dword v[38:39], v41, off
	v_add_co_u32_e64 v16, s[0:1], v6, v20
	v_add_u32_e32 v13, 0x4000, v13
	v_add_u32_e32 v3, 0x1000, v3
	v_mov_b32_e32 v14, s14
	v_add_co_u32_e64 v42, s[2:3], v6, v42
	v_add_u32_e32 v2, 0x1000, v2
	v_addc_co_u32_e64 v17, s[0:1], v7, v21, s[0:1]
	v_addc_co_u32_e64 v43, s[2:3], v7, v43, s[2:3]
	s_waitcnt lgkmcnt(0)
	global_store_dword v[16:17], v44, off
	global_store_dword v[42:43], v45, off
	s_andn2_b64 exec, exec, s[12:13]
	s_cbranch_execnz .LBB412_144
; %bb.145:
	s_or_b64 exec, exec, s[12:13]
.LBB412_146:
	s_or_b64 exec, exec, s[10:11]
	v_and_b32_e32 v1, 7, v11
	v_cmp_ne_u32_e64 s[0:1], 0, v1
	s_and_saveexec_b64 s[10:11], s[0:1]
	s_cbranch_execz .LBB412_149
; %bb.147:
	v_lshl_or_b32 v9, v14, 10, v9
	s_mov_b64 s[12:13], 0
	v_mov_b32_e32 v5, 0
.LBB412_148:                            ; =>This Inner Loop Header: Depth=1
	ds_read2st64_b32 v[12:13], v9 offset1:4
	v_mov_b32_e32 v4, v2
	v_add_u32_e32 v1, -1, v1
	v_lshlrev_b64 v[14:15], 2, v[4:5]
	v_mov_b32_e32 v4, v3
	v_cmp_eq_u32_e64 s[0:1], 0, v1
	v_add_co_u32_e64 v14, s[2:3], v6, v14
	v_lshlrev_b64 v[16:17], 2, v[4:5]
	v_add_u32_e32 v2, 0x200, v2
	v_add_u32_e32 v9, 0x800, v9
	;; [unrolled: 1-line block ×3, first 2 shown]
	v_addc_co_u32_e64 v15, s[2:3], v7, v15, s[2:3]
	s_or_b64 s[12:13], s[0:1], s[12:13]
	v_add_co_u32_e64 v16, s[0:1], v6, v16
	v_addc_co_u32_e64 v17, s[0:1], v7, v17, s[0:1]
	s_waitcnt lgkmcnt(0)
	global_store_dword v[14:15], v12, off
	global_store_dword v[16:17], v13, off
	s_andn2_b64 exec, exec, s[12:13]
	s_cbranch_execnz .LBB412_148
.LBB412_149:
	s_or_b64 exec, exec, s[10:11]
	v_add_u32_e32 v1, 1, v8
	v_and_b32_e32 v3, 0x1fffffe, v1
	v_cmp_ne_u32_e64 s[0:1], v1, v3
	v_lshl_or_b32 v2, v3, 8, v0
	s_orn2_b64 s[2:3], s[0:1], exec
.LBB412_150:
	s_or_b64 exec, exec, s[8:9]
	s_andn2_b64 s[0:1], vcc, exec
	s_and_b64 s[2:3], s[2:3], exec
	s_or_b64 vcc, s[0:1], s[2:3]
.LBB412_151:
	s_or_b64 exec, exec, s[4:5]
	s_and_b64 exec, exec, vcc
	s_cbranch_execz .LBB412_154
; %bb.152:
	v_lshlrev_b32_e32 v1, 2, v2
	s_mov_b64 s[0:1], 0
	v_mov_b32_e32 v3, 0
.LBB412_153:                            ; =>This Inner Loop Header: Depth=1
	ds_read_b32 v8, v1
	v_lshlrev_b64 v[4:5], 2, v[2:3]
	v_add_co_u32_e32 v4, vcc, v6, v4
	v_add_u32_e32 v2, 0x100, v2
	v_addc_co_u32_e32 v5, vcc, v7, v5, vcc
	v_cmp_ge_u32_e32 vcc, v2, v10
	v_add_u32_e32 v1, 0x400, v1
	s_or_b64 s[0:1], vcc, s[0:1]
	s_waitcnt lgkmcnt(0)
	global_store_dword v[4:5], v8, off
	s_andn2_b64 exec, exec, s[0:1]
	s_cbranch_execnz .LBB412_153
.LBB412_154:
	s_or_b64 exec, exec, s[6:7]
	v_cmp_eq_u32_e32 vcc, 0, v0
	s_and_b64 s[0:1], vcc, s[26:27]
	s_and_saveexec_b64 s[2:3], s[0:1]
	s_cbranch_execz .LBB412_87
.LBB412_155:
	v_mov_b32_e32 v0, s23
	v_add_co_u32_e32 v1, vcc, s22, v10
	v_addc_co_u32_e32 v3, vcc, 0, v0, vcc
	v_add_co_u32_e32 v0, vcc, v1, v18
	v_mov_b32_e32 v2, 0
	v_addc_co_u32_e32 v1, vcc, 0, v3, vcc
	global_store_dwordx2 v2, v[0:1], s[24:25]
	s_endpgm
.LBB412_156:
	s_or_b64 exec, exec, s[2:3]
	s_and_saveexec_b64 s[2:3], s[36:37]
	s_cbranch_execnz .LBB412_44
	s_branch .LBB412_45
	.section	.rodata,"a",@progbits
	.p2align	6, 0x0
	.amdhsa_kernel _ZN7rocprim17ROCPRIM_400000_NS6detail17trampoline_kernelINS0_14default_configENS1_25partition_config_selectorILNS1_17partition_subalgoE8EiNS0_10empty_typeEbEEZZNS1_14partition_implILS5_8ELb0ES3_jPKiPS6_PKS6_NS0_5tupleIJPiS6_EEENSE_IJSB_SB_EEENS0_18inequality_wrapperIN6hipcub16HIPCUB_304000_NS8EqualityEEEPlJS6_EEE10hipError_tPvRmT3_T4_T5_T6_T7_T9_mT8_P12ihipStream_tbDpT10_ENKUlT_T0_E_clISt17integral_constantIbLb0EES17_EEDaS12_S13_EUlS12_E_NS1_11comp_targetILNS1_3genE4ELNS1_11target_archE910ELNS1_3gpuE8ELNS1_3repE0EEENS1_30default_config_static_selectorELNS0_4arch9wavefront6targetE1EEEvT1_
		.amdhsa_group_segment_fixed_size 10248
		.amdhsa_private_segment_fixed_size 0
		.amdhsa_kernarg_size 112
		.amdhsa_user_sgpr_count 6
		.amdhsa_user_sgpr_private_segment_buffer 1
		.amdhsa_user_sgpr_dispatch_ptr 0
		.amdhsa_user_sgpr_queue_ptr 0
		.amdhsa_user_sgpr_kernarg_segment_ptr 1
		.amdhsa_user_sgpr_dispatch_id 0
		.amdhsa_user_sgpr_flat_scratch_init 0
		.amdhsa_user_sgpr_kernarg_preload_length 0
		.amdhsa_user_sgpr_kernarg_preload_offset 0
		.amdhsa_user_sgpr_private_segment_size 0
		.amdhsa_uses_dynamic_stack 0
		.amdhsa_system_sgpr_private_segment_wavefront_offset 0
		.amdhsa_system_sgpr_workgroup_id_x 1
		.amdhsa_system_sgpr_workgroup_id_y 0
		.amdhsa_system_sgpr_workgroup_id_z 0
		.amdhsa_system_sgpr_workgroup_info 0
		.amdhsa_system_vgpr_workitem_id 0
		.amdhsa_next_free_vgpr 56
		.amdhsa_next_free_sgpr 40
		.amdhsa_accum_offset 56
		.amdhsa_reserve_vcc 1
		.amdhsa_reserve_flat_scratch 0
		.amdhsa_float_round_mode_32 0
		.amdhsa_float_round_mode_16_64 0
		.amdhsa_float_denorm_mode_32 3
		.amdhsa_float_denorm_mode_16_64 3
		.amdhsa_dx10_clamp 1
		.amdhsa_ieee_mode 1
		.amdhsa_fp16_overflow 0
		.amdhsa_tg_split 0
		.amdhsa_exception_fp_ieee_invalid_op 0
		.amdhsa_exception_fp_denorm_src 0
		.amdhsa_exception_fp_ieee_div_zero 0
		.amdhsa_exception_fp_ieee_overflow 0
		.amdhsa_exception_fp_ieee_underflow 0
		.amdhsa_exception_fp_ieee_inexact 0
		.amdhsa_exception_int_div_zero 0
	.end_amdhsa_kernel
	.section	.text._ZN7rocprim17ROCPRIM_400000_NS6detail17trampoline_kernelINS0_14default_configENS1_25partition_config_selectorILNS1_17partition_subalgoE8EiNS0_10empty_typeEbEEZZNS1_14partition_implILS5_8ELb0ES3_jPKiPS6_PKS6_NS0_5tupleIJPiS6_EEENSE_IJSB_SB_EEENS0_18inequality_wrapperIN6hipcub16HIPCUB_304000_NS8EqualityEEEPlJS6_EEE10hipError_tPvRmT3_T4_T5_T6_T7_T9_mT8_P12ihipStream_tbDpT10_ENKUlT_T0_E_clISt17integral_constantIbLb0EES17_EEDaS12_S13_EUlS12_E_NS1_11comp_targetILNS1_3genE4ELNS1_11target_archE910ELNS1_3gpuE8ELNS1_3repE0EEENS1_30default_config_static_selectorELNS0_4arch9wavefront6targetE1EEEvT1_,"axG",@progbits,_ZN7rocprim17ROCPRIM_400000_NS6detail17trampoline_kernelINS0_14default_configENS1_25partition_config_selectorILNS1_17partition_subalgoE8EiNS0_10empty_typeEbEEZZNS1_14partition_implILS5_8ELb0ES3_jPKiPS6_PKS6_NS0_5tupleIJPiS6_EEENSE_IJSB_SB_EEENS0_18inequality_wrapperIN6hipcub16HIPCUB_304000_NS8EqualityEEEPlJS6_EEE10hipError_tPvRmT3_T4_T5_T6_T7_T9_mT8_P12ihipStream_tbDpT10_ENKUlT_T0_E_clISt17integral_constantIbLb0EES17_EEDaS12_S13_EUlS12_E_NS1_11comp_targetILNS1_3genE4ELNS1_11target_archE910ELNS1_3gpuE8ELNS1_3repE0EEENS1_30default_config_static_selectorELNS0_4arch9wavefront6targetE1EEEvT1_,comdat
.Lfunc_end412:
	.size	_ZN7rocprim17ROCPRIM_400000_NS6detail17trampoline_kernelINS0_14default_configENS1_25partition_config_selectorILNS1_17partition_subalgoE8EiNS0_10empty_typeEbEEZZNS1_14partition_implILS5_8ELb0ES3_jPKiPS6_PKS6_NS0_5tupleIJPiS6_EEENSE_IJSB_SB_EEENS0_18inequality_wrapperIN6hipcub16HIPCUB_304000_NS8EqualityEEEPlJS6_EEE10hipError_tPvRmT3_T4_T5_T6_T7_T9_mT8_P12ihipStream_tbDpT10_ENKUlT_T0_E_clISt17integral_constantIbLb0EES17_EEDaS12_S13_EUlS12_E_NS1_11comp_targetILNS1_3genE4ELNS1_11target_archE910ELNS1_3gpuE8ELNS1_3repE0EEENS1_30default_config_static_selectorELNS0_4arch9wavefront6targetE1EEEvT1_, .Lfunc_end412-_ZN7rocprim17ROCPRIM_400000_NS6detail17trampoline_kernelINS0_14default_configENS1_25partition_config_selectorILNS1_17partition_subalgoE8EiNS0_10empty_typeEbEEZZNS1_14partition_implILS5_8ELb0ES3_jPKiPS6_PKS6_NS0_5tupleIJPiS6_EEENSE_IJSB_SB_EEENS0_18inequality_wrapperIN6hipcub16HIPCUB_304000_NS8EqualityEEEPlJS6_EEE10hipError_tPvRmT3_T4_T5_T6_T7_T9_mT8_P12ihipStream_tbDpT10_ENKUlT_T0_E_clISt17integral_constantIbLb0EES17_EEDaS12_S13_EUlS12_E_NS1_11comp_targetILNS1_3genE4ELNS1_11target_archE910ELNS1_3gpuE8ELNS1_3repE0EEENS1_30default_config_static_selectorELNS0_4arch9wavefront6targetE1EEEvT1_
                                        ; -- End function
	.section	.AMDGPU.csdata,"",@progbits
; Kernel info:
; codeLenInByte = 7268
; NumSgprs: 44
; NumVgprs: 56
; NumAgprs: 0
; TotalNumVgprs: 56
; ScratchSize: 0
; MemoryBound: 0
; FloatMode: 240
; IeeeMode: 1
; LDSByteSize: 10248 bytes/workgroup (compile time only)
; SGPRBlocks: 5
; VGPRBlocks: 6
; NumSGPRsForWavesPerEU: 44
; NumVGPRsForWavesPerEU: 56
; AccumOffset: 56
; Occupancy: 6
; WaveLimiterHint : 1
; COMPUTE_PGM_RSRC2:SCRATCH_EN: 0
; COMPUTE_PGM_RSRC2:USER_SGPR: 6
; COMPUTE_PGM_RSRC2:TRAP_HANDLER: 0
; COMPUTE_PGM_RSRC2:TGID_X_EN: 1
; COMPUTE_PGM_RSRC2:TGID_Y_EN: 0
; COMPUTE_PGM_RSRC2:TGID_Z_EN: 0
; COMPUTE_PGM_RSRC2:TIDIG_COMP_CNT: 0
; COMPUTE_PGM_RSRC3_GFX90A:ACCUM_OFFSET: 13
; COMPUTE_PGM_RSRC3_GFX90A:TG_SPLIT: 0
	.section	.text._ZN7rocprim17ROCPRIM_400000_NS6detail17trampoline_kernelINS0_14default_configENS1_25partition_config_selectorILNS1_17partition_subalgoE8EiNS0_10empty_typeEbEEZZNS1_14partition_implILS5_8ELb0ES3_jPKiPS6_PKS6_NS0_5tupleIJPiS6_EEENSE_IJSB_SB_EEENS0_18inequality_wrapperIN6hipcub16HIPCUB_304000_NS8EqualityEEEPlJS6_EEE10hipError_tPvRmT3_T4_T5_T6_T7_T9_mT8_P12ihipStream_tbDpT10_ENKUlT_T0_E_clISt17integral_constantIbLb0EES17_EEDaS12_S13_EUlS12_E_NS1_11comp_targetILNS1_3genE3ELNS1_11target_archE908ELNS1_3gpuE7ELNS1_3repE0EEENS1_30default_config_static_selectorELNS0_4arch9wavefront6targetE1EEEvT1_,"axG",@progbits,_ZN7rocprim17ROCPRIM_400000_NS6detail17trampoline_kernelINS0_14default_configENS1_25partition_config_selectorILNS1_17partition_subalgoE8EiNS0_10empty_typeEbEEZZNS1_14partition_implILS5_8ELb0ES3_jPKiPS6_PKS6_NS0_5tupleIJPiS6_EEENSE_IJSB_SB_EEENS0_18inequality_wrapperIN6hipcub16HIPCUB_304000_NS8EqualityEEEPlJS6_EEE10hipError_tPvRmT3_T4_T5_T6_T7_T9_mT8_P12ihipStream_tbDpT10_ENKUlT_T0_E_clISt17integral_constantIbLb0EES17_EEDaS12_S13_EUlS12_E_NS1_11comp_targetILNS1_3genE3ELNS1_11target_archE908ELNS1_3gpuE7ELNS1_3repE0EEENS1_30default_config_static_selectorELNS0_4arch9wavefront6targetE1EEEvT1_,comdat
	.protected	_ZN7rocprim17ROCPRIM_400000_NS6detail17trampoline_kernelINS0_14default_configENS1_25partition_config_selectorILNS1_17partition_subalgoE8EiNS0_10empty_typeEbEEZZNS1_14partition_implILS5_8ELb0ES3_jPKiPS6_PKS6_NS0_5tupleIJPiS6_EEENSE_IJSB_SB_EEENS0_18inequality_wrapperIN6hipcub16HIPCUB_304000_NS8EqualityEEEPlJS6_EEE10hipError_tPvRmT3_T4_T5_T6_T7_T9_mT8_P12ihipStream_tbDpT10_ENKUlT_T0_E_clISt17integral_constantIbLb0EES17_EEDaS12_S13_EUlS12_E_NS1_11comp_targetILNS1_3genE3ELNS1_11target_archE908ELNS1_3gpuE7ELNS1_3repE0EEENS1_30default_config_static_selectorELNS0_4arch9wavefront6targetE1EEEvT1_ ; -- Begin function _ZN7rocprim17ROCPRIM_400000_NS6detail17trampoline_kernelINS0_14default_configENS1_25partition_config_selectorILNS1_17partition_subalgoE8EiNS0_10empty_typeEbEEZZNS1_14partition_implILS5_8ELb0ES3_jPKiPS6_PKS6_NS0_5tupleIJPiS6_EEENSE_IJSB_SB_EEENS0_18inequality_wrapperIN6hipcub16HIPCUB_304000_NS8EqualityEEEPlJS6_EEE10hipError_tPvRmT3_T4_T5_T6_T7_T9_mT8_P12ihipStream_tbDpT10_ENKUlT_T0_E_clISt17integral_constantIbLb0EES17_EEDaS12_S13_EUlS12_E_NS1_11comp_targetILNS1_3genE3ELNS1_11target_archE908ELNS1_3gpuE7ELNS1_3repE0EEENS1_30default_config_static_selectorELNS0_4arch9wavefront6targetE1EEEvT1_
	.globl	_ZN7rocprim17ROCPRIM_400000_NS6detail17trampoline_kernelINS0_14default_configENS1_25partition_config_selectorILNS1_17partition_subalgoE8EiNS0_10empty_typeEbEEZZNS1_14partition_implILS5_8ELb0ES3_jPKiPS6_PKS6_NS0_5tupleIJPiS6_EEENSE_IJSB_SB_EEENS0_18inequality_wrapperIN6hipcub16HIPCUB_304000_NS8EqualityEEEPlJS6_EEE10hipError_tPvRmT3_T4_T5_T6_T7_T9_mT8_P12ihipStream_tbDpT10_ENKUlT_T0_E_clISt17integral_constantIbLb0EES17_EEDaS12_S13_EUlS12_E_NS1_11comp_targetILNS1_3genE3ELNS1_11target_archE908ELNS1_3gpuE7ELNS1_3repE0EEENS1_30default_config_static_selectorELNS0_4arch9wavefront6targetE1EEEvT1_
	.p2align	8
	.type	_ZN7rocprim17ROCPRIM_400000_NS6detail17trampoline_kernelINS0_14default_configENS1_25partition_config_selectorILNS1_17partition_subalgoE8EiNS0_10empty_typeEbEEZZNS1_14partition_implILS5_8ELb0ES3_jPKiPS6_PKS6_NS0_5tupleIJPiS6_EEENSE_IJSB_SB_EEENS0_18inequality_wrapperIN6hipcub16HIPCUB_304000_NS8EqualityEEEPlJS6_EEE10hipError_tPvRmT3_T4_T5_T6_T7_T9_mT8_P12ihipStream_tbDpT10_ENKUlT_T0_E_clISt17integral_constantIbLb0EES17_EEDaS12_S13_EUlS12_E_NS1_11comp_targetILNS1_3genE3ELNS1_11target_archE908ELNS1_3gpuE7ELNS1_3repE0EEENS1_30default_config_static_selectorELNS0_4arch9wavefront6targetE1EEEvT1_,@function
_ZN7rocprim17ROCPRIM_400000_NS6detail17trampoline_kernelINS0_14default_configENS1_25partition_config_selectorILNS1_17partition_subalgoE8EiNS0_10empty_typeEbEEZZNS1_14partition_implILS5_8ELb0ES3_jPKiPS6_PKS6_NS0_5tupleIJPiS6_EEENSE_IJSB_SB_EEENS0_18inequality_wrapperIN6hipcub16HIPCUB_304000_NS8EqualityEEEPlJS6_EEE10hipError_tPvRmT3_T4_T5_T6_T7_T9_mT8_P12ihipStream_tbDpT10_ENKUlT_T0_E_clISt17integral_constantIbLb0EES17_EEDaS12_S13_EUlS12_E_NS1_11comp_targetILNS1_3genE3ELNS1_11target_archE908ELNS1_3gpuE7ELNS1_3repE0EEENS1_30default_config_static_selectorELNS0_4arch9wavefront6targetE1EEEvT1_: ; @_ZN7rocprim17ROCPRIM_400000_NS6detail17trampoline_kernelINS0_14default_configENS1_25partition_config_selectorILNS1_17partition_subalgoE8EiNS0_10empty_typeEbEEZZNS1_14partition_implILS5_8ELb0ES3_jPKiPS6_PKS6_NS0_5tupleIJPiS6_EEENSE_IJSB_SB_EEENS0_18inequality_wrapperIN6hipcub16HIPCUB_304000_NS8EqualityEEEPlJS6_EEE10hipError_tPvRmT3_T4_T5_T6_T7_T9_mT8_P12ihipStream_tbDpT10_ENKUlT_T0_E_clISt17integral_constantIbLb0EES17_EEDaS12_S13_EUlS12_E_NS1_11comp_targetILNS1_3genE3ELNS1_11target_archE908ELNS1_3gpuE7ELNS1_3repE0EEENS1_30default_config_static_selectorELNS0_4arch9wavefront6targetE1EEEvT1_
; %bb.0:
	.section	.rodata,"a",@progbits
	.p2align	6, 0x0
	.amdhsa_kernel _ZN7rocprim17ROCPRIM_400000_NS6detail17trampoline_kernelINS0_14default_configENS1_25partition_config_selectorILNS1_17partition_subalgoE8EiNS0_10empty_typeEbEEZZNS1_14partition_implILS5_8ELb0ES3_jPKiPS6_PKS6_NS0_5tupleIJPiS6_EEENSE_IJSB_SB_EEENS0_18inequality_wrapperIN6hipcub16HIPCUB_304000_NS8EqualityEEEPlJS6_EEE10hipError_tPvRmT3_T4_T5_T6_T7_T9_mT8_P12ihipStream_tbDpT10_ENKUlT_T0_E_clISt17integral_constantIbLb0EES17_EEDaS12_S13_EUlS12_E_NS1_11comp_targetILNS1_3genE3ELNS1_11target_archE908ELNS1_3gpuE7ELNS1_3repE0EEENS1_30default_config_static_selectorELNS0_4arch9wavefront6targetE1EEEvT1_
		.amdhsa_group_segment_fixed_size 0
		.amdhsa_private_segment_fixed_size 0
		.amdhsa_kernarg_size 112
		.amdhsa_user_sgpr_count 6
		.amdhsa_user_sgpr_private_segment_buffer 1
		.amdhsa_user_sgpr_dispatch_ptr 0
		.amdhsa_user_sgpr_queue_ptr 0
		.amdhsa_user_sgpr_kernarg_segment_ptr 1
		.amdhsa_user_sgpr_dispatch_id 0
		.amdhsa_user_sgpr_flat_scratch_init 0
		.amdhsa_user_sgpr_kernarg_preload_length 0
		.amdhsa_user_sgpr_kernarg_preload_offset 0
		.amdhsa_user_sgpr_private_segment_size 0
		.amdhsa_uses_dynamic_stack 0
		.amdhsa_system_sgpr_private_segment_wavefront_offset 0
		.amdhsa_system_sgpr_workgroup_id_x 1
		.amdhsa_system_sgpr_workgroup_id_y 0
		.amdhsa_system_sgpr_workgroup_id_z 0
		.amdhsa_system_sgpr_workgroup_info 0
		.amdhsa_system_vgpr_workitem_id 0
		.amdhsa_next_free_vgpr 1
		.amdhsa_next_free_sgpr 0
		.amdhsa_accum_offset 4
		.amdhsa_reserve_vcc 0
		.amdhsa_reserve_flat_scratch 0
		.amdhsa_float_round_mode_32 0
		.amdhsa_float_round_mode_16_64 0
		.amdhsa_float_denorm_mode_32 3
		.amdhsa_float_denorm_mode_16_64 3
		.amdhsa_dx10_clamp 1
		.amdhsa_ieee_mode 1
		.amdhsa_fp16_overflow 0
		.amdhsa_tg_split 0
		.amdhsa_exception_fp_ieee_invalid_op 0
		.amdhsa_exception_fp_denorm_src 0
		.amdhsa_exception_fp_ieee_div_zero 0
		.amdhsa_exception_fp_ieee_overflow 0
		.amdhsa_exception_fp_ieee_underflow 0
		.amdhsa_exception_fp_ieee_inexact 0
		.amdhsa_exception_int_div_zero 0
	.end_amdhsa_kernel
	.section	.text._ZN7rocprim17ROCPRIM_400000_NS6detail17trampoline_kernelINS0_14default_configENS1_25partition_config_selectorILNS1_17partition_subalgoE8EiNS0_10empty_typeEbEEZZNS1_14partition_implILS5_8ELb0ES3_jPKiPS6_PKS6_NS0_5tupleIJPiS6_EEENSE_IJSB_SB_EEENS0_18inequality_wrapperIN6hipcub16HIPCUB_304000_NS8EqualityEEEPlJS6_EEE10hipError_tPvRmT3_T4_T5_T6_T7_T9_mT8_P12ihipStream_tbDpT10_ENKUlT_T0_E_clISt17integral_constantIbLb0EES17_EEDaS12_S13_EUlS12_E_NS1_11comp_targetILNS1_3genE3ELNS1_11target_archE908ELNS1_3gpuE7ELNS1_3repE0EEENS1_30default_config_static_selectorELNS0_4arch9wavefront6targetE1EEEvT1_,"axG",@progbits,_ZN7rocprim17ROCPRIM_400000_NS6detail17trampoline_kernelINS0_14default_configENS1_25partition_config_selectorILNS1_17partition_subalgoE8EiNS0_10empty_typeEbEEZZNS1_14partition_implILS5_8ELb0ES3_jPKiPS6_PKS6_NS0_5tupleIJPiS6_EEENSE_IJSB_SB_EEENS0_18inequality_wrapperIN6hipcub16HIPCUB_304000_NS8EqualityEEEPlJS6_EEE10hipError_tPvRmT3_T4_T5_T6_T7_T9_mT8_P12ihipStream_tbDpT10_ENKUlT_T0_E_clISt17integral_constantIbLb0EES17_EEDaS12_S13_EUlS12_E_NS1_11comp_targetILNS1_3genE3ELNS1_11target_archE908ELNS1_3gpuE7ELNS1_3repE0EEENS1_30default_config_static_selectorELNS0_4arch9wavefront6targetE1EEEvT1_,comdat
.Lfunc_end413:
	.size	_ZN7rocprim17ROCPRIM_400000_NS6detail17trampoline_kernelINS0_14default_configENS1_25partition_config_selectorILNS1_17partition_subalgoE8EiNS0_10empty_typeEbEEZZNS1_14partition_implILS5_8ELb0ES3_jPKiPS6_PKS6_NS0_5tupleIJPiS6_EEENSE_IJSB_SB_EEENS0_18inequality_wrapperIN6hipcub16HIPCUB_304000_NS8EqualityEEEPlJS6_EEE10hipError_tPvRmT3_T4_T5_T6_T7_T9_mT8_P12ihipStream_tbDpT10_ENKUlT_T0_E_clISt17integral_constantIbLb0EES17_EEDaS12_S13_EUlS12_E_NS1_11comp_targetILNS1_3genE3ELNS1_11target_archE908ELNS1_3gpuE7ELNS1_3repE0EEENS1_30default_config_static_selectorELNS0_4arch9wavefront6targetE1EEEvT1_, .Lfunc_end413-_ZN7rocprim17ROCPRIM_400000_NS6detail17trampoline_kernelINS0_14default_configENS1_25partition_config_selectorILNS1_17partition_subalgoE8EiNS0_10empty_typeEbEEZZNS1_14partition_implILS5_8ELb0ES3_jPKiPS6_PKS6_NS0_5tupleIJPiS6_EEENSE_IJSB_SB_EEENS0_18inequality_wrapperIN6hipcub16HIPCUB_304000_NS8EqualityEEEPlJS6_EEE10hipError_tPvRmT3_T4_T5_T6_T7_T9_mT8_P12ihipStream_tbDpT10_ENKUlT_T0_E_clISt17integral_constantIbLb0EES17_EEDaS12_S13_EUlS12_E_NS1_11comp_targetILNS1_3genE3ELNS1_11target_archE908ELNS1_3gpuE7ELNS1_3repE0EEENS1_30default_config_static_selectorELNS0_4arch9wavefront6targetE1EEEvT1_
                                        ; -- End function
	.section	.AMDGPU.csdata,"",@progbits
; Kernel info:
; codeLenInByte = 0
; NumSgprs: 4
; NumVgprs: 0
; NumAgprs: 0
; TotalNumVgprs: 0
; ScratchSize: 0
; MemoryBound: 0
; FloatMode: 240
; IeeeMode: 1
; LDSByteSize: 0 bytes/workgroup (compile time only)
; SGPRBlocks: 0
; VGPRBlocks: 0
; NumSGPRsForWavesPerEU: 4
; NumVGPRsForWavesPerEU: 1
; AccumOffset: 4
; Occupancy: 8
; WaveLimiterHint : 0
; COMPUTE_PGM_RSRC2:SCRATCH_EN: 0
; COMPUTE_PGM_RSRC2:USER_SGPR: 6
; COMPUTE_PGM_RSRC2:TRAP_HANDLER: 0
; COMPUTE_PGM_RSRC2:TGID_X_EN: 1
; COMPUTE_PGM_RSRC2:TGID_Y_EN: 0
; COMPUTE_PGM_RSRC2:TGID_Z_EN: 0
; COMPUTE_PGM_RSRC2:TIDIG_COMP_CNT: 0
; COMPUTE_PGM_RSRC3_GFX90A:ACCUM_OFFSET: 0
; COMPUTE_PGM_RSRC3_GFX90A:TG_SPLIT: 0
	.section	.text._ZN7rocprim17ROCPRIM_400000_NS6detail17trampoline_kernelINS0_14default_configENS1_25partition_config_selectorILNS1_17partition_subalgoE8EiNS0_10empty_typeEbEEZZNS1_14partition_implILS5_8ELb0ES3_jPKiPS6_PKS6_NS0_5tupleIJPiS6_EEENSE_IJSB_SB_EEENS0_18inequality_wrapperIN6hipcub16HIPCUB_304000_NS8EqualityEEEPlJS6_EEE10hipError_tPvRmT3_T4_T5_T6_T7_T9_mT8_P12ihipStream_tbDpT10_ENKUlT_T0_E_clISt17integral_constantIbLb0EES17_EEDaS12_S13_EUlS12_E_NS1_11comp_targetILNS1_3genE2ELNS1_11target_archE906ELNS1_3gpuE6ELNS1_3repE0EEENS1_30default_config_static_selectorELNS0_4arch9wavefront6targetE1EEEvT1_,"axG",@progbits,_ZN7rocprim17ROCPRIM_400000_NS6detail17trampoline_kernelINS0_14default_configENS1_25partition_config_selectorILNS1_17partition_subalgoE8EiNS0_10empty_typeEbEEZZNS1_14partition_implILS5_8ELb0ES3_jPKiPS6_PKS6_NS0_5tupleIJPiS6_EEENSE_IJSB_SB_EEENS0_18inequality_wrapperIN6hipcub16HIPCUB_304000_NS8EqualityEEEPlJS6_EEE10hipError_tPvRmT3_T4_T5_T6_T7_T9_mT8_P12ihipStream_tbDpT10_ENKUlT_T0_E_clISt17integral_constantIbLb0EES17_EEDaS12_S13_EUlS12_E_NS1_11comp_targetILNS1_3genE2ELNS1_11target_archE906ELNS1_3gpuE6ELNS1_3repE0EEENS1_30default_config_static_selectorELNS0_4arch9wavefront6targetE1EEEvT1_,comdat
	.protected	_ZN7rocprim17ROCPRIM_400000_NS6detail17trampoline_kernelINS0_14default_configENS1_25partition_config_selectorILNS1_17partition_subalgoE8EiNS0_10empty_typeEbEEZZNS1_14partition_implILS5_8ELb0ES3_jPKiPS6_PKS6_NS0_5tupleIJPiS6_EEENSE_IJSB_SB_EEENS0_18inequality_wrapperIN6hipcub16HIPCUB_304000_NS8EqualityEEEPlJS6_EEE10hipError_tPvRmT3_T4_T5_T6_T7_T9_mT8_P12ihipStream_tbDpT10_ENKUlT_T0_E_clISt17integral_constantIbLb0EES17_EEDaS12_S13_EUlS12_E_NS1_11comp_targetILNS1_3genE2ELNS1_11target_archE906ELNS1_3gpuE6ELNS1_3repE0EEENS1_30default_config_static_selectorELNS0_4arch9wavefront6targetE1EEEvT1_ ; -- Begin function _ZN7rocprim17ROCPRIM_400000_NS6detail17trampoline_kernelINS0_14default_configENS1_25partition_config_selectorILNS1_17partition_subalgoE8EiNS0_10empty_typeEbEEZZNS1_14partition_implILS5_8ELb0ES3_jPKiPS6_PKS6_NS0_5tupleIJPiS6_EEENSE_IJSB_SB_EEENS0_18inequality_wrapperIN6hipcub16HIPCUB_304000_NS8EqualityEEEPlJS6_EEE10hipError_tPvRmT3_T4_T5_T6_T7_T9_mT8_P12ihipStream_tbDpT10_ENKUlT_T0_E_clISt17integral_constantIbLb0EES17_EEDaS12_S13_EUlS12_E_NS1_11comp_targetILNS1_3genE2ELNS1_11target_archE906ELNS1_3gpuE6ELNS1_3repE0EEENS1_30default_config_static_selectorELNS0_4arch9wavefront6targetE1EEEvT1_
	.globl	_ZN7rocprim17ROCPRIM_400000_NS6detail17trampoline_kernelINS0_14default_configENS1_25partition_config_selectorILNS1_17partition_subalgoE8EiNS0_10empty_typeEbEEZZNS1_14partition_implILS5_8ELb0ES3_jPKiPS6_PKS6_NS0_5tupleIJPiS6_EEENSE_IJSB_SB_EEENS0_18inequality_wrapperIN6hipcub16HIPCUB_304000_NS8EqualityEEEPlJS6_EEE10hipError_tPvRmT3_T4_T5_T6_T7_T9_mT8_P12ihipStream_tbDpT10_ENKUlT_T0_E_clISt17integral_constantIbLb0EES17_EEDaS12_S13_EUlS12_E_NS1_11comp_targetILNS1_3genE2ELNS1_11target_archE906ELNS1_3gpuE6ELNS1_3repE0EEENS1_30default_config_static_selectorELNS0_4arch9wavefront6targetE1EEEvT1_
	.p2align	8
	.type	_ZN7rocprim17ROCPRIM_400000_NS6detail17trampoline_kernelINS0_14default_configENS1_25partition_config_selectorILNS1_17partition_subalgoE8EiNS0_10empty_typeEbEEZZNS1_14partition_implILS5_8ELb0ES3_jPKiPS6_PKS6_NS0_5tupleIJPiS6_EEENSE_IJSB_SB_EEENS0_18inequality_wrapperIN6hipcub16HIPCUB_304000_NS8EqualityEEEPlJS6_EEE10hipError_tPvRmT3_T4_T5_T6_T7_T9_mT8_P12ihipStream_tbDpT10_ENKUlT_T0_E_clISt17integral_constantIbLb0EES17_EEDaS12_S13_EUlS12_E_NS1_11comp_targetILNS1_3genE2ELNS1_11target_archE906ELNS1_3gpuE6ELNS1_3repE0EEENS1_30default_config_static_selectorELNS0_4arch9wavefront6targetE1EEEvT1_,@function
_ZN7rocprim17ROCPRIM_400000_NS6detail17trampoline_kernelINS0_14default_configENS1_25partition_config_selectorILNS1_17partition_subalgoE8EiNS0_10empty_typeEbEEZZNS1_14partition_implILS5_8ELb0ES3_jPKiPS6_PKS6_NS0_5tupleIJPiS6_EEENSE_IJSB_SB_EEENS0_18inequality_wrapperIN6hipcub16HIPCUB_304000_NS8EqualityEEEPlJS6_EEE10hipError_tPvRmT3_T4_T5_T6_T7_T9_mT8_P12ihipStream_tbDpT10_ENKUlT_T0_E_clISt17integral_constantIbLb0EES17_EEDaS12_S13_EUlS12_E_NS1_11comp_targetILNS1_3genE2ELNS1_11target_archE906ELNS1_3gpuE6ELNS1_3repE0EEENS1_30default_config_static_selectorELNS0_4arch9wavefront6targetE1EEEvT1_: ; @_ZN7rocprim17ROCPRIM_400000_NS6detail17trampoline_kernelINS0_14default_configENS1_25partition_config_selectorILNS1_17partition_subalgoE8EiNS0_10empty_typeEbEEZZNS1_14partition_implILS5_8ELb0ES3_jPKiPS6_PKS6_NS0_5tupleIJPiS6_EEENSE_IJSB_SB_EEENS0_18inequality_wrapperIN6hipcub16HIPCUB_304000_NS8EqualityEEEPlJS6_EEE10hipError_tPvRmT3_T4_T5_T6_T7_T9_mT8_P12ihipStream_tbDpT10_ENKUlT_T0_E_clISt17integral_constantIbLb0EES17_EEDaS12_S13_EUlS12_E_NS1_11comp_targetILNS1_3genE2ELNS1_11target_archE906ELNS1_3gpuE6ELNS1_3repE0EEENS1_30default_config_static_selectorELNS0_4arch9wavefront6targetE1EEEvT1_
; %bb.0:
	.section	.rodata,"a",@progbits
	.p2align	6, 0x0
	.amdhsa_kernel _ZN7rocprim17ROCPRIM_400000_NS6detail17trampoline_kernelINS0_14default_configENS1_25partition_config_selectorILNS1_17partition_subalgoE8EiNS0_10empty_typeEbEEZZNS1_14partition_implILS5_8ELb0ES3_jPKiPS6_PKS6_NS0_5tupleIJPiS6_EEENSE_IJSB_SB_EEENS0_18inequality_wrapperIN6hipcub16HIPCUB_304000_NS8EqualityEEEPlJS6_EEE10hipError_tPvRmT3_T4_T5_T6_T7_T9_mT8_P12ihipStream_tbDpT10_ENKUlT_T0_E_clISt17integral_constantIbLb0EES17_EEDaS12_S13_EUlS12_E_NS1_11comp_targetILNS1_3genE2ELNS1_11target_archE906ELNS1_3gpuE6ELNS1_3repE0EEENS1_30default_config_static_selectorELNS0_4arch9wavefront6targetE1EEEvT1_
		.amdhsa_group_segment_fixed_size 0
		.amdhsa_private_segment_fixed_size 0
		.amdhsa_kernarg_size 112
		.amdhsa_user_sgpr_count 6
		.amdhsa_user_sgpr_private_segment_buffer 1
		.amdhsa_user_sgpr_dispatch_ptr 0
		.amdhsa_user_sgpr_queue_ptr 0
		.amdhsa_user_sgpr_kernarg_segment_ptr 1
		.amdhsa_user_sgpr_dispatch_id 0
		.amdhsa_user_sgpr_flat_scratch_init 0
		.amdhsa_user_sgpr_kernarg_preload_length 0
		.amdhsa_user_sgpr_kernarg_preload_offset 0
		.amdhsa_user_sgpr_private_segment_size 0
		.amdhsa_uses_dynamic_stack 0
		.amdhsa_system_sgpr_private_segment_wavefront_offset 0
		.amdhsa_system_sgpr_workgroup_id_x 1
		.amdhsa_system_sgpr_workgroup_id_y 0
		.amdhsa_system_sgpr_workgroup_id_z 0
		.amdhsa_system_sgpr_workgroup_info 0
		.amdhsa_system_vgpr_workitem_id 0
		.amdhsa_next_free_vgpr 1
		.amdhsa_next_free_sgpr 0
		.amdhsa_accum_offset 4
		.amdhsa_reserve_vcc 0
		.amdhsa_reserve_flat_scratch 0
		.amdhsa_float_round_mode_32 0
		.amdhsa_float_round_mode_16_64 0
		.amdhsa_float_denorm_mode_32 3
		.amdhsa_float_denorm_mode_16_64 3
		.amdhsa_dx10_clamp 1
		.amdhsa_ieee_mode 1
		.amdhsa_fp16_overflow 0
		.amdhsa_tg_split 0
		.amdhsa_exception_fp_ieee_invalid_op 0
		.amdhsa_exception_fp_denorm_src 0
		.amdhsa_exception_fp_ieee_div_zero 0
		.amdhsa_exception_fp_ieee_overflow 0
		.amdhsa_exception_fp_ieee_underflow 0
		.amdhsa_exception_fp_ieee_inexact 0
		.amdhsa_exception_int_div_zero 0
	.end_amdhsa_kernel
	.section	.text._ZN7rocprim17ROCPRIM_400000_NS6detail17trampoline_kernelINS0_14default_configENS1_25partition_config_selectorILNS1_17partition_subalgoE8EiNS0_10empty_typeEbEEZZNS1_14partition_implILS5_8ELb0ES3_jPKiPS6_PKS6_NS0_5tupleIJPiS6_EEENSE_IJSB_SB_EEENS0_18inequality_wrapperIN6hipcub16HIPCUB_304000_NS8EqualityEEEPlJS6_EEE10hipError_tPvRmT3_T4_T5_T6_T7_T9_mT8_P12ihipStream_tbDpT10_ENKUlT_T0_E_clISt17integral_constantIbLb0EES17_EEDaS12_S13_EUlS12_E_NS1_11comp_targetILNS1_3genE2ELNS1_11target_archE906ELNS1_3gpuE6ELNS1_3repE0EEENS1_30default_config_static_selectorELNS0_4arch9wavefront6targetE1EEEvT1_,"axG",@progbits,_ZN7rocprim17ROCPRIM_400000_NS6detail17trampoline_kernelINS0_14default_configENS1_25partition_config_selectorILNS1_17partition_subalgoE8EiNS0_10empty_typeEbEEZZNS1_14partition_implILS5_8ELb0ES3_jPKiPS6_PKS6_NS0_5tupleIJPiS6_EEENSE_IJSB_SB_EEENS0_18inequality_wrapperIN6hipcub16HIPCUB_304000_NS8EqualityEEEPlJS6_EEE10hipError_tPvRmT3_T4_T5_T6_T7_T9_mT8_P12ihipStream_tbDpT10_ENKUlT_T0_E_clISt17integral_constantIbLb0EES17_EEDaS12_S13_EUlS12_E_NS1_11comp_targetILNS1_3genE2ELNS1_11target_archE906ELNS1_3gpuE6ELNS1_3repE0EEENS1_30default_config_static_selectorELNS0_4arch9wavefront6targetE1EEEvT1_,comdat
.Lfunc_end414:
	.size	_ZN7rocprim17ROCPRIM_400000_NS6detail17trampoline_kernelINS0_14default_configENS1_25partition_config_selectorILNS1_17partition_subalgoE8EiNS0_10empty_typeEbEEZZNS1_14partition_implILS5_8ELb0ES3_jPKiPS6_PKS6_NS0_5tupleIJPiS6_EEENSE_IJSB_SB_EEENS0_18inequality_wrapperIN6hipcub16HIPCUB_304000_NS8EqualityEEEPlJS6_EEE10hipError_tPvRmT3_T4_T5_T6_T7_T9_mT8_P12ihipStream_tbDpT10_ENKUlT_T0_E_clISt17integral_constantIbLb0EES17_EEDaS12_S13_EUlS12_E_NS1_11comp_targetILNS1_3genE2ELNS1_11target_archE906ELNS1_3gpuE6ELNS1_3repE0EEENS1_30default_config_static_selectorELNS0_4arch9wavefront6targetE1EEEvT1_, .Lfunc_end414-_ZN7rocprim17ROCPRIM_400000_NS6detail17trampoline_kernelINS0_14default_configENS1_25partition_config_selectorILNS1_17partition_subalgoE8EiNS0_10empty_typeEbEEZZNS1_14partition_implILS5_8ELb0ES3_jPKiPS6_PKS6_NS0_5tupleIJPiS6_EEENSE_IJSB_SB_EEENS0_18inequality_wrapperIN6hipcub16HIPCUB_304000_NS8EqualityEEEPlJS6_EEE10hipError_tPvRmT3_T4_T5_T6_T7_T9_mT8_P12ihipStream_tbDpT10_ENKUlT_T0_E_clISt17integral_constantIbLb0EES17_EEDaS12_S13_EUlS12_E_NS1_11comp_targetILNS1_3genE2ELNS1_11target_archE906ELNS1_3gpuE6ELNS1_3repE0EEENS1_30default_config_static_selectorELNS0_4arch9wavefront6targetE1EEEvT1_
                                        ; -- End function
	.section	.AMDGPU.csdata,"",@progbits
; Kernel info:
; codeLenInByte = 0
; NumSgprs: 4
; NumVgprs: 0
; NumAgprs: 0
; TotalNumVgprs: 0
; ScratchSize: 0
; MemoryBound: 0
; FloatMode: 240
; IeeeMode: 1
; LDSByteSize: 0 bytes/workgroup (compile time only)
; SGPRBlocks: 0
; VGPRBlocks: 0
; NumSGPRsForWavesPerEU: 4
; NumVGPRsForWavesPerEU: 1
; AccumOffset: 4
; Occupancy: 8
; WaveLimiterHint : 0
; COMPUTE_PGM_RSRC2:SCRATCH_EN: 0
; COMPUTE_PGM_RSRC2:USER_SGPR: 6
; COMPUTE_PGM_RSRC2:TRAP_HANDLER: 0
; COMPUTE_PGM_RSRC2:TGID_X_EN: 1
; COMPUTE_PGM_RSRC2:TGID_Y_EN: 0
; COMPUTE_PGM_RSRC2:TGID_Z_EN: 0
; COMPUTE_PGM_RSRC2:TIDIG_COMP_CNT: 0
; COMPUTE_PGM_RSRC3_GFX90A:ACCUM_OFFSET: 0
; COMPUTE_PGM_RSRC3_GFX90A:TG_SPLIT: 0
	.section	.text._ZN7rocprim17ROCPRIM_400000_NS6detail17trampoline_kernelINS0_14default_configENS1_25partition_config_selectorILNS1_17partition_subalgoE8EiNS0_10empty_typeEbEEZZNS1_14partition_implILS5_8ELb0ES3_jPKiPS6_PKS6_NS0_5tupleIJPiS6_EEENSE_IJSB_SB_EEENS0_18inequality_wrapperIN6hipcub16HIPCUB_304000_NS8EqualityEEEPlJS6_EEE10hipError_tPvRmT3_T4_T5_T6_T7_T9_mT8_P12ihipStream_tbDpT10_ENKUlT_T0_E_clISt17integral_constantIbLb0EES17_EEDaS12_S13_EUlS12_E_NS1_11comp_targetILNS1_3genE10ELNS1_11target_archE1200ELNS1_3gpuE4ELNS1_3repE0EEENS1_30default_config_static_selectorELNS0_4arch9wavefront6targetE1EEEvT1_,"axG",@progbits,_ZN7rocprim17ROCPRIM_400000_NS6detail17trampoline_kernelINS0_14default_configENS1_25partition_config_selectorILNS1_17partition_subalgoE8EiNS0_10empty_typeEbEEZZNS1_14partition_implILS5_8ELb0ES3_jPKiPS6_PKS6_NS0_5tupleIJPiS6_EEENSE_IJSB_SB_EEENS0_18inequality_wrapperIN6hipcub16HIPCUB_304000_NS8EqualityEEEPlJS6_EEE10hipError_tPvRmT3_T4_T5_T6_T7_T9_mT8_P12ihipStream_tbDpT10_ENKUlT_T0_E_clISt17integral_constantIbLb0EES17_EEDaS12_S13_EUlS12_E_NS1_11comp_targetILNS1_3genE10ELNS1_11target_archE1200ELNS1_3gpuE4ELNS1_3repE0EEENS1_30default_config_static_selectorELNS0_4arch9wavefront6targetE1EEEvT1_,comdat
	.protected	_ZN7rocprim17ROCPRIM_400000_NS6detail17trampoline_kernelINS0_14default_configENS1_25partition_config_selectorILNS1_17partition_subalgoE8EiNS0_10empty_typeEbEEZZNS1_14partition_implILS5_8ELb0ES3_jPKiPS6_PKS6_NS0_5tupleIJPiS6_EEENSE_IJSB_SB_EEENS0_18inequality_wrapperIN6hipcub16HIPCUB_304000_NS8EqualityEEEPlJS6_EEE10hipError_tPvRmT3_T4_T5_T6_T7_T9_mT8_P12ihipStream_tbDpT10_ENKUlT_T0_E_clISt17integral_constantIbLb0EES17_EEDaS12_S13_EUlS12_E_NS1_11comp_targetILNS1_3genE10ELNS1_11target_archE1200ELNS1_3gpuE4ELNS1_3repE0EEENS1_30default_config_static_selectorELNS0_4arch9wavefront6targetE1EEEvT1_ ; -- Begin function _ZN7rocprim17ROCPRIM_400000_NS6detail17trampoline_kernelINS0_14default_configENS1_25partition_config_selectorILNS1_17partition_subalgoE8EiNS0_10empty_typeEbEEZZNS1_14partition_implILS5_8ELb0ES3_jPKiPS6_PKS6_NS0_5tupleIJPiS6_EEENSE_IJSB_SB_EEENS0_18inequality_wrapperIN6hipcub16HIPCUB_304000_NS8EqualityEEEPlJS6_EEE10hipError_tPvRmT3_T4_T5_T6_T7_T9_mT8_P12ihipStream_tbDpT10_ENKUlT_T0_E_clISt17integral_constantIbLb0EES17_EEDaS12_S13_EUlS12_E_NS1_11comp_targetILNS1_3genE10ELNS1_11target_archE1200ELNS1_3gpuE4ELNS1_3repE0EEENS1_30default_config_static_selectorELNS0_4arch9wavefront6targetE1EEEvT1_
	.globl	_ZN7rocprim17ROCPRIM_400000_NS6detail17trampoline_kernelINS0_14default_configENS1_25partition_config_selectorILNS1_17partition_subalgoE8EiNS0_10empty_typeEbEEZZNS1_14partition_implILS5_8ELb0ES3_jPKiPS6_PKS6_NS0_5tupleIJPiS6_EEENSE_IJSB_SB_EEENS0_18inequality_wrapperIN6hipcub16HIPCUB_304000_NS8EqualityEEEPlJS6_EEE10hipError_tPvRmT3_T4_T5_T6_T7_T9_mT8_P12ihipStream_tbDpT10_ENKUlT_T0_E_clISt17integral_constantIbLb0EES17_EEDaS12_S13_EUlS12_E_NS1_11comp_targetILNS1_3genE10ELNS1_11target_archE1200ELNS1_3gpuE4ELNS1_3repE0EEENS1_30default_config_static_selectorELNS0_4arch9wavefront6targetE1EEEvT1_
	.p2align	8
	.type	_ZN7rocprim17ROCPRIM_400000_NS6detail17trampoline_kernelINS0_14default_configENS1_25partition_config_selectorILNS1_17partition_subalgoE8EiNS0_10empty_typeEbEEZZNS1_14partition_implILS5_8ELb0ES3_jPKiPS6_PKS6_NS0_5tupleIJPiS6_EEENSE_IJSB_SB_EEENS0_18inequality_wrapperIN6hipcub16HIPCUB_304000_NS8EqualityEEEPlJS6_EEE10hipError_tPvRmT3_T4_T5_T6_T7_T9_mT8_P12ihipStream_tbDpT10_ENKUlT_T0_E_clISt17integral_constantIbLb0EES17_EEDaS12_S13_EUlS12_E_NS1_11comp_targetILNS1_3genE10ELNS1_11target_archE1200ELNS1_3gpuE4ELNS1_3repE0EEENS1_30default_config_static_selectorELNS0_4arch9wavefront6targetE1EEEvT1_,@function
_ZN7rocprim17ROCPRIM_400000_NS6detail17trampoline_kernelINS0_14default_configENS1_25partition_config_selectorILNS1_17partition_subalgoE8EiNS0_10empty_typeEbEEZZNS1_14partition_implILS5_8ELb0ES3_jPKiPS6_PKS6_NS0_5tupleIJPiS6_EEENSE_IJSB_SB_EEENS0_18inequality_wrapperIN6hipcub16HIPCUB_304000_NS8EqualityEEEPlJS6_EEE10hipError_tPvRmT3_T4_T5_T6_T7_T9_mT8_P12ihipStream_tbDpT10_ENKUlT_T0_E_clISt17integral_constantIbLb0EES17_EEDaS12_S13_EUlS12_E_NS1_11comp_targetILNS1_3genE10ELNS1_11target_archE1200ELNS1_3gpuE4ELNS1_3repE0EEENS1_30default_config_static_selectorELNS0_4arch9wavefront6targetE1EEEvT1_: ; @_ZN7rocprim17ROCPRIM_400000_NS6detail17trampoline_kernelINS0_14default_configENS1_25partition_config_selectorILNS1_17partition_subalgoE8EiNS0_10empty_typeEbEEZZNS1_14partition_implILS5_8ELb0ES3_jPKiPS6_PKS6_NS0_5tupleIJPiS6_EEENSE_IJSB_SB_EEENS0_18inequality_wrapperIN6hipcub16HIPCUB_304000_NS8EqualityEEEPlJS6_EEE10hipError_tPvRmT3_T4_T5_T6_T7_T9_mT8_P12ihipStream_tbDpT10_ENKUlT_T0_E_clISt17integral_constantIbLb0EES17_EEDaS12_S13_EUlS12_E_NS1_11comp_targetILNS1_3genE10ELNS1_11target_archE1200ELNS1_3gpuE4ELNS1_3repE0EEENS1_30default_config_static_selectorELNS0_4arch9wavefront6targetE1EEEvT1_
; %bb.0:
	.section	.rodata,"a",@progbits
	.p2align	6, 0x0
	.amdhsa_kernel _ZN7rocprim17ROCPRIM_400000_NS6detail17trampoline_kernelINS0_14default_configENS1_25partition_config_selectorILNS1_17partition_subalgoE8EiNS0_10empty_typeEbEEZZNS1_14partition_implILS5_8ELb0ES3_jPKiPS6_PKS6_NS0_5tupleIJPiS6_EEENSE_IJSB_SB_EEENS0_18inequality_wrapperIN6hipcub16HIPCUB_304000_NS8EqualityEEEPlJS6_EEE10hipError_tPvRmT3_T4_T5_T6_T7_T9_mT8_P12ihipStream_tbDpT10_ENKUlT_T0_E_clISt17integral_constantIbLb0EES17_EEDaS12_S13_EUlS12_E_NS1_11comp_targetILNS1_3genE10ELNS1_11target_archE1200ELNS1_3gpuE4ELNS1_3repE0EEENS1_30default_config_static_selectorELNS0_4arch9wavefront6targetE1EEEvT1_
		.amdhsa_group_segment_fixed_size 0
		.amdhsa_private_segment_fixed_size 0
		.amdhsa_kernarg_size 112
		.amdhsa_user_sgpr_count 6
		.amdhsa_user_sgpr_private_segment_buffer 1
		.amdhsa_user_sgpr_dispatch_ptr 0
		.amdhsa_user_sgpr_queue_ptr 0
		.amdhsa_user_sgpr_kernarg_segment_ptr 1
		.amdhsa_user_sgpr_dispatch_id 0
		.amdhsa_user_sgpr_flat_scratch_init 0
		.amdhsa_user_sgpr_kernarg_preload_length 0
		.amdhsa_user_sgpr_kernarg_preload_offset 0
		.amdhsa_user_sgpr_private_segment_size 0
		.amdhsa_uses_dynamic_stack 0
		.amdhsa_system_sgpr_private_segment_wavefront_offset 0
		.amdhsa_system_sgpr_workgroup_id_x 1
		.amdhsa_system_sgpr_workgroup_id_y 0
		.amdhsa_system_sgpr_workgroup_id_z 0
		.amdhsa_system_sgpr_workgroup_info 0
		.amdhsa_system_vgpr_workitem_id 0
		.amdhsa_next_free_vgpr 1
		.amdhsa_next_free_sgpr 0
		.amdhsa_accum_offset 4
		.amdhsa_reserve_vcc 0
		.amdhsa_reserve_flat_scratch 0
		.amdhsa_float_round_mode_32 0
		.amdhsa_float_round_mode_16_64 0
		.amdhsa_float_denorm_mode_32 3
		.amdhsa_float_denorm_mode_16_64 3
		.amdhsa_dx10_clamp 1
		.amdhsa_ieee_mode 1
		.amdhsa_fp16_overflow 0
		.amdhsa_tg_split 0
		.amdhsa_exception_fp_ieee_invalid_op 0
		.amdhsa_exception_fp_denorm_src 0
		.amdhsa_exception_fp_ieee_div_zero 0
		.amdhsa_exception_fp_ieee_overflow 0
		.amdhsa_exception_fp_ieee_underflow 0
		.amdhsa_exception_fp_ieee_inexact 0
		.amdhsa_exception_int_div_zero 0
	.end_amdhsa_kernel
	.section	.text._ZN7rocprim17ROCPRIM_400000_NS6detail17trampoline_kernelINS0_14default_configENS1_25partition_config_selectorILNS1_17partition_subalgoE8EiNS0_10empty_typeEbEEZZNS1_14partition_implILS5_8ELb0ES3_jPKiPS6_PKS6_NS0_5tupleIJPiS6_EEENSE_IJSB_SB_EEENS0_18inequality_wrapperIN6hipcub16HIPCUB_304000_NS8EqualityEEEPlJS6_EEE10hipError_tPvRmT3_T4_T5_T6_T7_T9_mT8_P12ihipStream_tbDpT10_ENKUlT_T0_E_clISt17integral_constantIbLb0EES17_EEDaS12_S13_EUlS12_E_NS1_11comp_targetILNS1_3genE10ELNS1_11target_archE1200ELNS1_3gpuE4ELNS1_3repE0EEENS1_30default_config_static_selectorELNS0_4arch9wavefront6targetE1EEEvT1_,"axG",@progbits,_ZN7rocprim17ROCPRIM_400000_NS6detail17trampoline_kernelINS0_14default_configENS1_25partition_config_selectorILNS1_17partition_subalgoE8EiNS0_10empty_typeEbEEZZNS1_14partition_implILS5_8ELb0ES3_jPKiPS6_PKS6_NS0_5tupleIJPiS6_EEENSE_IJSB_SB_EEENS0_18inequality_wrapperIN6hipcub16HIPCUB_304000_NS8EqualityEEEPlJS6_EEE10hipError_tPvRmT3_T4_T5_T6_T7_T9_mT8_P12ihipStream_tbDpT10_ENKUlT_T0_E_clISt17integral_constantIbLb0EES17_EEDaS12_S13_EUlS12_E_NS1_11comp_targetILNS1_3genE10ELNS1_11target_archE1200ELNS1_3gpuE4ELNS1_3repE0EEENS1_30default_config_static_selectorELNS0_4arch9wavefront6targetE1EEEvT1_,comdat
.Lfunc_end415:
	.size	_ZN7rocprim17ROCPRIM_400000_NS6detail17trampoline_kernelINS0_14default_configENS1_25partition_config_selectorILNS1_17partition_subalgoE8EiNS0_10empty_typeEbEEZZNS1_14partition_implILS5_8ELb0ES3_jPKiPS6_PKS6_NS0_5tupleIJPiS6_EEENSE_IJSB_SB_EEENS0_18inequality_wrapperIN6hipcub16HIPCUB_304000_NS8EqualityEEEPlJS6_EEE10hipError_tPvRmT3_T4_T5_T6_T7_T9_mT8_P12ihipStream_tbDpT10_ENKUlT_T0_E_clISt17integral_constantIbLb0EES17_EEDaS12_S13_EUlS12_E_NS1_11comp_targetILNS1_3genE10ELNS1_11target_archE1200ELNS1_3gpuE4ELNS1_3repE0EEENS1_30default_config_static_selectorELNS0_4arch9wavefront6targetE1EEEvT1_, .Lfunc_end415-_ZN7rocprim17ROCPRIM_400000_NS6detail17trampoline_kernelINS0_14default_configENS1_25partition_config_selectorILNS1_17partition_subalgoE8EiNS0_10empty_typeEbEEZZNS1_14partition_implILS5_8ELb0ES3_jPKiPS6_PKS6_NS0_5tupleIJPiS6_EEENSE_IJSB_SB_EEENS0_18inequality_wrapperIN6hipcub16HIPCUB_304000_NS8EqualityEEEPlJS6_EEE10hipError_tPvRmT3_T4_T5_T6_T7_T9_mT8_P12ihipStream_tbDpT10_ENKUlT_T0_E_clISt17integral_constantIbLb0EES17_EEDaS12_S13_EUlS12_E_NS1_11comp_targetILNS1_3genE10ELNS1_11target_archE1200ELNS1_3gpuE4ELNS1_3repE0EEENS1_30default_config_static_selectorELNS0_4arch9wavefront6targetE1EEEvT1_
                                        ; -- End function
	.section	.AMDGPU.csdata,"",@progbits
; Kernel info:
; codeLenInByte = 0
; NumSgprs: 4
; NumVgprs: 0
; NumAgprs: 0
; TotalNumVgprs: 0
; ScratchSize: 0
; MemoryBound: 0
; FloatMode: 240
; IeeeMode: 1
; LDSByteSize: 0 bytes/workgroup (compile time only)
; SGPRBlocks: 0
; VGPRBlocks: 0
; NumSGPRsForWavesPerEU: 4
; NumVGPRsForWavesPerEU: 1
; AccumOffset: 4
; Occupancy: 8
; WaveLimiterHint : 0
; COMPUTE_PGM_RSRC2:SCRATCH_EN: 0
; COMPUTE_PGM_RSRC2:USER_SGPR: 6
; COMPUTE_PGM_RSRC2:TRAP_HANDLER: 0
; COMPUTE_PGM_RSRC2:TGID_X_EN: 1
; COMPUTE_PGM_RSRC2:TGID_Y_EN: 0
; COMPUTE_PGM_RSRC2:TGID_Z_EN: 0
; COMPUTE_PGM_RSRC2:TIDIG_COMP_CNT: 0
; COMPUTE_PGM_RSRC3_GFX90A:ACCUM_OFFSET: 0
; COMPUTE_PGM_RSRC3_GFX90A:TG_SPLIT: 0
	.section	.text._ZN7rocprim17ROCPRIM_400000_NS6detail17trampoline_kernelINS0_14default_configENS1_25partition_config_selectorILNS1_17partition_subalgoE8EiNS0_10empty_typeEbEEZZNS1_14partition_implILS5_8ELb0ES3_jPKiPS6_PKS6_NS0_5tupleIJPiS6_EEENSE_IJSB_SB_EEENS0_18inequality_wrapperIN6hipcub16HIPCUB_304000_NS8EqualityEEEPlJS6_EEE10hipError_tPvRmT3_T4_T5_T6_T7_T9_mT8_P12ihipStream_tbDpT10_ENKUlT_T0_E_clISt17integral_constantIbLb0EES17_EEDaS12_S13_EUlS12_E_NS1_11comp_targetILNS1_3genE9ELNS1_11target_archE1100ELNS1_3gpuE3ELNS1_3repE0EEENS1_30default_config_static_selectorELNS0_4arch9wavefront6targetE1EEEvT1_,"axG",@progbits,_ZN7rocprim17ROCPRIM_400000_NS6detail17trampoline_kernelINS0_14default_configENS1_25partition_config_selectorILNS1_17partition_subalgoE8EiNS0_10empty_typeEbEEZZNS1_14partition_implILS5_8ELb0ES3_jPKiPS6_PKS6_NS0_5tupleIJPiS6_EEENSE_IJSB_SB_EEENS0_18inequality_wrapperIN6hipcub16HIPCUB_304000_NS8EqualityEEEPlJS6_EEE10hipError_tPvRmT3_T4_T5_T6_T7_T9_mT8_P12ihipStream_tbDpT10_ENKUlT_T0_E_clISt17integral_constantIbLb0EES17_EEDaS12_S13_EUlS12_E_NS1_11comp_targetILNS1_3genE9ELNS1_11target_archE1100ELNS1_3gpuE3ELNS1_3repE0EEENS1_30default_config_static_selectorELNS0_4arch9wavefront6targetE1EEEvT1_,comdat
	.protected	_ZN7rocprim17ROCPRIM_400000_NS6detail17trampoline_kernelINS0_14default_configENS1_25partition_config_selectorILNS1_17partition_subalgoE8EiNS0_10empty_typeEbEEZZNS1_14partition_implILS5_8ELb0ES3_jPKiPS6_PKS6_NS0_5tupleIJPiS6_EEENSE_IJSB_SB_EEENS0_18inequality_wrapperIN6hipcub16HIPCUB_304000_NS8EqualityEEEPlJS6_EEE10hipError_tPvRmT3_T4_T5_T6_T7_T9_mT8_P12ihipStream_tbDpT10_ENKUlT_T0_E_clISt17integral_constantIbLb0EES17_EEDaS12_S13_EUlS12_E_NS1_11comp_targetILNS1_3genE9ELNS1_11target_archE1100ELNS1_3gpuE3ELNS1_3repE0EEENS1_30default_config_static_selectorELNS0_4arch9wavefront6targetE1EEEvT1_ ; -- Begin function _ZN7rocprim17ROCPRIM_400000_NS6detail17trampoline_kernelINS0_14default_configENS1_25partition_config_selectorILNS1_17partition_subalgoE8EiNS0_10empty_typeEbEEZZNS1_14partition_implILS5_8ELb0ES3_jPKiPS6_PKS6_NS0_5tupleIJPiS6_EEENSE_IJSB_SB_EEENS0_18inequality_wrapperIN6hipcub16HIPCUB_304000_NS8EqualityEEEPlJS6_EEE10hipError_tPvRmT3_T4_T5_T6_T7_T9_mT8_P12ihipStream_tbDpT10_ENKUlT_T0_E_clISt17integral_constantIbLb0EES17_EEDaS12_S13_EUlS12_E_NS1_11comp_targetILNS1_3genE9ELNS1_11target_archE1100ELNS1_3gpuE3ELNS1_3repE0EEENS1_30default_config_static_selectorELNS0_4arch9wavefront6targetE1EEEvT1_
	.globl	_ZN7rocprim17ROCPRIM_400000_NS6detail17trampoline_kernelINS0_14default_configENS1_25partition_config_selectorILNS1_17partition_subalgoE8EiNS0_10empty_typeEbEEZZNS1_14partition_implILS5_8ELb0ES3_jPKiPS6_PKS6_NS0_5tupleIJPiS6_EEENSE_IJSB_SB_EEENS0_18inequality_wrapperIN6hipcub16HIPCUB_304000_NS8EqualityEEEPlJS6_EEE10hipError_tPvRmT3_T4_T5_T6_T7_T9_mT8_P12ihipStream_tbDpT10_ENKUlT_T0_E_clISt17integral_constantIbLb0EES17_EEDaS12_S13_EUlS12_E_NS1_11comp_targetILNS1_3genE9ELNS1_11target_archE1100ELNS1_3gpuE3ELNS1_3repE0EEENS1_30default_config_static_selectorELNS0_4arch9wavefront6targetE1EEEvT1_
	.p2align	8
	.type	_ZN7rocprim17ROCPRIM_400000_NS6detail17trampoline_kernelINS0_14default_configENS1_25partition_config_selectorILNS1_17partition_subalgoE8EiNS0_10empty_typeEbEEZZNS1_14partition_implILS5_8ELb0ES3_jPKiPS6_PKS6_NS0_5tupleIJPiS6_EEENSE_IJSB_SB_EEENS0_18inequality_wrapperIN6hipcub16HIPCUB_304000_NS8EqualityEEEPlJS6_EEE10hipError_tPvRmT3_T4_T5_T6_T7_T9_mT8_P12ihipStream_tbDpT10_ENKUlT_T0_E_clISt17integral_constantIbLb0EES17_EEDaS12_S13_EUlS12_E_NS1_11comp_targetILNS1_3genE9ELNS1_11target_archE1100ELNS1_3gpuE3ELNS1_3repE0EEENS1_30default_config_static_selectorELNS0_4arch9wavefront6targetE1EEEvT1_,@function
_ZN7rocprim17ROCPRIM_400000_NS6detail17trampoline_kernelINS0_14default_configENS1_25partition_config_selectorILNS1_17partition_subalgoE8EiNS0_10empty_typeEbEEZZNS1_14partition_implILS5_8ELb0ES3_jPKiPS6_PKS6_NS0_5tupleIJPiS6_EEENSE_IJSB_SB_EEENS0_18inequality_wrapperIN6hipcub16HIPCUB_304000_NS8EqualityEEEPlJS6_EEE10hipError_tPvRmT3_T4_T5_T6_T7_T9_mT8_P12ihipStream_tbDpT10_ENKUlT_T0_E_clISt17integral_constantIbLb0EES17_EEDaS12_S13_EUlS12_E_NS1_11comp_targetILNS1_3genE9ELNS1_11target_archE1100ELNS1_3gpuE3ELNS1_3repE0EEENS1_30default_config_static_selectorELNS0_4arch9wavefront6targetE1EEEvT1_: ; @_ZN7rocprim17ROCPRIM_400000_NS6detail17trampoline_kernelINS0_14default_configENS1_25partition_config_selectorILNS1_17partition_subalgoE8EiNS0_10empty_typeEbEEZZNS1_14partition_implILS5_8ELb0ES3_jPKiPS6_PKS6_NS0_5tupleIJPiS6_EEENSE_IJSB_SB_EEENS0_18inequality_wrapperIN6hipcub16HIPCUB_304000_NS8EqualityEEEPlJS6_EEE10hipError_tPvRmT3_T4_T5_T6_T7_T9_mT8_P12ihipStream_tbDpT10_ENKUlT_T0_E_clISt17integral_constantIbLb0EES17_EEDaS12_S13_EUlS12_E_NS1_11comp_targetILNS1_3genE9ELNS1_11target_archE1100ELNS1_3gpuE3ELNS1_3repE0EEENS1_30default_config_static_selectorELNS0_4arch9wavefront6targetE1EEEvT1_
; %bb.0:
	.section	.rodata,"a",@progbits
	.p2align	6, 0x0
	.amdhsa_kernel _ZN7rocprim17ROCPRIM_400000_NS6detail17trampoline_kernelINS0_14default_configENS1_25partition_config_selectorILNS1_17partition_subalgoE8EiNS0_10empty_typeEbEEZZNS1_14partition_implILS5_8ELb0ES3_jPKiPS6_PKS6_NS0_5tupleIJPiS6_EEENSE_IJSB_SB_EEENS0_18inequality_wrapperIN6hipcub16HIPCUB_304000_NS8EqualityEEEPlJS6_EEE10hipError_tPvRmT3_T4_T5_T6_T7_T9_mT8_P12ihipStream_tbDpT10_ENKUlT_T0_E_clISt17integral_constantIbLb0EES17_EEDaS12_S13_EUlS12_E_NS1_11comp_targetILNS1_3genE9ELNS1_11target_archE1100ELNS1_3gpuE3ELNS1_3repE0EEENS1_30default_config_static_selectorELNS0_4arch9wavefront6targetE1EEEvT1_
		.amdhsa_group_segment_fixed_size 0
		.amdhsa_private_segment_fixed_size 0
		.amdhsa_kernarg_size 112
		.amdhsa_user_sgpr_count 6
		.amdhsa_user_sgpr_private_segment_buffer 1
		.amdhsa_user_sgpr_dispatch_ptr 0
		.amdhsa_user_sgpr_queue_ptr 0
		.amdhsa_user_sgpr_kernarg_segment_ptr 1
		.amdhsa_user_sgpr_dispatch_id 0
		.amdhsa_user_sgpr_flat_scratch_init 0
		.amdhsa_user_sgpr_kernarg_preload_length 0
		.amdhsa_user_sgpr_kernarg_preload_offset 0
		.amdhsa_user_sgpr_private_segment_size 0
		.amdhsa_uses_dynamic_stack 0
		.amdhsa_system_sgpr_private_segment_wavefront_offset 0
		.amdhsa_system_sgpr_workgroup_id_x 1
		.amdhsa_system_sgpr_workgroup_id_y 0
		.amdhsa_system_sgpr_workgroup_id_z 0
		.amdhsa_system_sgpr_workgroup_info 0
		.amdhsa_system_vgpr_workitem_id 0
		.amdhsa_next_free_vgpr 1
		.amdhsa_next_free_sgpr 0
		.amdhsa_accum_offset 4
		.amdhsa_reserve_vcc 0
		.amdhsa_reserve_flat_scratch 0
		.amdhsa_float_round_mode_32 0
		.amdhsa_float_round_mode_16_64 0
		.amdhsa_float_denorm_mode_32 3
		.amdhsa_float_denorm_mode_16_64 3
		.amdhsa_dx10_clamp 1
		.amdhsa_ieee_mode 1
		.amdhsa_fp16_overflow 0
		.amdhsa_tg_split 0
		.amdhsa_exception_fp_ieee_invalid_op 0
		.amdhsa_exception_fp_denorm_src 0
		.amdhsa_exception_fp_ieee_div_zero 0
		.amdhsa_exception_fp_ieee_overflow 0
		.amdhsa_exception_fp_ieee_underflow 0
		.amdhsa_exception_fp_ieee_inexact 0
		.amdhsa_exception_int_div_zero 0
	.end_amdhsa_kernel
	.section	.text._ZN7rocprim17ROCPRIM_400000_NS6detail17trampoline_kernelINS0_14default_configENS1_25partition_config_selectorILNS1_17partition_subalgoE8EiNS0_10empty_typeEbEEZZNS1_14partition_implILS5_8ELb0ES3_jPKiPS6_PKS6_NS0_5tupleIJPiS6_EEENSE_IJSB_SB_EEENS0_18inequality_wrapperIN6hipcub16HIPCUB_304000_NS8EqualityEEEPlJS6_EEE10hipError_tPvRmT3_T4_T5_T6_T7_T9_mT8_P12ihipStream_tbDpT10_ENKUlT_T0_E_clISt17integral_constantIbLb0EES17_EEDaS12_S13_EUlS12_E_NS1_11comp_targetILNS1_3genE9ELNS1_11target_archE1100ELNS1_3gpuE3ELNS1_3repE0EEENS1_30default_config_static_selectorELNS0_4arch9wavefront6targetE1EEEvT1_,"axG",@progbits,_ZN7rocprim17ROCPRIM_400000_NS6detail17trampoline_kernelINS0_14default_configENS1_25partition_config_selectorILNS1_17partition_subalgoE8EiNS0_10empty_typeEbEEZZNS1_14partition_implILS5_8ELb0ES3_jPKiPS6_PKS6_NS0_5tupleIJPiS6_EEENSE_IJSB_SB_EEENS0_18inequality_wrapperIN6hipcub16HIPCUB_304000_NS8EqualityEEEPlJS6_EEE10hipError_tPvRmT3_T4_T5_T6_T7_T9_mT8_P12ihipStream_tbDpT10_ENKUlT_T0_E_clISt17integral_constantIbLb0EES17_EEDaS12_S13_EUlS12_E_NS1_11comp_targetILNS1_3genE9ELNS1_11target_archE1100ELNS1_3gpuE3ELNS1_3repE0EEENS1_30default_config_static_selectorELNS0_4arch9wavefront6targetE1EEEvT1_,comdat
.Lfunc_end416:
	.size	_ZN7rocprim17ROCPRIM_400000_NS6detail17trampoline_kernelINS0_14default_configENS1_25partition_config_selectorILNS1_17partition_subalgoE8EiNS0_10empty_typeEbEEZZNS1_14partition_implILS5_8ELb0ES3_jPKiPS6_PKS6_NS0_5tupleIJPiS6_EEENSE_IJSB_SB_EEENS0_18inequality_wrapperIN6hipcub16HIPCUB_304000_NS8EqualityEEEPlJS6_EEE10hipError_tPvRmT3_T4_T5_T6_T7_T9_mT8_P12ihipStream_tbDpT10_ENKUlT_T0_E_clISt17integral_constantIbLb0EES17_EEDaS12_S13_EUlS12_E_NS1_11comp_targetILNS1_3genE9ELNS1_11target_archE1100ELNS1_3gpuE3ELNS1_3repE0EEENS1_30default_config_static_selectorELNS0_4arch9wavefront6targetE1EEEvT1_, .Lfunc_end416-_ZN7rocprim17ROCPRIM_400000_NS6detail17trampoline_kernelINS0_14default_configENS1_25partition_config_selectorILNS1_17partition_subalgoE8EiNS0_10empty_typeEbEEZZNS1_14partition_implILS5_8ELb0ES3_jPKiPS6_PKS6_NS0_5tupleIJPiS6_EEENSE_IJSB_SB_EEENS0_18inequality_wrapperIN6hipcub16HIPCUB_304000_NS8EqualityEEEPlJS6_EEE10hipError_tPvRmT3_T4_T5_T6_T7_T9_mT8_P12ihipStream_tbDpT10_ENKUlT_T0_E_clISt17integral_constantIbLb0EES17_EEDaS12_S13_EUlS12_E_NS1_11comp_targetILNS1_3genE9ELNS1_11target_archE1100ELNS1_3gpuE3ELNS1_3repE0EEENS1_30default_config_static_selectorELNS0_4arch9wavefront6targetE1EEEvT1_
                                        ; -- End function
	.section	.AMDGPU.csdata,"",@progbits
; Kernel info:
; codeLenInByte = 0
; NumSgprs: 4
; NumVgprs: 0
; NumAgprs: 0
; TotalNumVgprs: 0
; ScratchSize: 0
; MemoryBound: 0
; FloatMode: 240
; IeeeMode: 1
; LDSByteSize: 0 bytes/workgroup (compile time only)
; SGPRBlocks: 0
; VGPRBlocks: 0
; NumSGPRsForWavesPerEU: 4
; NumVGPRsForWavesPerEU: 1
; AccumOffset: 4
; Occupancy: 8
; WaveLimiterHint : 0
; COMPUTE_PGM_RSRC2:SCRATCH_EN: 0
; COMPUTE_PGM_RSRC2:USER_SGPR: 6
; COMPUTE_PGM_RSRC2:TRAP_HANDLER: 0
; COMPUTE_PGM_RSRC2:TGID_X_EN: 1
; COMPUTE_PGM_RSRC2:TGID_Y_EN: 0
; COMPUTE_PGM_RSRC2:TGID_Z_EN: 0
; COMPUTE_PGM_RSRC2:TIDIG_COMP_CNT: 0
; COMPUTE_PGM_RSRC3_GFX90A:ACCUM_OFFSET: 0
; COMPUTE_PGM_RSRC3_GFX90A:TG_SPLIT: 0
	.section	.text._ZN7rocprim17ROCPRIM_400000_NS6detail17trampoline_kernelINS0_14default_configENS1_25partition_config_selectorILNS1_17partition_subalgoE8EiNS0_10empty_typeEbEEZZNS1_14partition_implILS5_8ELb0ES3_jPKiPS6_PKS6_NS0_5tupleIJPiS6_EEENSE_IJSB_SB_EEENS0_18inequality_wrapperIN6hipcub16HIPCUB_304000_NS8EqualityEEEPlJS6_EEE10hipError_tPvRmT3_T4_T5_T6_T7_T9_mT8_P12ihipStream_tbDpT10_ENKUlT_T0_E_clISt17integral_constantIbLb0EES17_EEDaS12_S13_EUlS12_E_NS1_11comp_targetILNS1_3genE8ELNS1_11target_archE1030ELNS1_3gpuE2ELNS1_3repE0EEENS1_30default_config_static_selectorELNS0_4arch9wavefront6targetE1EEEvT1_,"axG",@progbits,_ZN7rocprim17ROCPRIM_400000_NS6detail17trampoline_kernelINS0_14default_configENS1_25partition_config_selectorILNS1_17partition_subalgoE8EiNS0_10empty_typeEbEEZZNS1_14partition_implILS5_8ELb0ES3_jPKiPS6_PKS6_NS0_5tupleIJPiS6_EEENSE_IJSB_SB_EEENS0_18inequality_wrapperIN6hipcub16HIPCUB_304000_NS8EqualityEEEPlJS6_EEE10hipError_tPvRmT3_T4_T5_T6_T7_T9_mT8_P12ihipStream_tbDpT10_ENKUlT_T0_E_clISt17integral_constantIbLb0EES17_EEDaS12_S13_EUlS12_E_NS1_11comp_targetILNS1_3genE8ELNS1_11target_archE1030ELNS1_3gpuE2ELNS1_3repE0EEENS1_30default_config_static_selectorELNS0_4arch9wavefront6targetE1EEEvT1_,comdat
	.protected	_ZN7rocprim17ROCPRIM_400000_NS6detail17trampoline_kernelINS0_14default_configENS1_25partition_config_selectorILNS1_17partition_subalgoE8EiNS0_10empty_typeEbEEZZNS1_14partition_implILS5_8ELb0ES3_jPKiPS6_PKS6_NS0_5tupleIJPiS6_EEENSE_IJSB_SB_EEENS0_18inequality_wrapperIN6hipcub16HIPCUB_304000_NS8EqualityEEEPlJS6_EEE10hipError_tPvRmT3_T4_T5_T6_T7_T9_mT8_P12ihipStream_tbDpT10_ENKUlT_T0_E_clISt17integral_constantIbLb0EES17_EEDaS12_S13_EUlS12_E_NS1_11comp_targetILNS1_3genE8ELNS1_11target_archE1030ELNS1_3gpuE2ELNS1_3repE0EEENS1_30default_config_static_selectorELNS0_4arch9wavefront6targetE1EEEvT1_ ; -- Begin function _ZN7rocprim17ROCPRIM_400000_NS6detail17trampoline_kernelINS0_14default_configENS1_25partition_config_selectorILNS1_17partition_subalgoE8EiNS0_10empty_typeEbEEZZNS1_14partition_implILS5_8ELb0ES3_jPKiPS6_PKS6_NS0_5tupleIJPiS6_EEENSE_IJSB_SB_EEENS0_18inequality_wrapperIN6hipcub16HIPCUB_304000_NS8EqualityEEEPlJS6_EEE10hipError_tPvRmT3_T4_T5_T6_T7_T9_mT8_P12ihipStream_tbDpT10_ENKUlT_T0_E_clISt17integral_constantIbLb0EES17_EEDaS12_S13_EUlS12_E_NS1_11comp_targetILNS1_3genE8ELNS1_11target_archE1030ELNS1_3gpuE2ELNS1_3repE0EEENS1_30default_config_static_selectorELNS0_4arch9wavefront6targetE1EEEvT1_
	.globl	_ZN7rocprim17ROCPRIM_400000_NS6detail17trampoline_kernelINS0_14default_configENS1_25partition_config_selectorILNS1_17partition_subalgoE8EiNS0_10empty_typeEbEEZZNS1_14partition_implILS5_8ELb0ES3_jPKiPS6_PKS6_NS0_5tupleIJPiS6_EEENSE_IJSB_SB_EEENS0_18inequality_wrapperIN6hipcub16HIPCUB_304000_NS8EqualityEEEPlJS6_EEE10hipError_tPvRmT3_T4_T5_T6_T7_T9_mT8_P12ihipStream_tbDpT10_ENKUlT_T0_E_clISt17integral_constantIbLb0EES17_EEDaS12_S13_EUlS12_E_NS1_11comp_targetILNS1_3genE8ELNS1_11target_archE1030ELNS1_3gpuE2ELNS1_3repE0EEENS1_30default_config_static_selectorELNS0_4arch9wavefront6targetE1EEEvT1_
	.p2align	8
	.type	_ZN7rocprim17ROCPRIM_400000_NS6detail17trampoline_kernelINS0_14default_configENS1_25partition_config_selectorILNS1_17partition_subalgoE8EiNS0_10empty_typeEbEEZZNS1_14partition_implILS5_8ELb0ES3_jPKiPS6_PKS6_NS0_5tupleIJPiS6_EEENSE_IJSB_SB_EEENS0_18inequality_wrapperIN6hipcub16HIPCUB_304000_NS8EqualityEEEPlJS6_EEE10hipError_tPvRmT3_T4_T5_T6_T7_T9_mT8_P12ihipStream_tbDpT10_ENKUlT_T0_E_clISt17integral_constantIbLb0EES17_EEDaS12_S13_EUlS12_E_NS1_11comp_targetILNS1_3genE8ELNS1_11target_archE1030ELNS1_3gpuE2ELNS1_3repE0EEENS1_30default_config_static_selectorELNS0_4arch9wavefront6targetE1EEEvT1_,@function
_ZN7rocprim17ROCPRIM_400000_NS6detail17trampoline_kernelINS0_14default_configENS1_25partition_config_selectorILNS1_17partition_subalgoE8EiNS0_10empty_typeEbEEZZNS1_14partition_implILS5_8ELb0ES3_jPKiPS6_PKS6_NS0_5tupleIJPiS6_EEENSE_IJSB_SB_EEENS0_18inequality_wrapperIN6hipcub16HIPCUB_304000_NS8EqualityEEEPlJS6_EEE10hipError_tPvRmT3_T4_T5_T6_T7_T9_mT8_P12ihipStream_tbDpT10_ENKUlT_T0_E_clISt17integral_constantIbLb0EES17_EEDaS12_S13_EUlS12_E_NS1_11comp_targetILNS1_3genE8ELNS1_11target_archE1030ELNS1_3gpuE2ELNS1_3repE0EEENS1_30default_config_static_selectorELNS0_4arch9wavefront6targetE1EEEvT1_: ; @_ZN7rocprim17ROCPRIM_400000_NS6detail17trampoline_kernelINS0_14default_configENS1_25partition_config_selectorILNS1_17partition_subalgoE8EiNS0_10empty_typeEbEEZZNS1_14partition_implILS5_8ELb0ES3_jPKiPS6_PKS6_NS0_5tupleIJPiS6_EEENSE_IJSB_SB_EEENS0_18inequality_wrapperIN6hipcub16HIPCUB_304000_NS8EqualityEEEPlJS6_EEE10hipError_tPvRmT3_T4_T5_T6_T7_T9_mT8_P12ihipStream_tbDpT10_ENKUlT_T0_E_clISt17integral_constantIbLb0EES17_EEDaS12_S13_EUlS12_E_NS1_11comp_targetILNS1_3genE8ELNS1_11target_archE1030ELNS1_3gpuE2ELNS1_3repE0EEENS1_30default_config_static_selectorELNS0_4arch9wavefront6targetE1EEEvT1_
; %bb.0:
	.section	.rodata,"a",@progbits
	.p2align	6, 0x0
	.amdhsa_kernel _ZN7rocprim17ROCPRIM_400000_NS6detail17trampoline_kernelINS0_14default_configENS1_25partition_config_selectorILNS1_17partition_subalgoE8EiNS0_10empty_typeEbEEZZNS1_14partition_implILS5_8ELb0ES3_jPKiPS6_PKS6_NS0_5tupleIJPiS6_EEENSE_IJSB_SB_EEENS0_18inequality_wrapperIN6hipcub16HIPCUB_304000_NS8EqualityEEEPlJS6_EEE10hipError_tPvRmT3_T4_T5_T6_T7_T9_mT8_P12ihipStream_tbDpT10_ENKUlT_T0_E_clISt17integral_constantIbLb0EES17_EEDaS12_S13_EUlS12_E_NS1_11comp_targetILNS1_3genE8ELNS1_11target_archE1030ELNS1_3gpuE2ELNS1_3repE0EEENS1_30default_config_static_selectorELNS0_4arch9wavefront6targetE1EEEvT1_
		.amdhsa_group_segment_fixed_size 0
		.amdhsa_private_segment_fixed_size 0
		.amdhsa_kernarg_size 112
		.amdhsa_user_sgpr_count 6
		.amdhsa_user_sgpr_private_segment_buffer 1
		.amdhsa_user_sgpr_dispatch_ptr 0
		.amdhsa_user_sgpr_queue_ptr 0
		.amdhsa_user_sgpr_kernarg_segment_ptr 1
		.amdhsa_user_sgpr_dispatch_id 0
		.amdhsa_user_sgpr_flat_scratch_init 0
		.amdhsa_user_sgpr_kernarg_preload_length 0
		.amdhsa_user_sgpr_kernarg_preload_offset 0
		.amdhsa_user_sgpr_private_segment_size 0
		.amdhsa_uses_dynamic_stack 0
		.amdhsa_system_sgpr_private_segment_wavefront_offset 0
		.amdhsa_system_sgpr_workgroup_id_x 1
		.amdhsa_system_sgpr_workgroup_id_y 0
		.amdhsa_system_sgpr_workgroup_id_z 0
		.amdhsa_system_sgpr_workgroup_info 0
		.amdhsa_system_vgpr_workitem_id 0
		.amdhsa_next_free_vgpr 1
		.amdhsa_next_free_sgpr 0
		.amdhsa_accum_offset 4
		.amdhsa_reserve_vcc 0
		.amdhsa_reserve_flat_scratch 0
		.amdhsa_float_round_mode_32 0
		.amdhsa_float_round_mode_16_64 0
		.amdhsa_float_denorm_mode_32 3
		.amdhsa_float_denorm_mode_16_64 3
		.amdhsa_dx10_clamp 1
		.amdhsa_ieee_mode 1
		.amdhsa_fp16_overflow 0
		.amdhsa_tg_split 0
		.amdhsa_exception_fp_ieee_invalid_op 0
		.amdhsa_exception_fp_denorm_src 0
		.amdhsa_exception_fp_ieee_div_zero 0
		.amdhsa_exception_fp_ieee_overflow 0
		.amdhsa_exception_fp_ieee_underflow 0
		.amdhsa_exception_fp_ieee_inexact 0
		.amdhsa_exception_int_div_zero 0
	.end_amdhsa_kernel
	.section	.text._ZN7rocprim17ROCPRIM_400000_NS6detail17trampoline_kernelINS0_14default_configENS1_25partition_config_selectorILNS1_17partition_subalgoE8EiNS0_10empty_typeEbEEZZNS1_14partition_implILS5_8ELb0ES3_jPKiPS6_PKS6_NS0_5tupleIJPiS6_EEENSE_IJSB_SB_EEENS0_18inequality_wrapperIN6hipcub16HIPCUB_304000_NS8EqualityEEEPlJS6_EEE10hipError_tPvRmT3_T4_T5_T6_T7_T9_mT8_P12ihipStream_tbDpT10_ENKUlT_T0_E_clISt17integral_constantIbLb0EES17_EEDaS12_S13_EUlS12_E_NS1_11comp_targetILNS1_3genE8ELNS1_11target_archE1030ELNS1_3gpuE2ELNS1_3repE0EEENS1_30default_config_static_selectorELNS0_4arch9wavefront6targetE1EEEvT1_,"axG",@progbits,_ZN7rocprim17ROCPRIM_400000_NS6detail17trampoline_kernelINS0_14default_configENS1_25partition_config_selectorILNS1_17partition_subalgoE8EiNS0_10empty_typeEbEEZZNS1_14partition_implILS5_8ELb0ES3_jPKiPS6_PKS6_NS0_5tupleIJPiS6_EEENSE_IJSB_SB_EEENS0_18inequality_wrapperIN6hipcub16HIPCUB_304000_NS8EqualityEEEPlJS6_EEE10hipError_tPvRmT3_T4_T5_T6_T7_T9_mT8_P12ihipStream_tbDpT10_ENKUlT_T0_E_clISt17integral_constantIbLb0EES17_EEDaS12_S13_EUlS12_E_NS1_11comp_targetILNS1_3genE8ELNS1_11target_archE1030ELNS1_3gpuE2ELNS1_3repE0EEENS1_30default_config_static_selectorELNS0_4arch9wavefront6targetE1EEEvT1_,comdat
.Lfunc_end417:
	.size	_ZN7rocprim17ROCPRIM_400000_NS6detail17trampoline_kernelINS0_14default_configENS1_25partition_config_selectorILNS1_17partition_subalgoE8EiNS0_10empty_typeEbEEZZNS1_14partition_implILS5_8ELb0ES3_jPKiPS6_PKS6_NS0_5tupleIJPiS6_EEENSE_IJSB_SB_EEENS0_18inequality_wrapperIN6hipcub16HIPCUB_304000_NS8EqualityEEEPlJS6_EEE10hipError_tPvRmT3_T4_T5_T6_T7_T9_mT8_P12ihipStream_tbDpT10_ENKUlT_T0_E_clISt17integral_constantIbLb0EES17_EEDaS12_S13_EUlS12_E_NS1_11comp_targetILNS1_3genE8ELNS1_11target_archE1030ELNS1_3gpuE2ELNS1_3repE0EEENS1_30default_config_static_selectorELNS0_4arch9wavefront6targetE1EEEvT1_, .Lfunc_end417-_ZN7rocprim17ROCPRIM_400000_NS6detail17trampoline_kernelINS0_14default_configENS1_25partition_config_selectorILNS1_17partition_subalgoE8EiNS0_10empty_typeEbEEZZNS1_14partition_implILS5_8ELb0ES3_jPKiPS6_PKS6_NS0_5tupleIJPiS6_EEENSE_IJSB_SB_EEENS0_18inequality_wrapperIN6hipcub16HIPCUB_304000_NS8EqualityEEEPlJS6_EEE10hipError_tPvRmT3_T4_T5_T6_T7_T9_mT8_P12ihipStream_tbDpT10_ENKUlT_T0_E_clISt17integral_constantIbLb0EES17_EEDaS12_S13_EUlS12_E_NS1_11comp_targetILNS1_3genE8ELNS1_11target_archE1030ELNS1_3gpuE2ELNS1_3repE0EEENS1_30default_config_static_selectorELNS0_4arch9wavefront6targetE1EEEvT1_
                                        ; -- End function
	.section	.AMDGPU.csdata,"",@progbits
; Kernel info:
; codeLenInByte = 0
; NumSgprs: 4
; NumVgprs: 0
; NumAgprs: 0
; TotalNumVgprs: 0
; ScratchSize: 0
; MemoryBound: 0
; FloatMode: 240
; IeeeMode: 1
; LDSByteSize: 0 bytes/workgroup (compile time only)
; SGPRBlocks: 0
; VGPRBlocks: 0
; NumSGPRsForWavesPerEU: 4
; NumVGPRsForWavesPerEU: 1
; AccumOffset: 4
; Occupancy: 8
; WaveLimiterHint : 0
; COMPUTE_PGM_RSRC2:SCRATCH_EN: 0
; COMPUTE_PGM_RSRC2:USER_SGPR: 6
; COMPUTE_PGM_RSRC2:TRAP_HANDLER: 0
; COMPUTE_PGM_RSRC2:TGID_X_EN: 1
; COMPUTE_PGM_RSRC2:TGID_Y_EN: 0
; COMPUTE_PGM_RSRC2:TGID_Z_EN: 0
; COMPUTE_PGM_RSRC2:TIDIG_COMP_CNT: 0
; COMPUTE_PGM_RSRC3_GFX90A:ACCUM_OFFSET: 0
; COMPUTE_PGM_RSRC3_GFX90A:TG_SPLIT: 0
	.section	.text._ZN7rocprim17ROCPRIM_400000_NS6detail17trampoline_kernelINS0_14default_configENS1_25partition_config_selectorILNS1_17partition_subalgoE8EiNS0_10empty_typeEbEEZZNS1_14partition_implILS5_8ELb0ES3_jPKiPS6_PKS6_NS0_5tupleIJPiS6_EEENSE_IJSB_SB_EEENS0_18inequality_wrapperIN6hipcub16HIPCUB_304000_NS8EqualityEEEPlJS6_EEE10hipError_tPvRmT3_T4_T5_T6_T7_T9_mT8_P12ihipStream_tbDpT10_ENKUlT_T0_E_clISt17integral_constantIbLb1EES17_EEDaS12_S13_EUlS12_E_NS1_11comp_targetILNS1_3genE0ELNS1_11target_archE4294967295ELNS1_3gpuE0ELNS1_3repE0EEENS1_30default_config_static_selectorELNS0_4arch9wavefront6targetE1EEEvT1_,"axG",@progbits,_ZN7rocprim17ROCPRIM_400000_NS6detail17trampoline_kernelINS0_14default_configENS1_25partition_config_selectorILNS1_17partition_subalgoE8EiNS0_10empty_typeEbEEZZNS1_14partition_implILS5_8ELb0ES3_jPKiPS6_PKS6_NS0_5tupleIJPiS6_EEENSE_IJSB_SB_EEENS0_18inequality_wrapperIN6hipcub16HIPCUB_304000_NS8EqualityEEEPlJS6_EEE10hipError_tPvRmT3_T4_T5_T6_T7_T9_mT8_P12ihipStream_tbDpT10_ENKUlT_T0_E_clISt17integral_constantIbLb1EES17_EEDaS12_S13_EUlS12_E_NS1_11comp_targetILNS1_3genE0ELNS1_11target_archE4294967295ELNS1_3gpuE0ELNS1_3repE0EEENS1_30default_config_static_selectorELNS0_4arch9wavefront6targetE1EEEvT1_,comdat
	.protected	_ZN7rocprim17ROCPRIM_400000_NS6detail17trampoline_kernelINS0_14default_configENS1_25partition_config_selectorILNS1_17partition_subalgoE8EiNS0_10empty_typeEbEEZZNS1_14partition_implILS5_8ELb0ES3_jPKiPS6_PKS6_NS0_5tupleIJPiS6_EEENSE_IJSB_SB_EEENS0_18inequality_wrapperIN6hipcub16HIPCUB_304000_NS8EqualityEEEPlJS6_EEE10hipError_tPvRmT3_T4_T5_T6_T7_T9_mT8_P12ihipStream_tbDpT10_ENKUlT_T0_E_clISt17integral_constantIbLb1EES17_EEDaS12_S13_EUlS12_E_NS1_11comp_targetILNS1_3genE0ELNS1_11target_archE4294967295ELNS1_3gpuE0ELNS1_3repE0EEENS1_30default_config_static_selectorELNS0_4arch9wavefront6targetE1EEEvT1_ ; -- Begin function _ZN7rocprim17ROCPRIM_400000_NS6detail17trampoline_kernelINS0_14default_configENS1_25partition_config_selectorILNS1_17partition_subalgoE8EiNS0_10empty_typeEbEEZZNS1_14partition_implILS5_8ELb0ES3_jPKiPS6_PKS6_NS0_5tupleIJPiS6_EEENSE_IJSB_SB_EEENS0_18inequality_wrapperIN6hipcub16HIPCUB_304000_NS8EqualityEEEPlJS6_EEE10hipError_tPvRmT3_T4_T5_T6_T7_T9_mT8_P12ihipStream_tbDpT10_ENKUlT_T0_E_clISt17integral_constantIbLb1EES17_EEDaS12_S13_EUlS12_E_NS1_11comp_targetILNS1_3genE0ELNS1_11target_archE4294967295ELNS1_3gpuE0ELNS1_3repE0EEENS1_30default_config_static_selectorELNS0_4arch9wavefront6targetE1EEEvT1_
	.globl	_ZN7rocprim17ROCPRIM_400000_NS6detail17trampoline_kernelINS0_14default_configENS1_25partition_config_selectorILNS1_17partition_subalgoE8EiNS0_10empty_typeEbEEZZNS1_14partition_implILS5_8ELb0ES3_jPKiPS6_PKS6_NS0_5tupleIJPiS6_EEENSE_IJSB_SB_EEENS0_18inequality_wrapperIN6hipcub16HIPCUB_304000_NS8EqualityEEEPlJS6_EEE10hipError_tPvRmT3_T4_T5_T6_T7_T9_mT8_P12ihipStream_tbDpT10_ENKUlT_T0_E_clISt17integral_constantIbLb1EES17_EEDaS12_S13_EUlS12_E_NS1_11comp_targetILNS1_3genE0ELNS1_11target_archE4294967295ELNS1_3gpuE0ELNS1_3repE0EEENS1_30default_config_static_selectorELNS0_4arch9wavefront6targetE1EEEvT1_
	.p2align	8
	.type	_ZN7rocprim17ROCPRIM_400000_NS6detail17trampoline_kernelINS0_14default_configENS1_25partition_config_selectorILNS1_17partition_subalgoE8EiNS0_10empty_typeEbEEZZNS1_14partition_implILS5_8ELb0ES3_jPKiPS6_PKS6_NS0_5tupleIJPiS6_EEENSE_IJSB_SB_EEENS0_18inequality_wrapperIN6hipcub16HIPCUB_304000_NS8EqualityEEEPlJS6_EEE10hipError_tPvRmT3_T4_T5_T6_T7_T9_mT8_P12ihipStream_tbDpT10_ENKUlT_T0_E_clISt17integral_constantIbLb1EES17_EEDaS12_S13_EUlS12_E_NS1_11comp_targetILNS1_3genE0ELNS1_11target_archE4294967295ELNS1_3gpuE0ELNS1_3repE0EEENS1_30default_config_static_selectorELNS0_4arch9wavefront6targetE1EEEvT1_,@function
_ZN7rocprim17ROCPRIM_400000_NS6detail17trampoline_kernelINS0_14default_configENS1_25partition_config_selectorILNS1_17partition_subalgoE8EiNS0_10empty_typeEbEEZZNS1_14partition_implILS5_8ELb0ES3_jPKiPS6_PKS6_NS0_5tupleIJPiS6_EEENSE_IJSB_SB_EEENS0_18inequality_wrapperIN6hipcub16HIPCUB_304000_NS8EqualityEEEPlJS6_EEE10hipError_tPvRmT3_T4_T5_T6_T7_T9_mT8_P12ihipStream_tbDpT10_ENKUlT_T0_E_clISt17integral_constantIbLb1EES17_EEDaS12_S13_EUlS12_E_NS1_11comp_targetILNS1_3genE0ELNS1_11target_archE4294967295ELNS1_3gpuE0ELNS1_3repE0EEENS1_30default_config_static_selectorELNS0_4arch9wavefront6targetE1EEEvT1_: ; @_ZN7rocprim17ROCPRIM_400000_NS6detail17trampoline_kernelINS0_14default_configENS1_25partition_config_selectorILNS1_17partition_subalgoE8EiNS0_10empty_typeEbEEZZNS1_14partition_implILS5_8ELb0ES3_jPKiPS6_PKS6_NS0_5tupleIJPiS6_EEENSE_IJSB_SB_EEENS0_18inequality_wrapperIN6hipcub16HIPCUB_304000_NS8EqualityEEEPlJS6_EEE10hipError_tPvRmT3_T4_T5_T6_T7_T9_mT8_P12ihipStream_tbDpT10_ENKUlT_T0_E_clISt17integral_constantIbLb1EES17_EEDaS12_S13_EUlS12_E_NS1_11comp_targetILNS1_3genE0ELNS1_11target_archE4294967295ELNS1_3gpuE0ELNS1_3repE0EEENS1_30default_config_static_selectorELNS0_4arch9wavefront6targetE1EEEvT1_
; %bb.0:
	.section	.rodata,"a",@progbits
	.p2align	6, 0x0
	.amdhsa_kernel _ZN7rocprim17ROCPRIM_400000_NS6detail17trampoline_kernelINS0_14default_configENS1_25partition_config_selectorILNS1_17partition_subalgoE8EiNS0_10empty_typeEbEEZZNS1_14partition_implILS5_8ELb0ES3_jPKiPS6_PKS6_NS0_5tupleIJPiS6_EEENSE_IJSB_SB_EEENS0_18inequality_wrapperIN6hipcub16HIPCUB_304000_NS8EqualityEEEPlJS6_EEE10hipError_tPvRmT3_T4_T5_T6_T7_T9_mT8_P12ihipStream_tbDpT10_ENKUlT_T0_E_clISt17integral_constantIbLb1EES17_EEDaS12_S13_EUlS12_E_NS1_11comp_targetILNS1_3genE0ELNS1_11target_archE4294967295ELNS1_3gpuE0ELNS1_3repE0EEENS1_30default_config_static_selectorELNS0_4arch9wavefront6targetE1EEEvT1_
		.amdhsa_group_segment_fixed_size 0
		.amdhsa_private_segment_fixed_size 0
		.amdhsa_kernarg_size 128
		.amdhsa_user_sgpr_count 6
		.amdhsa_user_sgpr_private_segment_buffer 1
		.amdhsa_user_sgpr_dispatch_ptr 0
		.amdhsa_user_sgpr_queue_ptr 0
		.amdhsa_user_sgpr_kernarg_segment_ptr 1
		.amdhsa_user_sgpr_dispatch_id 0
		.amdhsa_user_sgpr_flat_scratch_init 0
		.amdhsa_user_sgpr_kernarg_preload_length 0
		.amdhsa_user_sgpr_kernarg_preload_offset 0
		.amdhsa_user_sgpr_private_segment_size 0
		.amdhsa_uses_dynamic_stack 0
		.amdhsa_system_sgpr_private_segment_wavefront_offset 0
		.amdhsa_system_sgpr_workgroup_id_x 1
		.amdhsa_system_sgpr_workgroup_id_y 0
		.amdhsa_system_sgpr_workgroup_id_z 0
		.amdhsa_system_sgpr_workgroup_info 0
		.amdhsa_system_vgpr_workitem_id 0
		.amdhsa_next_free_vgpr 1
		.amdhsa_next_free_sgpr 0
		.amdhsa_accum_offset 4
		.amdhsa_reserve_vcc 0
		.amdhsa_reserve_flat_scratch 0
		.amdhsa_float_round_mode_32 0
		.amdhsa_float_round_mode_16_64 0
		.amdhsa_float_denorm_mode_32 3
		.amdhsa_float_denorm_mode_16_64 3
		.amdhsa_dx10_clamp 1
		.amdhsa_ieee_mode 1
		.amdhsa_fp16_overflow 0
		.amdhsa_tg_split 0
		.amdhsa_exception_fp_ieee_invalid_op 0
		.amdhsa_exception_fp_denorm_src 0
		.amdhsa_exception_fp_ieee_div_zero 0
		.amdhsa_exception_fp_ieee_overflow 0
		.amdhsa_exception_fp_ieee_underflow 0
		.amdhsa_exception_fp_ieee_inexact 0
		.amdhsa_exception_int_div_zero 0
	.end_amdhsa_kernel
	.section	.text._ZN7rocprim17ROCPRIM_400000_NS6detail17trampoline_kernelINS0_14default_configENS1_25partition_config_selectorILNS1_17partition_subalgoE8EiNS0_10empty_typeEbEEZZNS1_14partition_implILS5_8ELb0ES3_jPKiPS6_PKS6_NS0_5tupleIJPiS6_EEENSE_IJSB_SB_EEENS0_18inequality_wrapperIN6hipcub16HIPCUB_304000_NS8EqualityEEEPlJS6_EEE10hipError_tPvRmT3_T4_T5_T6_T7_T9_mT8_P12ihipStream_tbDpT10_ENKUlT_T0_E_clISt17integral_constantIbLb1EES17_EEDaS12_S13_EUlS12_E_NS1_11comp_targetILNS1_3genE0ELNS1_11target_archE4294967295ELNS1_3gpuE0ELNS1_3repE0EEENS1_30default_config_static_selectorELNS0_4arch9wavefront6targetE1EEEvT1_,"axG",@progbits,_ZN7rocprim17ROCPRIM_400000_NS6detail17trampoline_kernelINS0_14default_configENS1_25partition_config_selectorILNS1_17partition_subalgoE8EiNS0_10empty_typeEbEEZZNS1_14partition_implILS5_8ELb0ES3_jPKiPS6_PKS6_NS0_5tupleIJPiS6_EEENSE_IJSB_SB_EEENS0_18inequality_wrapperIN6hipcub16HIPCUB_304000_NS8EqualityEEEPlJS6_EEE10hipError_tPvRmT3_T4_T5_T6_T7_T9_mT8_P12ihipStream_tbDpT10_ENKUlT_T0_E_clISt17integral_constantIbLb1EES17_EEDaS12_S13_EUlS12_E_NS1_11comp_targetILNS1_3genE0ELNS1_11target_archE4294967295ELNS1_3gpuE0ELNS1_3repE0EEENS1_30default_config_static_selectorELNS0_4arch9wavefront6targetE1EEEvT1_,comdat
.Lfunc_end418:
	.size	_ZN7rocprim17ROCPRIM_400000_NS6detail17trampoline_kernelINS0_14default_configENS1_25partition_config_selectorILNS1_17partition_subalgoE8EiNS0_10empty_typeEbEEZZNS1_14partition_implILS5_8ELb0ES3_jPKiPS6_PKS6_NS0_5tupleIJPiS6_EEENSE_IJSB_SB_EEENS0_18inequality_wrapperIN6hipcub16HIPCUB_304000_NS8EqualityEEEPlJS6_EEE10hipError_tPvRmT3_T4_T5_T6_T7_T9_mT8_P12ihipStream_tbDpT10_ENKUlT_T0_E_clISt17integral_constantIbLb1EES17_EEDaS12_S13_EUlS12_E_NS1_11comp_targetILNS1_3genE0ELNS1_11target_archE4294967295ELNS1_3gpuE0ELNS1_3repE0EEENS1_30default_config_static_selectorELNS0_4arch9wavefront6targetE1EEEvT1_, .Lfunc_end418-_ZN7rocprim17ROCPRIM_400000_NS6detail17trampoline_kernelINS0_14default_configENS1_25partition_config_selectorILNS1_17partition_subalgoE8EiNS0_10empty_typeEbEEZZNS1_14partition_implILS5_8ELb0ES3_jPKiPS6_PKS6_NS0_5tupleIJPiS6_EEENSE_IJSB_SB_EEENS0_18inequality_wrapperIN6hipcub16HIPCUB_304000_NS8EqualityEEEPlJS6_EEE10hipError_tPvRmT3_T4_T5_T6_T7_T9_mT8_P12ihipStream_tbDpT10_ENKUlT_T0_E_clISt17integral_constantIbLb1EES17_EEDaS12_S13_EUlS12_E_NS1_11comp_targetILNS1_3genE0ELNS1_11target_archE4294967295ELNS1_3gpuE0ELNS1_3repE0EEENS1_30default_config_static_selectorELNS0_4arch9wavefront6targetE1EEEvT1_
                                        ; -- End function
	.section	.AMDGPU.csdata,"",@progbits
; Kernel info:
; codeLenInByte = 0
; NumSgprs: 4
; NumVgprs: 0
; NumAgprs: 0
; TotalNumVgprs: 0
; ScratchSize: 0
; MemoryBound: 0
; FloatMode: 240
; IeeeMode: 1
; LDSByteSize: 0 bytes/workgroup (compile time only)
; SGPRBlocks: 0
; VGPRBlocks: 0
; NumSGPRsForWavesPerEU: 4
; NumVGPRsForWavesPerEU: 1
; AccumOffset: 4
; Occupancy: 8
; WaveLimiterHint : 0
; COMPUTE_PGM_RSRC2:SCRATCH_EN: 0
; COMPUTE_PGM_RSRC2:USER_SGPR: 6
; COMPUTE_PGM_RSRC2:TRAP_HANDLER: 0
; COMPUTE_PGM_RSRC2:TGID_X_EN: 1
; COMPUTE_PGM_RSRC2:TGID_Y_EN: 0
; COMPUTE_PGM_RSRC2:TGID_Z_EN: 0
; COMPUTE_PGM_RSRC2:TIDIG_COMP_CNT: 0
; COMPUTE_PGM_RSRC3_GFX90A:ACCUM_OFFSET: 0
; COMPUTE_PGM_RSRC3_GFX90A:TG_SPLIT: 0
	.section	.text._ZN7rocprim17ROCPRIM_400000_NS6detail17trampoline_kernelINS0_14default_configENS1_25partition_config_selectorILNS1_17partition_subalgoE8EiNS0_10empty_typeEbEEZZNS1_14partition_implILS5_8ELb0ES3_jPKiPS6_PKS6_NS0_5tupleIJPiS6_EEENSE_IJSB_SB_EEENS0_18inequality_wrapperIN6hipcub16HIPCUB_304000_NS8EqualityEEEPlJS6_EEE10hipError_tPvRmT3_T4_T5_T6_T7_T9_mT8_P12ihipStream_tbDpT10_ENKUlT_T0_E_clISt17integral_constantIbLb1EES17_EEDaS12_S13_EUlS12_E_NS1_11comp_targetILNS1_3genE5ELNS1_11target_archE942ELNS1_3gpuE9ELNS1_3repE0EEENS1_30default_config_static_selectorELNS0_4arch9wavefront6targetE1EEEvT1_,"axG",@progbits,_ZN7rocprim17ROCPRIM_400000_NS6detail17trampoline_kernelINS0_14default_configENS1_25partition_config_selectorILNS1_17partition_subalgoE8EiNS0_10empty_typeEbEEZZNS1_14partition_implILS5_8ELb0ES3_jPKiPS6_PKS6_NS0_5tupleIJPiS6_EEENSE_IJSB_SB_EEENS0_18inequality_wrapperIN6hipcub16HIPCUB_304000_NS8EqualityEEEPlJS6_EEE10hipError_tPvRmT3_T4_T5_T6_T7_T9_mT8_P12ihipStream_tbDpT10_ENKUlT_T0_E_clISt17integral_constantIbLb1EES17_EEDaS12_S13_EUlS12_E_NS1_11comp_targetILNS1_3genE5ELNS1_11target_archE942ELNS1_3gpuE9ELNS1_3repE0EEENS1_30default_config_static_selectorELNS0_4arch9wavefront6targetE1EEEvT1_,comdat
	.protected	_ZN7rocprim17ROCPRIM_400000_NS6detail17trampoline_kernelINS0_14default_configENS1_25partition_config_selectorILNS1_17partition_subalgoE8EiNS0_10empty_typeEbEEZZNS1_14partition_implILS5_8ELb0ES3_jPKiPS6_PKS6_NS0_5tupleIJPiS6_EEENSE_IJSB_SB_EEENS0_18inequality_wrapperIN6hipcub16HIPCUB_304000_NS8EqualityEEEPlJS6_EEE10hipError_tPvRmT3_T4_T5_T6_T7_T9_mT8_P12ihipStream_tbDpT10_ENKUlT_T0_E_clISt17integral_constantIbLb1EES17_EEDaS12_S13_EUlS12_E_NS1_11comp_targetILNS1_3genE5ELNS1_11target_archE942ELNS1_3gpuE9ELNS1_3repE0EEENS1_30default_config_static_selectorELNS0_4arch9wavefront6targetE1EEEvT1_ ; -- Begin function _ZN7rocprim17ROCPRIM_400000_NS6detail17trampoline_kernelINS0_14default_configENS1_25partition_config_selectorILNS1_17partition_subalgoE8EiNS0_10empty_typeEbEEZZNS1_14partition_implILS5_8ELb0ES3_jPKiPS6_PKS6_NS0_5tupleIJPiS6_EEENSE_IJSB_SB_EEENS0_18inequality_wrapperIN6hipcub16HIPCUB_304000_NS8EqualityEEEPlJS6_EEE10hipError_tPvRmT3_T4_T5_T6_T7_T9_mT8_P12ihipStream_tbDpT10_ENKUlT_T0_E_clISt17integral_constantIbLb1EES17_EEDaS12_S13_EUlS12_E_NS1_11comp_targetILNS1_3genE5ELNS1_11target_archE942ELNS1_3gpuE9ELNS1_3repE0EEENS1_30default_config_static_selectorELNS0_4arch9wavefront6targetE1EEEvT1_
	.globl	_ZN7rocprim17ROCPRIM_400000_NS6detail17trampoline_kernelINS0_14default_configENS1_25partition_config_selectorILNS1_17partition_subalgoE8EiNS0_10empty_typeEbEEZZNS1_14partition_implILS5_8ELb0ES3_jPKiPS6_PKS6_NS0_5tupleIJPiS6_EEENSE_IJSB_SB_EEENS0_18inequality_wrapperIN6hipcub16HIPCUB_304000_NS8EqualityEEEPlJS6_EEE10hipError_tPvRmT3_T4_T5_T6_T7_T9_mT8_P12ihipStream_tbDpT10_ENKUlT_T0_E_clISt17integral_constantIbLb1EES17_EEDaS12_S13_EUlS12_E_NS1_11comp_targetILNS1_3genE5ELNS1_11target_archE942ELNS1_3gpuE9ELNS1_3repE0EEENS1_30default_config_static_selectorELNS0_4arch9wavefront6targetE1EEEvT1_
	.p2align	8
	.type	_ZN7rocprim17ROCPRIM_400000_NS6detail17trampoline_kernelINS0_14default_configENS1_25partition_config_selectorILNS1_17partition_subalgoE8EiNS0_10empty_typeEbEEZZNS1_14partition_implILS5_8ELb0ES3_jPKiPS6_PKS6_NS0_5tupleIJPiS6_EEENSE_IJSB_SB_EEENS0_18inequality_wrapperIN6hipcub16HIPCUB_304000_NS8EqualityEEEPlJS6_EEE10hipError_tPvRmT3_T4_T5_T6_T7_T9_mT8_P12ihipStream_tbDpT10_ENKUlT_T0_E_clISt17integral_constantIbLb1EES17_EEDaS12_S13_EUlS12_E_NS1_11comp_targetILNS1_3genE5ELNS1_11target_archE942ELNS1_3gpuE9ELNS1_3repE0EEENS1_30default_config_static_selectorELNS0_4arch9wavefront6targetE1EEEvT1_,@function
_ZN7rocprim17ROCPRIM_400000_NS6detail17trampoline_kernelINS0_14default_configENS1_25partition_config_selectorILNS1_17partition_subalgoE8EiNS0_10empty_typeEbEEZZNS1_14partition_implILS5_8ELb0ES3_jPKiPS6_PKS6_NS0_5tupleIJPiS6_EEENSE_IJSB_SB_EEENS0_18inequality_wrapperIN6hipcub16HIPCUB_304000_NS8EqualityEEEPlJS6_EEE10hipError_tPvRmT3_T4_T5_T6_T7_T9_mT8_P12ihipStream_tbDpT10_ENKUlT_T0_E_clISt17integral_constantIbLb1EES17_EEDaS12_S13_EUlS12_E_NS1_11comp_targetILNS1_3genE5ELNS1_11target_archE942ELNS1_3gpuE9ELNS1_3repE0EEENS1_30default_config_static_selectorELNS0_4arch9wavefront6targetE1EEEvT1_: ; @_ZN7rocprim17ROCPRIM_400000_NS6detail17trampoline_kernelINS0_14default_configENS1_25partition_config_selectorILNS1_17partition_subalgoE8EiNS0_10empty_typeEbEEZZNS1_14partition_implILS5_8ELb0ES3_jPKiPS6_PKS6_NS0_5tupleIJPiS6_EEENSE_IJSB_SB_EEENS0_18inequality_wrapperIN6hipcub16HIPCUB_304000_NS8EqualityEEEPlJS6_EEE10hipError_tPvRmT3_T4_T5_T6_T7_T9_mT8_P12ihipStream_tbDpT10_ENKUlT_T0_E_clISt17integral_constantIbLb1EES17_EEDaS12_S13_EUlS12_E_NS1_11comp_targetILNS1_3genE5ELNS1_11target_archE942ELNS1_3gpuE9ELNS1_3repE0EEENS1_30default_config_static_selectorELNS0_4arch9wavefront6targetE1EEEvT1_
; %bb.0:
	.section	.rodata,"a",@progbits
	.p2align	6, 0x0
	.amdhsa_kernel _ZN7rocprim17ROCPRIM_400000_NS6detail17trampoline_kernelINS0_14default_configENS1_25partition_config_selectorILNS1_17partition_subalgoE8EiNS0_10empty_typeEbEEZZNS1_14partition_implILS5_8ELb0ES3_jPKiPS6_PKS6_NS0_5tupleIJPiS6_EEENSE_IJSB_SB_EEENS0_18inequality_wrapperIN6hipcub16HIPCUB_304000_NS8EqualityEEEPlJS6_EEE10hipError_tPvRmT3_T4_T5_T6_T7_T9_mT8_P12ihipStream_tbDpT10_ENKUlT_T0_E_clISt17integral_constantIbLb1EES17_EEDaS12_S13_EUlS12_E_NS1_11comp_targetILNS1_3genE5ELNS1_11target_archE942ELNS1_3gpuE9ELNS1_3repE0EEENS1_30default_config_static_selectorELNS0_4arch9wavefront6targetE1EEEvT1_
		.amdhsa_group_segment_fixed_size 0
		.amdhsa_private_segment_fixed_size 0
		.amdhsa_kernarg_size 128
		.amdhsa_user_sgpr_count 6
		.amdhsa_user_sgpr_private_segment_buffer 1
		.amdhsa_user_sgpr_dispatch_ptr 0
		.amdhsa_user_sgpr_queue_ptr 0
		.amdhsa_user_sgpr_kernarg_segment_ptr 1
		.amdhsa_user_sgpr_dispatch_id 0
		.amdhsa_user_sgpr_flat_scratch_init 0
		.amdhsa_user_sgpr_kernarg_preload_length 0
		.amdhsa_user_sgpr_kernarg_preload_offset 0
		.amdhsa_user_sgpr_private_segment_size 0
		.amdhsa_uses_dynamic_stack 0
		.amdhsa_system_sgpr_private_segment_wavefront_offset 0
		.amdhsa_system_sgpr_workgroup_id_x 1
		.amdhsa_system_sgpr_workgroup_id_y 0
		.amdhsa_system_sgpr_workgroup_id_z 0
		.amdhsa_system_sgpr_workgroup_info 0
		.amdhsa_system_vgpr_workitem_id 0
		.amdhsa_next_free_vgpr 1
		.amdhsa_next_free_sgpr 0
		.amdhsa_accum_offset 4
		.amdhsa_reserve_vcc 0
		.amdhsa_reserve_flat_scratch 0
		.amdhsa_float_round_mode_32 0
		.amdhsa_float_round_mode_16_64 0
		.amdhsa_float_denorm_mode_32 3
		.amdhsa_float_denorm_mode_16_64 3
		.amdhsa_dx10_clamp 1
		.amdhsa_ieee_mode 1
		.amdhsa_fp16_overflow 0
		.amdhsa_tg_split 0
		.amdhsa_exception_fp_ieee_invalid_op 0
		.amdhsa_exception_fp_denorm_src 0
		.amdhsa_exception_fp_ieee_div_zero 0
		.amdhsa_exception_fp_ieee_overflow 0
		.amdhsa_exception_fp_ieee_underflow 0
		.amdhsa_exception_fp_ieee_inexact 0
		.amdhsa_exception_int_div_zero 0
	.end_amdhsa_kernel
	.section	.text._ZN7rocprim17ROCPRIM_400000_NS6detail17trampoline_kernelINS0_14default_configENS1_25partition_config_selectorILNS1_17partition_subalgoE8EiNS0_10empty_typeEbEEZZNS1_14partition_implILS5_8ELb0ES3_jPKiPS6_PKS6_NS0_5tupleIJPiS6_EEENSE_IJSB_SB_EEENS0_18inequality_wrapperIN6hipcub16HIPCUB_304000_NS8EqualityEEEPlJS6_EEE10hipError_tPvRmT3_T4_T5_T6_T7_T9_mT8_P12ihipStream_tbDpT10_ENKUlT_T0_E_clISt17integral_constantIbLb1EES17_EEDaS12_S13_EUlS12_E_NS1_11comp_targetILNS1_3genE5ELNS1_11target_archE942ELNS1_3gpuE9ELNS1_3repE0EEENS1_30default_config_static_selectorELNS0_4arch9wavefront6targetE1EEEvT1_,"axG",@progbits,_ZN7rocprim17ROCPRIM_400000_NS6detail17trampoline_kernelINS0_14default_configENS1_25partition_config_selectorILNS1_17partition_subalgoE8EiNS0_10empty_typeEbEEZZNS1_14partition_implILS5_8ELb0ES3_jPKiPS6_PKS6_NS0_5tupleIJPiS6_EEENSE_IJSB_SB_EEENS0_18inequality_wrapperIN6hipcub16HIPCUB_304000_NS8EqualityEEEPlJS6_EEE10hipError_tPvRmT3_T4_T5_T6_T7_T9_mT8_P12ihipStream_tbDpT10_ENKUlT_T0_E_clISt17integral_constantIbLb1EES17_EEDaS12_S13_EUlS12_E_NS1_11comp_targetILNS1_3genE5ELNS1_11target_archE942ELNS1_3gpuE9ELNS1_3repE0EEENS1_30default_config_static_selectorELNS0_4arch9wavefront6targetE1EEEvT1_,comdat
.Lfunc_end419:
	.size	_ZN7rocprim17ROCPRIM_400000_NS6detail17trampoline_kernelINS0_14default_configENS1_25partition_config_selectorILNS1_17partition_subalgoE8EiNS0_10empty_typeEbEEZZNS1_14partition_implILS5_8ELb0ES3_jPKiPS6_PKS6_NS0_5tupleIJPiS6_EEENSE_IJSB_SB_EEENS0_18inequality_wrapperIN6hipcub16HIPCUB_304000_NS8EqualityEEEPlJS6_EEE10hipError_tPvRmT3_T4_T5_T6_T7_T9_mT8_P12ihipStream_tbDpT10_ENKUlT_T0_E_clISt17integral_constantIbLb1EES17_EEDaS12_S13_EUlS12_E_NS1_11comp_targetILNS1_3genE5ELNS1_11target_archE942ELNS1_3gpuE9ELNS1_3repE0EEENS1_30default_config_static_selectorELNS0_4arch9wavefront6targetE1EEEvT1_, .Lfunc_end419-_ZN7rocprim17ROCPRIM_400000_NS6detail17trampoline_kernelINS0_14default_configENS1_25partition_config_selectorILNS1_17partition_subalgoE8EiNS0_10empty_typeEbEEZZNS1_14partition_implILS5_8ELb0ES3_jPKiPS6_PKS6_NS0_5tupleIJPiS6_EEENSE_IJSB_SB_EEENS0_18inequality_wrapperIN6hipcub16HIPCUB_304000_NS8EqualityEEEPlJS6_EEE10hipError_tPvRmT3_T4_T5_T6_T7_T9_mT8_P12ihipStream_tbDpT10_ENKUlT_T0_E_clISt17integral_constantIbLb1EES17_EEDaS12_S13_EUlS12_E_NS1_11comp_targetILNS1_3genE5ELNS1_11target_archE942ELNS1_3gpuE9ELNS1_3repE0EEENS1_30default_config_static_selectorELNS0_4arch9wavefront6targetE1EEEvT1_
                                        ; -- End function
	.section	.AMDGPU.csdata,"",@progbits
; Kernel info:
; codeLenInByte = 0
; NumSgprs: 4
; NumVgprs: 0
; NumAgprs: 0
; TotalNumVgprs: 0
; ScratchSize: 0
; MemoryBound: 0
; FloatMode: 240
; IeeeMode: 1
; LDSByteSize: 0 bytes/workgroup (compile time only)
; SGPRBlocks: 0
; VGPRBlocks: 0
; NumSGPRsForWavesPerEU: 4
; NumVGPRsForWavesPerEU: 1
; AccumOffset: 4
; Occupancy: 8
; WaveLimiterHint : 0
; COMPUTE_PGM_RSRC2:SCRATCH_EN: 0
; COMPUTE_PGM_RSRC2:USER_SGPR: 6
; COMPUTE_PGM_RSRC2:TRAP_HANDLER: 0
; COMPUTE_PGM_RSRC2:TGID_X_EN: 1
; COMPUTE_PGM_RSRC2:TGID_Y_EN: 0
; COMPUTE_PGM_RSRC2:TGID_Z_EN: 0
; COMPUTE_PGM_RSRC2:TIDIG_COMP_CNT: 0
; COMPUTE_PGM_RSRC3_GFX90A:ACCUM_OFFSET: 0
; COMPUTE_PGM_RSRC3_GFX90A:TG_SPLIT: 0
	.section	.text._ZN7rocprim17ROCPRIM_400000_NS6detail17trampoline_kernelINS0_14default_configENS1_25partition_config_selectorILNS1_17partition_subalgoE8EiNS0_10empty_typeEbEEZZNS1_14partition_implILS5_8ELb0ES3_jPKiPS6_PKS6_NS0_5tupleIJPiS6_EEENSE_IJSB_SB_EEENS0_18inequality_wrapperIN6hipcub16HIPCUB_304000_NS8EqualityEEEPlJS6_EEE10hipError_tPvRmT3_T4_T5_T6_T7_T9_mT8_P12ihipStream_tbDpT10_ENKUlT_T0_E_clISt17integral_constantIbLb1EES17_EEDaS12_S13_EUlS12_E_NS1_11comp_targetILNS1_3genE4ELNS1_11target_archE910ELNS1_3gpuE8ELNS1_3repE0EEENS1_30default_config_static_selectorELNS0_4arch9wavefront6targetE1EEEvT1_,"axG",@progbits,_ZN7rocprim17ROCPRIM_400000_NS6detail17trampoline_kernelINS0_14default_configENS1_25partition_config_selectorILNS1_17partition_subalgoE8EiNS0_10empty_typeEbEEZZNS1_14partition_implILS5_8ELb0ES3_jPKiPS6_PKS6_NS0_5tupleIJPiS6_EEENSE_IJSB_SB_EEENS0_18inequality_wrapperIN6hipcub16HIPCUB_304000_NS8EqualityEEEPlJS6_EEE10hipError_tPvRmT3_T4_T5_T6_T7_T9_mT8_P12ihipStream_tbDpT10_ENKUlT_T0_E_clISt17integral_constantIbLb1EES17_EEDaS12_S13_EUlS12_E_NS1_11comp_targetILNS1_3genE4ELNS1_11target_archE910ELNS1_3gpuE8ELNS1_3repE0EEENS1_30default_config_static_selectorELNS0_4arch9wavefront6targetE1EEEvT1_,comdat
	.protected	_ZN7rocprim17ROCPRIM_400000_NS6detail17trampoline_kernelINS0_14default_configENS1_25partition_config_selectorILNS1_17partition_subalgoE8EiNS0_10empty_typeEbEEZZNS1_14partition_implILS5_8ELb0ES3_jPKiPS6_PKS6_NS0_5tupleIJPiS6_EEENSE_IJSB_SB_EEENS0_18inequality_wrapperIN6hipcub16HIPCUB_304000_NS8EqualityEEEPlJS6_EEE10hipError_tPvRmT3_T4_T5_T6_T7_T9_mT8_P12ihipStream_tbDpT10_ENKUlT_T0_E_clISt17integral_constantIbLb1EES17_EEDaS12_S13_EUlS12_E_NS1_11comp_targetILNS1_3genE4ELNS1_11target_archE910ELNS1_3gpuE8ELNS1_3repE0EEENS1_30default_config_static_selectorELNS0_4arch9wavefront6targetE1EEEvT1_ ; -- Begin function _ZN7rocprim17ROCPRIM_400000_NS6detail17trampoline_kernelINS0_14default_configENS1_25partition_config_selectorILNS1_17partition_subalgoE8EiNS0_10empty_typeEbEEZZNS1_14partition_implILS5_8ELb0ES3_jPKiPS6_PKS6_NS0_5tupleIJPiS6_EEENSE_IJSB_SB_EEENS0_18inequality_wrapperIN6hipcub16HIPCUB_304000_NS8EqualityEEEPlJS6_EEE10hipError_tPvRmT3_T4_T5_T6_T7_T9_mT8_P12ihipStream_tbDpT10_ENKUlT_T0_E_clISt17integral_constantIbLb1EES17_EEDaS12_S13_EUlS12_E_NS1_11comp_targetILNS1_3genE4ELNS1_11target_archE910ELNS1_3gpuE8ELNS1_3repE0EEENS1_30default_config_static_selectorELNS0_4arch9wavefront6targetE1EEEvT1_
	.globl	_ZN7rocprim17ROCPRIM_400000_NS6detail17trampoline_kernelINS0_14default_configENS1_25partition_config_selectorILNS1_17partition_subalgoE8EiNS0_10empty_typeEbEEZZNS1_14partition_implILS5_8ELb0ES3_jPKiPS6_PKS6_NS0_5tupleIJPiS6_EEENSE_IJSB_SB_EEENS0_18inequality_wrapperIN6hipcub16HIPCUB_304000_NS8EqualityEEEPlJS6_EEE10hipError_tPvRmT3_T4_T5_T6_T7_T9_mT8_P12ihipStream_tbDpT10_ENKUlT_T0_E_clISt17integral_constantIbLb1EES17_EEDaS12_S13_EUlS12_E_NS1_11comp_targetILNS1_3genE4ELNS1_11target_archE910ELNS1_3gpuE8ELNS1_3repE0EEENS1_30default_config_static_selectorELNS0_4arch9wavefront6targetE1EEEvT1_
	.p2align	8
	.type	_ZN7rocprim17ROCPRIM_400000_NS6detail17trampoline_kernelINS0_14default_configENS1_25partition_config_selectorILNS1_17partition_subalgoE8EiNS0_10empty_typeEbEEZZNS1_14partition_implILS5_8ELb0ES3_jPKiPS6_PKS6_NS0_5tupleIJPiS6_EEENSE_IJSB_SB_EEENS0_18inequality_wrapperIN6hipcub16HIPCUB_304000_NS8EqualityEEEPlJS6_EEE10hipError_tPvRmT3_T4_T5_T6_T7_T9_mT8_P12ihipStream_tbDpT10_ENKUlT_T0_E_clISt17integral_constantIbLb1EES17_EEDaS12_S13_EUlS12_E_NS1_11comp_targetILNS1_3genE4ELNS1_11target_archE910ELNS1_3gpuE8ELNS1_3repE0EEENS1_30default_config_static_selectorELNS0_4arch9wavefront6targetE1EEEvT1_,@function
_ZN7rocprim17ROCPRIM_400000_NS6detail17trampoline_kernelINS0_14default_configENS1_25partition_config_selectorILNS1_17partition_subalgoE8EiNS0_10empty_typeEbEEZZNS1_14partition_implILS5_8ELb0ES3_jPKiPS6_PKS6_NS0_5tupleIJPiS6_EEENSE_IJSB_SB_EEENS0_18inequality_wrapperIN6hipcub16HIPCUB_304000_NS8EqualityEEEPlJS6_EEE10hipError_tPvRmT3_T4_T5_T6_T7_T9_mT8_P12ihipStream_tbDpT10_ENKUlT_T0_E_clISt17integral_constantIbLb1EES17_EEDaS12_S13_EUlS12_E_NS1_11comp_targetILNS1_3genE4ELNS1_11target_archE910ELNS1_3gpuE8ELNS1_3repE0EEENS1_30default_config_static_selectorELNS0_4arch9wavefront6targetE1EEEvT1_: ; @_ZN7rocprim17ROCPRIM_400000_NS6detail17trampoline_kernelINS0_14default_configENS1_25partition_config_selectorILNS1_17partition_subalgoE8EiNS0_10empty_typeEbEEZZNS1_14partition_implILS5_8ELb0ES3_jPKiPS6_PKS6_NS0_5tupleIJPiS6_EEENSE_IJSB_SB_EEENS0_18inequality_wrapperIN6hipcub16HIPCUB_304000_NS8EqualityEEEPlJS6_EEE10hipError_tPvRmT3_T4_T5_T6_T7_T9_mT8_P12ihipStream_tbDpT10_ENKUlT_T0_E_clISt17integral_constantIbLb1EES17_EEDaS12_S13_EUlS12_E_NS1_11comp_targetILNS1_3genE4ELNS1_11target_archE910ELNS1_3gpuE8ELNS1_3repE0EEENS1_30default_config_static_selectorELNS0_4arch9wavefront6targetE1EEEvT1_
; %bb.0:
	s_load_dwordx2 s[28:29], s[4:5], 0x28
	s_load_dwordx4 s[24:27], s[4:5], 0x40
	s_load_dwordx2 s[6:7], s[4:5], 0x50
	s_load_dwordx2 s[30:31], s[4:5], 0x60
	v_cmp_ne_u32_e64 s[2:3], 0, v0
	v_cmp_eq_u32_e64 s[0:1], 0, v0
	s_and_saveexec_b64 s[8:9], s[0:1]
	s_cbranch_execz .LBB420_4
; %bb.1:
	s_mov_b64 s[12:13], exec
	v_mbcnt_lo_u32_b32 v1, s12, 0
	v_mbcnt_hi_u32_b32 v1, s13, v1
	v_cmp_eq_u32_e32 vcc, 0, v1
                                        ; implicit-def: $vgpr2
	s_and_saveexec_b64 s[10:11], vcc
	s_cbranch_execz .LBB420_3
; %bb.2:
	s_load_dwordx2 s[14:15], s[4:5], 0x70
	s_bcnt1_i32_b64 s12, s[12:13]
	v_mov_b32_e32 v2, 0
	v_mov_b32_e32 v3, s12
	s_waitcnt lgkmcnt(0)
	global_atomic_add v2, v2, v3, s[14:15] glc
.LBB420_3:
	s_or_b64 exec, exec, s[10:11]
	s_waitcnt vmcnt(0)
	v_readfirstlane_b32 s10, v2
	v_add_u32_e32 v1, s10, v1
	v_mov_b32_e32 v2, 0
	ds_write_b32 v2, v1
.LBB420_4:
	s_or_b64 exec, exec, s[8:9]
	v_mov_b32_e32 v3, 0
	s_load_dwordx4 s[8:11], s[4:5], 0x8
	s_load_dword s12, s[4:5], 0x68
	s_waitcnt lgkmcnt(0)
	s_barrier
	ds_read_b32 v1, v3
	s_waitcnt lgkmcnt(0)
	s_barrier
	global_load_dwordx2 v[14:15], v3, s[26:27]
	s_lshl_b64 s[4:5], s[10:11], 2
	v_mov_b32_e32 v5, s7
	s_add_u32 s7, s8, s4
	s_movk_i32 s4, 0xa00
	v_mul_lo_u32 v2, v1, s4
	s_mul_i32 s4, s12, 0xa00
	s_addc_u32 s8, s9, s5
	s_add_i32 s5, s4, s10
	s_add_i32 s9, s12, -1
	s_sub_i32 s40, s6, s5
	s_add_u32 s4, s10, s4
	v_readfirstlane_b32 s33, v1
	s_addc_u32 s5, s11, 0
	v_mov_b32_e32 v4, s6
	s_cmp_eq_u32 s33, s9
	v_cmp_ge_u64_e32 vcc, s[4:5], v[4:5]
	s_cselect_b64 s[22:23], -1, 0
	v_lshlrev_b64 v[2:3], 2, v[2:3]
	s_and_b64 s[34:35], vcc, s[22:23]
	v_mov_b32_e32 v1, s8
	v_add_co_u32_e32 v12, vcc, s7, v2
	s_xor_b64 s[26:27], s[34:35], -1
	v_addc_co_u32_e32 v13, vcc, v1, v3, vcc
	s_mov_b64 s[4:5], -1
	s_and_b64 vcc, exec, s[26:27]
	s_cbranch_vccz .LBB420_6
; %bb.5:
	v_lshlrev_b32_e32 v1, 2, v0
	v_add_co_u32_e32 v4, vcc, v12, v1
	v_addc_co_u32_e32 v5, vcc, 0, v13, vcc
	v_add_co_u32_e32 v2, vcc, 0x1000, v4
	v_readfirstlane_b32 s4, v12
	v_readfirstlane_b32 s5, v13
	v_addc_co_u32_e32 v3, vcc, 0, v5, vcc
	s_nop 3
	global_load_dword v6, v1, s[4:5]
	global_load_dword v7, v1, s[4:5] offset:1024
	global_load_dword v8, v1, s[4:5] offset:2048
	;; [unrolled: 1-line block ×3, first 2 shown]
	global_load_dword v10, v[2:3], off
	global_load_dword v11, v[2:3], off offset:1024
	global_load_dword v16, v[2:3], off offset:2048
	;; [unrolled: 1-line block ×3, first 2 shown]
	v_add_co_u32_e32 v2, vcc, 0x2000, v4
	v_addc_co_u32_e32 v3, vcc, 0, v5, vcc
	global_load_dword v4, v[2:3], off
	global_load_dword v5, v[2:3], off offset:1024
	s_mov_b64 s[4:5], 0
	s_waitcnt vmcnt(8)
	ds_write2st64_b32 v1, v6, v7 offset1:4
	s_waitcnt vmcnt(6)
	ds_write2st64_b32 v1, v8, v9 offset0:8 offset1:12
	s_waitcnt vmcnt(4)
	ds_write2st64_b32 v1, v10, v11 offset0:16 offset1:20
	;; [unrolled: 2-line block ×4, first 2 shown]
	s_waitcnt lgkmcnt(0)
	s_barrier
.LBB420_6:
	s_andn2_b64 vcc, exec, s[4:5]
	s_addk_i32 s40, 0xa00
	s_cbranch_vccnz .LBB420_28
; %bb.7:
	v_cmp_gt_u32_e32 vcc, s40, v0
                                        ; implicit-def: $vgpr2_vgpr3_vgpr4_vgpr5_vgpr6_vgpr7_vgpr8_vgpr9_vgpr10_vgpr11
	s_and_saveexec_b64 s[4:5], vcc
	s_cbranch_execz .LBB420_9
; %bb.8:
	v_lshlrev_b32_e32 v1, 2, v0
	v_readfirstlane_b32 s6, v12
	v_readfirstlane_b32 s7, v13
	s_nop 4
	global_load_dword v2, v1, s[6:7]
.LBB420_9:
	s_or_b64 exec, exec, s[4:5]
	v_or_b32_e32 v1, 0x100, v0
	v_cmp_gt_u32_e32 vcc, s40, v1
	s_and_saveexec_b64 s[4:5], vcc
	s_cbranch_execz .LBB420_11
; %bb.10:
	v_lshlrev_b32_e32 v1, 2, v0
	v_readfirstlane_b32 s6, v12
	v_readfirstlane_b32 s7, v13
	s_nop 4
	global_load_dword v3, v1, s[6:7] offset:1024
.LBB420_11:
	s_or_b64 exec, exec, s[4:5]
	v_or_b32_e32 v1, 0x200, v0
	v_cmp_gt_u32_e32 vcc, s40, v1
	s_and_saveexec_b64 s[4:5], vcc
	s_cbranch_execz .LBB420_13
; %bb.12:
	v_lshlrev_b32_e32 v1, 2, v0
	v_readfirstlane_b32 s6, v12
	v_readfirstlane_b32 s7, v13
	s_nop 4
	global_load_dword v4, v1, s[6:7] offset:2048
.LBB420_13:
	;; [unrolled: 12-line block ×3, first 2 shown]
	s_or_b64 exec, exec, s[4:5]
	v_or_b32_e32 v1, 0x400, v0
	v_cmp_gt_u32_e32 vcc, s40, v1
	s_and_saveexec_b64 s[4:5], vcc
	s_cbranch_execz .LBB420_17
; %bb.16:
	v_lshlrev_b32_e32 v1, 2, v1
	v_readfirstlane_b32 s6, v12
	v_readfirstlane_b32 s7, v13
	s_nop 4
	global_load_dword v6, v1, s[6:7]
.LBB420_17:
	s_or_b64 exec, exec, s[4:5]
	v_or_b32_e32 v1, 0x500, v0
	v_cmp_gt_u32_e32 vcc, s40, v1
	s_and_saveexec_b64 s[4:5], vcc
	s_cbranch_execz .LBB420_19
; %bb.18:
	v_lshlrev_b32_e32 v1, 2, v1
	v_readfirstlane_b32 s6, v12
	v_readfirstlane_b32 s7, v13
	s_nop 4
	global_load_dword v7, v1, s[6:7]
.LBB420_19:
	;; [unrolled: 12-line block ×6, first 2 shown]
	s_or_b64 exec, exec, s[4:5]
	v_lshlrev_b32_e32 v1, 2, v0
	s_waitcnt vmcnt(0)
	ds_write2st64_b32 v1, v2, v3 offset1:4
	ds_write2st64_b32 v1, v4, v5 offset0:8 offset1:12
	ds_write2st64_b32 v1, v6, v7 offset0:16 offset1:20
	;; [unrolled: 1-line block ×4, first 2 shown]
	s_waitcnt lgkmcnt(0)
	s_barrier
.LBB420_28:
	v_mul_u32_u24_e32 v28, 10, v0
	v_lshlrev_b32_e32 v1, 2, v28
	ds_read2_b64 v[6:9], v1 offset1:1
	ds_read2_b64 v[2:5], v1 offset0:2 offset1:3
	ds_read_b64 v[16:17], v1 offset:32
	s_cmp_lg_u32 s33, 0
	s_cselect_b64 s[36:37], -1, 0
	s_cmp_lg_u64 s[10:11], 0
	s_cselect_b64 s[4:5], -1, 0
	s_or_b64 s[4:5], s[4:5], s[36:37]
	v_or_b32_e32 v29, 1, v28
	v_mad_u32_u24 v27, v0, 10, 2
	v_mad_u32_u24 v26, v0, 10, 3
	;; [unrolled: 1-line block ×8, first 2 shown]
	s_mov_b64 s[38:39], 0
	s_and_b64 vcc, exec, s[4:5]
	s_waitcnt lgkmcnt(0)
	s_barrier
	s_cbranch_vccz .LBB420_33
; %bb.29:
	global_load_dword v10, v[12:13], off offset:-4
	v_lshlrev_b32_e32 v11, 2, v0
	s_and_b64 vcc, exec, s[26:27]
	ds_write_b32 v11, v17
	s_cbranch_vccz .LBB420_35
; %bb.30:
	s_waitcnt vmcnt(0)
	v_mov_b32_e32 v12, v10
	s_waitcnt lgkmcnt(0)
	s_barrier
	s_and_saveexec_b64 s[4:5], s[2:3]
	s_cbranch_execz .LBB420_32
; %bb.31:
	v_add_u32_e32 v12, -4, v11
	ds_read_b32 v12, v12
.LBB420_32:
	s_or_b64 exec, exec, s[4:5]
	v_cmp_ne_u32_e32 vcc, v16, v17
	v_cndmask_b32_e64 v13, 0, 1, vcc
	v_cmp_ne_u32_e32 vcc, v5, v16
	v_cndmask_b32_e64 v30, 0, 1, vcc
	v_cmp_ne_u32_e32 vcc, v4, v5
	v_cndmask_b32_e64 v19, 0, 1, vcc
	v_cmp_ne_u32_e32 vcc, v3, v4
	v_cndmask_b32_e64 v31, 0, 1, vcc
	v_cmp_ne_u32_e32 vcc, v2, v3
	v_cndmask_b32_e64 v32, 0, 1, vcc
	v_cmp_ne_u32_e32 vcc, v9, v2
	v_cndmask_b32_e64 v33, 0, 1, vcc
	v_cmp_ne_u32_e32 vcc, v8, v9
	v_cndmask_b32_e64 v18, 0, 1, vcc
	v_cmp_ne_u32_e32 vcc, v7, v8
	v_cndmask_b32_e64 v34, 0, 1, vcc
	v_cmp_ne_u32_e32 vcc, v6, v7
	v_cndmask_b32_e64 v35, 0, 1, vcc
	s_waitcnt lgkmcnt(0)
	v_cmp_ne_u32_e64 s[4:5], v12, v6
	v_lshlrev_b16_e32 v12, 8, v18
	v_or_b32_sdwa v12, v34, v12 dst_sel:WORD_1 dst_unused:UNUSED_PAD src0_sel:DWORD src1_sel:DWORD
	v_lshlrev_b16_e32 v18, 8, v35
	v_or_b32_e32 v18, v18, v12
	v_lshlrev_b16_e32 v12, 8, v32
	v_lshlrev_b16_e32 v19, 8, v19
	v_or_b32_e32 v12, v33, v12
	v_or_b32_sdwa v19, v31, v19 dst_sel:WORD_1 dst_unused:UNUSED_PAD src0_sel:DWORD src1_sel:DWORD
	v_or_b32_sdwa v19, v12, v19 dst_sel:DWORD dst_unused:UNUSED_PAD src0_sel:WORD_0 src1_sel:DWORD
	s_branch .LBB420_39
.LBB420_33:
                                        ; implicit-def: $sgpr4_sgpr5
                                        ; implicit-def: $vgpr13
                                        ; implicit-def: $vgpr30
                                        ; implicit-def: $vgpr19
	s_branch .LBB420_40
.LBB420_34:
                                        ; implicit-def: $vgpr10_vgpr11_vgpr12
	s_and_saveexec_b64 s[2:3], s[38:39]
	s_cbranch_execnz .LBB420_48
	s_branch .LBB420_49
.LBB420_35:
                                        ; implicit-def: $sgpr4_sgpr5
                                        ; implicit-def: $vgpr13
                                        ; implicit-def: $vgpr30
                                        ; implicit-def: $vgpr19
	s_cbranch_execz .LBB420_39
; %bb.36:
	s_waitcnt lgkmcnt(0)
	s_barrier
	s_and_saveexec_b64 s[4:5], s[2:3]
	s_cbranch_execz .LBB420_38
; %bb.37:
	s_waitcnt vmcnt(0)
	v_add_u32_e32 v10, -4, v11
	ds_read_b32 v10, v10
.LBB420_38:
	s_or_b64 exec, exec, s[4:5]
	v_cmp_gt_u32_e32 vcc, s40, v20
	v_cmp_ne_u32_e64 s[4:5], v16, v17
	s_and_b64 s[4:5], vcc, s[4:5]
	v_cndmask_b32_e64 v13, 0, 1, s[4:5]
	v_cmp_gt_u32_e32 vcc, s40, v21
	v_cmp_ne_u32_e64 s[4:5], v5, v16
	s_and_b64 s[4:5], vcc, s[4:5]
	v_cndmask_b32_e64 v30, 0, 1, s[4:5]
	;; [unrolled: 4-line block ×9, first 2 shown]
	s_waitcnt vmcnt(0) lgkmcnt(0)
	v_cmp_ne_u32_e64 s[4:5], v10, v6
	v_lshlrev_b16_e32 v10, 8, v18
	v_or_b32_sdwa v10, v32, v10 dst_sel:WORD_1 dst_unused:UNUSED_PAD src0_sel:DWORD src1_sel:DWORD
	v_lshlrev_b16_e32 v18, 8, v33
	v_or_b32_e32 v18, v18, v10
	v_lshlrev_b16_e32 v10, 8, v19
	v_lshlrev_b16_e32 v11, 8, v11
	v_cmp_gt_u32_e32 vcc, s40, v28
	v_or_b32_e32 v10, v31, v10
	v_or_b32_sdwa v11, v12, v11 dst_sel:WORD_1 dst_unused:UNUSED_PAD src0_sel:DWORD src1_sel:DWORD
	s_and_b64 s[4:5], vcc, s[4:5]
	v_or_b32_sdwa v19, v10, v11 dst_sel:DWORD dst_unused:UNUSED_PAD src0_sel:WORD_0 src1_sel:DWORD
.LBB420_39:
	s_mov_b64 s[38:39], -1
	s_cbranch_execnz .LBB420_34
.LBB420_40:
	s_movk_i32 s4, 0xffdc
	v_mad_i32_i24 v31, v0, s4, v1
	s_and_b64 vcc, exec, s[26:27]
	v_cmp_ne_u32_e64 s[4:5], v16, v17
	v_cmp_ne_u32_e64 s[6:7], v5, v16
	;; [unrolled: 1-line block ×9, first 2 shown]
	ds_write_b32 v31, v17
	s_cbranch_vccz .LBB420_44
; %bb.41:
	s_waitcnt vmcnt(0)
	v_cndmask_b32_e64 v10, 0, 1, s[8:9]
	v_cndmask_b32_e64 v12, 0, 1, s[12:13]
	;; [unrolled: 1-line block ×4, first 2 shown]
	v_lshlrev_b16_e32 v12, 8, v12
	v_lshlrev_b16_e32 v10, 8, v10
	v_cndmask_b32_e64 v13, 0, 1, s[4:5]
	v_or_b32_e32 v12, v18, v12
	v_or_b32_sdwa v10, v11, v10 dst_sel:WORD_1 dst_unused:UNUSED_PAD src0_sel:DWORD src1_sel:DWORD
	v_cndmask_b32_e64 v30, 0, 1, s[6:7]
	v_or_b32_sdwa v19, v12, v10 dst_sel:DWORD dst_unused:UNUSED_PAD src0_sel:WORD_0 src1_sel:DWORD
	v_lshlrev_b16_e32 v10, 8, v13
	v_cndmask_b32_e64 v32, 0, 1, s[16:17]
	v_cndmask_b32_e64 v34, 0, 1, s[20:21]
	v_or_b32_e32 v10, v30, v10
	v_cndmask_b32_e64 v33, 0, 1, s[18:19]
	v_and_b32_e32 v12, 0xffff, v10
	v_lshlrev_b16_e32 v10, 8, v32
	v_lshlrev_b16_e32 v11, 8, v34
	v_or_b32_sdwa v10, v33, v10 dst_sel:WORD_1 dst_unused:UNUSED_PAD src0_sel:DWORD src1_sel:DWORD
	v_or_b32_e32 v11, 1, v11
	v_or_b32_sdwa v18, v11, v10 dst_sel:DWORD dst_unused:UNUSED_PAD src0_sel:WORD_0 src1_sel:DWORD
	s_waitcnt lgkmcnt(0)
	s_barrier
	s_waitcnt lgkmcnt(0)
                                        ; implicit-def: $sgpr4_sgpr5
	s_and_saveexec_b64 s[6:7], s[2:3]
	s_xor_b64 s[6:7], exec, s[6:7]
	s_cbranch_execz .LBB420_43
; %bb.42:
	v_add_u32_e32 v10, -4, v31
	ds_read_b32 v10, v10
	s_or_b64 s[38:39], s[38:39], exec
	s_waitcnt lgkmcnt(0)
	v_cmp_ne_u32_e32 vcc, v10, v6
	s_and_b64 s[4:5], vcc, exec
                                        ; implicit-def: $vgpr10_vgpr11_vgpr12
.LBB420_43:
	s_or_b64 exec, exec, s[6:7]
	s_branch .LBB420_47
.LBB420_44:
                                        ; implicit-def: $sgpr4_sgpr5
                                        ; implicit-def: $vgpr13
                                        ; implicit-def: $vgpr30
                                        ; implicit-def: $vgpr19
                                        ; implicit-def: $vgpr10_vgpr11_vgpr12
	s_cbranch_execz .LBB420_47
; %bb.45:
	v_cmp_gt_u32_e32 vcc, s40, v20
	v_cmp_ne_u32_e64 s[4:5], v16, v17
	s_and_b64 s[4:5], vcc, s[4:5]
	v_cndmask_b32_e64 v13, 0, 1, s[4:5]
	v_cmp_gt_u32_e32 vcc, s40, v21
	v_cmp_ne_u32_e64 s[4:5], v5, v16
	s_and_b64 s[4:5], vcc, s[4:5]
	v_cndmask_b32_e64 v30, 0, 1, s[4:5]
	v_cmp_gt_u32_e32 vcc, s40, v22
	v_cmp_ne_u32_e64 s[4:5], v4, v5
	s_and_b64 s[4:5], vcc, s[4:5]
	s_waitcnt vmcnt(0)
	v_cndmask_b32_e64 v10, 0, 1, s[4:5]
	v_cmp_gt_u32_e32 vcc, s40, v23
	v_cmp_ne_u32_e64 s[4:5], v3, v4
	s_and_b64 s[4:5], vcc, s[4:5]
	v_cndmask_b32_e64 v11, 0, 1, s[4:5]
	v_cmp_gt_u32_e32 vcc, s40, v24
	v_cmp_ne_u32_e64 s[4:5], v2, v3
	s_and_b64 s[4:5], vcc, s[4:5]
	;; [unrolled: 4-line block ×5, first 2 shown]
	v_lshlrev_b16_e32 v12, 8, v12
	v_lshlrev_b16_e32 v10, 8, v10
	v_cndmask_b32_e64 v33, 0, 1, s[4:5]
	v_cmp_gt_u32_e32 vcc, s40, v29
	v_cmp_ne_u32_e64 s[4:5], v6, v7
	v_or_b32_e32 v12, v18, v12
	v_or_b32_sdwa v10, v11, v10 dst_sel:WORD_1 dst_unused:UNUSED_PAD src0_sel:DWORD src1_sel:DWORD
	s_and_b64 s[4:5], vcc, s[4:5]
	v_or_b32_sdwa v19, v12, v10 dst_sel:DWORD dst_unused:UNUSED_PAD src0_sel:WORD_0 src1_sel:DWORD
	v_lshlrev_b16_e32 v10, 8, v13
	v_cndmask_b32_e64 v34, 0, 1, s[4:5]
	v_or_b32_e32 v10, v30, v10
	v_and_b32_e32 v12, 0xffff, v10
	v_lshlrev_b16_e32 v10, 8, v32
	v_lshlrev_b16_e32 v11, 8, v34
	v_or_b32_sdwa v10, v33, v10 dst_sel:WORD_1 dst_unused:UNUSED_PAD src0_sel:DWORD src1_sel:DWORD
	v_or_b32_e32 v11, 1, v11
	v_or_b32_sdwa v18, v11, v10 dst_sel:DWORD dst_unused:UNUSED_PAD src0_sel:WORD_0 src1_sel:DWORD
	s_waitcnt lgkmcnt(0)
	s_barrier
	s_waitcnt lgkmcnt(0)
                                        ; implicit-def: $sgpr4_sgpr5
	s_and_saveexec_b64 s[6:7], s[2:3]
	s_cbranch_execz .LBB420_164
; %bb.46:
	v_add_u32_e32 v10, -4, v31
	ds_read_b32 v10, v10
	v_cmp_gt_u32_e32 vcc, s40, v28
	s_or_b64 s[38:39], s[38:39], exec
	s_waitcnt lgkmcnt(0)
	v_cmp_ne_u32_e64 s[2:3], v10, v6
	s_and_b64 s[2:3], vcc, s[2:3]
	s_and_b64 s[4:5], s[2:3], exec
                                        ; implicit-def: $vgpr10_vgpr11_vgpr12
	s_or_b64 exec, exec, s[6:7]
.LBB420_47:
	s_and_saveexec_b64 s[2:3], s[38:39]
	s_cbranch_execz .LBB420_49
.LBB420_48:
	v_lshlrev_b16_e32 v11, 8, v13
	v_or_b32_sdwa v11, v30, v11 dst_sel:DWORD dst_unused:UNUSED_PAD src0_sel:BYTE_0 src1_sel:DWORD
	s_waitcnt vmcnt(0)
	v_cndmask_b32_e64 v10, 0, 1, s[4:5]
	s_movk_i32 s4, 0xff
	v_and_b32_e32 v12, 0xffff, v11
	v_lshrrev_b32_e32 v11, 24, v18
	v_lshlrev_b16_e32 v11, 8, v11
	v_and_b32_sdwa v13, v18, s4 dst_sel:DWORD dst_unused:UNUSED_PAD src0_sel:WORD_1 src1_sel:DWORD
	v_or_b32_sdwa v11, v13, v11 dst_sel:WORD_1 dst_unused:UNUSED_PAD src0_sel:DWORD src1_sel:DWORD
	v_mov_b32_e32 v13, 8
	v_lshrrev_b32_sdwa v13, v13, v18 dst_sel:BYTE_1 dst_unused:UNUSED_PAD src0_sel:DWORD src1_sel:DWORD
	v_or_b32_e32 v10, v10, v13
	v_or_b32_sdwa v18, v10, v11 dst_sel:DWORD dst_unused:UNUSED_PAD src0_sel:WORD_0 src1_sel:DWORD
.LBB420_49:
	s_or_b64 exec, exec, s[2:3]
	s_andn2_b64 vcc, exec, s[34:35]
	s_cbranch_vccnz .LBB420_51
; %bb.50:
	v_and_b32_e32 v11, 0xffff0000, v18
	v_cmp_gt_u32_e32 vcc, s40, v28
	v_cndmask_b32_e32 v11, v11, v18, vcc
	v_and_b32_e32 v11, 0xffff00ff, v11
	v_cmp_gt_u32_e32 vcc, s40, v29
	v_cndmask_b32_e32 v11, v11, v18, vcc
	v_lshrrev_b32_e32 v13, 24, v11
	s_mov_b32 s2, 0x40c0100
	v_perm_b32 v11, v13, v11, s2
	v_cmp_gt_u32_e32 vcc, s40, v27
	v_cndmask_b32_e32 v11, v11, v18, vcc
	v_and_b32_e32 v11, 0xffffff, v11
	v_cmp_gt_u32_e32 vcc, s40, v26
	v_cndmask_b32_e32 v11, v11, v18, vcc
	v_and_b32_e32 v13, 0xffffff00, v19
	;; [unrolled: 3-line block ×3, first 2 shown]
	v_cndmask_b32_e32 v11, v11, v18, vcc
	v_cmp_gt_u32_e32 vcc, s40, v24
	v_cndmask_b32_e32 v13, v13, v19, vcc
	v_lshrrev_b32_e32 v24, 24, v13
	s_waitcnt vmcnt(0)
	v_and_b32_e32 v10, 0xffff0000, v12
	v_cndmask_b32_e32 v11, v11, v18, vcc
	v_perm_b32 v13, v24, v13, s2
	v_cmp_gt_u32_e32 vcc, s40, v23
	v_cmp_gt_u32_e64 s[2:3], s40, v21
	v_cmp_gt_u32_e64 s[4:5], s40, v20
	v_cndmask_b32_e32 v13, v13, v19, vcc
	v_cndmask_b32_e32 v11, v11, v18, vcc
	v_cmp_gt_u32_e32 vcc, s40, v22
	v_cndmask_b32_e64 v10, v10, v12, s[2:3]
	s_or_b64 s[2:3], s[4:5], s[2:3]
	s_or_b64 vcc, s[2:3], vcc
	v_and_b32_e32 v10, 0xffff00ff, v10
	v_cndmask_b32_e32 v11, v11, v18, vcc
	s_mov_b32 s2, 0x3020104
	v_cndmask_b32_e64 v10, v10, v12, s[4:5]
	v_perm_b32 v18, v11, v11, s2
	v_mov_b32_e32 v11, 8
	v_lshrrev_b32_sdwa v11, v11, v10 dst_sel:BYTE_1 dst_unused:UNUSED_PAD src0_sel:DWORD src1_sel:DWORD
	v_and_b32_e32 v13, 0xffffff, v13
	v_or_b32_sdwa v10, v10, v11 dst_sel:DWORD dst_unused:UNUSED_PAD src0_sel:BYTE_0 src1_sel:DWORD
	v_cndmask_b32_e32 v19, v13, v19, vcc
	v_and_b32_e32 v12, 0xffff, v10
.LBB420_51:
	s_waitcnt vmcnt(0)
	v_alignbit_b32 v10, v19, v18, 24
	v_bfe_u32 v29, v18, 16, 8
	v_and_b32_e32 v31, 0xff, v10
	v_add_u32_sdwa v11, v18, v18 dst_sel:DWORD dst_unused:UNUSED_PAD src0_sel:BYTE_1 src1_sel:BYTE_0
	v_and_b32_e32 v33, 0xff, v19
	v_bfe_u32 v35, v19, 8, 8
	v_add3_u32 v11, v11, v29, v31
	v_bfe_u32 v37, v19, 16, 8
	v_lshrrev_b32_e32 v13, 24, v19
	v_add3_u32 v11, v11, v33, v35
	v_and_b32_e32 v39, 0xff, v12
	v_bfe_u32 v10, v12, 8, 8
	v_add3_u32 v11, v11, v37, v13
	v_add3_u32 v44, v11, v39, v10
	v_mbcnt_lo_u32_b32 v10, -1, 0
	v_mbcnt_hi_u32_b32 v41, -1, v10
	v_and_b32_e32 v10, 15, v41
	v_cmp_eq_u32_e64 s[14:15], 0, v10
	v_cmp_lt_u32_e64 s[12:13], 1, v10
	v_cmp_lt_u32_e64 s[10:11], 3, v10
	;; [unrolled: 1-line block ×3, first 2 shown]
	v_and_b32_e32 v10, 16, v41
	v_cmp_eq_u32_e64 s[6:7], 0, v10
	v_or_b32_e32 v10, 63, v0
	v_cmp_lt_u32_e64 s[2:3], 31, v41
	v_lshrrev_b32_e32 v43, 6, v0
	v_cmp_eq_u32_e64 s[4:5], v10, v0
	s_and_b64 vcc, exec, s[36:37]
	s_waitcnt lgkmcnt(0)
	s_barrier
	s_cbranch_vccz .LBB420_82
; %bb.52:
	v_mov_b32_dpp v10, v44 row_shr:1 row_mask:0xf bank_mask:0xf
	v_cndmask_b32_e64 v10, v10, 0, s[14:15]
	v_add_u32_e32 v10, v10, v44
	s_nop 1
	v_mov_b32_dpp v11, v10 row_shr:2 row_mask:0xf bank_mask:0xf
	v_cndmask_b32_e64 v11, 0, v11, s[12:13]
	v_add_u32_e32 v10, v10, v11
	s_nop 1
	;; [unrolled: 4-line block ×4, first 2 shown]
	v_mov_b32_dpp v11, v10 row_bcast:15 row_mask:0xf bank_mask:0xf
	v_cndmask_b32_e64 v11, v11, 0, s[6:7]
	v_add_u32_e32 v10, v10, v11
	s_nop 1
	v_mov_b32_dpp v11, v10 row_bcast:31 row_mask:0xf bank_mask:0xf
	v_cndmask_b32_e64 v11, 0, v11, s[2:3]
	v_add_u32_e32 v10, v10, v11
	s_and_saveexec_b64 s[16:17], s[4:5]
	s_cbranch_execz .LBB420_54
; %bb.53:
	v_lshlrev_b32_e32 v11, 2, v43
	ds_write_b32 v11, v10
.LBB420_54:
	s_or_b64 exec, exec, s[16:17]
	v_cmp_gt_u32_e32 vcc, 4, v0
	s_waitcnt lgkmcnt(0)
	s_barrier
	s_and_saveexec_b64 s[16:17], vcc
	s_cbranch_execz .LBB420_56
; %bb.55:
	v_lshlrev_b32_e32 v11, 2, v0
	ds_read_b32 v20, v11
	v_and_b32_e32 v21, 3, v41
	v_cmp_ne_u32_e32 vcc, 0, v21
	s_waitcnt lgkmcnt(0)
	v_mov_b32_dpp v22, v20 row_shr:1 row_mask:0xf bank_mask:0xf
	v_cndmask_b32_e32 v22, 0, v22, vcc
	v_add_u32_e32 v20, v22, v20
	v_cmp_lt_u32_e32 vcc, 1, v21
	s_nop 0
	v_mov_b32_dpp v22, v20 row_shr:2 row_mask:0xf bank_mask:0xf
	v_cndmask_b32_e32 v21, 0, v22, vcc
	v_add_u32_e32 v20, v20, v21
	ds_write_b32 v11, v20
.LBB420_56:
	s_or_b64 exec, exec, s[16:17]
	v_cmp_gt_u32_e32 vcc, 64, v0
	v_cmp_lt_u32_e64 s[16:17], 63, v0
	s_waitcnt lgkmcnt(0)
	s_barrier
	s_waitcnt lgkmcnt(0)
                                        ; implicit-def: $vgpr28
	s_and_saveexec_b64 s[18:19], s[16:17]
	s_cbranch_execz .LBB420_58
; %bb.57:
	v_lshl_add_u32 v11, v43, 2, -4
	ds_read_b32 v28, v11
	s_waitcnt lgkmcnt(0)
	v_add_u32_e32 v10, v28, v10
.LBB420_58:
	s_or_b64 exec, exec, s[18:19]
	v_add_u32_e32 v11, -1, v41
	v_and_b32_e32 v20, 64, v41
	v_cmp_lt_i32_e64 s[16:17], v11, v20
	v_cndmask_b32_e64 v11, v11, v41, s[16:17]
	v_lshlrev_b32_e32 v11, 2, v11
	ds_bpermute_b32 v30, v11, v10
	v_cmp_eq_u32_e64 s[16:17], 0, v41
	s_and_saveexec_b64 s[18:19], vcc
	s_cbranch_execz .LBB420_81
; %bb.59:
	v_mov_b32_e32 v27, 0
	ds_read_b32 v10, v27 offset:12
	s_and_saveexec_b64 s[20:21], s[16:17]
	s_cbranch_execz .LBB420_61
; %bb.60:
	s_add_i32 s34, s33, 64
	s_mov_b32 s35, 0
	s_lshl_b64 s[34:35], s[34:35], 3
	s_add_u32 s34, s30, s34
	v_mov_b32_e32 v11, 1
	s_addc_u32 s35, s31, s35
	s_waitcnt lgkmcnt(0)
	global_store_dwordx2 v27, v[10:11], s[34:35]
.LBB420_61:
	s_or_b64 exec, exec, s[20:21]
	v_xad_u32 v20, v41, -1, s33
	v_add_u32_e32 v26, 64, v20
	v_lshlrev_b64 v[22:23], 3, v[26:27]
	v_mov_b32_e32 v11, s31
	v_add_co_u32_e32 v22, vcc, s30, v22
	v_addc_co_u32_e32 v23, vcc, v11, v23, vcc
	global_load_dwordx2 v[24:25], v[22:23], off glc
	s_waitcnt vmcnt(0)
	v_cmp_eq_u16_sdwa s[34:35], v25, v27 src0_sel:BYTE_0 src1_sel:DWORD
	s_and_saveexec_b64 s[20:21], s[34:35]
	s_cbranch_execz .LBB420_67
; %bb.62:
	s_mov_b32 s36, 1
	s_mov_b64 s[34:35], 0
	v_mov_b32_e32 v11, 0
.LBB420_63:                             ; =>This Loop Header: Depth=1
                                        ;     Child Loop BB420_64 Depth 2
	s_max_u32 s37, s36, 1
.LBB420_64:                             ;   Parent Loop BB420_63 Depth=1
                                        ; =>  This Inner Loop Header: Depth=2
	s_add_i32 s37, s37, -1
	s_cmp_eq_u32 s37, 0
	s_sleep 1
	s_cbranch_scc0 .LBB420_64
; %bb.65:                               ;   in Loop: Header=BB420_63 Depth=1
	global_load_dwordx2 v[24:25], v[22:23], off glc
	s_cmp_lt_u32 s36, 32
	s_cselect_b64 s[38:39], -1, 0
	s_cmp_lg_u64 s[38:39], 0
	s_addc_u32 s36, s36, 0
	s_waitcnt vmcnt(0)
	v_cmp_ne_u16_sdwa s[38:39], v25, v11 src0_sel:BYTE_0 src1_sel:DWORD
	s_or_b64 s[34:35], s[38:39], s[34:35]
	s_andn2_b64 exec, exec, s[34:35]
	s_cbranch_execnz .LBB420_63
; %bb.66:
	s_or_b64 exec, exec, s[34:35]
.LBB420_67:
	s_or_b64 exec, exec, s[20:21]
	v_and_b32_e32 v34, 63, v41
	v_mov_b32_e32 v32, 2
	v_cmp_ne_u32_e32 vcc, 63, v34
	v_cmp_eq_u16_sdwa s[20:21], v25, v32 src0_sel:BYTE_0 src1_sel:DWORD
	v_lshlrev_b64 v[22:23], v41, -1
	v_addc_co_u32_e32 v26, vcc, 0, v41, vcc
	v_and_b32_e32 v11, s21, v23
	v_lshlrev_b32_e32 v36, 2, v26
	v_or_b32_e32 v11, 0x80000000, v11
	ds_bpermute_b32 v26, v36, v24
	v_and_b32_e32 v21, s20, v22
	v_ffbl_b32_e32 v11, v11
	v_add_u32_e32 v11, 32, v11
	v_ffbl_b32_e32 v21, v21
	v_min_u32_e32 v11, v21, v11
	v_cmp_lt_u32_e32 vcc, v34, v11
	s_waitcnt lgkmcnt(0)
	v_cndmask_b32_e32 v21, 0, v26, vcc
	v_cmp_gt_u32_e32 vcc, 62, v34
	v_add_u32_e32 v21, v21, v24
	v_cndmask_b32_e64 v24, 0, 1, vcc
	v_lshlrev_b32_e32 v24, 1, v24
	v_add_lshl_u32 v38, v24, v41, 2
	ds_bpermute_b32 v24, v38, v21
	v_add_u32_e32 v40, 2, v34
	v_cmp_le_u32_e32 vcc, v40, v11
	v_add_u32_e32 v45, 4, v34
	v_add_u32_e32 v47, 8, v34
	s_waitcnt lgkmcnt(0)
	v_cndmask_b32_e32 v24, 0, v24, vcc
	v_cmp_gt_u32_e32 vcc, 60, v34
	v_add_u32_e32 v21, v21, v24
	v_cndmask_b32_e64 v24, 0, 1, vcc
	v_lshlrev_b32_e32 v24, 2, v24
	v_add_lshl_u32 v42, v24, v41, 2
	ds_bpermute_b32 v24, v42, v21
	v_cmp_le_u32_e32 vcc, v45, v11
	v_add_u32_e32 v49, 16, v34
	v_add_u32_e32 v51, 32, v34
	s_waitcnt lgkmcnt(0)
	v_cndmask_b32_e32 v24, 0, v24, vcc
	v_cmp_gt_u32_e32 vcc, 56, v34
	v_add_u32_e32 v21, v21, v24
	v_cndmask_b32_e64 v24, 0, 1, vcc
	v_lshlrev_b32_e32 v24, 3, v24
	v_add_lshl_u32 v46, v24, v41, 2
	ds_bpermute_b32 v24, v46, v21
	v_cmp_le_u32_e32 vcc, v47, v11
	s_waitcnt lgkmcnt(0)
	v_cndmask_b32_e32 v24, 0, v24, vcc
	v_cmp_gt_u32_e32 vcc, 48, v34
	v_add_u32_e32 v21, v21, v24
	v_cndmask_b32_e64 v24, 0, 1, vcc
	v_lshlrev_b32_e32 v24, 4, v24
	v_add_lshl_u32 v48, v24, v41, 2
	ds_bpermute_b32 v24, v48, v21
	v_cmp_le_u32_e32 vcc, v49, v11
	;; [unrolled: 9-line block ×3, first 2 shown]
	s_waitcnt lgkmcnt(0)
	v_cndmask_b32_e32 v11, 0, v24, vcc
	v_add_u32_e32 v24, v21, v11
	v_mov_b32_e32 v21, 0
	s_branch .LBB420_69
.LBB420_68:                             ;   in Loop: Header=BB420_69 Depth=1
	s_or_b64 exec, exec, s[20:21]
	v_cmp_eq_u16_sdwa s[20:21], v25, v32 src0_sel:BYTE_0 src1_sel:DWORD
	v_and_b32_e32 v26, s21, v23
	v_or_b32_e32 v26, 0x80000000, v26
	ds_bpermute_b32 v52, v36, v24
	v_and_b32_e32 v27, s20, v22
	v_ffbl_b32_e32 v26, v26
	v_add_u32_e32 v26, 32, v26
	v_ffbl_b32_e32 v27, v27
	v_min_u32_e32 v26, v27, v26
	v_cmp_lt_u32_e32 vcc, v34, v26
	s_waitcnt lgkmcnt(0)
	v_cndmask_b32_e32 v27, 0, v52, vcc
	v_add_u32_e32 v24, v27, v24
	ds_bpermute_b32 v27, v38, v24
	v_cmp_le_u32_e32 vcc, v40, v26
	v_subrev_u32_e32 v20, 64, v20
	s_waitcnt lgkmcnt(0)
	v_cndmask_b32_e32 v27, 0, v27, vcc
	v_add_u32_e32 v24, v24, v27
	ds_bpermute_b32 v27, v42, v24
	v_cmp_le_u32_e32 vcc, v45, v26
	s_waitcnt lgkmcnt(0)
	v_cndmask_b32_e32 v27, 0, v27, vcc
	v_add_u32_e32 v24, v24, v27
	ds_bpermute_b32 v27, v46, v24
	v_cmp_le_u32_e32 vcc, v47, v26
	;; [unrolled: 5-line block ×4, first 2 shown]
	s_waitcnt lgkmcnt(0)
	v_cndmask_b32_e32 v26, 0, v27, vcc
	v_add3_u32 v24, v26, v11, v24
.LBB420_69:                             ; =>This Loop Header: Depth=1
                                        ;     Child Loop BB420_72 Depth 2
                                        ;       Child Loop BB420_73 Depth 3
	v_cmp_ne_u16_sdwa s[20:21], v25, v32 src0_sel:BYTE_0 src1_sel:DWORD
	v_cndmask_b32_e64 v11, 0, 1, s[20:21]
	;;#ASMSTART
	;;#ASMEND
	v_cmp_ne_u32_e32 vcc, 0, v11
	s_cmp_lg_u64 vcc, exec
	v_mov_b32_e32 v11, v24
	s_cbranch_scc1 .LBB420_76
; %bb.70:                               ;   in Loop: Header=BB420_69 Depth=1
	v_lshlrev_b64 v[24:25], 3, v[20:21]
	v_mov_b32_e32 v27, s31
	v_add_co_u32_e32 v26, vcc, s30, v24
	v_addc_co_u32_e32 v27, vcc, v27, v25, vcc
	global_load_dwordx2 v[24:25], v[26:27], off glc
	s_waitcnt vmcnt(0)
	v_cmp_eq_u16_sdwa s[34:35], v25, v21 src0_sel:BYTE_0 src1_sel:DWORD
	s_and_saveexec_b64 s[20:21], s[34:35]
	s_cbranch_execz .LBB420_68
; %bb.71:                               ;   in Loop: Header=BB420_69 Depth=1
	s_mov_b32 s36, 1
	s_mov_b64 s[34:35], 0
.LBB420_72:                             ;   Parent Loop BB420_69 Depth=1
                                        ; =>  This Loop Header: Depth=2
                                        ;       Child Loop BB420_73 Depth 3
	s_max_u32 s37, s36, 1
.LBB420_73:                             ;   Parent Loop BB420_69 Depth=1
                                        ;     Parent Loop BB420_72 Depth=2
                                        ; =>    This Inner Loop Header: Depth=3
	s_add_i32 s37, s37, -1
	s_cmp_eq_u32 s37, 0
	s_sleep 1
	s_cbranch_scc0 .LBB420_73
; %bb.74:                               ;   in Loop: Header=BB420_72 Depth=2
	global_load_dwordx2 v[24:25], v[26:27], off glc
	s_cmp_lt_u32 s36, 32
	s_cselect_b64 s[38:39], -1, 0
	s_cmp_lg_u64 s[38:39], 0
	s_addc_u32 s36, s36, 0
	s_waitcnt vmcnt(0)
	v_cmp_ne_u16_sdwa s[38:39], v25, v21 src0_sel:BYTE_0 src1_sel:DWORD
	s_or_b64 s[34:35], s[38:39], s[34:35]
	s_andn2_b64 exec, exec, s[34:35]
	s_cbranch_execnz .LBB420_72
; %bb.75:                               ;   in Loop: Header=BB420_69 Depth=1
	s_or_b64 exec, exec, s[34:35]
	s_branch .LBB420_68
.LBB420_76:                             ;   in Loop: Header=BB420_69 Depth=1
                                        ; implicit-def: $vgpr24
                                        ; implicit-def: $vgpr25
	s_cbranch_execz .LBB420_69
; %bb.77:
	s_and_saveexec_b64 s[20:21], s[16:17]
	s_cbranch_execz .LBB420_79
; %bb.78:
	s_add_i32 s34, s33, 64
	s_mov_b32 s35, 0
	s_lshl_b64 s[34:35], s[34:35], 3
	s_add_u32 s34, s30, s34
	v_add_u32_e32 v20, v11, v10
	v_mov_b32_e32 v21, 2
	s_addc_u32 s35, s31, s35
	v_mov_b32_e32 v22, 0
	global_store_dwordx2 v22, v[20:21], s[34:35]
	ds_write_b64 v22, v[10:11] offset:10240
.LBB420_79:
	s_or_b64 exec, exec, s[20:21]
	s_and_b64 exec, exec, s[0:1]
	s_cbranch_execz .LBB420_81
; %bb.80:
	v_mov_b32_e32 v10, 0
	ds_write_b32 v10, v11 offset:12
.LBB420_81:
	s_or_b64 exec, exec, s[18:19]
	v_mov_b32_e32 v10, 0
	s_waitcnt lgkmcnt(0)
	s_barrier
	ds_read_b32 v11, v10 offset:12
	v_cndmask_b32_e64 v20, v30, v28, s[16:17]
	v_cndmask_b32_e64 v20, v20, 0, s[0:1]
	s_waitcnt lgkmcnt(0)
	s_barrier
	v_add_u32_e32 v42, v11, v20
	v_add_u32_sdwa v40, v42, v18 dst_sel:DWORD dst_unused:UNUSED_PAD src0_sel:DWORD src1_sel:BYTE_0
	v_add_u32_sdwa v38, v40, v18 dst_sel:DWORD dst_unused:UNUSED_PAD src0_sel:DWORD src1_sel:BYTE_1
	v_add_u32_e32 v36, v38, v29
	v_add_u32_e32 v34, v36, v31
	ds_read_b64 v[10:11], v10 offset:10240
	v_add_u32_e32 v32, v34, v33
	v_add_u32_e32 v30, v32, v35
	;; [unrolled: 1-line block ×5, first 2 shown]
	s_waitcnt lgkmcnt(0)
	v_mov_b32_e32 v20, v11
	v_lshrrev_b64 v[26:27], 24, v[18:19]
	s_branch .LBB420_92
.LBB420_82:
                                        ; implicit-def: $vgpr20
                                        ; implicit-def: $vgpr10
                                        ; implicit-def: $vgpr22
                                        ; implicit-def: $vgpr24
                                        ; implicit-def: $vgpr28
                                        ; implicit-def: $vgpr30
                                        ; implicit-def: $vgpr32
                                        ; implicit-def: $vgpr34
                                        ; implicit-def: $vgpr36
                                        ; implicit-def: $vgpr38
                                        ; implicit-def: $vgpr40
                                        ; implicit-def: $vgpr42
	v_lshrrev_b64 v[26:27], 24, v[18:19]
	s_cbranch_execz .LBB420_92
; %bb.83:
	v_mov_b32_dpp v10, v44 row_shr:1 row_mask:0xf bank_mask:0xf
	v_cndmask_b32_e64 v10, v10, 0, s[14:15]
	v_add_u32_e32 v10, v10, v44
	s_nop 1
	v_mov_b32_dpp v11, v10 row_shr:2 row_mask:0xf bank_mask:0xf
	v_cndmask_b32_e64 v11, 0, v11, s[12:13]
	v_add_u32_e32 v10, v10, v11
	s_nop 1
	;; [unrolled: 4-line block ×4, first 2 shown]
	v_mov_b32_dpp v11, v10 row_bcast:15 row_mask:0xf bank_mask:0xf
	v_cndmask_b32_e64 v11, v11, 0, s[6:7]
	v_add_u32_e32 v10, v10, v11
	s_nop 1
	v_mov_b32_dpp v11, v10 row_bcast:31 row_mask:0xf bank_mask:0xf
	v_cndmask_b32_e64 v11, 0, v11, s[2:3]
	v_add_u32_e32 v10, v10, v11
	s_and_saveexec_b64 s[2:3], s[4:5]
	s_cbranch_execz .LBB420_85
; %bb.84:
	v_lshlrev_b32_e32 v11, 2, v43
	ds_write_b32 v11, v10
.LBB420_85:
	s_or_b64 exec, exec, s[2:3]
	v_cmp_gt_u32_e32 vcc, 4, v0
	s_waitcnt lgkmcnt(0)
	s_barrier
	s_and_saveexec_b64 s[2:3], vcc
	s_cbranch_execz .LBB420_87
; %bb.86:
	s_movk_i32 s4, 0xffdc
	v_mad_i32_i24 v1, v0, s4, v1
	ds_read_b32 v11, v1
	v_and_b32_e32 v20, 3, v41
	v_cmp_ne_u32_e32 vcc, 0, v20
	s_waitcnt lgkmcnt(0)
	v_mov_b32_dpp v21, v11 row_shr:1 row_mask:0xf bank_mask:0xf
	v_cndmask_b32_e32 v21, 0, v21, vcc
	v_add_u32_e32 v11, v21, v11
	v_cmp_lt_u32_e32 vcc, 1, v20
	s_nop 0
	v_mov_b32_dpp v21, v11 row_shr:2 row_mask:0xf bank_mask:0xf
	v_cndmask_b32_e32 v20, 0, v21, vcc
	v_add_u32_e32 v11, v11, v20
	ds_write_b32 v1, v11
.LBB420_87:
	s_or_b64 exec, exec, s[2:3]
	v_cmp_lt_u32_e32 vcc, 63, v0
	v_mov_b32_e32 v11, 0
	v_mov_b32_e32 v1, 0
	s_waitcnt lgkmcnt(0)
	s_barrier
	s_and_saveexec_b64 s[2:3], vcc
	s_cbranch_execz .LBB420_89
; %bb.88:
	v_lshl_add_u32 v1, v43, 2, -4
	ds_read_b32 v1, v1
.LBB420_89:
	s_or_b64 exec, exec, s[2:3]
	v_add_u32_e32 v20, -1, v41
	v_and_b32_e32 v21, 64, v41
	v_cmp_lt_i32_e32 vcc, v20, v21
	v_cndmask_b32_e32 v20, v20, v41, vcc
	s_waitcnt lgkmcnt(0)
	v_add_u32_e32 v10, v1, v10
	v_lshlrev_b32_e32 v20, 2, v20
	ds_bpermute_b32 v20, v20, v10
	ds_read_b32 v10, v11 offset:12
	s_and_saveexec_b64 s[2:3], s[0:1]
	s_cbranch_execz .LBB420_91
; %bb.90:
	v_mov_b32_e32 v21, 0
	v_mov_b32_e32 v11, 2
	s_waitcnt lgkmcnt(0)
	global_store_dwordx2 v21, v[10:11], s[30:31] offset:512
.LBB420_91:
	s_or_b64 exec, exec, s[2:3]
	v_cmp_eq_u32_e32 vcc, 0, v41
	s_waitcnt lgkmcnt(1)
	v_cndmask_b32_e32 v1, v20, v1, vcc
	v_cndmask_b32_e64 v42, v1, 0, s[0:1]
	v_add_u32_sdwa v40, v42, v18 dst_sel:DWORD dst_unused:UNUSED_PAD src0_sel:DWORD src1_sel:BYTE_0
	v_add_u32_sdwa v38, v40, v18 dst_sel:DWORD dst_unused:UNUSED_PAD src0_sel:DWORD src1_sel:BYTE_1
	v_add_u32_e32 v36, v38, v29
	v_add_u32_e32 v34, v36, v31
	;; [unrolled: 1-line block ×6, first 2 shown]
	v_mov_b32_e32 v20, 0
	v_add_u32_e32 v22, v24, v39
	s_waitcnt lgkmcnt(0)
	s_barrier
.LBB420_92:
	s_movk_i32 s2, 0x101
	v_cmp_gt_u32_e32 vcc, s2, v10
	v_lshrrev_b32_e32 v21, 8, v18
	v_lshrrev_b32_e32 v11, 8, v19
	;; [unrolled: 1-line block ×3, first 2 shown]
	s_mov_b64 s[2:3], -1
	s_cbranch_vccnz .LBB420_96
; %bb.93:
	s_and_b64 vcc, exec, s[2:3]
	s_cbranch_vccnz .LBB420_127
.LBB420_94:
	s_and_b64 s[0:1], s[0:1], s[22:23]
	s_and_saveexec_b64 s[2:3], s[0:1]
	s_cbranch_execnz .LBB420_163
.LBB420_95:
	s_endpgm
.LBB420_96:
	v_lshlrev_b64 v[44:45], 2, v[14:15]
	v_mov_b32_e32 v25, s29
	v_add_co_u32_e32 v27, vcc, s28, v44
	v_add_u32_e32 v23, v20, v10
	v_addc_co_u32_e32 v44, vcc, v25, v45, vcc
	v_cmp_lt_u32_e32 vcc, v42, v23
	s_or_b64 s[4:5], s[26:27], vcc
	s_and_saveexec_b64 s[2:3], s[4:5]
	s_cbranch_execz .LBB420_99
; %bb.97:
	v_and_b32_e32 v25, 1, v18
	v_cmp_eq_u32_e32 vcc, 1, v25
	s_and_b64 exec, exec, vcc
	s_cbranch_execz .LBB420_99
; %bb.98:
	v_mov_b32_e32 v43, 0
	v_lshlrev_b64 v[46:47], 2, v[42:43]
	v_add_co_u32_e32 v46, vcc, v27, v46
	v_addc_co_u32_e32 v47, vcc, v44, v47, vcc
	global_store_dword v[46:47], v6, off
.LBB420_99:
	s_or_b64 exec, exec, s[2:3]
	v_cmp_lt_u32_e32 vcc, v40, v23
	s_or_b64 s[4:5], s[26:27], vcc
	s_and_saveexec_b64 s[2:3], s[4:5]
	s_cbranch_execz .LBB420_102
; %bb.100:
	v_and_b32_e32 v25, 1, v21
	v_cmp_eq_u32_e32 vcc, 1, v25
	s_and_b64 exec, exec, vcc
	s_cbranch_execz .LBB420_102
; %bb.101:
	v_mov_b32_e32 v41, 0
	v_lshlrev_b64 v[46:47], 2, v[40:41]
	v_add_co_u32_e32 v46, vcc, v27, v46
	v_addc_co_u32_e32 v47, vcc, v44, v47, vcc
	global_store_dword v[46:47], v7, off
.LBB420_102:
	s_or_b64 exec, exec, s[2:3]
	v_cmp_lt_u32_e32 vcc, v38, v23
	s_or_b64 s[4:5], s[26:27], vcc
	s_and_saveexec_b64 s[2:3], s[4:5]
	s_cbranch_execz .LBB420_105
; %bb.103:
	v_mov_b32_e32 v25, 1
	v_and_b32_sdwa v25, v25, v18 dst_sel:DWORD dst_unused:UNUSED_PAD src0_sel:DWORD src1_sel:WORD_1
	v_cmp_eq_u32_e32 vcc, 1, v25
	s_and_b64 exec, exec, vcc
	s_cbranch_execz .LBB420_105
; %bb.104:
	v_mov_b32_e32 v39, 0
	v_lshlrev_b64 v[46:47], 2, v[38:39]
	v_add_co_u32_e32 v46, vcc, v27, v46
	v_addc_co_u32_e32 v47, vcc, v44, v47, vcc
	global_store_dword v[46:47], v8, off
.LBB420_105:
	s_or_b64 exec, exec, s[2:3]
	v_cmp_lt_u32_e32 vcc, v36, v23
	s_or_b64 s[4:5], s[26:27], vcc
	s_and_saveexec_b64 s[2:3], s[4:5]
	s_cbranch_execz .LBB420_108
; %bb.106:
	v_and_b32_e32 v25, 1, v26
	v_cmp_eq_u32_e32 vcc, 1, v25
	s_and_b64 exec, exec, vcc
	s_cbranch_execz .LBB420_108
; %bb.107:
	v_mov_b32_e32 v37, 0
	v_lshlrev_b64 v[46:47], 2, v[36:37]
	v_add_co_u32_e32 v46, vcc, v27, v46
	v_addc_co_u32_e32 v47, vcc, v44, v47, vcc
	global_store_dword v[46:47], v9, off
.LBB420_108:
	s_or_b64 exec, exec, s[2:3]
	v_cmp_lt_u32_e32 vcc, v34, v23
	s_or_b64 s[4:5], s[26:27], vcc
	s_and_saveexec_b64 s[2:3], s[4:5]
	s_cbranch_execz .LBB420_111
; %bb.109:
	v_and_b32_e32 v25, 1, v19
	v_cmp_eq_u32_e32 vcc, 1, v25
	s_and_b64 exec, exec, vcc
	s_cbranch_execz .LBB420_111
; %bb.110:
	v_mov_b32_e32 v35, 0
	v_lshlrev_b64 v[46:47], 2, v[34:35]
	v_add_co_u32_e32 v46, vcc, v27, v46
	v_addc_co_u32_e32 v47, vcc, v44, v47, vcc
	global_store_dword v[46:47], v2, off
.LBB420_111:
	s_or_b64 exec, exec, s[2:3]
	v_cmp_lt_u32_e32 vcc, v32, v23
	s_or_b64 s[4:5], s[26:27], vcc
	s_and_saveexec_b64 s[2:3], s[4:5]
	s_cbranch_execz .LBB420_114
; %bb.112:
	v_and_b32_e32 v25, 1, v11
	v_cmp_eq_u32_e32 vcc, 1, v25
	s_and_b64 exec, exec, vcc
	s_cbranch_execz .LBB420_114
; %bb.113:
	v_mov_b32_e32 v33, 0
	v_lshlrev_b64 v[46:47], 2, v[32:33]
	v_add_co_u32_e32 v46, vcc, v27, v46
	v_addc_co_u32_e32 v47, vcc, v44, v47, vcc
	global_store_dword v[46:47], v3, off
.LBB420_114:
	s_or_b64 exec, exec, s[2:3]
	v_cmp_lt_u32_e32 vcc, v30, v23
	s_or_b64 s[4:5], s[26:27], vcc
	s_and_saveexec_b64 s[2:3], s[4:5]
	s_cbranch_execz .LBB420_117
; %bb.115:
	v_mov_b32_e32 v25, 1
	v_and_b32_sdwa v25, v25, v19 dst_sel:DWORD dst_unused:UNUSED_PAD src0_sel:DWORD src1_sel:WORD_1
	v_cmp_eq_u32_e32 vcc, 1, v25
	s_and_b64 exec, exec, vcc
	s_cbranch_execz .LBB420_117
; %bb.116:
	v_mov_b32_e32 v31, 0
	v_lshlrev_b64 v[46:47], 2, v[30:31]
	v_add_co_u32_e32 v46, vcc, v27, v46
	v_addc_co_u32_e32 v47, vcc, v44, v47, vcc
	global_store_dword v[46:47], v4, off
.LBB420_117:
	s_or_b64 exec, exec, s[2:3]
	v_cmp_lt_u32_e32 vcc, v28, v23
	s_or_b64 s[4:5], s[26:27], vcc
	s_and_saveexec_b64 s[2:3], s[4:5]
	s_cbranch_execz .LBB420_120
; %bb.118:
	v_and_b32_e32 v25, 1, v13
	v_cmp_eq_u32_e32 vcc, 1, v25
	s_and_b64 exec, exec, vcc
	s_cbranch_execz .LBB420_120
; %bb.119:
	v_mov_b32_e32 v29, 0
	v_lshlrev_b64 v[46:47], 2, v[28:29]
	v_add_co_u32_e32 v46, vcc, v27, v46
	v_addc_co_u32_e32 v47, vcc, v44, v47, vcc
	global_store_dword v[46:47], v5, off
.LBB420_120:
	s_or_b64 exec, exec, s[2:3]
	v_cmp_lt_u32_e32 vcc, v24, v23
	s_or_b64 s[4:5], s[26:27], vcc
	s_and_saveexec_b64 s[2:3], s[4:5]
	s_cbranch_execz .LBB420_123
; %bb.121:
	v_and_b32_e32 v25, 1, v12
	v_cmp_eq_u32_e32 vcc, 1, v25
	s_and_b64 exec, exec, vcc
	s_cbranch_execz .LBB420_123
; %bb.122:
	v_mov_b32_e32 v25, 0
	v_lshlrev_b64 v[46:47], 2, v[24:25]
	v_add_co_u32_e32 v46, vcc, v27, v46
	v_addc_co_u32_e32 v47, vcc, v44, v47, vcc
	global_store_dword v[46:47], v16, off
.LBB420_123:
	;; [unrolled: 17-line block ×3, first 2 shown]
	s_or_b64 exec, exec, s[2:3]
	s_branch .LBB420_94
.LBB420_127:
	v_and_b32_e32 v23, 1, v18
	v_cmp_eq_u32_e32 vcc, 1, v23
	s_and_saveexec_b64 s[2:3], vcc
	s_cbranch_execz .LBB420_129
; %bb.128:
	v_sub_u32_e32 v23, v42, v20
	v_lshlrev_b32_e32 v23, 2, v23
	ds_write_b32 v23, v6
.LBB420_129:
	s_or_b64 exec, exec, s[2:3]
	v_and_b32_e32 v6, 1, v21
	v_cmp_eq_u32_e32 vcc, 1, v6
	s_and_saveexec_b64 s[2:3], vcc
	s_cbranch_execz .LBB420_131
; %bb.130:
	v_sub_u32_e32 v6, v40, v20
	v_lshlrev_b32_e32 v6, 2, v6
	ds_write_b32 v6, v7
.LBB420_131:
	s_or_b64 exec, exec, s[2:3]
	v_mov_b32_e32 v6, 1
	v_and_b32_sdwa v6, v6, v18 dst_sel:DWORD dst_unused:UNUSED_PAD src0_sel:DWORD src1_sel:WORD_1
	v_cmp_eq_u32_e32 vcc, 1, v6
	s_and_saveexec_b64 s[2:3], vcc
	s_cbranch_execz .LBB420_133
; %bb.132:
	v_sub_u32_e32 v6, v38, v20
	v_lshlrev_b32_e32 v6, 2, v6
	ds_write_b32 v6, v8
.LBB420_133:
	s_or_b64 exec, exec, s[2:3]
	v_and_b32_e32 v6, 1, v26
	v_cmp_eq_u32_e32 vcc, 1, v6
	s_and_saveexec_b64 s[2:3], vcc
	s_cbranch_execz .LBB420_135
; %bb.134:
	v_sub_u32_e32 v6, v36, v20
	v_lshlrev_b32_e32 v6, 2, v6
	ds_write_b32 v6, v9
.LBB420_135:
	s_or_b64 exec, exec, s[2:3]
	v_and_b32_e32 v6, 1, v19
	;; [unrolled: 10-line block ×3, first 2 shown]
	v_cmp_eq_u32_e32 vcc, 1, v2
	s_and_saveexec_b64 s[2:3], vcc
	s_cbranch_execz .LBB420_139
; %bb.138:
	v_sub_u32_e32 v2, v32, v20
	v_lshlrev_b32_e32 v2, 2, v2
	ds_write_b32 v2, v3
.LBB420_139:
	s_or_b64 exec, exec, s[2:3]
	v_mov_b32_e32 v2, 1
	v_and_b32_sdwa v2, v2, v19 dst_sel:DWORD dst_unused:UNUSED_PAD src0_sel:DWORD src1_sel:WORD_1
	v_cmp_eq_u32_e32 vcc, 1, v2
	s_and_saveexec_b64 s[2:3], vcc
	s_cbranch_execz .LBB420_141
; %bb.140:
	v_sub_u32_e32 v2, v30, v20
	v_lshlrev_b32_e32 v2, 2, v2
	ds_write_b32 v2, v4
.LBB420_141:
	s_or_b64 exec, exec, s[2:3]
	v_and_b32_e32 v2, 1, v13
	v_cmp_eq_u32_e32 vcc, 1, v2
	s_and_saveexec_b64 s[2:3], vcc
	s_cbranch_execz .LBB420_143
; %bb.142:
	v_sub_u32_e32 v2, v28, v20
	v_lshlrev_b32_e32 v2, 2, v2
	ds_write_b32 v2, v5
.LBB420_143:
	s_or_b64 exec, exec, s[2:3]
	v_and_b32_e32 v2, 1, v12
	;; [unrolled: 10-line block ×3, first 2 shown]
	v_cmp_eq_u32_e32 vcc, 1, v1
	s_and_saveexec_b64 s[2:3], vcc
	s_cbranch_execz .LBB420_147
; %bb.146:
	v_sub_u32_e32 v1, v22, v20
	v_lshlrev_b32_e32 v1, 2, v1
	ds_write_b32 v1, v17
.LBB420_147:
	s_or_b64 exec, exec, s[2:3]
	v_cmp_lt_u32_e32 vcc, v0, v10
	s_waitcnt lgkmcnt(0)
	s_barrier
	s_and_saveexec_b64 s[6:7], vcc
	s_cbranch_execz .LBB420_162
; %bb.148:
	v_lshlrev_b64 v[2:3], 2, v[14:15]
	v_mov_b32_e32 v21, 0
	v_mov_b32_e32 v1, s29
	v_add_co_u32_e32 v4, vcc, s28, v2
	v_addc_co_u32_e32 v1, vcc, v1, v3, vcc
	v_lshlrev_b64 v[2:3], 2, v[20:21]
	v_add_co_u32_e32 v6, vcc, v4, v2
	v_addc_co_u32_e32 v7, vcc, v1, v3, vcc
	v_xad_u32 v1, v0, -1, v10
	s_movk_i32 s2, 0x1700
	v_cmp_gt_u32_e32 vcc, s2, v1
	s_movk_i32 s2, 0x16ff
	v_cmp_lt_u32_e64 s[2:3], s2, v1
	s_and_saveexec_b64 s[8:9], s[2:3]
	s_cbranch_execz .LBB420_159
; %bb.149:
	v_sub_u32_e32 v2, v0, v10
	v_or_b32_e32 v2, 0xff, v2
	v_cmp_ge_u32_e64 s[2:3], v2, v0
	s_mov_b64 s[4:5], -1
	s_and_saveexec_b64 s[10:11], s[2:3]
	s_cbranch_execz .LBB420_158
; %bb.150:
	v_lshrrev_b32_e32 v8, 8, v1
	v_add_u32_e32 v2, -1, v8
	v_or_b32_e32 v1, 0x100, v0
	v_lshrrev_b32_e32 v3, 1, v2
	v_add_u32_e32 v11, 1, v3
	v_cmp_lt_u32_e64 s[2:3], 13, v2
	v_mov_b32_e32 v16, 0
	v_lshlrev_b32_e32 v9, 2, v0
	v_pk_mov_b32 v[2:3], v[0:1], v[0:1] op_sel:[0,1]
	s_and_saveexec_b64 s[12:13], s[2:3]
	s_cbranch_execz .LBB420_154
; %bb.151:
	v_and_b32_e32 v12, -8, v11
	s_mov_b32 s16, 0
	s_mov_b64 s[14:15], 0
	v_mov_b32_e32 v5, 0
	v_mov_b32_e32 v13, v9
	v_pk_mov_b32 v[2:3], v[0:1], v[0:1] op_sel:[0,1]
.LBB420_152:                            ; =>This Inner Loop Header: Depth=1
	v_mov_b32_e32 v4, v2
	v_add_u32_e32 v12, -8, v12
	v_lshlrev_b64 v[48:49], 2, v[4:5]
	v_mov_b32_e32 v4, v3
	ds_read2st64_b32 v[18:19], v13 offset1:4
	s_add_i32 s16, s16, 16
	v_cmp_eq_u32_e64 s[2:3], 0, v12
	v_lshlrev_b64 v[52:53], 2, v[4:5]
	v_add_u32_e32 v4, 0x200, v2
	s_or_b64 s[14:15], s[2:3], s[14:15]
	v_add_co_u32_e64 v52, s[2:3], v6, v52
	v_add_u32_e32 v16, 0x200, v3
	ds_read2st64_b32 v[22:23], v13 offset0:8 offset1:12
	v_mov_b32_e32 v17, v5
	ds_read2st64_b32 v[26:27], v13 offset0:16 offset1:20
	v_add_co_u32_e64 v48, s[4:5], v6, v48
	v_addc_co_u32_e64 v53, s[2:3], v7, v53, s[2:3]
	v_lshlrev_b64 v[54:55], 2, v[4:5]
	v_lshlrev_b64 v[50:51], 2, v[16:17]
	v_addc_co_u32_e64 v49, s[4:5], v7, v49, s[4:5]
	v_add_u32_e32 v4, 0x400, v2
	v_add_co_u32_e64 v54, s[2:3], v6, v54
	v_add_u32_e32 v24, 0x400, v3
	v_mov_b32_e32 v25, v5
	ds_read2st64_b32 v[30:31], v13 offset0:24 offset1:28
	v_add_co_u32_e64 v50, s[4:5], v6, v50
	v_addc_co_u32_e64 v55, s[2:3], v7, v55, s[2:3]
	v_lshlrev_b64 v[56:57], 2, v[4:5]
	ds_read2st64_b32 v[34:35], v13 offset0:32 offset1:36
	ds_read2st64_b32 v[38:39], v13 offset0:40 offset1:44
	;; [unrolled: 1-line block ×4, first 2 shown]
	v_lshlrev_b64 v[24:25], 2, v[24:25]
	v_addc_co_u32_e64 v51, s[4:5], v7, v51, s[4:5]
	v_add_u32_e32 v4, 0x600, v2
	s_waitcnt lgkmcnt(7)
	global_store_dword v[48:49], v18, off
	global_store_dword v[52:53], v19, off
	s_waitcnt lgkmcnt(6)
	global_store_dword v[54:55], v22, off
	global_store_dword v[50:51], v23, off
	v_add_co_u32_e64 v18, s[2:3], v6, v56
	v_add_u32_e32 v28, 0x600, v3
	v_mov_b32_e32 v29, v5
	v_add_co_u32_e64 v24, s[4:5], v6, v24
	v_addc_co_u32_e64 v19, s[2:3], v7, v57, s[2:3]
	v_lshlrev_b64 v[22:23], 2, v[4:5]
	v_lshlrev_b64 v[28:29], 2, v[28:29]
	v_addc_co_u32_e64 v25, s[4:5], v7, v25, s[4:5]
	v_add_u32_e32 v4, 0x800, v2
	s_waitcnt lgkmcnt(5)
	global_store_dword v[18:19], v26, off
	global_store_dword v[24:25], v27, off
	v_add_co_u32_e64 v18, s[2:3], v6, v22
	v_add_u32_e32 v32, 0x800, v3
	v_mov_b32_e32 v33, v5
	v_add_co_u32_e64 v28, s[4:5], v6, v28
	v_addc_co_u32_e64 v19, s[2:3], v7, v23, s[2:3]
	v_lshlrev_b64 v[22:23], 2, v[4:5]
	v_lshlrev_b64 v[32:33], 2, v[32:33]
	v_addc_co_u32_e64 v29, s[4:5], v7, v29, s[4:5]
	v_add_u32_e32 v4, 0xa00, v2
	;; [unrolled: 12-line block ×4, first 2 shown]
	s_waitcnt lgkmcnt(2)
	global_store_dword v[18:19], v38, off
	global_store_dword v[36:37], v39, off
	v_add_co_u32_e64 v18, s[2:3], v6, v22
	v_add_u32_e32 v44, 0xe00, v3
	v_mov_b32_e32 v45, v5
	v_add_co_u32_e64 v40, s[4:5], v6, v40
	v_addc_co_u32_e64 v19, s[2:3], v7, v23, s[2:3]
	v_lshlrev_b64 v[22:23], 2, v[4:5]
	v_lshlrev_b64 v[44:45], 2, v[44:45]
	v_addc_co_u32_e64 v41, s[4:5], v7, v41, s[4:5]
	s_waitcnt lgkmcnt(1)
	global_store_dword v[18:19], v42, off
	global_store_dword v[40:41], v43, off
	v_add_co_u32_e64 v18, s[2:3], v6, v22
	v_add_u32_e32 v13, 0x4000, v13
	v_add_u32_e32 v3, 0x1000, v3
	v_mov_b32_e32 v16, s16
	v_add_co_u32_e64 v44, s[4:5], v6, v44
	v_add_u32_e32 v2, 0x1000, v2
	v_addc_co_u32_e64 v19, s[2:3], v7, v23, s[2:3]
	v_addc_co_u32_e64 v45, s[4:5], v7, v45, s[4:5]
	s_waitcnt lgkmcnt(0)
	global_store_dword v[18:19], v46, off
	global_store_dword v[44:45], v47, off
	s_andn2_b64 exec, exec, s[14:15]
	s_cbranch_execnz .LBB420_152
; %bb.153:
	s_or_b64 exec, exec, s[14:15]
.LBB420_154:
	s_or_b64 exec, exec, s[12:13]
	v_and_b32_e32 v1, 7, v11
	v_cmp_ne_u32_e64 s[2:3], 0, v1
	s_and_saveexec_b64 s[12:13], s[2:3]
	s_cbranch_execz .LBB420_157
; %bb.155:
	v_lshl_or_b32 v9, v16, 10, v9
	s_mov_b64 s[14:15], 0
	v_mov_b32_e32 v5, 0
.LBB420_156:                            ; =>This Inner Loop Header: Depth=1
	ds_read2st64_b32 v[12:13], v9 offset1:4
	v_mov_b32_e32 v4, v2
	v_add_u32_e32 v1, -1, v1
	v_lshlrev_b64 v[16:17], 2, v[4:5]
	v_mov_b32_e32 v4, v3
	v_cmp_eq_u32_e64 s[2:3], 0, v1
	v_add_co_u32_e64 v16, s[4:5], v6, v16
	v_lshlrev_b64 v[18:19], 2, v[4:5]
	v_add_u32_e32 v2, 0x200, v2
	v_add_u32_e32 v9, 0x800, v9
	;; [unrolled: 1-line block ×3, first 2 shown]
	v_addc_co_u32_e64 v17, s[4:5], v7, v17, s[4:5]
	s_or_b64 s[14:15], s[2:3], s[14:15]
	v_add_co_u32_e64 v18, s[2:3], v6, v18
	v_addc_co_u32_e64 v19, s[2:3], v7, v19, s[2:3]
	s_waitcnt lgkmcnt(0)
	global_store_dword v[16:17], v12, off
	global_store_dword v[18:19], v13, off
	s_andn2_b64 exec, exec, s[14:15]
	s_cbranch_execnz .LBB420_156
.LBB420_157:
	s_or_b64 exec, exec, s[12:13]
	v_add_u32_e32 v1, 1, v8
	v_and_b32_e32 v2, 0x1fffffe, v1
	v_cmp_ne_u32_e64 s[2:3], v1, v2
	v_lshl_or_b32 v0, v2, 8, v0
	s_orn2_b64 s[4:5], s[2:3], exec
.LBB420_158:
	s_or_b64 exec, exec, s[10:11]
	s_andn2_b64 s[2:3], vcc, exec
	s_and_b64 s[4:5], s[4:5], exec
	s_or_b64 vcc, s[2:3], s[4:5]
.LBB420_159:
	s_or_b64 exec, exec, s[8:9]
	s_and_b64 exec, exec, vcc
	s_cbranch_execz .LBB420_162
; %bb.160:
	v_lshlrev_b32_e32 v2, 2, v0
	s_mov_b64 s[2:3], 0
	v_mov_b32_e32 v1, 0
.LBB420_161:                            ; =>This Inner Loop Header: Depth=1
	ds_read_b32 v3, v2
	v_lshlrev_b64 v[4:5], 2, v[0:1]
	v_add_co_u32_e32 v4, vcc, v6, v4
	v_add_u32_e32 v0, 0x100, v0
	v_addc_co_u32_e32 v5, vcc, v7, v5, vcc
	v_cmp_ge_u32_e32 vcc, v0, v10
	v_add_u32_e32 v2, 0x400, v2
	s_or_b64 s[2:3], vcc, s[2:3]
	s_waitcnt lgkmcnt(0)
	global_store_dword v[4:5], v3, off
	s_andn2_b64 exec, exec, s[2:3]
	s_cbranch_execnz .LBB420_161
.LBB420_162:
	s_or_b64 exec, exec, s[6:7]
	s_and_b64 s[0:1], s[0:1], s[22:23]
	s_and_saveexec_b64 s[2:3], s[0:1]
	s_cbranch_execz .LBB420_95
.LBB420_163:
	v_add_co_u32_e32 v0, vcc, v14, v10
	v_addc_co_u32_e32 v1, vcc, 0, v15, vcc
	v_add_co_u32_e32 v0, vcc, v0, v20
	v_mov_b32_e32 v2, 0
	v_addc_co_u32_e32 v1, vcc, 0, v1, vcc
	global_store_dwordx2 v2, v[0:1], s[24:25]
	s_endpgm
.LBB420_164:
	s_or_b64 exec, exec, s[6:7]
	s_and_saveexec_b64 s[2:3], s[38:39]
	s_cbranch_execnz .LBB420_48
	s_branch .LBB420_49
	.section	.rodata,"a",@progbits
	.p2align	6, 0x0
	.amdhsa_kernel _ZN7rocprim17ROCPRIM_400000_NS6detail17trampoline_kernelINS0_14default_configENS1_25partition_config_selectorILNS1_17partition_subalgoE8EiNS0_10empty_typeEbEEZZNS1_14partition_implILS5_8ELb0ES3_jPKiPS6_PKS6_NS0_5tupleIJPiS6_EEENSE_IJSB_SB_EEENS0_18inequality_wrapperIN6hipcub16HIPCUB_304000_NS8EqualityEEEPlJS6_EEE10hipError_tPvRmT3_T4_T5_T6_T7_T9_mT8_P12ihipStream_tbDpT10_ENKUlT_T0_E_clISt17integral_constantIbLb1EES17_EEDaS12_S13_EUlS12_E_NS1_11comp_targetILNS1_3genE4ELNS1_11target_archE910ELNS1_3gpuE8ELNS1_3repE0EEENS1_30default_config_static_selectorELNS0_4arch9wavefront6targetE1EEEvT1_
		.amdhsa_group_segment_fixed_size 10248
		.amdhsa_private_segment_fixed_size 0
		.amdhsa_kernarg_size 128
		.amdhsa_user_sgpr_count 6
		.amdhsa_user_sgpr_private_segment_buffer 1
		.amdhsa_user_sgpr_dispatch_ptr 0
		.amdhsa_user_sgpr_queue_ptr 0
		.amdhsa_user_sgpr_kernarg_segment_ptr 1
		.amdhsa_user_sgpr_dispatch_id 0
		.amdhsa_user_sgpr_flat_scratch_init 0
		.amdhsa_user_sgpr_kernarg_preload_length 0
		.amdhsa_user_sgpr_kernarg_preload_offset 0
		.amdhsa_user_sgpr_private_segment_size 0
		.amdhsa_uses_dynamic_stack 0
		.amdhsa_system_sgpr_private_segment_wavefront_offset 0
		.amdhsa_system_sgpr_workgroup_id_x 1
		.amdhsa_system_sgpr_workgroup_id_y 0
		.amdhsa_system_sgpr_workgroup_id_z 0
		.amdhsa_system_sgpr_workgroup_info 0
		.amdhsa_system_vgpr_workitem_id 0
		.amdhsa_next_free_vgpr 58
		.amdhsa_next_free_sgpr 41
		.amdhsa_accum_offset 60
		.amdhsa_reserve_vcc 1
		.amdhsa_reserve_flat_scratch 0
		.amdhsa_float_round_mode_32 0
		.amdhsa_float_round_mode_16_64 0
		.amdhsa_float_denorm_mode_32 3
		.amdhsa_float_denorm_mode_16_64 3
		.amdhsa_dx10_clamp 1
		.amdhsa_ieee_mode 1
		.amdhsa_fp16_overflow 0
		.amdhsa_tg_split 0
		.amdhsa_exception_fp_ieee_invalid_op 0
		.amdhsa_exception_fp_denorm_src 0
		.amdhsa_exception_fp_ieee_div_zero 0
		.amdhsa_exception_fp_ieee_overflow 0
		.amdhsa_exception_fp_ieee_underflow 0
		.amdhsa_exception_fp_ieee_inexact 0
		.amdhsa_exception_int_div_zero 0
	.end_amdhsa_kernel
	.section	.text._ZN7rocprim17ROCPRIM_400000_NS6detail17trampoline_kernelINS0_14default_configENS1_25partition_config_selectorILNS1_17partition_subalgoE8EiNS0_10empty_typeEbEEZZNS1_14partition_implILS5_8ELb0ES3_jPKiPS6_PKS6_NS0_5tupleIJPiS6_EEENSE_IJSB_SB_EEENS0_18inequality_wrapperIN6hipcub16HIPCUB_304000_NS8EqualityEEEPlJS6_EEE10hipError_tPvRmT3_T4_T5_T6_T7_T9_mT8_P12ihipStream_tbDpT10_ENKUlT_T0_E_clISt17integral_constantIbLb1EES17_EEDaS12_S13_EUlS12_E_NS1_11comp_targetILNS1_3genE4ELNS1_11target_archE910ELNS1_3gpuE8ELNS1_3repE0EEENS1_30default_config_static_selectorELNS0_4arch9wavefront6targetE1EEEvT1_,"axG",@progbits,_ZN7rocprim17ROCPRIM_400000_NS6detail17trampoline_kernelINS0_14default_configENS1_25partition_config_selectorILNS1_17partition_subalgoE8EiNS0_10empty_typeEbEEZZNS1_14partition_implILS5_8ELb0ES3_jPKiPS6_PKS6_NS0_5tupleIJPiS6_EEENSE_IJSB_SB_EEENS0_18inequality_wrapperIN6hipcub16HIPCUB_304000_NS8EqualityEEEPlJS6_EEE10hipError_tPvRmT3_T4_T5_T6_T7_T9_mT8_P12ihipStream_tbDpT10_ENKUlT_T0_E_clISt17integral_constantIbLb1EES17_EEDaS12_S13_EUlS12_E_NS1_11comp_targetILNS1_3genE4ELNS1_11target_archE910ELNS1_3gpuE8ELNS1_3repE0EEENS1_30default_config_static_selectorELNS0_4arch9wavefront6targetE1EEEvT1_,comdat
.Lfunc_end420:
	.size	_ZN7rocprim17ROCPRIM_400000_NS6detail17trampoline_kernelINS0_14default_configENS1_25partition_config_selectorILNS1_17partition_subalgoE8EiNS0_10empty_typeEbEEZZNS1_14partition_implILS5_8ELb0ES3_jPKiPS6_PKS6_NS0_5tupleIJPiS6_EEENSE_IJSB_SB_EEENS0_18inequality_wrapperIN6hipcub16HIPCUB_304000_NS8EqualityEEEPlJS6_EEE10hipError_tPvRmT3_T4_T5_T6_T7_T9_mT8_P12ihipStream_tbDpT10_ENKUlT_T0_E_clISt17integral_constantIbLb1EES17_EEDaS12_S13_EUlS12_E_NS1_11comp_targetILNS1_3genE4ELNS1_11target_archE910ELNS1_3gpuE8ELNS1_3repE0EEENS1_30default_config_static_selectorELNS0_4arch9wavefront6targetE1EEEvT1_, .Lfunc_end420-_ZN7rocprim17ROCPRIM_400000_NS6detail17trampoline_kernelINS0_14default_configENS1_25partition_config_selectorILNS1_17partition_subalgoE8EiNS0_10empty_typeEbEEZZNS1_14partition_implILS5_8ELb0ES3_jPKiPS6_PKS6_NS0_5tupleIJPiS6_EEENSE_IJSB_SB_EEENS0_18inequality_wrapperIN6hipcub16HIPCUB_304000_NS8EqualityEEEPlJS6_EEE10hipError_tPvRmT3_T4_T5_T6_T7_T9_mT8_P12ihipStream_tbDpT10_ENKUlT_T0_E_clISt17integral_constantIbLb1EES17_EEDaS12_S13_EUlS12_E_NS1_11comp_targetILNS1_3genE4ELNS1_11target_archE910ELNS1_3gpuE8ELNS1_3repE0EEENS1_30default_config_static_selectorELNS0_4arch9wavefront6targetE1EEEvT1_
                                        ; -- End function
	.section	.AMDGPU.csdata,"",@progbits
; Kernel info:
; codeLenInByte = 7548
; NumSgprs: 45
; NumVgprs: 58
; NumAgprs: 0
; TotalNumVgprs: 58
; ScratchSize: 0
; MemoryBound: 0
; FloatMode: 240
; IeeeMode: 1
; LDSByteSize: 10248 bytes/workgroup (compile time only)
; SGPRBlocks: 5
; VGPRBlocks: 7
; NumSGPRsForWavesPerEU: 45
; NumVGPRsForWavesPerEU: 58
; AccumOffset: 60
; Occupancy: 6
; WaveLimiterHint : 1
; COMPUTE_PGM_RSRC2:SCRATCH_EN: 0
; COMPUTE_PGM_RSRC2:USER_SGPR: 6
; COMPUTE_PGM_RSRC2:TRAP_HANDLER: 0
; COMPUTE_PGM_RSRC2:TGID_X_EN: 1
; COMPUTE_PGM_RSRC2:TGID_Y_EN: 0
; COMPUTE_PGM_RSRC2:TGID_Z_EN: 0
; COMPUTE_PGM_RSRC2:TIDIG_COMP_CNT: 0
; COMPUTE_PGM_RSRC3_GFX90A:ACCUM_OFFSET: 14
; COMPUTE_PGM_RSRC3_GFX90A:TG_SPLIT: 0
	.section	.text._ZN7rocprim17ROCPRIM_400000_NS6detail17trampoline_kernelINS0_14default_configENS1_25partition_config_selectorILNS1_17partition_subalgoE8EiNS0_10empty_typeEbEEZZNS1_14partition_implILS5_8ELb0ES3_jPKiPS6_PKS6_NS0_5tupleIJPiS6_EEENSE_IJSB_SB_EEENS0_18inequality_wrapperIN6hipcub16HIPCUB_304000_NS8EqualityEEEPlJS6_EEE10hipError_tPvRmT3_T4_T5_T6_T7_T9_mT8_P12ihipStream_tbDpT10_ENKUlT_T0_E_clISt17integral_constantIbLb1EES17_EEDaS12_S13_EUlS12_E_NS1_11comp_targetILNS1_3genE3ELNS1_11target_archE908ELNS1_3gpuE7ELNS1_3repE0EEENS1_30default_config_static_selectorELNS0_4arch9wavefront6targetE1EEEvT1_,"axG",@progbits,_ZN7rocprim17ROCPRIM_400000_NS6detail17trampoline_kernelINS0_14default_configENS1_25partition_config_selectorILNS1_17partition_subalgoE8EiNS0_10empty_typeEbEEZZNS1_14partition_implILS5_8ELb0ES3_jPKiPS6_PKS6_NS0_5tupleIJPiS6_EEENSE_IJSB_SB_EEENS0_18inequality_wrapperIN6hipcub16HIPCUB_304000_NS8EqualityEEEPlJS6_EEE10hipError_tPvRmT3_T4_T5_T6_T7_T9_mT8_P12ihipStream_tbDpT10_ENKUlT_T0_E_clISt17integral_constantIbLb1EES17_EEDaS12_S13_EUlS12_E_NS1_11comp_targetILNS1_3genE3ELNS1_11target_archE908ELNS1_3gpuE7ELNS1_3repE0EEENS1_30default_config_static_selectorELNS0_4arch9wavefront6targetE1EEEvT1_,comdat
	.protected	_ZN7rocprim17ROCPRIM_400000_NS6detail17trampoline_kernelINS0_14default_configENS1_25partition_config_selectorILNS1_17partition_subalgoE8EiNS0_10empty_typeEbEEZZNS1_14partition_implILS5_8ELb0ES3_jPKiPS6_PKS6_NS0_5tupleIJPiS6_EEENSE_IJSB_SB_EEENS0_18inequality_wrapperIN6hipcub16HIPCUB_304000_NS8EqualityEEEPlJS6_EEE10hipError_tPvRmT3_T4_T5_T6_T7_T9_mT8_P12ihipStream_tbDpT10_ENKUlT_T0_E_clISt17integral_constantIbLb1EES17_EEDaS12_S13_EUlS12_E_NS1_11comp_targetILNS1_3genE3ELNS1_11target_archE908ELNS1_3gpuE7ELNS1_3repE0EEENS1_30default_config_static_selectorELNS0_4arch9wavefront6targetE1EEEvT1_ ; -- Begin function _ZN7rocprim17ROCPRIM_400000_NS6detail17trampoline_kernelINS0_14default_configENS1_25partition_config_selectorILNS1_17partition_subalgoE8EiNS0_10empty_typeEbEEZZNS1_14partition_implILS5_8ELb0ES3_jPKiPS6_PKS6_NS0_5tupleIJPiS6_EEENSE_IJSB_SB_EEENS0_18inequality_wrapperIN6hipcub16HIPCUB_304000_NS8EqualityEEEPlJS6_EEE10hipError_tPvRmT3_T4_T5_T6_T7_T9_mT8_P12ihipStream_tbDpT10_ENKUlT_T0_E_clISt17integral_constantIbLb1EES17_EEDaS12_S13_EUlS12_E_NS1_11comp_targetILNS1_3genE3ELNS1_11target_archE908ELNS1_3gpuE7ELNS1_3repE0EEENS1_30default_config_static_selectorELNS0_4arch9wavefront6targetE1EEEvT1_
	.globl	_ZN7rocprim17ROCPRIM_400000_NS6detail17trampoline_kernelINS0_14default_configENS1_25partition_config_selectorILNS1_17partition_subalgoE8EiNS0_10empty_typeEbEEZZNS1_14partition_implILS5_8ELb0ES3_jPKiPS6_PKS6_NS0_5tupleIJPiS6_EEENSE_IJSB_SB_EEENS0_18inequality_wrapperIN6hipcub16HIPCUB_304000_NS8EqualityEEEPlJS6_EEE10hipError_tPvRmT3_T4_T5_T6_T7_T9_mT8_P12ihipStream_tbDpT10_ENKUlT_T0_E_clISt17integral_constantIbLb1EES17_EEDaS12_S13_EUlS12_E_NS1_11comp_targetILNS1_3genE3ELNS1_11target_archE908ELNS1_3gpuE7ELNS1_3repE0EEENS1_30default_config_static_selectorELNS0_4arch9wavefront6targetE1EEEvT1_
	.p2align	8
	.type	_ZN7rocprim17ROCPRIM_400000_NS6detail17trampoline_kernelINS0_14default_configENS1_25partition_config_selectorILNS1_17partition_subalgoE8EiNS0_10empty_typeEbEEZZNS1_14partition_implILS5_8ELb0ES3_jPKiPS6_PKS6_NS0_5tupleIJPiS6_EEENSE_IJSB_SB_EEENS0_18inequality_wrapperIN6hipcub16HIPCUB_304000_NS8EqualityEEEPlJS6_EEE10hipError_tPvRmT3_T4_T5_T6_T7_T9_mT8_P12ihipStream_tbDpT10_ENKUlT_T0_E_clISt17integral_constantIbLb1EES17_EEDaS12_S13_EUlS12_E_NS1_11comp_targetILNS1_3genE3ELNS1_11target_archE908ELNS1_3gpuE7ELNS1_3repE0EEENS1_30default_config_static_selectorELNS0_4arch9wavefront6targetE1EEEvT1_,@function
_ZN7rocprim17ROCPRIM_400000_NS6detail17trampoline_kernelINS0_14default_configENS1_25partition_config_selectorILNS1_17partition_subalgoE8EiNS0_10empty_typeEbEEZZNS1_14partition_implILS5_8ELb0ES3_jPKiPS6_PKS6_NS0_5tupleIJPiS6_EEENSE_IJSB_SB_EEENS0_18inequality_wrapperIN6hipcub16HIPCUB_304000_NS8EqualityEEEPlJS6_EEE10hipError_tPvRmT3_T4_T5_T6_T7_T9_mT8_P12ihipStream_tbDpT10_ENKUlT_T0_E_clISt17integral_constantIbLb1EES17_EEDaS12_S13_EUlS12_E_NS1_11comp_targetILNS1_3genE3ELNS1_11target_archE908ELNS1_3gpuE7ELNS1_3repE0EEENS1_30default_config_static_selectorELNS0_4arch9wavefront6targetE1EEEvT1_: ; @_ZN7rocprim17ROCPRIM_400000_NS6detail17trampoline_kernelINS0_14default_configENS1_25partition_config_selectorILNS1_17partition_subalgoE8EiNS0_10empty_typeEbEEZZNS1_14partition_implILS5_8ELb0ES3_jPKiPS6_PKS6_NS0_5tupleIJPiS6_EEENSE_IJSB_SB_EEENS0_18inequality_wrapperIN6hipcub16HIPCUB_304000_NS8EqualityEEEPlJS6_EEE10hipError_tPvRmT3_T4_T5_T6_T7_T9_mT8_P12ihipStream_tbDpT10_ENKUlT_T0_E_clISt17integral_constantIbLb1EES17_EEDaS12_S13_EUlS12_E_NS1_11comp_targetILNS1_3genE3ELNS1_11target_archE908ELNS1_3gpuE7ELNS1_3repE0EEENS1_30default_config_static_selectorELNS0_4arch9wavefront6targetE1EEEvT1_
; %bb.0:
	.section	.rodata,"a",@progbits
	.p2align	6, 0x0
	.amdhsa_kernel _ZN7rocprim17ROCPRIM_400000_NS6detail17trampoline_kernelINS0_14default_configENS1_25partition_config_selectorILNS1_17partition_subalgoE8EiNS0_10empty_typeEbEEZZNS1_14partition_implILS5_8ELb0ES3_jPKiPS6_PKS6_NS0_5tupleIJPiS6_EEENSE_IJSB_SB_EEENS0_18inequality_wrapperIN6hipcub16HIPCUB_304000_NS8EqualityEEEPlJS6_EEE10hipError_tPvRmT3_T4_T5_T6_T7_T9_mT8_P12ihipStream_tbDpT10_ENKUlT_T0_E_clISt17integral_constantIbLb1EES17_EEDaS12_S13_EUlS12_E_NS1_11comp_targetILNS1_3genE3ELNS1_11target_archE908ELNS1_3gpuE7ELNS1_3repE0EEENS1_30default_config_static_selectorELNS0_4arch9wavefront6targetE1EEEvT1_
		.amdhsa_group_segment_fixed_size 0
		.amdhsa_private_segment_fixed_size 0
		.amdhsa_kernarg_size 128
		.amdhsa_user_sgpr_count 6
		.amdhsa_user_sgpr_private_segment_buffer 1
		.amdhsa_user_sgpr_dispatch_ptr 0
		.amdhsa_user_sgpr_queue_ptr 0
		.amdhsa_user_sgpr_kernarg_segment_ptr 1
		.amdhsa_user_sgpr_dispatch_id 0
		.amdhsa_user_sgpr_flat_scratch_init 0
		.amdhsa_user_sgpr_kernarg_preload_length 0
		.amdhsa_user_sgpr_kernarg_preload_offset 0
		.amdhsa_user_sgpr_private_segment_size 0
		.amdhsa_uses_dynamic_stack 0
		.amdhsa_system_sgpr_private_segment_wavefront_offset 0
		.amdhsa_system_sgpr_workgroup_id_x 1
		.amdhsa_system_sgpr_workgroup_id_y 0
		.amdhsa_system_sgpr_workgroup_id_z 0
		.amdhsa_system_sgpr_workgroup_info 0
		.amdhsa_system_vgpr_workitem_id 0
		.amdhsa_next_free_vgpr 1
		.amdhsa_next_free_sgpr 0
		.amdhsa_accum_offset 4
		.amdhsa_reserve_vcc 0
		.amdhsa_reserve_flat_scratch 0
		.amdhsa_float_round_mode_32 0
		.amdhsa_float_round_mode_16_64 0
		.amdhsa_float_denorm_mode_32 3
		.amdhsa_float_denorm_mode_16_64 3
		.amdhsa_dx10_clamp 1
		.amdhsa_ieee_mode 1
		.amdhsa_fp16_overflow 0
		.amdhsa_tg_split 0
		.amdhsa_exception_fp_ieee_invalid_op 0
		.amdhsa_exception_fp_denorm_src 0
		.amdhsa_exception_fp_ieee_div_zero 0
		.amdhsa_exception_fp_ieee_overflow 0
		.amdhsa_exception_fp_ieee_underflow 0
		.amdhsa_exception_fp_ieee_inexact 0
		.amdhsa_exception_int_div_zero 0
	.end_amdhsa_kernel
	.section	.text._ZN7rocprim17ROCPRIM_400000_NS6detail17trampoline_kernelINS0_14default_configENS1_25partition_config_selectorILNS1_17partition_subalgoE8EiNS0_10empty_typeEbEEZZNS1_14partition_implILS5_8ELb0ES3_jPKiPS6_PKS6_NS0_5tupleIJPiS6_EEENSE_IJSB_SB_EEENS0_18inequality_wrapperIN6hipcub16HIPCUB_304000_NS8EqualityEEEPlJS6_EEE10hipError_tPvRmT3_T4_T5_T6_T7_T9_mT8_P12ihipStream_tbDpT10_ENKUlT_T0_E_clISt17integral_constantIbLb1EES17_EEDaS12_S13_EUlS12_E_NS1_11comp_targetILNS1_3genE3ELNS1_11target_archE908ELNS1_3gpuE7ELNS1_3repE0EEENS1_30default_config_static_selectorELNS0_4arch9wavefront6targetE1EEEvT1_,"axG",@progbits,_ZN7rocprim17ROCPRIM_400000_NS6detail17trampoline_kernelINS0_14default_configENS1_25partition_config_selectorILNS1_17partition_subalgoE8EiNS0_10empty_typeEbEEZZNS1_14partition_implILS5_8ELb0ES3_jPKiPS6_PKS6_NS0_5tupleIJPiS6_EEENSE_IJSB_SB_EEENS0_18inequality_wrapperIN6hipcub16HIPCUB_304000_NS8EqualityEEEPlJS6_EEE10hipError_tPvRmT3_T4_T5_T6_T7_T9_mT8_P12ihipStream_tbDpT10_ENKUlT_T0_E_clISt17integral_constantIbLb1EES17_EEDaS12_S13_EUlS12_E_NS1_11comp_targetILNS1_3genE3ELNS1_11target_archE908ELNS1_3gpuE7ELNS1_3repE0EEENS1_30default_config_static_selectorELNS0_4arch9wavefront6targetE1EEEvT1_,comdat
.Lfunc_end421:
	.size	_ZN7rocprim17ROCPRIM_400000_NS6detail17trampoline_kernelINS0_14default_configENS1_25partition_config_selectorILNS1_17partition_subalgoE8EiNS0_10empty_typeEbEEZZNS1_14partition_implILS5_8ELb0ES3_jPKiPS6_PKS6_NS0_5tupleIJPiS6_EEENSE_IJSB_SB_EEENS0_18inequality_wrapperIN6hipcub16HIPCUB_304000_NS8EqualityEEEPlJS6_EEE10hipError_tPvRmT3_T4_T5_T6_T7_T9_mT8_P12ihipStream_tbDpT10_ENKUlT_T0_E_clISt17integral_constantIbLb1EES17_EEDaS12_S13_EUlS12_E_NS1_11comp_targetILNS1_3genE3ELNS1_11target_archE908ELNS1_3gpuE7ELNS1_3repE0EEENS1_30default_config_static_selectorELNS0_4arch9wavefront6targetE1EEEvT1_, .Lfunc_end421-_ZN7rocprim17ROCPRIM_400000_NS6detail17trampoline_kernelINS0_14default_configENS1_25partition_config_selectorILNS1_17partition_subalgoE8EiNS0_10empty_typeEbEEZZNS1_14partition_implILS5_8ELb0ES3_jPKiPS6_PKS6_NS0_5tupleIJPiS6_EEENSE_IJSB_SB_EEENS0_18inequality_wrapperIN6hipcub16HIPCUB_304000_NS8EqualityEEEPlJS6_EEE10hipError_tPvRmT3_T4_T5_T6_T7_T9_mT8_P12ihipStream_tbDpT10_ENKUlT_T0_E_clISt17integral_constantIbLb1EES17_EEDaS12_S13_EUlS12_E_NS1_11comp_targetILNS1_3genE3ELNS1_11target_archE908ELNS1_3gpuE7ELNS1_3repE0EEENS1_30default_config_static_selectorELNS0_4arch9wavefront6targetE1EEEvT1_
                                        ; -- End function
	.section	.AMDGPU.csdata,"",@progbits
; Kernel info:
; codeLenInByte = 0
; NumSgprs: 4
; NumVgprs: 0
; NumAgprs: 0
; TotalNumVgprs: 0
; ScratchSize: 0
; MemoryBound: 0
; FloatMode: 240
; IeeeMode: 1
; LDSByteSize: 0 bytes/workgroup (compile time only)
; SGPRBlocks: 0
; VGPRBlocks: 0
; NumSGPRsForWavesPerEU: 4
; NumVGPRsForWavesPerEU: 1
; AccumOffset: 4
; Occupancy: 8
; WaveLimiterHint : 0
; COMPUTE_PGM_RSRC2:SCRATCH_EN: 0
; COMPUTE_PGM_RSRC2:USER_SGPR: 6
; COMPUTE_PGM_RSRC2:TRAP_HANDLER: 0
; COMPUTE_PGM_RSRC2:TGID_X_EN: 1
; COMPUTE_PGM_RSRC2:TGID_Y_EN: 0
; COMPUTE_PGM_RSRC2:TGID_Z_EN: 0
; COMPUTE_PGM_RSRC2:TIDIG_COMP_CNT: 0
; COMPUTE_PGM_RSRC3_GFX90A:ACCUM_OFFSET: 0
; COMPUTE_PGM_RSRC3_GFX90A:TG_SPLIT: 0
	.section	.text._ZN7rocprim17ROCPRIM_400000_NS6detail17trampoline_kernelINS0_14default_configENS1_25partition_config_selectorILNS1_17partition_subalgoE8EiNS0_10empty_typeEbEEZZNS1_14partition_implILS5_8ELb0ES3_jPKiPS6_PKS6_NS0_5tupleIJPiS6_EEENSE_IJSB_SB_EEENS0_18inequality_wrapperIN6hipcub16HIPCUB_304000_NS8EqualityEEEPlJS6_EEE10hipError_tPvRmT3_T4_T5_T6_T7_T9_mT8_P12ihipStream_tbDpT10_ENKUlT_T0_E_clISt17integral_constantIbLb1EES17_EEDaS12_S13_EUlS12_E_NS1_11comp_targetILNS1_3genE2ELNS1_11target_archE906ELNS1_3gpuE6ELNS1_3repE0EEENS1_30default_config_static_selectorELNS0_4arch9wavefront6targetE1EEEvT1_,"axG",@progbits,_ZN7rocprim17ROCPRIM_400000_NS6detail17trampoline_kernelINS0_14default_configENS1_25partition_config_selectorILNS1_17partition_subalgoE8EiNS0_10empty_typeEbEEZZNS1_14partition_implILS5_8ELb0ES3_jPKiPS6_PKS6_NS0_5tupleIJPiS6_EEENSE_IJSB_SB_EEENS0_18inequality_wrapperIN6hipcub16HIPCUB_304000_NS8EqualityEEEPlJS6_EEE10hipError_tPvRmT3_T4_T5_T6_T7_T9_mT8_P12ihipStream_tbDpT10_ENKUlT_T0_E_clISt17integral_constantIbLb1EES17_EEDaS12_S13_EUlS12_E_NS1_11comp_targetILNS1_3genE2ELNS1_11target_archE906ELNS1_3gpuE6ELNS1_3repE0EEENS1_30default_config_static_selectorELNS0_4arch9wavefront6targetE1EEEvT1_,comdat
	.protected	_ZN7rocprim17ROCPRIM_400000_NS6detail17trampoline_kernelINS0_14default_configENS1_25partition_config_selectorILNS1_17partition_subalgoE8EiNS0_10empty_typeEbEEZZNS1_14partition_implILS5_8ELb0ES3_jPKiPS6_PKS6_NS0_5tupleIJPiS6_EEENSE_IJSB_SB_EEENS0_18inequality_wrapperIN6hipcub16HIPCUB_304000_NS8EqualityEEEPlJS6_EEE10hipError_tPvRmT3_T4_T5_T6_T7_T9_mT8_P12ihipStream_tbDpT10_ENKUlT_T0_E_clISt17integral_constantIbLb1EES17_EEDaS12_S13_EUlS12_E_NS1_11comp_targetILNS1_3genE2ELNS1_11target_archE906ELNS1_3gpuE6ELNS1_3repE0EEENS1_30default_config_static_selectorELNS0_4arch9wavefront6targetE1EEEvT1_ ; -- Begin function _ZN7rocprim17ROCPRIM_400000_NS6detail17trampoline_kernelINS0_14default_configENS1_25partition_config_selectorILNS1_17partition_subalgoE8EiNS0_10empty_typeEbEEZZNS1_14partition_implILS5_8ELb0ES3_jPKiPS6_PKS6_NS0_5tupleIJPiS6_EEENSE_IJSB_SB_EEENS0_18inequality_wrapperIN6hipcub16HIPCUB_304000_NS8EqualityEEEPlJS6_EEE10hipError_tPvRmT3_T4_T5_T6_T7_T9_mT8_P12ihipStream_tbDpT10_ENKUlT_T0_E_clISt17integral_constantIbLb1EES17_EEDaS12_S13_EUlS12_E_NS1_11comp_targetILNS1_3genE2ELNS1_11target_archE906ELNS1_3gpuE6ELNS1_3repE0EEENS1_30default_config_static_selectorELNS0_4arch9wavefront6targetE1EEEvT1_
	.globl	_ZN7rocprim17ROCPRIM_400000_NS6detail17trampoline_kernelINS0_14default_configENS1_25partition_config_selectorILNS1_17partition_subalgoE8EiNS0_10empty_typeEbEEZZNS1_14partition_implILS5_8ELb0ES3_jPKiPS6_PKS6_NS0_5tupleIJPiS6_EEENSE_IJSB_SB_EEENS0_18inequality_wrapperIN6hipcub16HIPCUB_304000_NS8EqualityEEEPlJS6_EEE10hipError_tPvRmT3_T4_T5_T6_T7_T9_mT8_P12ihipStream_tbDpT10_ENKUlT_T0_E_clISt17integral_constantIbLb1EES17_EEDaS12_S13_EUlS12_E_NS1_11comp_targetILNS1_3genE2ELNS1_11target_archE906ELNS1_3gpuE6ELNS1_3repE0EEENS1_30default_config_static_selectorELNS0_4arch9wavefront6targetE1EEEvT1_
	.p2align	8
	.type	_ZN7rocprim17ROCPRIM_400000_NS6detail17trampoline_kernelINS0_14default_configENS1_25partition_config_selectorILNS1_17partition_subalgoE8EiNS0_10empty_typeEbEEZZNS1_14partition_implILS5_8ELb0ES3_jPKiPS6_PKS6_NS0_5tupleIJPiS6_EEENSE_IJSB_SB_EEENS0_18inequality_wrapperIN6hipcub16HIPCUB_304000_NS8EqualityEEEPlJS6_EEE10hipError_tPvRmT3_T4_T5_T6_T7_T9_mT8_P12ihipStream_tbDpT10_ENKUlT_T0_E_clISt17integral_constantIbLb1EES17_EEDaS12_S13_EUlS12_E_NS1_11comp_targetILNS1_3genE2ELNS1_11target_archE906ELNS1_3gpuE6ELNS1_3repE0EEENS1_30default_config_static_selectorELNS0_4arch9wavefront6targetE1EEEvT1_,@function
_ZN7rocprim17ROCPRIM_400000_NS6detail17trampoline_kernelINS0_14default_configENS1_25partition_config_selectorILNS1_17partition_subalgoE8EiNS0_10empty_typeEbEEZZNS1_14partition_implILS5_8ELb0ES3_jPKiPS6_PKS6_NS0_5tupleIJPiS6_EEENSE_IJSB_SB_EEENS0_18inequality_wrapperIN6hipcub16HIPCUB_304000_NS8EqualityEEEPlJS6_EEE10hipError_tPvRmT3_T4_T5_T6_T7_T9_mT8_P12ihipStream_tbDpT10_ENKUlT_T0_E_clISt17integral_constantIbLb1EES17_EEDaS12_S13_EUlS12_E_NS1_11comp_targetILNS1_3genE2ELNS1_11target_archE906ELNS1_3gpuE6ELNS1_3repE0EEENS1_30default_config_static_selectorELNS0_4arch9wavefront6targetE1EEEvT1_: ; @_ZN7rocprim17ROCPRIM_400000_NS6detail17trampoline_kernelINS0_14default_configENS1_25partition_config_selectorILNS1_17partition_subalgoE8EiNS0_10empty_typeEbEEZZNS1_14partition_implILS5_8ELb0ES3_jPKiPS6_PKS6_NS0_5tupleIJPiS6_EEENSE_IJSB_SB_EEENS0_18inequality_wrapperIN6hipcub16HIPCUB_304000_NS8EqualityEEEPlJS6_EEE10hipError_tPvRmT3_T4_T5_T6_T7_T9_mT8_P12ihipStream_tbDpT10_ENKUlT_T0_E_clISt17integral_constantIbLb1EES17_EEDaS12_S13_EUlS12_E_NS1_11comp_targetILNS1_3genE2ELNS1_11target_archE906ELNS1_3gpuE6ELNS1_3repE0EEENS1_30default_config_static_selectorELNS0_4arch9wavefront6targetE1EEEvT1_
; %bb.0:
	.section	.rodata,"a",@progbits
	.p2align	6, 0x0
	.amdhsa_kernel _ZN7rocprim17ROCPRIM_400000_NS6detail17trampoline_kernelINS0_14default_configENS1_25partition_config_selectorILNS1_17partition_subalgoE8EiNS0_10empty_typeEbEEZZNS1_14partition_implILS5_8ELb0ES3_jPKiPS6_PKS6_NS0_5tupleIJPiS6_EEENSE_IJSB_SB_EEENS0_18inequality_wrapperIN6hipcub16HIPCUB_304000_NS8EqualityEEEPlJS6_EEE10hipError_tPvRmT3_T4_T5_T6_T7_T9_mT8_P12ihipStream_tbDpT10_ENKUlT_T0_E_clISt17integral_constantIbLb1EES17_EEDaS12_S13_EUlS12_E_NS1_11comp_targetILNS1_3genE2ELNS1_11target_archE906ELNS1_3gpuE6ELNS1_3repE0EEENS1_30default_config_static_selectorELNS0_4arch9wavefront6targetE1EEEvT1_
		.amdhsa_group_segment_fixed_size 0
		.amdhsa_private_segment_fixed_size 0
		.amdhsa_kernarg_size 128
		.amdhsa_user_sgpr_count 6
		.amdhsa_user_sgpr_private_segment_buffer 1
		.amdhsa_user_sgpr_dispatch_ptr 0
		.amdhsa_user_sgpr_queue_ptr 0
		.amdhsa_user_sgpr_kernarg_segment_ptr 1
		.amdhsa_user_sgpr_dispatch_id 0
		.amdhsa_user_sgpr_flat_scratch_init 0
		.amdhsa_user_sgpr_kernarg_preload_length 0
		.amdhsa_user_sgpr_kernarg_preload_offset 0
		.amdhsa_user_sgpr_private_segment_size 0
		.amdhsa_uses_dynamic_stack 0
		.amdhsa_system_sgpr_private_segment_wavefront_offset 0
		.amdhsa_system_sgpr_workgroup_id_x 1
		.amdhsa_system_sgpr_workgroup_id_y 0
		.amdhsa_system_sgpr_workgroup_id_z 0
		.amdhsa_system_sgpr_workgroup_info 0
		.amdhsa_system_vgpr_workitem_id 0
		.amdhsa_next_free_vgpr 1
		.amdhsa_next_free_sgpr 0
		.amdhsa_accum_offset 4
		.amdhsa_reserve_vcc 0
		.amdhsa_reserve_flat_scratch 0
		.amdhsa_float_round_mode_32 0
		.amdhsa_float_round_mode_16_64 0
		.amdhsa_float_denorm_mode_32 3
		.amdhsa_float_denorm_mode_16_64 3
		.amdhsa_dx10_clamp 1
		.amdhsa_ieee_mode 1
		.amdhsa_fp16_overflow 0
		.amdhsa_tg_split 0
		.amdhsa_exception_fp_ieee_invalid_op 0
		.amdhsa_exception_fp_denorm_src 0
		.amdhsa_exception_fp_ieee_div_zero 0
		.amdhsa_exception_fp_ieee_overflow 0
		.amdhsa_exception_fp_ieee_underflow 0
		.amdhsa_exception_fp_ieee_inexact 0
		.amdhsa_exception_int_div_zero 0
	.end_amdhsa_kernel
	.section	.text._ZN7rocprim17ROCPRIM_400000_NS6detail17trampoline_kernelINS0_14default_configENS1_25partition_config_selectorILNS1_17partition_subalgoE8EiNS0_10empty_typeEbEEZZNS1_14partition_implILS5_8ELb0ES3_jPKiPS6_PKS6_NS0_5tupleIJPiS6_EEENSE_IJSB_SB_EEENS0_18inequality_wrapperIN6hipcub16HIPCUB_304000_NS8EqualityEEEPlJS6_EEE10hipError_tPvRmT3_T4_T5_T6_T7_T9_mT8_P12ihipStream_tbDpT10_ENKUlT_T0_E_clISt17integral_constantIbLb1EES17_EEDaS12_S13_EUlS12_E_NS1_11comp_targetILNS1_3genE2ELNS1_11target_archE906ELNS1_3gpuE6ELNS1_3repE0EEENS1_30default_config_static_selectorELNS0_4arch9wavefront6targetE1EEEvT1_,"axG",@progbits,_ZN7rocprim17ROCPRIM_400000_NS6detail17trampoline_kernelINS0_14default_configENS1_25partition_config_selectorILNS1_17partition_subalgoE8EiNS0_10empty_typeEbEEZZNS1_14partition_implILS5_8ELb0ES3_jPKiPS6_PKS6_NS0_5tupleIJPiS6_EEENSE_IJSB_SB_EEENS0_18inequality_wrapperIN6hipcub16HIPCUB_304000_NS8EqualityEEEPlJS6_EEE10hipError_tPvRmT3_T4_T5_T6_T7_T9_mT8_P12ihipStream_tbDpT10_ENKUlT_T0_E_clISt17integral_constantIbLb1EES17_EEDaS12_S13_EUlS12_E_NS1_11comp_targetILNS1_3genE2ELNS1_11target_archE906ELNS1_3gpuE6ELNS1_3repE0EEENS1_30default_config_static_selectorELNS0_4arch9wavefront6targetE1EEEvT1_,comdat
.Lfunc_end422:
	.size	_ZN7rocprim17ROCPRIM_400000_NS6detail17trampoline_kernelINS0_14default_configENS1_25partition_config_selectorILNS1_17partition_subalgoE8EiNS0_10empty_typeEbEEZZNS1_14partition_implILS5_8ELb0ES3_jPKiPS6_PKS6_NS0_5tupleIJPiS6_EEENSE_IJSB_SB_EEENS0_18inequality_wrapperIN6hipcub16HIPCUB_304000_NS8EqualityEEEPlJS6_EEE10hipError_tPvRmT3_T4_T5_T6_T7_T9_mT8_P12ihipStream_tbDpT10_ENKUlT_T0_E_clISt17integral_constantIbLb1EES17_EEDaS12_S13_EUlS12_E_NS1_11comp_targetILNS1_3genE2ELNS1_11target_archE906ELNS1_3gpuE6ELNS1_3repE0EEENS1_30default_config_static_selectorELNS0_4arch9wavefront6targetE1EEEvT1_, .Lfunc_end422-_ZN7rocprim17ROCPRIM_400000_NS6detail17trampoline_kernelINS0_14default_configENS1_25partition_config_selectorILNS1_17partition_subalgoE8EiNS0_10empty_typeEbEEZZNS1_14partition_implILS5_8ELb0ES3_jPKiPS6_PKS6_NS0_5tupleIJPiS6_EEENSE_IJSB_SB_EEENS0_18inequality_wrapperIN6hipcub16HIPCUB_304000_NS8EqualityEEEPlJS6_EEE10hipError_tPvRmT3_T4_T5_T6_T7_T9_mT8_P12ihipStream_tbDpT10_ENKUlT_T0_E_clISt17integral_constantIbLb1EES17_EEDaS12_S13_EUlS12_E_NS1_11comp_targetILNS1_3genE2ELNS1_11target_archE906ELNS1_3gpuE6ELNS1_3repE0EEENS1_30default_config_static_selectorELNS0_4arch9wavefront6targetE1EEEvT1_
                                        ; -- End function
	.section	.AMDGPU.csdata,"",@progbits
; Kernel info:
; codeLenInByte = 0
; NumSgprs: 4
; NumVgprs: 0
; NumAgprs: 0
; TotalNumVgprs: 0
; ScratchSize: 0
; MemoryBound: 0
; FloatMode: 240
; IeeeMode: 1
; LDSByteSize: 0 bytes/workgroup (compile time only)
; SGPRBlocks: 0
; VGPRBlocks: 0
; NumSGPRsForWavesPerEU: 4
; NumVGPRsForWavesPerEU: 1
; AccumOffset: 4
; Occupancy: 8
; WaveLimiterHint : 0
; COMPUTE_PGM_RSRC2:SCRATCH_EN: 0
; COMPUTE_PGM_RSRC2:USER_SGPR: 6
; COMPUTE_PGM_RSRC2:TRAP_HANDLER: 0
; COMPUTE_PGM_RSRC2:TGID_X_EN: 1
; COMPUTE_PGM_RSRC2:TGID_Y_EN: 0
; COMPUTE_PGM_RSRC2:TGID_Z_EN: 0
; COMPUTE_PGM_RSRC2:TIDIG_COMP_CNT: 0
; COMPUTE_PGM_RSRC3_GFX90A:ACCUM_OFFSET: 0
; COMPUTE_PGM_RSRC3_GFX90A:TG_SPLIT: 0
	.section	.text._ZN7rocprim17ROCPRIM_400000_NS6detail17trampoline_kernelINS0_14default_configENS1_25partition_config_selectorILNS1_17partition_subalgoE8EiNS0_10empty_typeEbEEZZNS1_14partition_implILS5_8ELb0ES3_jPKiPS6_PKS6_NS0_5tupleIJPiS6_EEENSE_IJSB_SB_EEENS0_18inequality_wrapperIN6hipcub16HIPCUB_304000_NS8EqualityEEEPlJS6_EEE10hipError_tPvRmT3_T4_T5_T6_T7_T9_mT8_P12ihipStream_tbDpT10_ENKUlT_T0_E_clISt17integral_constantIbLb1EES17_EEDaS12_S13_EUlS12_E_NS1_11comp_targetILNS1_3genE10ELNS1_11target_archE1200ELNS1_3gpuE4ELNS1_3repE0EEENS1_30default_config_static_selectorELNS0_4arch9wavefront6targetE1EEEvT1_,"axG",@progbits,_ZN7rocprim17ROCPRIM_400000_NS6detail17trampoline_kernelINS0_14default_configENS1_25partition_config_selectorILNS1_17partition_subalgoE8EiNS0_10empty_typeEbEEZZNS1_14partition_implILS5_8ELb0ES3_jPKiPS6_PKS6_NS0_5tupleIJPiS6_EEENSE_IJSB_SB_EEENS0_18inequality_wrapperIN6hipcub16HIPCUB_304000_NS8EqualityEEEPlJS6_EEE10hipError_tPvRmT3_T4_T5_T6_T7_T9_mT8_P12ihipStream_tbDpT10_ENKUlT_T0_E_clISt17integral_constantIbLb1EES17_EEDaS12_S13_EUlS12_E_NS1_11comp_targetILNS1_3genE10ELNS1_11target_archE1200ELNS1_3gpuE4ELNS1_3repE0EEENS1_30default_config_static_selectorELNS0_4arch9wavefront6targetE1EEEvT1_,comdat
	.protected	_ZN7rocprim17ROCPRIM_400000_NS6detail17trampoline_kernelINS0_14default_configENS1_25partition_config_selectorILNS1_17partition_subalgoE8EiNS0_10empty_typeEbEEZZNS1_14partition_implILS5_8ELb0ES3_jPKiPS6_PKS6_NS0_5tupleIJPiS6_EEENSE_IJSB_SB_EEENS0_18inequality_wrapperIN6hipcub16HIPCUB_304000_NS8EqualityEEEPlJS6_EEE10hipError_tPvRmT3_T4_T5_T6_T7_T9_mT8_P12ihipStream_tbDpT10_ENKUlT_T0_E_clISt17integral_constantIbLb1EES17_EEDaS12_S13_EUlS12_E_NS1_11comp_targetILNS1_3genE10ELNS1_11target_archE1200ELNS1_3gpuE4ELNS1_3repE0EEENS1_30default_config_static_selectorELNS0_4arch9wavefront6targetE1EEEvT1_ ; -- Begin function _ZN7rocprim17ROCPRIM_400000_NS6detail17trampoline_kernelINS0_14default_configENS1_25partition_config_selectorILNS1_17partition_subalgoE8EiNS0_10empty_typeEbEEZZNS1_14partition_implILS5_8ELb0ES3_jPKiPS6_PKS6_NS0_5tupleIJPiS6_EEENSE_IJSB_SB_EEENS0_18inequality_wrapperIN6hipcub16HIPCUB_304000_NS8EqualityEEEPlJS6_EEE10hipError_tPvRmT3_T4_T5_T6_T7_T9_mT8_P12ihipStream_tbDpT10_ENKUlT_T0_E_clISt17integral_constantIbLb1EES17_EEDaS12_S13_EUlS12_E_NS1_11comp_targetILNS1_3genE10ELNS1_11target_archE1200ELNS1_3gpuE4ELNS1_3repE0EEENS1_30default_config_static_selectorELNS0_4arch9wavefront6targetE1EEEvT1_
	.globl	_ZN7rocprim17ROCPRIM_400000_NS6detail17trampoline_kernelINS0_14default_configENS1_25partition_config_selectorILNS1_17partition_subalgoE8EiNS0_10empty_typeEbEEZZNS1_14partition_implILS5_8ELb0ES3_jPKiPS6_PKS6_NS0_5tupleIJPiS6_EEENSE_IJSB_SB_EEENS0_18inequality_wrapperIN6hipcub16HIPCUB_304000_NS8EqualityEEEPlJS6_EEE10hipError_tPvRmT3_T4_T5_T6_T7_T9_mT8_P12ihipStream_tbDpT10_ENKUlT_T0_E_clISt17integral_constantIbLb1EES17_EEDaS12_S13_EUlS12_E_NS1_11comp_targetILNS1_3genE10ELNS1_11target_archE1200ELNS1_3gpuE4ELNS1_3repE0EEENS1_30default_config_static_selectorELNS0_4arch9wavefront6targetE1EEEvT1_
	.p2align	8
	.type	_ZN7rocprim17ROCPRIM_400000_NS6detail17trampoline_kernelINS0_14default_configENS1_25partition_config_selectorILNS1_17partition_subalgoE8EiNS0_10empty_typeEbEEZZNS1_14partition_implILS5_8ELb0ES3_jPKiPS6_PKS6_NS0_5tupleIJPiS6_EEENSE_IJSB_SB_EEENS0_18inequality_wrapperIN6hipcub16HIPCUB_304000_NS8EqualityEEEPlJS6_EEE10hipError_tPvRmT3_T4_T5_T6_T7_T9_mT8_P12ihipStream_tbDpT10_ENKUlT_T0_E_clISt17integral_constantIbLb1EES17_EEDaS12_S13_EUlS12_E_NS1_11comp_targetILNS1_3genE10ELNS1_11target_archE1200ELNS1_3gpuE4ELNS1_3repE0EEENS1_30default_config_static_selectorELNS0_4arch9wavefront6targetE1EEEvT1_,@function
_ZN7rocprim17ROCPRIM_400000_NS6detail17trampoline_kernelINS0_14default_configENS1_25partition_config_selectorILNS1_17partition_subalgoE8EiNS0_10empty_typeEbEEZZNS1_14partition_implILS5_8ELb0ES3_jPKiPS6_PKS6_NS0_5tupleIJPiS6_EEENSE_IJSB_SB_EEENS0_18inequality_wrapperIN6hipcub16HIPCUB_304000_NS8EqualityEEEPlJS6_EEE10hipError_tPvRmT3_T4_T5_T6_T7_T9_mT8_P12ihipStream_tbDpT10_ENKUlT_T0_E_clISt17integral_constantIbLb1EES17_EEDaS12_S13_EUlS12_E_NS1_11comp_targetILNS1_3genE10ELNS1_11target_archE1200ELNS1_3gpuE4ELNS1_3repE0EEENS1_30default_config_static_selectorELNS0_4arch9wavefront6targetE1EEEvT1_: ; @_ZN7rocprim17ROCPRIM_400000_NS6detail17trampoline_kernelINS0_14default_configENS1_25partition_config_selectorILNS1_17partition_subalgoE8EiNS0_10empty_typeEbEEZZNS1_14partition_implILS5_8ELb0ES3_jPKiPS6_PKS6_NS0_5tupleIJPiS6_EEENSE_IJSB_SB_EEENS0_18inequality_wrapperIN6hipcub16HIPCUB_304000_NS8EqualityEEEPlJS6_EEE10hipError_tPvRmT3_T4_T5_T6_T7_T9_mT8_P12ihipStream_tbDpT10_ENKUlT_T0_E_clISt17integral_constantIbLb1EES17_EEDaS12_S13_EUlS12_E_NS1_11comp_targetILNS1_3genE10ELNS1_11target_archE1200ELNS1_3gpuE4ELNS1_3repE0EEENS1_30default_config_static_selectorELNS0_4arch9wavefront6targetE1EEEvT1_
; %bb.0:
	.section	.rodata,"a",@progbits
	.p2align	6, 0x0
	.amdhsa_kernel _ZN7rocprim17ROCPRIM_400000_NS6detail17trampoline_kernelINS0_14default_configENS1_25partition_config_selectorILNS1_17partition_subalgoE8EiNS0_10empty_typeEbEEZZNS1_14partition_implILS5_8ELb0ES3_jPKiPS6_PKS6_NS0_5tupleIJPiS6_EEENSE_IJSB_SB_EEENS0_18inequality_wrapperIN6hipcub16HIPCUB_304000_NS8EqualityEEEPlJS6_EEE10hipError_tPvRmT3_T4_T5_T6_T7_T9_mT8_P12ihipStream_tbDpT10_ENKUlT_T0_E_clISt17integral_constantIbLb1EES17_EEDaS12_S13_EUlS12_E_NS1_11comp_targetILNS1_3genE10ELNS1_11target_archE1200ELNS1_3gpuE4ELNS1_3repE0EEENS1_30default_config_static_selectorELNS0_4arch9wavefront6targetE1EEEvT1_
		.amdhsa_group_segment_fixed_size 0
		.amdhsa_private_segment_fixed_size 0
		.amdhsa_kernarg_size 128
		.amdhsa_user_sgpr_count 6
		.amdhsa_user_sgpr_private_segment_buffer 1
		.amdhsa_user_sgpr_dispatch_ptr 0
		.amdhsa_user_sgpr_queue_ptr 0
		.amdhsa_user_sgpr_kernarg_segment_ptr 1
		.amdhsa_user_sgpr_dispatch_id 0
		.amdhsa_user_sgpr_flat_scratch_init 0
		.amdhsa_user_sgpr_kernarg_preload_length 0
		.amdhsa_user_sgpr_kernarg_preload_offset 0
		.amdhsa_user_sgpr_private_segment_size 0
		.amdhsa_uses_dynamic_stack 0
		.amdhsa_system_sgpr_private_segment_wavefront_offset 0
		.amdhsa_system_sgpr_workgroup_id_x 1
		.amdhsa_system_sgpr_workgroup_id_y 0
		.amdhsa_system_sgpr_workgroup_id_z 0
		.amdhsa_system_sgpr_workgroup_info 0
		.amdhsa_system_vgpr_workitem_id 0
		.amdhsa_next_free_vgpr 1
		.amdhsa_next_free_sgpr 0
		.amdhsa_accum_offset 4
		.amdhsa_reserve_vcc 0
		.amdhsa_reserve_flat_scratch 0
		.amdhsa_float_round_mode_32 0
		.amdhsa_float_round_mode_16_64 0
		.amdhsa_float_denorm_mode_32 3
		.amdhsa_float_denorm_mode_16_64 3
		.amdhsa_dx10_clamp 1
		.amdhsa_ieee_mode 1
		.amdhsa_fp16_overflow 0
		.amdhsa_tg_split 0
		.amdhsa_exception_fp_ieee_invalid_op 0
		.amdhsa_exception_fp_denorm_src 0
		.amdhsa_exception_fp_ieee_div_zero 0
		.amdhsa_exception_fp_ieee_overflow 0
		.amdhsa_exception_fp_ieee_underflow 0
		.amdhsa_exception_fp_ieee_inexact 0
		.amdhsa_exception_int_div_zero 0
	.end_amdhsa_kernel
	.section	.text._ZN7rocprim17ROCPRIM_400000_NS6detail17trampoline_kernelINS0_14default_configENS1_25partition_config_selectorILNS1_17partition_subalgoE8EiNS0_10empty_typeEbEEZZNS1_14partition_implILS5_8ELb0ES3_jPKiPS6_PKS6_NS0_5tupleIJPiS6_EEENSE_IJSB_SB_EEENS0_18inequality_wrapperIN6hipcub16HIPCUB_304000_NS8EqualityEEEPlJS6_EEE10hipError_tPvRmT3_T4_T5_T6_T7_T9_mT8_P12ihipStream_tbDpT10_ENKUlT_T0_E_clISt17integral_constantIbLb1EES17_EEDaS12_S13_EUlS12_E_NS1_11comp_targetILNS1_3genE10ELNS1_11target_archE1200ELNS1_3gpuE4ELNS1_3repE0EEENS1_30default_config_static_selectorELNS0_4arch9wavefront6targetE1EEEvT1_,"axG",@progbits,_ZN7rocprim17ROCPRIM_400000_NS6detail17trampoline_kernelINS0_14default_configENS1_25partition_config_selectorILNS1_17partition_subalgoE8EiNS0_10empty_typeEbEEZZNS1_14partition_implILS5_8ELb0ES3_jPKiPS6_PKS6_NS0_5tupleIJPiS6_EEENSE_IJSB_SB_EEENS0_18inequality_wrapperIN6hipcub16HIPCUB_304000_NS8EqualityEEEPlJS6_EEE10hipError_tPvRmT3_T4_T5_T6_T7_T9_mT8_P12ihipStream_tbDpT10_ENKUlT_T0_E_clISt17integral_constantIbLb1EES17_EEDaS12_S13_EUlS12_E_NS1_11comp_targetILNS1_3genE10ELNS1_11target_archE1200ELNS1_3gpuE4ELNS1_3repE0EEENS1_30default_config_static_selectorELNS0_4arch9wavefront6targetE1EEEvT1_,comdat
.Lfunc_end423:
	.size	_ZN7rocprim17ROCPRIM_400000_NS6detail17trampoline_kernelINS0_14default_configENS1_25partition_config_selectorILNS1_17partition_subalgoE8EiNS0_10empty_typeEbEEZZNS1_14partition_implILS5_8ELb0ES3_jPKiPS6_PKS6_NS0_5tupleIJPiS6_EEENSE_IJSB_SB_EEENS0_18inequality_wrapperIN6hipcub16HIPCUB_304000_NS8EqualityEEEPlJS6_EEE10hipError_tPvRmT3_T4_T5_T6_T7_T9_mT8_P12ihipStream_tbDpT10_ENKUlT_T0_E_clISt17integral_constantIbLb1EES17_EEDaS12_S13_EUlS12_E_NS1_11comp_targetILNS1_3genE10ELNS1_11target_archE1200ELNS1_3gpuE4ELNS1_3repE0EEENS1_30default_config_static_selectorELNS0_4arch9wavefront6targetE1EEEvT1_, .Lfunc_end423-_ZN7rocprim17ROCPRIM_400000_NS6detail17trampoline_kernelINS0_14default_configENS1_25partition_config_selectorILNS1_17partition_subalgoE8EiNS0_10empty_typeEbEEZZNS1_14partition_implILS5_8ELb0ES3_jPKiPS6_PKS6_NS0_5tupleIJPiS6_EEENSE_IJSB_SB_EEENS0_18inequality_wrapperIN6hipcub16HIPCUB_304000_NS8EqualityEEEPlJS6_EEE10hipError_tPvRmT3_T4_T5_T6_T7_T9_mT8_P12ihipStream_tbDpT10_ENKUlT_T0_E_clISt17integral_constantIbLb1EES17_EEDaS12_S13_EUlS12_E_NS1_11comp_targetILNS1_3genE10ELNS1_11target_archE1200ELNS1_3gpuE4ELNS1_3repE0EEENS1_30default_config_static_selectorELNS0_4arch9wavefront6targetE1EEEvT1_
                                        ; -- End function
	.section	.AMDGPU.csdata,"",@progbits
; Kernel info:
; codeLenInByte = 0
; NumSgprs: 4
; NumVgprs: 0
; NumAgprs: 0
; TotalNumVgprs: 0
; ScratchSize: 0
; MemoryBound: 0
; FloatMode: 240
; IeeeMode: 1
; LDSByteSize: 0 bytes/workgroup (compile time only)
; SGPRBlocks: 0
; VGPRBlocks: 0
; NumSGPRsForWavesPerEU: 4
; NumVGPRsForWavesPerEU: 1
; AccumOffset: 4
; Occupancy: 8
; WaveLimiterHint : 0
; COMPUTE_PGM_RSRC2:SCRATCH_EN: 0
; COMPUTE_PGM_RSRC2:USER_SGPR: 6
; COMPUTE_PGM_RSRC2:TRAP_HANDLER: 0
; COMPUTE_PGM_RSRC2:TGID_X_EN: 1
; COMPUTE_PGM_RSRC2:TGID_Y_EN: 0
; COMPUTE_PGM_RSRC2:TGID_Z_EN: 0
; COMPUTE_PGM_RSRC2:TIDIG_COMP_CNT: 0
; COMPUTE_PGM_RSRC3_GFX90A:ACCUM_OFFSET: 0
; COMPUTE_PGM_RSRC3_GFX90A:TG_SPLIT: 0
	.section	.text._ZN7rocprim17ROCPRIM_400000_NS6detail17trampoline_kernelINS0_14default_configENS1_25partition_config_selectorILNS1_17partition_subalgoE8EiNS0_10empty_typeEbEEZZNS1_14partition_implILS5_8ELb0ES3_jPKiPS6_PKS6_NS0_5tupleIJPiS6_EEENSE_IJSB_SB_EEENS0_18inequality_wrapperIN6hipcub16HIPCUB_304000_NS8EqualityEEEPlJS6_EEE10hipError_tPvRmT3_T4_T5_T6_T7_T9_mT8_P12ihipStream_tbDpT10_ENKUlT_T0_E_clISt17integral_constantIbLb1EES17_EEDaS12_S13_EUlS12_E_NS1_11comp_targetILNS1_3genE9ELNS1_11target_archE1100ELNS1_3gpuE3ELNS1_3repE0EEENS1_30default_config_static_selectorELNS0_4arch9wavefront6targetE1EEEvT1_,"axG",@progbits,_ZN7rocprim17ROCPRIM_400000_NS6detail17trampoline_kernelINS0_14default_configENS1_25partition_config_selectorILNS1_17partition_subalgoE8EiNS0_10empty_typeEbEEZZNS1_14partition_implILS5_8ELb0ES3_jPKiPS6_PKS6_NS0_5tupleIJPiS6_EEENSE_IJSB_SB_EEENS0_18inequality_wrapperIN6hipcub16HIPCUB_304000_NS8EqualityEEEPlJS6_EEE10hipError_tPvRmT3_T4_T5_T6_T7_T9_mT8_P12ihipStream_tbDpT10_ENKUlT_T0_E_clISt17integral_constantIbLb1EES17_EEDaS12_S13_EUlS12_E_NS1_11comp_targetILNS1_3genE9ELNS1_11target_archE1100ELNS1_3gpuE3ELNS1_3repE0EEENS1_30default_config_static_selectorELNS0_4arch9wavefront6targetE1EEEvT1_,comdat
	.protected	_ZN7rocprim17ROCPRIM_400000_NS6detail17trampoline_kernelINS0_14default_configENS1_25partition_config_selectorILNS1_17partition_subalgoE8EiNS0_10empty_typeEbEEZZNS1_14partition_implILS5_8ELb0ES3_jPKiPS6_PKS6_NS0_5tupleIJPiS6_EEENSE_IJSB_SB_EEENS0_18inequality_wrapperIN6hipcub16HIPCUB_304000_NS8EqualityEEEPlJS6_EEE10hipError_tPvRmT3_T4_T5_T6_T7_T9_mT8_P12ihipStream_tbDpT10_ENKUlT_T0_E_clISt17integral_constantIbLb1EES17_EEDaS12_S13_EUlS12_E_NS1_11comp_targetILNS1_3genE9ELNS1_11target_archE1100ELNS1_3gpuE3ELNS1_3repE0EEENS1_30default_config_static_selectorELNS0_4arch9wavefront6targetE1EEEvT1_ ; -- Begin function _ZN7rocprim17ROCPRIM_400000_NS6detail17trampoline_kernelINS0_14default_configENS1_25partition_config_selectorILNS1_17partition_subalgoE8EiNS0_10empty_typeEbEEZZNS1_14partition_implILS5_8ELb0ES3_jPKiPS6_PKS6_NS0_5tupleIJPiS6_EEENSE_IJSB_SB_EEENS0_18inequality_wrapperIN6hipcub16HIPCUB_304000_NS8EqualityEEEPlJS6_EEE10hipError_tPvRmT3_T4_T5_T6_T7_T9_mT8_P12ihipStream_tbDpT10_ENKUlT_T0_E_clISt17integral_constantIbLb1EES17_EEDaS12_S13_EUlS12_E_NS1_11comp_targetILNS1_3genE9ELNS1_11target_archE1100ELNS1_3gpuE3ELNS1_3repE0EEENS1_30default_config_static_selectorELNS0_4arch9wavefront6targetE1EEEvT1_
	.globl	_ZN7rocprim17ROCPRIM_400000_NS6detail17trampoline_kernelINS0_14default_configENS1_25partition_config_selectorILNS1_17partition_subalgoE8EiNS0_10empty_typeEbEEZZNS1_14partition_implILS5_8ELb0ES3_jPKiPS6_PKS6_NS0_5tupleIJPiS6_EEENSE_IJSB_SB_EEENS0_18inequality_wrapperIN6hipcub16HIPCUB_304000_NS8EqualityEEEPlJS6_EEE10hipError_tPvRmT3_T4_T5_T6_T7_T9_mT8_P12ihipStream_tbDpT10_ENKUlT_T0_E_clISt17integral_constantIbLb1EES17_EEDaS12_S13_EUlS12_E_NS1_11comp_targetILNS1_3genE9ELNS1_11target_archE1100ELNS1_3gpuE3ELNS1_3repE0EEENS1_30default_config_static_selectorELNS0_4arch9wavefront6targetE1EEEvT1_
	.p2align	8
	.type	_ZN7rocprim17ROCPRIM_400000_NS6detail17trampoline_kernelINS0_14default_configENS1_25partition_config_selectorILNS1_17partition_subalgoE8EiNS0_10empty_typeEbEEZZNS1_14partition_implILS5_8ELb0ES3_jPKiPS6_PKS6_NS0_5tupleIJPiS6_EEENSE_IJSB_SB_EEENS0_18inequality_wrapperIN6hipcub16HIPCUB_304000_NS8EqualityEEEPlJS6_EEE10hipError_tPvRmT3_T4_T5_T6_T7_T9_mT8_P12ihipStream_tbDpT10_ENKUlT_T0_E_clISt17integral_constantIbLb1EES17_EEDaS12_S13_EUlS12_E_NS1_11comp_targetILNS1_3genE9ELNS1_11target_archE1100ELNS1_3gpuE3ELNS1_3repE0EEENS1_30default_config_static_selectorELNS0_4arch9wavefront6targetE1EEEvT1_,@function
_ZN7rocprim17ROCPRIM_400000_NS6detail17trampoline_kernelINS0_14default_configENS1_25partition_config_selectorILNS1_17partition_subalgoE8EiNS0_10empty_typeEbEEZZNS1_14partition_implILS5_8ELb0ES3_jPKiPS6_PKS6_NS0_5tupleIJPiS6_EEENSE_IJSB_SB_EEENS0_18inequality_wrapperIN6hipcub16HIPCUB_304000_NS8EqualityEEEPlJS6_EEE10hipError_tPvRmT3_T4_T5_T6_T7_T9_mT8_P12ihipStream_tbDpT10_ENKUlT_T0_E_clISt17integral_constantIbLb1EES17_EEDaS12_S13_EUlS12_E_NS1_11comp_targetILNS1_3genE9ELNS1_11target_archE1100ELNS1_3gpuE3ELNS1_3repE0EEENS1_30default_config_static_selectorELNS0_4arch9wavefront6targetE1EEEvT1_: ; @_ZN7rocprim17ROCPRIM_400000_NS6detail17trampoline_kernelINS0_14default_configENS1_25partition_config_selectorILNS1_17partition_subalgoE8EiNS0_10empty_typeEbEEZZNS1_14partition_implILS5_8ELb0ES3_jPKiPS6_PKS6_NS0_5tupleIJPiS6_EEENSE_IJSB_SB_EEENS0_18inequality_wrapperIN6hipcub16HIPCUB_304000_NS8EqualityEEEPlJS6_EEE10hipError_tPvRmT3_T4_T5_T6_T7_T9_mT8_P12ihipStream_tbDpT10_ENKUlT_T0_E_clISt17integral_constantIbLb1EES17_EEDaS12_S13_EUlS12_E_NS1_11comp_targetILNS1_3genE9ELNS1_11target_archE1100ELNS1_3gpuE3ELNS1_3repE0EEENS1_30default_config_static_selectorELNS0_4arch9wavefront6targetE1EEEvT1_
; %bb.0:
	.section	.rodata,"a",@progbits
	.p2align	6, 0x0
	.amdhsa_kernel _ZN7rocprim17ROCPRIM_400000_NS6detail17trampoline_kernelINS0_14default_configENS1_25partition_config_selectorILNS1_17partition_subalgoE8EiNS0_10empty_typeEbEEZZNS1_14partition_implILS5_8ELb0ES3_jPKiPS6_PKS6_NS0_5tupleIJPiS6_EEENSE_IJSB_SB_EEENS0_18inequality_wrapperIN6hipcub16HIPCUB_304000_NS8EqualityEEEPlJS6_EEE10hipError_tPvRmT3_T4_T5_T6_T7_T9_mT8_P12ihipStream_tbDpT10_ENKUlT_T0_E_clISt17integral_constantIbLb1EES17_EEDaS12_S13_EUlS12_E_NS1_11comp_targetILNS1_3genE9ELNS1_11target_archE1100ELNS1_3gpuE3ELNS1_3repE0EEENS1_30default_config_static_selectorELNS0_4arch9wavefront6targetE1EEEvT1_
		.amdhsa_group_segment_fixed_size 0
		.amdhsa_private_segment_fixed_size 0
		.amdhsa_kernarg_size 128
		.amdhsa_user_sgpr_count 6
		.amdhsa_user_sgpr_private_segment_buffer 1
		.amdhsa_user_sgpr_dispatch_ptr 0
		.amdhsa_user_sgpr_queue_ptr 0
		.amdhsa_user_sgpr_kernarg_segment_ptr 1
		.amdhsa_user_sgpr_dispatch_id 0
		.amdhsa_user_sgpr_flat_scratch_init 0
		.amdhsa_user_sgpr_kernarg_preload_length 0
		.amdhsa_user_sgpr_kernarg_preload_offset 0
		.amdhsa_user_sgpr_private_segment_size 0
		.amdhsa_uses_dynamic_stack 0
		.amdhsa_system_sgpr_private_segment_wavefront_offset 0
		.amdhsa_system_sgpr_workgroup_id_x 1
		.amdhsa_system_sgpr_workgroup_id_y 0
		.amdhsa_system_sgpr_workgroup_id_z 0
		.amdhsa_system_sgpr_workgroup_info 0
		.amdhsa_system_vgpr_workitem_id 0
		.amdhsa_next_free_vgpr 1
		.amdhsa_next_free_sgpr 0
		.amdhsa_accum_offset 4
		.amdhsa_reserve_vcc 0
		.amdhsa_reserve_flat_scratch 0
		.amdhsa_float_round_mode_32 0
		.amdhsa_float_round_mode_16_64 0
		.amdhsa_float_denorm_mode_32 3
		.amdhsa_float_denorm_mode_16_64 3
		.amdhsa_dx10_clamp 1
		.amdhsa_ieee_mode 1
		.amdhsa_fp16_overflow 0
		.amdhsa_tg_split 0
		.amdhsa_exception_fp_ieee_invalid_op 0
		.amdhsa_exception_fp_denorm_src 0
		.amdhsa_exception_fp_ieee_div_zero 0
		.amdhsa_exception_fp_ieee_overflow 0
		.amdhsa_exception_fp_ieee_underflow 0
		.amdhsa_exception_fp_ieee_inexact 0
		.amdhsa_exception_int_div_zero 0
	.end_amdhsa_kernel
	.section	.text._ZN7rocprim17ROCPRIM_400000_NS6detail17trampoline_kernelINS0_14default_configENS1_25partition_config_selectorILNS1_17partition_subalgoE8EiNS0_10empty_typeEbEEZZNS1_14partition_implILS5_8ELb0ES3_jPKiPS6_PKS6_NS0_5tupleIJPiS6_EEENSE_IJSB_SB_EEENS0_18inequality_wrapperIN6hipcub16HIPCUB_304000_NS8EqualityEEEPlJS6_EEE10hipError_tPvRmT3_T4_T5_T6_T7_T9_mT8_P12ihipStream_tbDpT10_ENKUlT_T0_E_clISt17integral_constantIbLb1EES17_EEDaS12_S13_EUlS12_E_NS1_11comp_targetILNS1_3genE9ELNS1_11target_archE1100ELNS1_3gpuE3ELNS1_3repE0EEENS1_30default_config_static_selectorELNS0_4arch9wavefront6targetE1EEEvT1_,"axG",@progbits,_ZN7rocprim17ROCPRIM_400000_NS6detail17trampoline_kernelINS0_14default_configENS1_25partition_config_selectorILNS1_17partition_subalgoE8EiNS0_10empty_typeEbEEZZNS1_14partition_implILS5_8ELb0ES3_jPKiPS6_PKS6_NS0_5tupleIJPiS6_EEENSE_IJSB_SB_EEENS0_18inequality_wrapperIN6hipcub16HIPCUB_304000_NS8EqualityEEEPlJS6_EEE10hipError_tPvRmT3_T4_T5_T6_T7_T9_mT8_P12ihipStream_tbDpT10_ENKUlT_T0_E_clISt17integral_constantIbLb1EES17_EEDaS12_S13_EUlS12_E_NS1_11comp_targetILNS1_3genE9ELNS1_11target_archE1100ELNS1_3gpuE3ELNS1_3repE0EEENS1_30default_config_static_selectorELNS0_4arch9wavefront6targetE1EEEvT1_,comdat
.Lfunc_end424:
	.size	_ZN7rocprim17ROCPRIM_400000_NS6detail17trampoline_kernelINS0_14default_configENS1_25partition_config_selectorILNS1_17partition_subalgoE8EiNS0_10empty_typeEbEEZZNS1_14partition_implILS5_8ELb0ES3_jPKiPS6_PKS6_NS0_5tupleIJPiS6_EEENSE_IJSB_SB_EEENS0_18inequality_wrapperIN6hipcub16HIPCUB_304000_NS8EqualityEEEPlJS6_EEE10hipError_tPvRmT3_T4_T5_T6_T7_T9_mT8_P12ihipStream_tbDpT10_ENKUlT_T0_E_clISt17integral_constantIbLb1EES17_EEDaS12_S13_EUlS12_E_NS1_11comp_targetILNS1_3genE9ELNS1_11target_archE1100ELNS1_3gpuE3ELNS1_3repE0EEENS1_30default_config_static_selectorELNS0_4arch9wavefront6targetE1EEEvT1_, .Lfunc_end424-_ZN7rocprim17ROCPRIM_400000_NS6detail17trampoline_kernelINS0_14default_configENS1_25partition_config_selectorILNS1_17partition_subalgoE8EiNS0_10empty_typeEbEEZZNS1_14partition_implILS5_8ELb0ES3_jPKiPS6_PKS6_NS0_5tupleIJPiS6_EEENSE_IJSB_SB_EEENS0_18inequality_wrapperIN6hipcub16HIPCUB_304000_NS8EqualityEEEPlJS6_EEE10hipError_tPvRmT3_T4_T5_T6_T7_T9_mT8_P12ihipStream_tbDpT10_ENKUlT_T0_E_clISt17integral_constantIbLb1EES17_EEDaS12_S13_EUlS12_E_NS1_11comp_targetILNS1_3genE9ELNS1_11target_archE1100ELNS1_3gpuE3ELNS1_3repE0EEENS1_30default_config_static_selectorELNS0_4arch9wavefront6targetE1EEEvT1_
                                        ; -- End function
	.section	.AMDGPU.csdata,"",@progbits
; Kernel info:
; codeLenInByte = 0
; NumSgprs: 4
; NumVgprs: 0
; NumAgprs: 0
; TotalNumVgprs: 0
; ScratchSize: 0
; MemoryBound: 0
; FloatMode: 240
; IeeeMode: 1
; LDSByteSize: 0 bytes/workgroup (compile time only)
; SGPRBlocks: 0
; VGPRBlocks: 0
; NumSGPRsForWavesPerEU: 4
; NumVGPRsForWavesPerEU: 1
; AccumOffset: 4
; Occupancy: 8
; WaveLimiterHint : 0
; COMPUTE_PGM_RSRC2:SCRATCH_EN: 0
; COMPUTE_PGM_RSRC2:USER_SGPR: 6
; COMPUTE_PGM_RSRC2:TRAP_HANDLER: 0
; COMPUTE_PGM_RSRC2:TGID_X_EN: 1
; COMPUTE_PGM_RSRC2:TGID_Y_EN: 0
; COMPUTE_PGM_RSRC2:TGID_Z_EN: 0
; COMPUTE_PGM_RSRC2:TIDIG_COMP_CNT: 0
; COMPUTE_PGM_RSRC3_GFX90A:ACCUM_OFFSET: 0
; COMPUTE_PGM_RSRC3_GFX90A:TG_SPLIT: 0
	.section	.text._ZN7rocprim17ROCPRIM_400000_NS6detail17trampoline_kernelINS0_14default_configENS1_25partition_config_selectorILNS1_17partition_subalgoE8EiNS0_10empty_typeEbEEZZNS1_14partition_implILS5_8ELb0ES3_jPKiPS6_PKS6_NS0_5tupleIJPiS6_EEENSE_IJSB_SB_EEENS0_18inequality_wrapperIN6hipcub16HIPCUB_304000_NS8EqualityEEEPlJS6_EEE10hipError_tPvRmT3_T4_T5_T6_T7_T9_mT8_P12ihipStream_tbDpT10_ENKUlT_T0_E_clISt17integral_constantIbLb1EES17_EEDaS12_S13_EUlS12_E_NS1_11comp_targetILNS1_3genE8ELNS1_11target_archE1030ELNS1_3gpuE2ELNS1_3repE0EEENS1_30default_config_static_selectorELNS0_4arch9wavefront6targetE1EEEvT1_,"axG",@progbits,_ZN7rocprim17ROCPRIM_400000_NS6detail17trampoline_kernelINS0_14default_configENS1_25partition_config_selectorILNS1_17partition_subalgoE8EiNS0_10empty_typeEbEEZZNS1_14partition_implILS5_8ELb0ES3_jPKiPS6_PKS6_NS0_5tupleIJPiS6_EEENSE_IJSB_SB_EEENS0_18inequality_wrapperIN6hipcub16HIPCUB_304000_NS8EqualityEEEPlJS6_EEE10hipError_tPvRmT3_T4_T5_T6_T7_T9_mT8_P12ihipStream_tbDpT10_ENKUlT_T0_E_clISt17integral_constantIbLb1EES17_EEDaS12_S13_EUlS12_E_NS1_11comp_targetILNS1_3genE8ELNS1_11target_archE1030ELNS1_3gpuE2ELNS1_3repE0EEENS1_30default_config_static_selectorELNS0_4arch9wavefront6targetE1EEEvT1_,comdat
	.protected	_ZN7rocprim17ROCPRIM_400000_NS6detail17trampoline_kernelINS0_14default_configENS1_25partition_config_selectorILNS1_17partition_subalgoE8EiNS0_10empty_typeEbEEZZNS1_14partition_implILS5_8ELb0ES3_jPKiPS6_PKS6_NS0_5tupleIJPiS6_EEENSE_IJSB_SB_EEENS0_18inequality_wrapperIN6hipcub16HIPCUB_304000_NS8EqualityEEEPlJS6_EEE10hipError_tPvRmT3_T4_T5_T6_T7_T9_mT8_P12ihipStream_tbDpT10_ENKUlT_T0_E_clISt17integral_constantIbLb1EES17_EEDaS12_S13_EUlS12_E_NS1_11comp_targetILNS1_3genE8ELNS1_11target_archE1030ELNS1_3gpuE2ELNS1_3repE0EEENS1_30default_config_static_selectorELNS0_4arch9wavefront6targetE1EEEvT1_ ; -- Begin function _ZN7rocprim17ROCPRIM_400000_NS6detail17trampoline_kernelINS0_14default_configENS1_25partition_config_selectorILNS1_17partition_subalgoE8EiNS0_10empty_typeEbEEZZNS1_14partition_implILS5_8ELb0ES3_jPKiPS6_PKS6_NS0_5tupleIJPiS6_EEENSE_IJSB_SB_EEENS0_18inequality_wrapperIN6hipcub16HIPCUB_304000_NS8EqualityEEEPlJS6_EEE10hipError_tPvRmT3_T4_T5_T6_T7_T9_mT8_P12ihipStream_tbDpT10_ENKUlT_T0_E_clISt17integral_constantIbLb1EES17_EEDaS12_S13_EUlS12_E_NS1_11comp_targetILNS1_3genE8ELNS1_11target_archE1030ELNS1_3gpuE2ELNS1_3repE0EEENS1_30default_config_static_selectorELNS0_4arch9wavefront6targetE1EEEvT1_
	.globl	_ZN7rocprim17ROCPRIM_400000_NS6detail17trampoline_kernelINS0_14default_configENS1_25partition_config_selectorILNS1_17partition_subalgoE8EiNS0_10empty_typeEbEEZZNS1_14partition_implILS5_8ELb0ES3_jPKiPS6_PKS6_NS0_5tupleIJPiS6_EEENSE_IJSB_SB_EEENS0_18inequality_wrapperIN6hipcub16HIPCUB_304000_NS8EqualityEEEPlJS6_EEE10hipError_tPvRmT3_T4_T5_T6_T7_T9_mT8_P12ihipStream_tbDpT10_ENKUlT_T0_E_clISt17integral_constantIbLb1EES17_EEDaS12_S13_EUlS12_E_NS1_11comp_targetILNS1_3genE8ELNS1_11target_archE1030ELNS1_3gpuE2ELNS1_3repE0EEENS1_30default_config_static_selectorELNS0_4arch9wavefront6targetE1EEEvT1_
	.p2align	8
	.type	_ZN7rocprim17ROCPRIM_400000_NS6detail17trampoline_kernelINS0_14default_configENS1_25partition_config_selectorILNS1_17partition_subalgoE8EiNS0_10empty_typeEbEEZZNS1_14partition_implILS5_8ELb0ES3_jPKiPS6_PKS6_NS0_5tupleIJPiS6_EEENSE_IJSB_SB_EEENS0_18inequality_wrapperIN6hipcub16HIPCUB_304000_NS8EqualityEEEPlJS6_EEE10hipError_tPvRmT3_T4_T5_T6_T7_T9_mT8_P12ihipStream_tbDpT10_ENKUlT_T0_E_clISt17integral_constantIbLb1EES17_EEDaS12_S13_EUlS12_E_NS1_11comp_targetILNS1_3genE8ELNS1_11target_archE1030ELNS1_3gpuE2ELNS1_3repE0EEENS1_30default_config_static_selectorELNS0_4arch9wavefront6targetE1EEEvT1_,@function
_ZN7rocprim17ROCPRIM_400000_NS6detail17trampoline_kernelINS0_14default_configENS1_25partition_config_selectorILNS1_17partition_subalgoE8EiNS0_10empty_typeEbEEZZNS1_14partition_implILS5_8ELb0ES3_jPKiPS6_PKS6_NS0_5tupleIJPiS6_EEENSE_IJSB_SB_EEENS0_18inequality_wrapperIN6hipcub16HIPCUB_304000_NS8EqualityEEEPlJS6_EEE10hipError_tPvRmT3_T4_T5_T6_T7_T9_mT8_P12ihipStream_tbDpT10_ENKUlT_T0_E_clISt17integral_constantIbLb1EES17_EEDaS12_S13_EUlS12_E_NS1_11comp_targetILNS1_3genE8ELNS1_11target_archE1030ELNS1_3gpuE2ELNS1_3repE0EEENS1_30default_config_static_selectorELNS0_4arch9wavefront6targetE1EEEvT1_: ; @_ZN7rocprim17ROCPRIM_400000_NS6detail17trampoline_kernelINS0_14default_configENS1_25partition_config_selectorILNS1_17partition_subalgoE8EiNS0_10empty_typeEbEEZZNS1_14partition_implILS5_8ELb0ES3_jPKiPS6_PKS6_NS0_5tupleIJPiS6_EEENSE_IJSB_SB_EEENS0_18inequality_wrapperIN6hipcub16HIPCUB_304000_NS8EqualityEEEPlJS6_EEE10hipError_tPvRmT3_T4_T5_T6_T7_T9_mT8_P12ihipStream_tbDpT10_ENKUlT_T0_E_clISt17integral_constantIbLb1EES17_EEDaS12_S13_EUlS12_E_NS1_11comp_targetILNS1_3genE8ELNS1_11target_archE1030ELNS1_3gpuE2ELNS1_3repE0EEENS1_30default_config_static_selectorELNS0_4arch9wavefront6targetE1EEEvT1_
; %bb.0:
	.section	.rodata,"a",@progbits
	.p2align	6, 0x0
	.amdhsa_kernel _ZN7rocprim17ROCPRIM_400000_NS6detail17trampoline_kernelINS0_14default_configENS1_25partition_config_selectorILNS1_17partition_subalgoE8EiNS0_10empty_typeEbEEZZNS1_14partition_implILS5_8ELb0ES3_jPKiPS6_PKS6_NS0_5tupleIJPiS6_EEENSE_IJSB_SB_EEENS0_18inequality_wrapperIN6hipcub16HIPCUB_304000_NS8EqualityEEEPlJS6_EEE10hipError_tPvRmT3_T4_T5_T6_T7_T9_mT8_P12ihipStream_tbDpT10_ENKUlT_T0_E_clISt17integral_constantIbLb1EES17_EEDaS12_S13_EUlS12_E_NS1_11comp_targetILNS1_3genE8ELNS1_11target_archE1030ELNS1_3gpuE2ELNS1_3repE0EEENS1_30default_config_static_selectorELNS0_4arch9wavefront6targetE1EEEvT1_
		.amdhsa_group_segment_fixed_size 0
		.amdhsa_private_segment_fixed_size 0
		.amdhsa_kernarg_size 128
		.amdhsa_user_sgpr_count 6
		.amdhsa_user_sgpr_private_segment_buffer 1
		.amdhsa_user_sgpr_dispatch_ptr 0
		.amdhsa_user_sgpr_queue_ptr 0
		.amdhsa_user_sgpr_kernarg_segment_ptr 1
		.amdhsa_user_sgpr_dispatch_id 0
		.amdhsa_user_sgpr_flat_scratch_init 0
		.amdhsa_user_sgpr_kernarg_preload_length 0
		.amdhsa_user_sgpr_kernarg_preload_offset 0
		.amdhsa_user_sgpr_private_segment_size 0
		.amdhsa_uses_dynamic_stack 0
		.amdhsa_system_sgpr_private_segment_wavefront_offset 0
		.amdhsa_system_sgpr_workgroup_id_x 1
		.amdhsa_system_sgpr_workgroup_id_y 0
		.amdhsa_system_sgpr_workgroup_id_z 0
		.amdhsa_system_sgpr_workgroup_info 0
		.amdhsa_system_vgpr_workitem_id 0
		.amdhsa_next_free_vgpr 1
		.amdhsa_next_free_sgpr 0
		.amdhsa_accum_offset 4
		.amdhsa_reserve_vcc 0
		.amdhsa_reserve_flat_scratch 0
		.amdhsa_float_round_mode_32 0
		.amdhsa_float_round_mode_16_64 0
		.amdhsa_float_denorm_mode_32 3
		.amdhsa_float_denorm_mode_16_64 3
		.amdhsa_dx10_clamp 1
		.amdhsa_ieee_mode 1
		.amdhsa_fp16_overflow 0
		.amdhsa_tg_split 0
		.amdhsa_exception_fp_ieee_invalid_op 0
		.amdhsa_exception_fp_denorm_src 0
		.amdhsa_exception_fp_ieee_div_zero 0
		.amdhsa_exception_fp_ieee_overflow 0
		.amdhsa_exception_fp_ieee_underflow 0
		.amdhsa_exception_fp_ieee_inexact 0
		.amdhsa_exception_int_div_zero 0
	.end_amdhsa_kernel
	.section	.text._ZN7rocprim17ROCPRIM_400000_NS6detail17trampoline_kernelINS0_14default_configENS1_25partition_config_selectorILNS1_17partition_subalgoE8EiNS0_10empty_typeEbEEZZNS1_14partition_implILS5_8ELb0ES3_jPKiPS6_PKS6_NS0_5tupleIJPiS6_EEENSE_IJSB_SB_EEENS0_18inequality_wrapperIN6hipcub16HIPCUB_304000_NS8EqualityEEEPlJS6_EEE10hipError_tPvRmT3_T4_T5_T6_T7_T9_mT8_P12ihipStream_tbDpT10_ENKUlT_T0_E_clISt17integral_constantIbLb1EES17_EEDaS12_S13_EUlS12_E_NS1_11comp_targetILNS1_3genE8ELNS1_11target_archE1030ELNS1_3gpuE2ELNS1_3repE0EEENS1_30default_config_static_selectorELNS0_4arch9wavefront6targetE1EEEvT1_,"axG",@progbits,_ZN7rocprim17ROCPRIM_400000_NS6detail17trampoline_kernelINS0_14default_configENS1_25partition_config_selectorILNS1_17partition_subalgoE8EiNS0_10empty_typeEbEEZZNS1_14partition_implILS5_8ELb0ES3_jPKiPS6_PKS6_NS0_5tupleIJPiS6_EEENSE_IJSB_SB_EEENS0_18inequality_wrapperIN6hipcub16HIPCUB_304000_NS8EqualityEEEPlJS6_EEE10hipError_tPvRmT3_T4_T5_T6_T7_T9_mT8_P12ihipStream_tbDpT10_ENKUlT_T0_E_clISt17integral_constantIbLb1EES17_EEDaS12_S13_EUlS12_E_NS1_11comp_targetILNS1_3genE8ELNS1_11target_archE1030ELNS1_3gpuE2ELNS1_3repE0EEENS1_30default_config_static_selectorELNS0_4arch9wavefront6targetE1EEEvT1_,comdat
.Lfunc_end425:
	.size	_ZN7rocprim17ROCPRIM_400000_NS6detail17trampoline_kernelINS0_14default_configENS1_25partition_config_selectorILNS1_17partition_subalgoE8EiNS0_10empty_typeEbEEZZNS1_14partition_implILS5_8ELb0ES3_jPKiPS6_PKS6_NS0_5tupleIJPiS6_EEENSE_IJSB_SB_EEENS0_18inequality_wrapperIN6hipcub16HIPCUB_304000_NS8EqualityEEEPlJS6_EEE10hipError_tPvRmT3_T4_T5_T6_T7_T9_mT8_P12ihipStream_tbDpT10_ENKUlT_T0_E_clISt17integral_constantIbLb1EES17_EEDaS12_S13_EUlS12_E_NS1_11comp_targetILNS1_3genE8ELNS1_11target_archE1030ELNS1_3gpuE2ELNS1_3repE0EEENS1_30default_config_static_selectorELNS0_4arch9wavefront6targetE1EEEvT1_, .Lfunc_end425-_ZN7rocprim17ROCPRIM_400000_NS6detail17trampoline_kernelINS0_14default_configENS1_25partition_config_selectorILNS1_17partition_subalgoE8EiNS0_10empty_typeEbEEZZNS1_14partition_implILS5_8ELb0ES3_jPKiPS6_PKS6_NS0_5tupleIJPiS6_EEENSE_IJSB_SB_EEENS0_18inequality_wrapperIN6hipcub16HIPCUB_304000_NS8EqualityEEEPlJS6_EEE10hipError_tPvRmT3_T4_T5_T6_T7_T9_mT8_P12ihipStream_tbDpT10_ENKUlT_T0_E_clISt17integral_constantIbLb1EES17_EEDaS12_S13_EUlS12_E_NS1_11comp_targetILNS1_3genE8ELNS1_11target_archE1030ELNS1_3gpuE2ELNS1_3repE0EEENS1_30default_config_static_selectorELNS0_4arch9wavefront6targetE1EEEvT1_
                                        ; -- End function
	.section	.AMDGPU.csdata,"",@progbits
; Kernel info:
; codeLenInByte = 0
; NumSgprs: 4
; NumVgprs: 0
; NumAgprs: 0
; TotalNumVgprs: 0
; ScratchSize: 0
; MemoryBound: 0
; FloatMode: 240
; IeeeMode: 1
; LDSByteSize: 0 bytes/workgroup (compile time only)
; SGPRBlocks: 0
; VGPRBlocks: 0
; NumSGPRsForWavesPerEU: 4
; NumVGPRsForWavesPerEU: 1
; AccumOffset: 4
; Occupancy: 8
; WaveLimiterHint : 0
; COMPUTE_PGM_RSRC2:SCRATCH_EN: 0
; COMPUTE_PGM_RSRC2:USER_SGPR: 6
; COMPUTE_PGM_RSRC2:TRAP_HANDLER: 0
; COMPUTE_PGM_RSRC2:TGID_X_EN: 1
; COMPUTE_PGM_RSRC2:TGID_Y_EN: 0
; COMPUTE_PGM_RSRC2:TGID_Z_EN: 0
; COMPUTE_PGM_RSRC2:TIDIG_COMP_CNT: 0
; COMPUTE_PGM_RSRC3_GFX90A:ACCUM_OFFSET: 0
; COMPUTE_PGM_RSRC3_GFX90A:TG_SPLIT: 0
	.section	.text._ZN7rocprim17ROCPRIM_400000_NS6detail17trampoline_kernelINS0_14default_configENS1_25partition_config_selectorILNS1_17partition_subalgoE8EiNS0_10empty_typeEbEEZZNS1_14partition_implILS5_8ELb0ES3_jPKiPS6_PKS6_NS0_5tupleIJPiS6_EEENSE_IJSB_SB_EEENS0_18inequality_wrapperIN6hipcub16HIPCUB_304000_NS8EqualityEEEPlJS6_EEE10hipError_tPvRmT3_T4_T5_T6_T7_T9_mT8_P12ihipStream_tbDpT10_ENKUlT_T0_E_clISt17integral_constantIbLb1EES16_IbLb0EEEEDaS12_S13_EUlS12_E_NS1_11comp_targetILNS1_3genE0ELNS1_11target_archE4294967295ELNS1_3gpuE0ELNS1_3repE0EEENS1_30default_config_static_selectorELNS0_4arch9wavefront6targetE1EEEvT1_,"axG",@progbits,_ZN7rocprim17ROCPRIM_400000_NS6detail17trampoline_kernelINS0_14default_configENS1_25partition_config_selectorILNS1_17partition_subalgoE8EiNS0_10empty_typeEbEEZZNS1_14partition_implILS5_8ELb0ES3_jPKiPS6_PKS6_NS0_5tupleIJPiS6_EEENSE_IJSB_SB_EEENS0_18inequality_wrapperIN6hipcub16HIPCUB_304000_NS8EqualityEEEPlJS6_EEE10hipError_tPvRmT3_T4_T5_T6_T7_T9_mT8_P12ihipStream_tbDpT10_ENKUlT_T0_E_clISt17integral_constantIbLb1EES16_IbLb0EEEEDaS12_S13_EUlS12_E_NS1_11comp_targetILNS1_3genE0ELNS1_11target_archE4294967295ELNS1_3gpuE0ELNS1_3repE0EEENS1_30default_config_static_selectorELNS0_4arch9wavefront6targetE1EEEvT1_,comdat
	.protected	_ZN7rocprim17ROCPRIM_400000_NS6detail17trampoline_kernelINS0_14default_configENS1_25partition_config_selectorILNS1_17partition_subalgoE8EiNS0_10empty_typeEbEEZZNS1_14partition_implILS5_8ELb0ES3_jPKiPS6_PKS6_NS0_5tupleIJPiS6_EEENSE_IJSB_SB_EEENS0_18inequality_wrapperIN6hipcub16HIPCUB_304000_NS8EqualityEEEPlJS6_EEE10hipError_tPvRmT3_T4_T5_T6_T7_T9_mT8_P12ihipStream_tbDpT10_ENKUlT_T0_E_clISt17integral_constantIbLb1EES16_IbLb0EEEEDaS12_S13_EUlS12_E_NS1_11comp_targetILNS1_3genE0ELNS1_11target_archE4294967295ELNS1_3gpuE0ELNS1_3repE0EEENS1_30default_config_static_selectorELNS0_4arch9wavefront6targetE1EEEvT1_ ; -- Begin function _ZN7rocprim17ROCPRIM_400000_NS6detail17trampoline_kernelINS0_14default_configENS1_25partition_config_selectorILNS1_17partition_subalgoE8EiNS0_10empty_typeEbEEZZNS1_14partition_implILS5_8ELb0ES3_jPKiPS6_PKS6_NS0_5tupleIJPiS6_EEENSE_IJSB_SB_EEENS0_18inequality_wrapperIN6hipcub16HIPCUB_304000_NS8EqualityEEEPlJS6_EEE10hipError_tPvRmT3_T4_T5_T6_T7_T9_mT8_P12ihipStream_tbDpT10_ENKUlT_T0_E_clISt17integral_constantIbLb1EES16_IbLb0EEEEDaS12_S13_EUlS12_E_NS1_11comp_targetILNS1_3genE0ELNS1_11target_archE4294967295ELNS1_3gpuE0ELNS1_3repE0EEENS1_30default_config_static_selectorELNS0_4arch9wavefront6targetE1EEEvT1_
	.globl	_ZN7rocprim17ROCPRIM_400000_NS6detail17trampoline_kernelINS0_14default_configENS1_25partition_config_selectorILNS1_17partition_subalgoE8EiNS0_10empty_typeEbEEZZNS1_14partition_implILS5_8ELb0ES3_jPKiPS6_PKS6_NS0_5tupleIJPiS6_EEENSE_IJSB_SB_EEENS0_18inequality_wrapperIN6hipcub16HIPCUB_304000_NS8EqualityEEEPlJS6_EEE10hipError_tPvRmT3_T4_T5_T6_T7_T9_mT8_P12ihipStream_tbDpT10_ENKUlT_T0_E_clISt17integral_constantIbLb1EES16_IbLb0EEEEDaS12_S13_EUlS12_E_NS1_11comp_targetILNS1_3genE0ELNS1_11target_archE4294967295ELNS1_3gpuE0ELNS1_3repE0EEENS1_30default_config_static_selectorELNS0_4arch9wavefront6targetE1EEEvT1_
	.p2align	8
	.type	_ZN7rocprim17ROCPRIM_400000_NS6detail17trampoline_kernelINS0_14default_configENS1_25partition_config_selectorILNS1_17partition_subalgoE8EiNS0_10empty_typeEbEEZZNS1_14partition_implILS5_8ELb0ES3_jPKiPS6_PKS6_NS0_5tupleIJPiS6_EEENSE_IJSB_SB_EEENS0_18inequality_wrapperIN6hipcub16HIPCUB_304000_NS8EqualityEEEPlJS6_EEE10hipError_tPvRmT3_T4_T5_T6_T7_T9_mT8_P12ihipStream_tbDpT10_ENKUlT_T0_E_clISt17integral_constantIbLb1EES16_IbLb0EEEEDaS12_S13_EUlS12_E_NS1_11comp_targetILNS1_3genE0ELNS1_11target_archE4294967295ELNS1_3gpuE0ELNS1_3repE0EEENS1_30default_config_static_selectorELNS0_4arch9wavefront6targetE1EEEvT1_,@function
_ZN7rocprim17ROCPRIM_400000_NS6detail17trampoline_kernelINS0_14default_configENS1_25partition_config_selectorILNS1_17partition_subalgoE8EiNS0_10empty_typeEbEEZZNS1_14partition_implILS5_8ELb0ES3_jPKiPS6_PKS6_NS0_5tupleIJPiS6_EEENSE_IJSB_SB_EEENS0_18inequality_wrapperIN6hipcub16HIPCUB_304000_NS8EqualityEEEPlJS6_EEE10hipError_tPvRmT3_T4_T5_T6_T7_T9_mT8_P12ihipStream_tbDpT10_ENKUlT_T0_E_clISt17integral_constantIbLb1EES16_IbLb0EEEEDaS12_S13_EUlS12_E_NS1_11comp_targetILNS1_3genE0ELNS1_11target_archE4294967295ELNS1_3gpuE0ELNS1_3repE0EEENS1_30default_config_static_selectorELNS0_4arch9wavefront6targetE1EEEvT1_: ; @_ZN7rocprim17ROCPRIM_400000_NS6detail17trampoline_kernelINS0_14default_configENS1_25partition_config_selectorILNS1_17partition_subalgoE8EiNS0_10empty_typeEbEEZZNS1_14partition_implILS5_8ELb0ES3_jPKiPS6_PKS6_NS0_5tupleIJPiS6_EEENSE_IJSB_SB_EEENS0_18inequality_wrapperIN6hipcub16HIPCUB_304000_NS8EqualityEEEPlJS6_EEE10hipError_tPvRmT3_T4_T5_T6_T7_T9_mT8_P12ihipStream_tbDpT10_ENKUlT_T0_E_clISt17integral_constantIbLb1EES16_IbLb0EEEEDaS12_S13_EUlS12_E_NS1_11comp_targetILNS1_3genE0ELNS1_11target_archE4294967295ELNS1_3gpuE0ELNS1_3repE0EEENS1_30default_config_static_selectorELNS0_4arch9wavefront6targetE1EEEvT1_
; %bb.0:
	.section	.rodata,"a",@progbits
	.p2align	6, 0x0
	.amdhsa_kernel _ZN7rocprim17ROCPRIM_400000_NS6detail17trampoline_kernelINS0_14default_configENS1_25partition_config_selectorILNS1_17partition_subalgoE8EiNS0_10empty_typeEbEEZZNS1_14partition_implILS5_8ELb0ES3_jPKiPS6_PKS6_NS0_5tupleIJPiS6_EEENSE_IJSB_SB_EEENS0_18inequality_wrapperIN6hipcub16HIPCUB_304000_NS8EqualityEEEPlJS6_EEE10hipError_tPvRmT3_T4_T5_T6_T7_T9_mT8_P12ihipStream_tbDpT10_ENKUlT_T0_E_clISt17integral_constantIbLb1EES16_IbLb0EEEEDaS12_S13_EUlS12_E_NS1_11comp_targetILNS1_3genE0ELNS1_11target_archE4294967295ELNS1_3gpuE0ELNS1_3repE0EEENS1_30default_config_static_selectorELNS0_4arch9wavefront6targetE1EEEvT1_
		.amdhsa_group_segment_fixed_size 0
		.amdhsa_private_segment_fixed_size 0
		.amdhsa_kernarg_size 112
		.amdhsa_user_sgpr_count 6
		.amdhsa_user_sgpr_private_segment_buffer 1
		.amdhsa_user_sgpr_dispatch_ptr 0
		.amdhsa_user_sgpr_queue_ptr 0
		.amdhsa_user_sgpr_kernarg_segment_ptr 1
		.amdhsa_user_sgpr_dispatch_id 0
		.amdhsa_user_sgpr_flat_scratch_init 0
		.amdhsa_user_sgpr_kernarg_preload_length 0
		.amdhsa_user_sgpr_kernarg_preload_offset 0
		.amdhsa_user_sgpr_private_segment_size 0
		.amdhsa_uses_dynamic_stack 0
		.amdhsa_system_sgpr_private_segment_wavefront_offset 0
		.amdhsa_system_sgpr_workgroup_id_x 1
		.amdhsa_system_sgpr_workgroup_id_y 0
		.amdhsa_system_sgpr_workgroup_id_z 0
		.amdhsa_system_sgpr_workgroup_info 0
		.amdhsa_system_vgpr_workitem_id 0
		.amdhsa_next_free_vgpr 1
		.amdhsa_next_free_sgpr 0
		.amdhsa_accum_offset 4
		.amdhsa_reserve_vcc 0
		.amdhsa_reserve_flat_scratch 0
		.amdhsa_float_round_mode_32 0
		.amdhsa_float_round_mode_16_64 0
		.amdhsa_float_denorm_mode_32 3
		.amdhsa_float_denorm_mode_16_64 3
		.amdhsa_dx10_clamp 1
		.amdhsa_ieee_mode 1
		.amdhsa_fp16_overflow 0
		.amdhsa_tg_split 0
		.amdhsa_exception_fp_ieee_invalid_op 0
		.amdhsa_exception_fp_denorm_src 0
		.amdhsa_exception_fp_ieee_div_zero 0
		.amdhsa_exception_fp_ieee_overflow 0
		.amdhsa_exception_fp_ieee_underflow 0
		.amdhsa_exception_fp_ieee_inexact 0
		.amdhsa_exception_int_div_zero 0
	.end_amdhsa_kernel
	.section	.text._ZN7rocprim17ROCPRIM_400000_NS6detail17trampoline_kernelINS0_14default_configENS1_25partition_config_selectorILNS1_17partition_subalgoE8EiNS0_10empty_typeEbEEZZNS1_14partition_implILS5_8ELb0ES3_jPKiPS6_PKS6_NS0_5tupleIJPiS6_EEENSE_IJSB_SB_EEENS0_18inequality_wrapperIN6hipcub16HIPCUB_304000_NS8EqualityEEEPlJS6_EEE10hipError_tPvRmT3_T4_T5_T6_T7_T9_mT8_P12ihipStream_tbDpT10_ENKUlT_T0_E_clISt17integral_constantIbLb1EES16_IbLb0EEEEDaS12_S13_EUlS12_E_NS1_11comp_targetILNS1_3genE0ELNS1_11target_archE4294967295ELNS1_3gpuE0ELNS1_3repE0EEENS1_30default_config_static_selectorELNS0_4arch9wavefront6targetE1EEEvT1_,"axG",@progbits,_ZN7rocprim17ROCPRIM_400000_NS6detail17trampoline_kernelINS0_14default_configENS1_25partition_config_selectorILNS1_17partition_subalgoE8EiNS0_10empty_typeEbEEZZNS1_14partition_implILS5_8ELb0ES3_jPKiPS6_PKS6_NS0_5tupleIJPiS6_EEENSE_IJSB_SB_EEENS0_18inequality_wrapperIN6hipcub16HIPCUB_304000_NS8EqualityEEEPlJS6_EEE10hipError_tPvRmT3_T4_T5_T6_T7_T9_mT8_P12ihipStream_tbDpT10_ENKUlT_T0_E_clISt17integral_constantIbLb1EES16_IbLb0EEEEDaS12_S13_EUlS12_E_NS1_11comp_targetILNS1_3genE0ELNS1_11target_archE4294967295ELNS1_3gpuE0ELNS1_3repE0EEENS1_30default_config_static_selectorELNS0_4arch9wavefront6targetE1EEEvT1_,comdat
.Lfunc_end426:
	.size	_ZN7rocprim17ROCPRIM_400000_NS6detail17trampoline_kernelINS0_14default_configENS1_25partition_config_selectorILNS1_17partition_subalgoE8EiNS0_10empty_typeEbEEZZNS1_14partition_implILS5_8ELb0ES3_jPKiPS6_PKS6_NS0_5tupleIJPiS6_EEENSE_IJSB_SB_EEENS0_18inequality_wrapperIN6hipcub16HIPCUB_304000_NS8EqualityEEEPlJS6_EEE10hipError_tPvRmT3_T4_T5_T6_T7_T9_mT8_P12ihipStream_tbDpT10_ENKUlT_T0_E_clISt17integral_constantIbLb1EES16_IbLb0EEEEDaS12_S13_EUlS12_E_NS1_11comp_targetILNS1_3genE0ELNS1_11target_archE4294967295ELNS1_3gpuE0ELNS1_3repE0EEENS1_30default_config_static_selectorELNS0_4arch9wavefront6targetE1EEEvT1_, .Lfunc_end426-_ZN7rocprim17ROCPRIM_400000_NS6detail17trampoline_kernelINS0_14default_configENS1_25partition_config_selectorILNS1_17partition_subalgoE8EiNS0_10empty_typeEbEEZZNS1_14partition_implILS5_8ELb0ES3_jPKiPS6_PKS6_NS0_5tupleIJPiS6_EEENSE_IJSB_SB_EEENS0_18inequality_wrapperIN6hipcub16HIPCUB_304000_NS8EqualityEEEPlJS6_EEE10hipError_tPvRmT3_T4_T5_T6_T7_T9_mT8_P12ihipStream_tbDpT10_ENKUlT_T0_E_clISt17integral_constantIbLb1EES16_IbLb0EEEEDaS12_S13_EUlS12_E_NS1_11comp_targetILNS1_3genE0ELNS1_11target_archE4294967295ELNS1_3gpuE0ELNS1_3repE0EEENS1_30default_config_static_selectorELNS0_4arch9wavefront6targetE1EEEvT1_
                                        ; -- End function
	.section	.AMDGPU.csdata,"",@progbits
; Kernel info:
; codeLenInByte = 0
; NumSgprs: 4
; NumVgprs: 0
; NumAgprs: 0
; TotalNumVgprs: 0
; ScratchSize: 0
; MemoryBound: 0
; FloatMode: 240
; IeeeMode: 1
; LDSByteSize: 0 bytes/workgroup (compile time only)
; SGPRBlocks: 0
; VGPRBlocks: 0
; NumSGPRsForWavesPerEU: 4
; NumVGPRsForWavesPerEU: 1
; AccumOffset: 4
; Occupancy: 8
; WaveLimiterHint : 0
; COMPUTE_PGM_RSRC2:SCRATCH_EN: 0
; COMPUTE_PGM_RSRC2:USER_SGPR: 6
; COMPUTE_PGM_RSRC2:TRAP_HANDLER: 0
; COMPUTE_PGM_RSRC2:TGID_X_EN: 1
; COMPUTE_PGM_RSRC2:TGID_Y_EN: 0
; COMPUTE_PGM_RSRC2:TGID_Z_EN: 0
; COMPUTE_PGM_RSRC2:TIDIG_COMP_CNT: 0
; COMPUTE_PGM_RSRC3_GFX90A:ACCUM_OFFSET: 0
; COMPUTE_PGM_RSRC3_GFX90A:TG_SPLIT: 0
	.section	.text._ZN7rocprim17ROCPRIM_400000_NS6detail17trampoline_kernelINS0_14default_configENS1_25partition_config_selectorILNS1_17partition_subalgoE8EiNS0_10empty_typeEbEEZZNS1_14partition_implILS5_8ELb0ES3_jPKiPS6_PKS6_NS0_5tupleIJPiS6_EEENSE_IJSB_SB_EEENS0_18inequality_wrapperIN6hipcub16HIPCUB_304000_NS8EqualityEEEPlJS6_EEE10hipError_tPvRmT3_T4_T5_T6_T7_T9_mT8_P12ihipStream_tbDpT10_ENKUlT_T0_E_clISt17integral_constantIbLb1EES16_IbLb0EEEEDaS12_S13_EUlS12_E_NS1_11comp_targetILNS1_3genE5ELNS1_11target_archE942ELNS1_3gpuE9ELNS1_3repE0EEENS1_30default_config_static_selectorELNS0_4arch9wavefront6targetE1EEEvT1_,"axG",@progbits,_ZN7rocprim17ROCPRIM_400000_NS6detail17trampoline_kernelINS0_14default_configENS1_25partition_config_selectorILNS1_17partition_subalgoE8EiNS0_10empty_typeEbEEZZNS1_14partition_implILS5_8ELb0ES3_jPKiPS6_PKS6_NS0_5tupleIJPiS6_EEENSE_IJSB_SB_EEENS0_18inequality_wrapperIN6hipcub16HIPCUB_304000_NS8EqualityEEEPlJS6_EEE10hipError_tPvRmT3_T4_T5_T6_T7_T9_mT8_P12ihipStream_tbDpT10_ENKUlT_T0_E_clISt17integral_constantIbLb1EES16_IbLb0EEEEDaS12_S13_EUlS12_E_NS1_11comp_targetILNS1_3genE5ELNS1_11target_archE942ELNS1_3gpuE9ELNS1_3repE0EEENS1_30default_config_static_selectorELNS0_4arch9wavefront6targetE1EEEvT1_,comdat
	.protected	_ZN7rocprim17ROCPRIM_400000_NS6detail17trampoline_kernelINS0_14default_configENS1_25partition_config_selectorILNS1_17partition_subalgoE8EiNS0_10empty_typeEbEEZZNS1_14partition_implILS5_8ELb0ES3_jPKiPS6_PKS6_NS0_5tupleIJPiS6_EEENSE_IJSB_SB_EEENS0_18inequality_wrapperIN6hipcub16HIPCUB_304000_NS8EqualityEEEPlJS6_EEE10hipError_tPvRmT3_T4_T5_T6_T7_T9_mT8_P12ihipStream_tbDpT10_ENKUlT_T0_E_clISt17integral_constantIbLb1EES16_IbLb0EEEEDaS12_S13_EUlS12_E_NS1_11comp_targetILNS1_3genE5ELNS1_11target_archE942ELNS1_3gpuE9ELNS1_3repE0EEENS1_30default_config_static_selectorELNS0_4arch9wavefront6targetE1EEEvT1_ ; -- Begin function _ZN7rocprim17ROCPRIM_400000_NS6detail17trampoline_kernelINS0_14default_configENS1_25partition_config_selectorILNS1_17partition_subalgoE8EiNS0_10empty_typeEbEEZZNS1_14partition_implILS5_8ELb0ES3_jPKiPS6_PKS6_NS0_5tupleIJPiS6_EEENSE_IJSB_SB_EEENS0_18inequality_wrapperIN6hipcub16HIPCUB_304000_NS8EqualityEEEPlJS6_EEE10hipError_tPvRmT3_T4_T5_T6_T7_T9_mT8_P12ihipStream_tbDpT10_ENKUlT_T0_E_clISt17integral_constantIbLb1EES16_IbLb0EEEEDaS12_S13_EUlS12_E_NS1_11comp_targetILNS1_3genE5ELNS1_11target_archE942ELNS1_3gpuE9ELNS1_3repE0EEENS1_30default_config_static_selectorELNS0_4arch9wavefront6targetE1EEEvT1_
	.globl	_ZN7rocprim17ROCPRIM_400000_NS6detail17trampoline_kernelINS0_14default_configENS1_25partition_config_selectorILNS1_17partition_subalgoE8EiNS0_10empty_typeEbEEZZNS1_14partition_implILS5_8ELb0ES3_jPKiPS6_PKS6_NS0_5tupleIJPiS6_EEENSE_IJSB_SB_EEENS0_18inequality_wrapperIN6hipcub16HIPCUB_304000_NS8EqualityEEEPlJS6_EEE10hipError_tPvRmT3_T4_T5_T6_T7_T9_mT8_P12ihipStream_tbDpT10_ENKUlT_T0_E_clISt17integral_constantIbLb1EES16_IbLb0EEEEDaS12_S13_EUlS12_E_NS1_11comp_targetILNS1_3genE5ELNS1_11target_archE942ELNS1_3gpuE9ELNS1_3repE0EEENS1_30default_config_static_selectorELNS0_4arch9wavefront6targetE1EEEvT1_
	.p2align	8
	.type	_ZN7rocprim17ROCPRIM_400000_NS6detail17trampoline_kernelINS0_14default_configENS1_25partition_config_selectorILNS1_17partition_subalgoE8EiNS0_10empty_typeEbEEZZNS1_14partition_implILS5_8ELb0ES3_jPKiPS6_PKS6_NS0_5tupleIJPiS6_EEENSE_IJSB_SB_EEENS0_18inequality_wrapperIN6hipcub16HIPCUB_304000_NS8EqualityEEEPlJS6_EEE10hipError_tPvRmT3_T4_T5_T6_T7_T9_mT8_P12ihipStream_tbDpT10_ENKUlT_T0_E_clISt17integral_constantIbLb1EES16_IbLb0EEEEDaS12_S13_EUlS12_E_NS1_11comp_targetILNS1_3genE5ELNS1_11target_archE942ELNS1_3gpuE9ELNS1_3repE0EEENS1_30default_config_static_selectorELNS0_4arch9wavefront6targetE1EEEvT1_,@function
_ZN7rocprim17ROCPRIM_400000_NS6detail17trampoline_kernelINS0_14default_configENS1_25partition_config_selectorILNS1_17partition_subalgoE8EiNS0_10empty_typeEbEEZZNS1_14partition_implILS5_8ELb0ES3_jPKiPS6_PKS6_NS0_5tupleIJPiS6_EEENSE_IJSB_SB_EEENS0_18inequality_wrapperIN6hipcub16HIPCUB_304000_NS8EqualityEEEPlJS6_EEE10hipError_tPvRmT3_T4_T5_T6_T7_T9_mT8_P12ihipStream_tbDpT10_ENKUlT_T0_E_clISt17integral_constantIbLb1EES16_IbLb0EEEEDaS12_S13_EUlS12_E_NS1_11comp_targetILNS1_3genE5ELNS1_11target_archE942ELNS1_3gpuE9ELNS1_3repE0EEENS1_30default_config_static_selectorELNS0_4arch9wavefront6targetE1EEEvT1_: ; @_ZN7rocprim17ROCPRIM_400000_NS6detail17trampoline_kernelINS0_14default_configENS1_25partition_config_selectorILNS1_17partition_subalgoE8EiNS0_10empty_typeEbEEZZNS1_14partition_implILS5_8ELb0ES3_jPKiPS6_PKS6_NS0_5tupleIJPiS6_EEENSE_IJSB_SB_EEENS0_18inequality_wrapperIN6hipcub16HIPCUB_304000_NS8EqualityEEEPlJS6_EEE10hipError_tPvRmT3_T4_T5_T6_T7_T9_mT8_P12ihipStream_tbDpT10_ENKUlT_T0_E_clISt17integral_constantIbLb1EES16_IbLb0EEEEDaS12_S13_EUlS12_E_NS1_11comp_targetILNS1_3genE5ELNS1_11target_archE942ELNS1_3gpuE9ELNS1_3repE0EEENS1_30default_config_static_selectorELNS0_4arch9wavefront6targetE1EEEvT1_
; %bb.0:
	.section	.rodata,"a",@progbits
	.p2align	6, 0x0
	.amdhsa_kernel _ZN7rocprim17ROCPRIM_400000_NS6detail17trampoline_kernelINS0_14default_configENS1_25partition_config_selectorILNS1_17partition_subalgoE8EiNS0_10empty_typeEbEEZZNS1_14partition_implILS5_8ELb0ES3_jPKiPS6_PKS6_NS0_5tupleIJPiS6_EEENSE_IJSB_SB_EEENS0_18inequality_wrapperIN6hipcub16HIPCUB_304000_NS8EqualityEEEPlJS6_EEE10hipError_tPvRmT3_T4_T5_T6_T7_T9_mT8_P12ihipStream_tbDpT10_ENKUlT_T0_E_clISt17integral_constantIbLb1EES16_IbLb0EEEEDaS12_S13_EUlS12_E_NS1_11comp_targetILNS1_3genE5ELNS1_11target_archE942ELNS1_3gpuE9ELNS1_3repE0EEENS1_30default_config_static_selectorELNS0_4arch9wavefront6targetE1EEEvT1_
		.amdhsa_group_segment_fixed_size 0
		.amdhsa_private_segment_fixed_size 0
		.amdhsa_kernarg_size 112
		.amdhsa_user_sgpr_count 6
		.amdhsa_user_sgpr_private_segment_buffer 1
		.amdhsa_user_sgpr_dispatch_ptr 0
		.amdhsa_user_sgpr_queue_ptr 0
		.amdhsa_user_sgpr_kernarg_segment_ptr 1
		.amdhsa_user_sgpr_dispatch_id 0
		.amdhsa_user_sgpr_flat_scratch_init 0
		.amdhsa_user_sgpr_kernarg_preload_length 0
		.amdhsa_user_sgpr_kernarg_preload_offset 0
		.amdhsa_user_sgpr_private_segment_size 0
		.amdhsa_uses_dynamic_stack 0
		.amdhsa_system_sgpr_private_segment_wavefront_offset 0
		.amdhsa_system_sgpr_workgroup_id_x 1
		.amdhsa_system_sgpr_workgroup_id_y 0
		.amdhsa_system_sgpr_workgroup_id_z 0
		.amdhsa_system_sgpr_workgroup_info 0
		.amdhsa_system_vgpr_workitem_id 0
		.amdhsa_next_free_vgpr 1
		.amdhsa_next_free_sgpr 0
		.amdhsa_accum_offset 4
		.amdhsa_reserve_vcc 0
		.amdhsa_reserve_flat_scratch 0
		.amdhsa_float_round_mode_32 0
		.amdhsa_float_round_mode_16_64 0
		.amdhsa_float_denorm_mode_32 3
		.amdhsa_float_denorm_mode_16_64 3
		.amdhsa_dx10_clamp 1
		.amdhsa_ieee_mode 1
		.amdhsa_fp16_overflow 0
		.amdhsa_tg_split 0
		.amdhsa_exception_fp_ieee_invalid_op 0
		.amdhsa_exception_fp_denorm_src 0
		.amdhsa_exception_fp_ieee_div_zero 0
		.amdhsa_exception_fp_ieee_overflow 0
		.amdhsa_exception_fp_ieee_underflow 0
		.amdhsa_exception_fp_ieee_inexact 0
		.amdhsa_exception_int_div_zero 0
	.end_amdhsa_kernel
	.section	.text._ZN7rocprim17ROCPRIM_400000_NS6detail17trampoline_kernelINS0_14default_configENS1_25partition_config_selectorILNS1_17partition_subalgoE8EiNS0_10empty_typeEbEEZZNS1_14partition_implILS5_8ELb0ES3_jPKiPS6_PKS6_NS0_5tupleIJPiS6_EEENSE_IJSB_SB_EEENS0_18inequality_wrapperIN6hipcub16HIPCUB_304000_NS8EqualityEEEPlJS6_EEE10hipError_tPvRmT3_T4_T5_T6_T7_T9_mT8_P12ihipStream_tbDpT10_ENKUlT_T0_E_clISt17integral_constantIbLb1EES16_IbLb0EEEEDaS12_S13_EUlS12_E_NS1_11comp_targetILNS1_3genE5ELNS1_11target_archE942ELNS1_3gpuE9ELNS1_3repE0EEENS1_30default_config_static_selectorELNS0_4arch9wavefront6targetE1EEEvT1_,"axG",@progbits,_ZN7rocprim17ROCPRIM_400000_NS6detail17trampoline_kernelINS0_14default_configENS1_25partition_config_selectorILNS1_17partition_subalgoE8EiNS0_10empty_typeEbEEZZNS1_14partition_implILS5_8ELb0ES3_jPKiPS6_PKS6_NS0_5tupleIJPiS6_EEENSE_IJSB_SB_EEENS0_18inequality_wrapperIN6hipcub16HIPCUB_304000_NS8EqualityEEEPlJS6_EEE10hipError_tPvRmT3_T4_T5_T6_T7_T9_mT8_P12ihipStream_tbDpT10_ENKUlT_T0_E_clISt17integral_constantIbLb1EES16_IbLb0EEEEDaS12_S13_EUlS12_E_NS1_11comp_targetILNS1_3genE5ELNS1_11target_archE942ELNS1_3gpuE9ELNS1_3repE0EEENS1_30default_config_static_selectorELNS0_4arch9wavefront6targetE1EEEvT1_,comdat
.Lfunc_end427:
	.size	_ZN7rocprim17ROCPRIM_400000_NS6detail17trampoline_kernelINS0_14default_configENS1_25partition_config_selectorILNS1_17partition_subalgoE8EiNS0_10empty_typeEbEEZZNS1_14partition_implILS5_8ELb0ES3_jPKiPS6_PKS6_NS0_5tupleIJPiS6_EEENSE_IJSB_SB_EEENS0_18inequality_wrapperIN6hipcub16HIPCUB_304000_NS8EqualityEEEPlJS6_EEE10hipError_tPvRmT3_T4_T5_T6_T7_T9_mT8_P12ihipStream_tbDpT10_ENKUlT_T0_E_clISt17integral_constantIbLb1EES16_IbLb0EEEEDaS12_S13_EUlS12_E_NS1_11comp_targetILNS1_3genE5ELNS1_11target_archE942ELNS1_3gpuE9ELNS1_3repE0EEENS1_30default_config_static_selectorELNS0_4arch9wavefront6targetE1EEEvT1_, .Lfunc_end427-_ZN7rocprim17ROCPRIM_400000_NS6detail17trampoline_kernelINS0_14default_configENS1_25partition_config_selectorILNS1_17partition_subalgoE8EiNS0_10empty_typeEbEEZZNS1_14partition_implILS5_8ELb0ES3_jPKiPS6_PKS6_NS0_5tupleIJPiS6_EEENSE_IJSB_SB_EEENS0_18inequality_wrapperIN6hipcub16HIPCUB_304000_NS8EqualityEEEPlJS6_EEE10hipError_tPvRmT3_T4_T5_T6_T7_T9_mT8_P12ihipStream_tbDpT10_ENKUlT_T0_E_clISt17integral_constantIbLb1EES16_IbLb0EEEEDaS12_S13_EUlS12_E_NS1_11comp_targetILNS1_3genE5ELNS1_11target_archE942ELNS1_3gpuE9ELNS1_3repE0EEENS1_30default_config_static_selectorELNS0_4arch9wavefront6targetE1EEEvT1_
                                        ; -- End function
	.section	.AMDGPU.csdata,"",@progbits
; Kernel info:
; codeLenInByte = 0
; NumSgprs: 4
; NumVgprs: 0
; NumAgprs: 0
; TotalNumVgprs: 0
; ScratchSize: 0
; MemoryBound: 0
; FloatMode: 240
; IeeeMode: 1
; LDSByteSize: 0 bytes/workgroup (compile time only)
; SGPRBlocks: 0
; VGPRBlocks: 0
; NumSGPRsForWavesPerEU: 4
; NumVGPRsForWavesPerEU: 1
; AccumOffset: 4
; Occupancy: 8
; WaveLimiterHint : 0
; COMPUTE_PGM_RSRC2:SCRATCH_EN: 0
; COMPUTE_PGM_RSRC2:USER_SGPR: 6
; COMPUTE_PGM_RSRC2:TRAP_HANDLER: 0
; COMPUTE_PGM_RSRC2:TGID_X_EN: 1
; COMPUTE_PGM_RSRC2:TGID_Y_EN: 0
; COMPUTE_PGM_RSRC2:TGID_Z_EN: 0
; COMPUTE_PGM_RSRC2:TIDIG_COMP_CNT: 0
; COMPUTE_PGM_RSRC3_GFX90A:ACCUM_OFFSET: 0
; COMPUTE_PGM_RSRC3_GFX90A:TG_SPLIT: 0
	.section	.text._ZN7rocprim17ROCPRIM_400000_NS6detail17trampoline_kernelINS0_14default_configENS1_25partition_config_selectorILNS1_17partition_subalgoE8EiNS0_10empty_typeEbEEZZNS1_14partition_implILS5_8ELb0ES3_jPKiPS6_PKS6_NS0_5tupleIJPiS6_EEENSE_IJSB_SB_EEENS0_18inequality_wrapperIN6hipcub16HIPCUB_304000_NS8EqualityEEEPlJS6_EEE10hipError_tPvRmT3_T4_T5_T6_T7_T9_mT8_P12ihipStream_tbDpT10_ENKUlT_T0_E_clISt17integral_constantIbLb1EES16_IbLb0EEEEDaS12_S13_EUlS12_E_NS1_11comp_targetILNS1_3genE4ELNS1_11target_archE910ELNS1_3gpuE8ELNS1_3repE0EEENS1_30default_config_static_selectorELNS0_4arch9wavefront6targetE1EEEvT1_,"axG",@progbits,_ZN7rocprim17ROCPRIM_400000_NS6detail17trampoline_kernelINS0_14default_configENS1_25partition_config_selectorILNS1_17partition_subalgoE8EiNS0_10empty_typeEbEEZZNS1_14partition_implILS5_8ELb0ES3_jPKiPS6_PKS6_NS0_5tupleIJPiS6_EEENSE_IJSB_SB_EEENS0_18inequality_wrapperIN6hipcub16HIPCUB_304000_NS8EqualityEEEPlJS6_EEE10hipError_tPvRmT3_T4_T5_T6_T7_T9_mT8_P12ihipStream_tbDpT10_ENKUlT_T0_E_clISt17integral_constantIbLb1EES16_IbLb0EEEEDaS12_S13_EUlS12_E_NS1_11comp_targetILNS1_3genE4ELNS1_11target_archE910ELNS1_3gpuE8ELNS1_3repE0EEENS1_30default_config_static_selectorELNS0_4arch9wavefront6targetE1EEEvT1_,comdat
	.protected	_ZN7rocprim17ROCPRIM_400000_NS6detail17trampoline_kernelINS0_14default_configENS1_25partition_config_selectorILNS1_17partition_subalgoE8EiNS0_10empty_typeEbEEZZNS1_14partition_implILS5_8ELb0ES3_jPKiPS6_PKS6_NS0_5tupleIJPiS6_EEENSE_IJSB_SB_EEENS0_18inequality_wrapperIN6hipcub16HIPCUB_304000_NS8EqualityEEEPlJS6_EEE10hipError_tPvRmT3_T4_T5_T6_T7_T9_mT8_P12ihipStream_tbDpT10_ENKUlT_T0_E_clISt17integral_constantIbLb1EES16_IbLb0EEEEDaS12_S13_EUlS12_E_NS1_11comp_targetILNS1_3genE4ELNS1_11target_archE910ELNS1_3gpuE8ELNS1_3repE0EEENS1_30default_config_static_selectorELNS0_4arch9wavefront6targetE1EEEvT1_ ; -- Begin function _ZN7rocprim17ROCPRIM_400000_NS6detail17trampoline_kernelINS0_14default_configENS1_25partition_config_selectorILNS1_17partition_subalgoE8EiNS0_10empty_typeEbEEZZNS1_14partition_implILS5_8ELb0ES3_jPKiPS6_PKS6_NS0_5tupleIJPiS6_EEENSE_IJSB_SB_EEENS0_18inequality_wrapperIN6hipcub16HIPCUB_304000_NS8EqualityEEEPlJS6_EEE10hipError_tPvRmT3_T4_T5_T6_T7_T9_mT8_P12ihipStream_tbDpT10_ENKUlT_T0_E_clISt17integral_constantIbLb1EES16_IbLb0EEEEDaS12_S13_EUlS12_E_NS1_11comp_targetILNS1_3genE4ELNS1_11target_archE910ELNS1_3gpuE8ELNS1_3repE0EEENS1_30default_config_static_selectorELNS0_4arch9wavefront6targetE1EEEvT1_
	.globl	_ZN7rocprim17ROCPRIM_400000_NS6detail17trampoline_kernelINS0_14default_configENS1_25partition_config_selectorILNS1_17partition_subalgoE8EiNS0_10empty_typeEbEEZZNS1_14partition_implILS5_8ELb0ES3_jPKiPS6_PKS6_NS0_5tupleIJPiS6_EEENSE_IJSB_SB_EEENS0_18inequality_wrapperIN6hipcub16HIPCUB_304000_NS8EqualityEEEPlJS6_EEE10hipError_tPvRmT3_T4_T5_T6_T7_T9_mT8_P12ihipStream_tbDpT10_ENKUlT_T0_E_clISt17integral_constantIbLb1EES16_IbLb0EEEEDaS12_S13_EUlS12_E_NS1_11comp_targetILNS1_3genE4ELNS1_11target_archE910ELNS1_3gpuE8ELNS1_3repE0EEENS1_30default_config_static_selectorELNS0_4arch9wavefront6targetE1EEEvT1_
	.p2align	8
	.type	_ZN7rocprim17ROCPRIM_400000_NS6detail17trampoline_kernelINS0_14default_configENS1_25partition_config_selectorILNS1_17partition_subalgoE8EiNS0_10empty_typeEbEEZZNS1_14partition_implILS5_8ELb0ES3_jPKiPS6_PKS6_NS0_5tupleIJPiS6_EEENSE_IJSB_SB_EEENS0_18inequality_wrapperIN6hipcub16HIPCUB_304000_NS8EqualityEEEPlJS6_EEE10hipError_tPvRmT3_T4_T5_T6_T7_T9_mT8_P12ihipStream_tbDpT10_ENKUlT_T0_E_clISt17integral_constantIbLb1EES16_IbLb0EEEEDaS12_S13_EUlS12_E_NS1_11comp_targetILNS1_3genE4ELNS1_11target_archE910ELNS1_3gpuE8ELNS1_3repE0EEENS1_30default_config_static_selectorELNS0_4arch9wavefront6targetE1EEEvT1_,@function
_ZN7rocprim17ROCPRIM_400000_NS6detail17trampoline_kernelINS0_14default_configENS1_25partition_config_selectorILNS1_17partition_subalgoE8EiNS0_10empty_typeEbEEZZNS1_14partition_implILS5_8ELb0ES3_jPKiPS6_PKS6_NS0_5tupleIJPiS6_EEENSE_IJSB_SB_EEENS0_18inequality_wrapperIN6hipcub16HIPCUB_304000_NS8EqualityEEEPlJS6_EEE10hipError_tPvRmT3_T4_T5_T6_T7_T9_mT8_P12ihipStream_tbDpT10_ENKUlT_T0_E_clISt17integral_constantIbLb1EES16_IbLb0EEEEDaS12_S13_EUlS12_E_NS1_11comp_targetILNS1_3genE4ELNS1_11target_archE910ELNS1_3gpuE8ELNS1_3repE0EEENS1_30default_config_static_selectorELNS0_4arch9wavefront6targetE1EEEvT1_: ; @_ZN7rocprim17ROCPRIM_400000_NS6detail17trampoline_kernelINS0_14default_configENS1_25partition_config_selectorILNS1_17partition_subalgoE8EiNS0_10empty_typeEbEEZZNS1_14partition_implILS5_8ELb0ES3_jPKiPS6_PKS6_NS0_5tupleIJPiS6_EEENSE_IJSB_SB_EEENS0_18inequality_wrapperIN6hipcub16HIPCUB_304000_NS8EqualityEEEPlJS6_EEE10hipError_tPvRmT3_T4_T5_T6_T7_T9_mT8_P12ihipStream_tbDpT10_ENKUlT_T0_E_clISt17integral_constantIbLb1EES16_IbLb0EEEEDaS12_S13_EUlS12_E_NS1_11comp_targetILNS1_3genE4ELNS1_11target_archE910ELNS1_3gpuE8ELNS1_3repE0EEENS1_30default_config_static_selectorELNS0_4arch9wavefront6targetE1EEEvT1_
; %bb.0:
	s_load_dwordx2 s[8:9], s[4:5], 0x50
	s_load_dwordx4 s[0:3], s[4:5], 0x8
	s_load_dwordx4 s[24:27], s[4:5], 0x40
	s_load_dword s7, s[4:5], 0x68
	s_waitcnt lgkmcnt(0)
	v_mov_b32_e32 v3, s9
	s_lshl_b64 s[10:11], s[2:3], 2
	s_add_u32 s10, s0, s10
	s_mul_i32 s9, s7, 0xa00
	s_addc_u32 s11, s1, s11
	s_add_i32 s1, s9, s2
	s_add_i32 s12, s7, -1
	s_sub_i32 s7, s8, s1
	v_mov_b32_e32 v2, s8
	s_add_u32 s8, s2, s9
	s_addc_u32 s9, s3, 0
	s_cmp_eq_u32 s6, s12
	s_load_dwordx2 s[22:23], s[26:27], 0x0
	v_cmp_ge_u64_e32 vcc, s[8:9], v[2:3]
	s_cselect_b64 s[26:27], -1, 0
	s_mul_i32 s0, s6, 0xa00
	s_mov_b32 s1, 0
	s_and_b64 s[30:31], s[26:27], vcc
	s_xor_b64 s[28:29], s[30:31], -1
	s_lshl_b64 s[0:1], s[0:1], 2
	s_add_u32 s0, s10, s0
	s_mov_b64 s[8:9], -1
	s_addc_u32 s1, s11, s1
	s_and_b64 vcc, exec, s[28:29]
	s_cbranch_vccz .LBB428_2
; %bb.1:
	v_lshlrev_b32_e32 v1, 2, v0
	v_mov_b32_e32 v2, s1
	v_add_co_u32_e32 v4, vcc, s0, v1
	v_addc_co_u32_e32 v5, vcc, 0, v2, vcc
	v_add_co_u32_e32 v2, vcc, 0x1000, v4
	v_addc_co_u32_e32 v3, vcc, 0, v5, vcc
	global_load_dword v6, v1, s[0:1]
	global_load_dword v7, v1, s[0:1] offset:1024
	global_load_dword v8, v1, s[0:1] offset:2048
	;; [unrolled: 1-line block ×3, first 2 shown]
	global_load_dword v10, v[2:3], off
	global_load_dword v11, v[2:3], off offset:1024
	global_load_dword v12, v[2:3], off offset:2048
	;; [unrolled: 1-line block ×3, first 2 shown]
	v_add_co_u32_e32 v2, vcc, 0x2000, v4
	v_addc_co_u32_e32 v3, vcc, 0, v5, vcc
	global_load_dword v4, v[2:3], off
	global_load_dword v5, v[2:3], off offset:1024
	s_mov_b64 s[8:9], 0
	s_waitcnt vmcnt(8)
	ds_write2st64_b32 v1, v6, v7 offset1:4
	s_waitcnt vmcnt(6)
	ds_write2st64_b32 v1, v8, v9 offset0:8 offset1:12
	s_waitcnt vmcnt(4)
	ds_write2st64_b32 v1, v10, v11 offset0:16 offset1:20
	;; [unrolled: 2-line block ×4, first 2 shown]
	s_waitcnt lgkmcnt(0)
	s_barrier
.LBB428_2:
	s_andn2_b64 vcc, exec, s[8:9]
	s_addk_i32 s7, 0xa00
	s_cbranch_vccnz .LBB428_24
; %bb.3:
	v_cmp_gt_u32_e32 vcc, s7, v0
                                        ; implicit-def: $vgpr2_vgpr3_vgpr4_vgpr5_vgpr6_vgpr7_vgpr8_vgpr9_vgpr10_vgpr11
	s_and_saveexec_b64 s[8:9], vcc
	s_cbranch_execz .LBB428_5
; %bb.4:
	v_lshlrev_b32_e32 v1, 2, v0
	global_load_dword v2, v1, s[0:1]
.LBB428_5:
	s_or_b64 exec, exec, s[8:9]
	v_or_b32_e32 v1, 0x100, v0
	v_cmp_gt_u32_e32 vcc, s7, v1
	s_and_saveexec_b64 s[8:9], vcc
	s_cbranch_execz .LBB428_7
; %bb.6:
	v_lshlrev_b32_e32 v1, 2, v0
	global_load_dword v3, v1, s[0:1] offset:1024
.LBB428_7:
	s_or_b64 exec, exec, s[8:9]
	v_or_b32_e32 v1, 0x200, v0
	v_cmp_gt_u32_e32 vcc, s7, v1
	s_and_saveexec_b64 s[8:9], vcc
	s_cbranch_execz .LBB428_9
; %bb.8:
	v_lshlrev_b32_e32 v1, 2, v0
	global_load_dword v4, v1, s[0:1] offset:2048
.LBB428_9:
	;; [unrolled: 9-line block ×3, first 2 shown]
	s_or_b64 exec, exec, s[8:9]
	v_or_b32_e32 v1, 0x400, v0
	v_cmp_gt_u32_e32 vcc, s7, v1
	s_and_saveexec_b64 s[8:9], vcc
	s_cbranch_execz .LBB428_13
; %bb.12:
	v_lshlrev_b32_e32 v1, 2, v1
	global_load_dword v6, v1, s[0:1]
.LBB428_13:
	s_or_b64 exec, exec, s[8:9]
	v_or_b32_e32 v1, 0x500, v0
	v_cmp_gt_u32_e32 vcc, s7, v1
	s_and_saveexec_b64 s[8:9], vcc
	s_cbranch_execz .LBB428_15
; %bb.14:
	v_lshlrev_b32_e32 v1, 2, v1
	global_load_dword v7, v1, s[0:1]
.LBB428_15:
	;; [unrolled: 9-line block ×6, first 2 shown]
	s_or_b64 exec, exec, s[8:9]
	v_lshlrev_b32_e32 v1, 2, v0
	s_waitcnt vmcnt(0)
	ds_write2st64_b32 v1, v2, v3 offset1:4
	ds_write2st64_b32 v1, v4, v5 offset0:8 offset1:12
	ds_write2st64_b32 v1, v6, v7 offset0:16 offset1:20
	;; [unrolled: 1-line block ×4, first 2 shown]
	s_waitcnt lgkmcnt(0)
	s_barrier
.LBB428_24:
	v_mul_u32_u24_e32 v25, 10, v0
	v_lshlrev_b32_e32 v1, 2, v25
	s_waitcnt lgkmcnt(0)
	ds_read2_b64 v[6:9], v1 offset1:1
	ds_read2_b64 v[2:5], v1 offset0:2 offset1:3
	ds_read_b64 v[14:15], v1 offset:32
	s_cmp_lg_u32 s6, 0
	s_cselect_b64 s[34:35], -1, 0
	s_cmp_lg_u64 s[2:3], 0
	s_cselect_b64 s[2:3], -1, 0
	s_or_b64 s[2:3], s[34:35], s[2:3]
	v_or_b32_e32 v26, 1, v25
	v_mad_u32_u24 v24, v0, 10, 2
	v_mad_u32_u24 v23, v0, 10, 3
	;; [unrolled: 1-line block ×8, first 2 shown]
	s_mov_b64 s[36:37], 0
	s_and_b64 vcc, exec, s[2:3]
	s_waitcnt lgkmcnt(0)
	s_barrier
	s_cbranch_vccz .LBB428_29
; %bb.25:
	s_add_u32 s0, s0, -4
	s_addc_u32 s1, s1, -1
	s_load_dword s8, s[0:1], 0x0
	v_lshlrev_b32_e32 v10, 2, v0
	s_and_b64 vcc, exec, s[28:29]
	ds_write_b32 v10, v15
	s_cbranch_vccz .LBB428_31
; %bb.26:
	v_cmp_ne_u32_e32 vcc, 0, v0
	s_waitcnt lgkmcnt(0)
	v_mov_b32_e32 v11, s8
	s_barrier
	s_and_saveexec_b64 s[0:1], vcc
	s_cbranch_execz .LBB428_28
; %bb.27:
	v_add_u32_e32 v11, -4, v10
	ds_read_b32 v11, v11
.LBB428_28:
	s_or_b64 exec, exec, s[0:1]
	v_cmp_ne_u32_e32 vcc, v14, v15
	v_cndmask_b32_e64 v27, 0, 1, vcc
	v_cmp_ne_u32_e32 vcc, v5, v14
	v_cndmask_b32_e64 v28, 0, 1, vcc
	;; [unrolled: 2-line block ×9, first 2 shown]
	s_waitcnt lgkmcnt(0)
	v_cmp_ne_u32_e64 s[0:1], v11, v6
	v_lshlrev_b16_e32 v11, 8, v16
	v_or_b32_sdwa v11, v31, v11 dst_sel:WORD_1 dst_unused:UNUSED_PAD src0_sel:DWORD src1_sel:DWORD
	v_lshlrev_b16_e32 v16, 8, v32
	v_or_b32_e32 v16, v16, v11
	v_lshlrev_b16_e32 v11, 8, v29
	v_lshlrev_b16_e32 v12, 8, v12
	v_or_b32_e32 v11, v30, v11
	v_or_b32_sdwa v12, v17, v12 dst_sel:WORD_1 dst_unused:UNUSED_PAD src0_sel:DWORD src1_sel:DWORD
	v_or_b32_sdwa v17, v11, v12 dst_sel:DWORD dst_unused:UNUSED_PAD src0_sel:WORD_0 src1_sel:DWORD
	s_branch .LBB428_35
.LBB428_29:
                                        ; implicit-def: $sgpr0_sgpr1
                                        ; implicit-def: $vgpr27
                                        ; implicit-def: $vgpr28
                                        ; implicit-def: $vgpr17
	s_branch .LBB428_36
.LBB428_30:
                                        ; implicit-def: $vgpr10_vgpr11_vgpr12
	s_and_saveexec_b64 s[2:3], s[36:37]
	s_cbranch_execnz .LBB428_44
	s_branch .LBB428_45
.LBB428_31:
                                        ; implicit-def: $sgpr0_sgpr1
                                        ; implicit-def: $vgpr27
                                        ; implicit-def: $vgpr28
                                        ; implicit-def: $vgpr17
	s_cbranch_execz .LBB428_35
; %bb.32:
	v_cmp_ne_u32_e32 vcc, 0, v0
	s_waitcnt lgkmcnt(0)
	v_mov_b32_e32 v11, s8
	s_barrier
	s_and_saveexec_b64 s[0:1], vcc
	s_cbranch_execz .LBB428_34
; %bb.33:
	v_add_u32_e32 v10, -4, v10
	ds_read_b32 v11, v10
.LBB428_34:
	s_or_b64 exec, exec, s[0:1]
	v_cmp_gt_u32_e32 vcc, s7, v13
	v_cmp_ne_u32_e64 s[0:1], v14, v15
	s_and_b64 s[0:1], vcc, s[0:1]
	v_cndmask_b32_e64 v27, 0, 1, s[0:1]
	v_cmp_gt_u32_e32 vcc, s7, v18
	v_cmp_ne_u32_e64 s[0:1], v5, v14
	s_and_b64 s[0:1], vcc, s[0:1]
	v_cndmask_b32_e64 v28, 0, 1, s[0:1]
	;; [unrolled: 4-line block ×9, first 2 shown]
	s_waitcnt lgkmcnt(0)
	v_cmp_ne_u32_e64 s[0:1], v11, v6
	v_lshlrev_b16_e32 v11, 8, v16
	v_or_b32_sdwa v11, v30, v11 dst_sel:WORD_1 dst_unused:UNUSED_PAD src0_sel:DWORD src1_sel:DWORD
	v_lshlrev_b16_e32 v16, 8, v31
	v_or_b32_e32 v16, v16, v11
	v_lshlrev_b16_e32 v11, 8, v17
	v_lshlrev_b16_e32 v10, 8, v10
	v_cmp_gt_u32_e32 vcc, s7, v25
	v_or_b32_e32 v11, v29, v11
	v_or_b32_sdwa v10, v12, v10 dst_sel:WORD_1 dst_unused:UNUSED_PAD src0_sel:DWORD src1_sel:DWORD
	s_and_b64 s[0:1], vcc, s[0:1]
	v_or_b32_sdwa v17, v11, v10 dst_sel:DWORD dst_unused:UNUSED_PAD src0_sel:WORD_0 src1_sel:DWORD
.LBB428_35:
	s_mov_b64 s[36:37], -1
	s_cbranch_execnz .LBB428_30
.LBB428_36:
	s_movk_i32 s0, 0xffdc
	v_mad_i32_i24 v29, v0, s0, v1
	s_and_b64 vcc, exec, s[28:29]
	v_cmp_ne_u32_e64 s[0:1], v14, v15
	v_cmp_ne_u32_e64 s[2:3], v5, v14
	;; [unrolled: 1-line block ×3, first 2 shown]
	s_waitcnt lgkmcnt(0)
	v_cmp_ne_u32_e64 s[8:9], v3, v4
	v_cmp_ne_u32_e64 s[10:11], v2, v3
	v_cmp_ne_u32_e64 s[12:13], v9, v2
	v_cmp_ne_u32_e64 s[14:15], v8, v9
	v_cmp_ne_u32_e64 s[16:17], v7, v8
	v_cmp_ne_u32_e64 s[18:19], v6, v7
	ds_write_b32 v29, v15
	s_cbranch_vccz .LBB428_40
; %bb.37:
	v_cndmask_b32_e64 v10, 0, 1, s[20:21]
	v_cndmask_b32_e64 v12, 0, 1, s[10:11]
	;; [unrolled: 1-line block ×4, first 2 shown]
	v_lshlrev_b16_e32 v12, 8, v12
	v_lshlrev_b16_e32 v10, 8, v10
	v_cndmask_b32_e64 v27, 0, 1, s[0:1]
	v_or_b32_e32 v12, v16, v12
	v_or_b32_sdwa v10, v11, v10 dst_sel:WORD_1 dst_unused:UNUSED_PAD src0_sel:DWORD src1_sel:DWORD
	v_cndmask_b32_e64 v28, 0, 1, s[2:3]
	v_or_b32_sdwa v17, v12, v10 dst_sel:DWORD dst_unused:UNUSED_PAD src0_sel:WORD_0 src1_sel:DWORD
	v_lshlrev_b16_e32 v10, 8, v27
	v_cndmask_b32_e64 v30, 0, 1, s[14:15]
	v_cndmask_b32_e64 v32, 0, 1, s[18:19]
	v_or_b32_e32 v10, v28, v10
	v_cndmask_b32_e64 v31, 0, 1, s[16:17]
	v_and_b32_e32 v12, 0xffff, v10
	v_lshlrev_b16_e32 v10, 8, v30
	v_lshlrev_b16_e32 v11, 8, v32
	v_or_b32_sdwa v10, v31, v10 dst_sel:WORD_1 dst_unused:UNUSED_PAD src0_sel:DWORD src1_sel:DWORD
	v_or_b32_e32 v11, 1, v11
	v_or_b32_sdwa v16, v11, v10 dst_sel:DWORD dst_unused:UNUSED_PAD src0_sel:WORD_0 src1_sel:DWORD
	v_cmp_ne_u32_e32 vcc, 0, v0
	s_waitcnt lgkmcnt(0)
	s_barrier
	s_waitcnt lgkmcnt(0)
                                        ; implicit-def: $sgpr0_sgpr1
	s_and_saveexec_b64 s[2:3], vcc
	s_xor_b64 s[2:3], exec, s[2:3]
	s_cbranch_execz .LBB428_39
; %bb.38:
	v_add_u32_e32 v10, -4, v29
	ds_read_b32 v10, v10
	s_or_b64 s[36:37], s[36:37], exec
	s_waitcnt lgkmcnt(0)
	v_cmp_ne_u32_e32 vcc, v10, v6
	s_and_b64 s[0:1], vcc, exec
                                        ; implicit-def: $vgpr10_vgpr11_vgpr12
.LBB428_39:
	s_or_b64 exec, exec, s[2:3]
	s_branch .LBB428_43
.LBB428_40:
                                        ; implicit-def: $sgpr0_sgpr1
                                        ; implicit-def: $vgpr27
                                        ; implicit-def: $vgpr28
                                        ; implicit-def: $vgpr17
                                        ; implicit-def: $vgpr10_vgpr11_vgpr12
	s_cbranch_execz .LBB428_43
; %bb.41:
	v_cmp_gt_u32_e32 vcc, s7, v13
	v_cmp_ne_u32_e64 s[0:1], v14, v15
	s_and_b64 s[0:1], vcc, s[0:1]
	v_cndmask_b32_e64 v27, 0, 1, s[0:1]
	v_cmp_gt_u32_e32 vcc, s7, v18
	v_cmp_ne_u32_e64 s[0:1], v5, v14
	s_and_b64 s[0:1], vcc, s[0:1]
	v_cndmask_b32_e64 v28, 0, 1, s[0:1]
	;; [unrolled: 4-line block ×7, first 2 shown]
	v_cmp_gt_u32_e32 vcc, s7, v24
	v_cmp_ne_u32_e64 s[0:1], v7, v8
	s_and_b64 s[0:1], vcc, s[0:1]
	v_lshlrev_b16_e32 v12, 8, v12
	v_lshlrev_b16_e32 v10, 8, v10
	v_cndmask_b32_e64 v31, 0, 1, s[0:1]
	v_cmp_gt_u32_e32 vcc, s7, v26
	v_cmp_ne_u32_e64 s[0:1], v6, v7
	v_or_b32_e32 v12, v16, v12
	v_or_b32_sdwa v10, v11, v10 dst_sel:WORD_1 dst_unused:UNUSED_PAD src0_sel:DWORD src1_sel:DWORD
	s_and_b64 s[0:1], vcc, s[0:1]
	v_or_b32_sdwa v17, v12, v10 dst_sel:DWORD dst_unused:UNUSED_PAD src0_sel:WORD_0 src1_sel:DWORD
	v_lshlrev_b16_e32 v10, 8, v27
	v_cndmask_b32_e64 v32, 0, 1, s[0:1]
	v_or_b32_e32 v10, v28, v10
	v_and_b32_e32 v12, 0xffff, v10
	v_lshlrev_b16_e32 v10, 8, v30
	v_lshlrev_b16_e32 v11, 8, v32
	v_or_b32_sdwa v10, v31, v10 dst_sel:WORD_1 dst_unused:UNUSED_PAD src0_sel:DWORD src1_sel:DWORD
	v_or_b32_e32 v11, 1, v11
	v_or_b32_sdwa v16, v11, v10 dst_sel:DWORD dst_unused:UNUSED_PAD src0_sel:WORD_0 src1_sel:DWORD
	v_cmp_ne_u32_e32 vcc, 0, v0
	s_waitcnt lgkmcnt(0)
	s_barrier
	s_waitcnt lgkmcnt(0)
                                        ; implicit-def: $sgpr0_sgpr1
	s_and_saveexec_b64 s[2:3], vcc
	s_cbranch_execz .LBB428_160
; %bb.42:
	v_add_u32_e32 v10, -4, v29
	ds_read_b32 v10, v10
	v_cmp_gt_u32_e32 vcc, s7, v25
	s_or_b64 s[36:37], s[36:37], exec
	s_waitcnt lgkmcnt(0)
	v_cmp_ne_u32_e64 s[0:1], v10, v6
	s_and_b64 s[0:1], vcc, s[0:1]
	s_and_b64 s[0:1], s[0:1], exec
                                        ; implicit-def: $vgpr10_vgpr11_vgpr12
	s_or_b64 exec, exec, s[2:3]
.LBB428_43:
	s_and_saveexec_b64 s[2:3], s[36:37]
	s_cbranch_execz .LBB428_45
.LBB428_44:
	v_lshlrev_b16_e32 v11, 8, v27
	v_or_b32_sdwa v11, v28, v11 dst_sel:DWORD dst_unused:UNUSED_PAD src0_sel:BYTE_0 src1_sel:DWORD
	v_cndmask_b32_e64 v10, 0, 1, s[0:1]
	s_movk_i32 s0, 0xff
	v_and_b32_e32 v12, 0xffff, v11
	v_lshrrev_b32_e32 v11, 24, v16
	v_lshlrev_b16_e32 v11, 8, v11
	v_and_b32_sdwa v27, v16, s0 dst_sel:DWORD dst_unused:UNUSED_PAD src0_sel:WORD_1 src1_sel:DWORD
	v_or_b32_sdwa v11, v27, v11 dst_sel:WORD_1 dst_unused:UNUSED_PAD src0_sel:DWORD src1_sel:DWORD
	v_mov_b32_e32 v27, 8
	v_lshrrev_b32_sdwa v16, v27, v16 dst_sel:BYTE_1 dst_unused:UNUSED_PAD src0_sel:DWORD src1_sel:DWORD
	v_or_b32_e32 v10, v10, v16
	v_or_b32_sdwa v16, v10, v11 dst_sel:DWORD dst_unused:UNUSED_PAD src0_sel:WORD_0 src1_sel:DWORD
.LBB428_45:
	s_or_b64 exec, exec, s[2:3]
	s_load_dwordx2 s[20:21], s[4:5], 0x60
	s_andn2_b64 vcc, exec, s[30:31]
	s_cbranch_vccnz .LBB428_47
; %bb.46:
	v_and_b32_e32 v11, 0xffff0000, v16
	v_cmp_gt_u32_e32 vcc, s7, v25
	v_cndmask_b32_e32 v11, v11, v16, vcc
	v_and_b32_e32 v11, 0xffff00ff, v11
	v_cmp_gt_u32_e32 vcc, s7, v26
	v_cndmask_b32_e32 v11, v11, v16, vcc
	v_lshrrev_b32_e32 v25, 24, v11
	s_mov_b32 s0, 0x40c0100
	v_perm_b32 v11, v25, v11, s0
	v_cmp_gt_u32_e32 vcc, s7, v24
	v_cndmask_b32_e32 v11, v11, v16, vcc
	v_and_b32_e32 v11, 0xffffff, v11
	v_cmp_gt_u32_e32 vcc, s7, v23
	v_cndmask_b32_e32 v11, v11, v16, vcc
	v_and_b32_e32 v23, 0xffffff00, v17
	;; [unrolled: 3-line block ×3, first 2 shown]
	v_cndmask_b32_e32 v11, v11, v16, vcc
	v_cmp_gt_u32_e32 vcc, s7, v21
	v_cndmask_b32_e32 v21, v22, v17, vcc
	v_lshrrev_b32_e32 v22, 24, v21
	v_and_b32_e32 v10, 0xffff0000, v12
	v_cndmask_b32_e32 v11, v11, v16, vcc
	v_perm_b32 v21, v22, v21, s0
	v_cmp_gt_u32_e32 vcc, s7, v20
	v_cmp_gt_u32_e64 s[0:1], s7, v18
	v_cmp_gt_u32_e64 s[2:3], s7, v13
	v_cndmask_b32_e32 v20, v21, v17, vcc
	v_cndmask_b32_e32 v11, v11, v16, vcc
	v_cmp_gt_u32_e32 vcc, s7, v19
	v_cndmask_b32_e64 v10, v10, v12, s[0:1]
	s_or_b64 s[0:1], s[2:3], s[0:1]
	s_or_b64 vcc, s[0:1], vcc
	v_and_b32_e32 v10, 0xffff00ff, v10
	v_cndmask_b32_e32 v11, v11, v16, vcc
	s_mov_b32 s0, 0x3020104
	v_cndmask_b32_e64 v10, v10, v12, s[2:3]
	v_perm_b32 v16, v11, v11, s0
	v_mov_b32_e32 v11, 8
	v_lshrrev_b32_sdwa v11, v11, v10 dst_sel:BYTE_1 dst_unused:UNUSED_PAD src0_sel:DWORD src1_sel:DWORD
	v_and_b32_e32 v19, 0xffffff, v20
	v_or_b32_sdwa v10, v10, v11 dst_sel:DWORD dst_unused:UNUSED_PAD src0_sel:BYTE_0 src1_sel:DWORD
	v_cndmask_b32_e32 v17, v19, v17, vcc
	v_and_b32_e32 v12, 0xffff, v10
.LBB428_47:
	v_alignbit_b32 v10, v17, v16, 24
	v_bfe_u32 v27, v16, 16, 8
	v_and_b32_e32 v29, 0xff, v10
	v_add_u32_sdwa v11, v16, v16 dst_sel:DWORD dst_unused:UNUSED_PAD src0_sel:BYTE_1 src1_sel:BYTE_0
	v_and_b32_e32 v31, 0xff, v17
	v_bfe_u32 v33, v17, 8, 8
	v_add3_u32 v11, v11, v27, v29
	v_bfe_u32 v35, v17, 16, 8
	v_lshrrev_b32_e32 v13, 24, v17
	v_add3_u32 v11, v11, v31, v33
	v_and_b32_e32 v37, 0xff, v12
	v_bfe_u32 v10, v12, 8, 8
	v_add3_u32 v11, v11, v35, v13
	v_add3_u32 v42, v11, v37, v10
	v_mbcnt_lo_u32_b32 v10, -1, 0
	v_mbcnt_hi_u32_b32 v39, -1, v10
	v_and_b32_e32 v10, 15, v39
	v_cmp_eq_u32_e64 s[14:15], 0, v10
	v_cmp_lt_u32_e64 s[12:13], 1, v10
	v_cmp_lt_u32_e64 s[10:11], 3, v10
	s_waitcnt lgkmcnt(0)
	v_cmp_lt_u32_e64 s[8:9], 7, v10
	v_and_b32_e32 v10, 16, v39
	v_cmp_eq_u32_e64 s[18:19], 0, v10
	v_or_b32_e32 v10, 63, v0
	v_cmp_lt_u32_e64 s[0:1], 31, v39
	v_lshrrev_b32_e32 v41, 6, v0
	v_cmp_eq_u32_e64 s[2:3], v10, v0
	s_and_b64 vcc, exec, s[34:35]
	s_barrier
	s_cbranch_vccz .LBB428_78
; %bb.48:
	v_mov_b32_dpp v10, v42 row_shr:1 row_mask:0xf bank_mask:0xf
	v_cndmask_b32_e64 v10, v10, 0, s[14:15]
	v_add_u32_e32 v10, v10, v42
	s_nop 1
	v_mov_b32_dpp v11, v10 row_shr:2 row_mask:0xf bank_mask:0xf
	v_cndmask_b32_e64 v11, 0, v11, s[12:13]
	v_add_u32_e32 v10, v10, v11
	s_nop 1
	;; [unrolled: 4-line block ×4, first 2 shown]
	v_mov_b32_dpp v11, v10 row_bcast:15 row_mask:0xf bank_mask:0xf
	v_cndmask_b32_e64 v11, v11, 0, s[18:19]
	v_add_u32_e32 v10, v10, v11
	s_nop 1
	v_mov_b32_dpp v11, v10 row_bcast:31 row_mask:0xf bank_mask:0xf
	v_cndmask_b32_e64 v11, 0, v11, s[0:1]
	v_add_u32_e32 v10, v10, v11
	s_and_saveexec_b64 s[16:17], s[2:3]
	s_cbranch_execz .LBB428_50
; %bb.49:
	v_lshlrev_b32_e32 v11, 2, v41
	ds_write_b32 v11, v10
.LBB428_50:
	s_or_b64 exec, exec, s[16:17]
	v_cmp_gt_u32_e32 vcc, 4, v0
	s_waitcnt lgkmcnt(0)
	s_barrier
	s_and_saveexec_b64 s[16:17], vcc
	s_cbranch_execz .LBB428_52
; %bb.51:
	v_lshlrev_b32_e32 v11, 2, v0
	ds_read_b32 v18, v11
	v_and_b32_e32 v19, 3, v39
	v_cmp_ne_u32_e32 vcc, 0, v19
	s_waitcnt lgkmcnt(0)
	v_mov_b32_dpp v20, v18 row_shr:1 row_mask:0xf bank_mask:0xf
	v_cndmask_b32_e32 v20, 0, v20, vcc
	v_add_u32_e32 v18, v20, v18
	v_cmp_lt_u32_e32 vcc, 1, v19
	s_nop 0
	v_mov_b32_dpp v20, v18 row_shr:2 row_mask:0xf bank_mask:0xf
	v_cndmask_b32_e32 v19, 0, v20, vcc
	v_add_u32_e32 v18, v18, v19
	ds_write_b32 v11, v18
.LBB428_52:
	s_or_b64 exec, exec, s[16:17]
	v_cmp_gt_u32_e32 vcc, 64, v0
	v_cmp_lt_u32_e64 s[16:17], 63, v0
	s_waitcnt lgkmcnt(0)
	s_barrier
	s_waitcnt lgkmcnt(0)
                                        ; implicit-def: $vgpr26
	s_and_saveexec_b64 s[30:31], s[16:17]
	s_cbranch_execz .LBB428_54
; %bb.53:
	v_lshl_add_u32 v11, v41, 2, -4
	ds_read_b32 v26, v11
	s_waitcnt lgkmcnt(0)
	v_add_u32_e32 v10, v26, v10
.LBB428_54:
	s_or_b64 exec, exec, s[30:31]
	v_add_u32_e32 v11, -1, v39
	v_and_b32_e32 v18, 64, v39
	v_cmp_lt_i32_e64 s[16:17], v11, v18
	v_cndmask_b32_e64 v11, v11, v39, s[16:17]
	v_lshlrev_b32_e32 v11, 2, v11
	ds_bpermute_b32 v28, v11, v10
	v_cmp_eq_u32_e64 s[16:17], 0, v39
	s_and_saveexec_b64 s[30:31], vcc
	s_cbranch_execz .LBB428_77
; %bb.55:
	v_mov_b32_e32 v25, 0
	ds_read_b32 v10, v25 offset:12
	s_and_saveexec_b64 s[34:35], s[16:17]
	s_cbranch_execz .LBB428_57
; %bb.56:
	s_add_i32 s36, s6, 64
	s_mov_b32 s37, 0
	s_lshl_b64 s[36:37], s[36:37], 3
	s_add_u32 s36, s20, s36
	v_mov_b32_e32 v11, 1
	s_addc_u32 s37, s21, s37
	s_waitcnt lgkmcnt(0)
	global_store_dwordx2 v25, v[10:11], s[36:37]
.LBB428_57:
	s_or_b64 exec, exec, s[34:35]
	v_xad_u32 v18, v39, -1, s6
	v_add_u32_e32 v24, 64, v18
	v_lshlrev_b64 v[20:21], 3, v[24:25]
	v_mov_b32_e32 v11, s21
	v_add_co_u32_e32 v20, vcc, s20, v20
	v_addc_co_u32_e32 v21, vcc, v11, v21, vcc
	global_load_dwordx2 v[22:23], v[20:21], off glc
	s_waitcnt vmcnt(0)
	v_cmp_eq_u16_sdwa s[36:37], v23, v25 src0_sel:BYTE_0 src1_sel:DWORD
	s_and_saveexec_b64 s[34:35], s[36:37]
	s_cbranch_execz .LBB428_63
; %bb.58:
	s_mov_b32 s7, 1
	s_mov_b64 s[36:37], 0
	v_mov_b32_e32 v11, 0
.LBB428_59:                             ; =>This Loop Header: Depth=1
                                        ;     Child Loop BB428_60 Depth 2
	s_max_u32 s33, s7, 1
.LBB428_60:                             ;   Parent Loop BB428_59 Depth=1
                                        ; =>  This Inner Loop Header: Depth=2
	s_add_i32 s33, s33, -1
	s_cmp_eq_u32 s33, 0
	s_sleep 1
	s_cbranch_scc0 .LBB428_60
; %bb.61:                               ;   in Loop: Header=BB428_59 Depth=1
	global_load_dwordx2 v[22:23], v[20:21], off glc
	s_cmp_lt_u32 s7, 32
	s_cselect_b64 s[38:39], -1, 0
	s_cmp_lg_u64 s[38:39], 0
	s_addc_u32 s7, s7, 0
	s_waitcnt vmcnt(0)
	v_cmp_ne_u16_sdwa s[38:39], v23, v11 src0_sel:BYTE_0 src1_sel:DWORD
	s_or_b64 s[36:37], s[38:39], s[36:37]
	s_andn2_b64 exec, exec, s[36:37]
	s_cbranch_execnz .LBB428_59
; %bb.62:
	s_or_b64 exec, exec, s[36:37]
.LBB428_63:
	s_or_b64 exec, exec, s[34:35]
	v_and_b32_e32 v32, 63, v39
	v_mov_b32_e32 v30, 2
	v_cmp_ne_u32_e32 vcc, 63, v32
	v_cmp_eq_u16_sdwa s[34:35], v23, v30 src0_sel:BYTE_0 src1_sel:DWORD
	v_lshlrev_b64 v[20:21], v39, -1
	v_addc_co_u32_e32 v24, vcc, 0, v39, vcc
	v_and_b32_e32 v11, s35, v21
	v_lshlrev_b32_e32 v34, 2, v24
	v_or_b32_e32 v11, 0x80000000, v11
	ds_bpermute_b32 v24, v34, v22
	v_and_b32_e32 v19, s34, v20
	v_ffbl_b32_e32 v11, v11
	v_add_u32_e32 v11, 32, v11
	v_ffbl_b32_e32 v19, v19
	v_min_u32_e32 v11, v19, v11
	v_cmp_lt_u32_e32 vcc, v32, v11
	s_waitcnt lgkmcnt(0)
	v_cndmask_b32_e32 v19, 0, v24, vcc
	v_cmp_gt_u32_e32 vcc, 62, v32
	v_add_u32_e32 v19, v19, v22
	v_cndmask_b32_e64 v22, 0, 1, vcc
	v_lshlrev_b32_e32 v22, 1, v22
	v_add_lshl_u32 v36, v22, v39, 2
	ds_bpermute_b32 v22, v36, v19
	v_add_u32_e32 v38, 2, v32
	v_cmp_le_u32_e32 vcc, v38, v11
	v_add_u32_e32 v43, 4, v32
	v_add_u32_e32 v45, 8, v32
	s_waitcnt lgkmcnt(0)
	v_cndmask_b32_e32 v22, 0, v22, vcc
	v_cmp_gt_u32_e32 vcc, 60, v32
	v_add_u32_e32 v19, v19, v22
	v_cndmask_b32_e64 v22, 0, 1, vcc
	v_lshlrev_b32_e32 v22, 2, v22
	v_add_lshl_u32 v40, v22, v39, 2
	ds_bpermute_b32 v22, v40, v19
	v_cmp_le_u32_e32 vcc, v43, v11
	v_add_u32_e32 v47, 16, v32
	v_add_u32_e32 v49, 32, v32
	s_waitcnt lgkmcnt(0)
	v_cndmask_b32_e32 v22, 0, v22, vcc
	v_cmp_gt_u32_e32 vcc, 56, v32
	v_add_u32_e32 v19, v19, v22
	v_cndmask_b32_e64 v22, 0, 1, vcc
	v_lshlrev_b32_e32 v22, 3, v22
	v_add_lshl_u32 v44, v22, v39, 2
	ds_bpermute_b32 v22, v44, v19
	v_cmp_le_u32_e32 vcc, v45, v11
	s_waitcnt lgkmcnt(0)
	v_cndmask_b32_e32 v22, 0, v22, vcc
	v_cmp_gt_u32_e32 vcc, 48, v32
	v_add_u32_e32 v19, v19, v22
	v_cndmask_b32_e64 v22, 0, 1, vcc
	v_lshlrev_b32_e32 v22, 4, v22
	v_add_lshl_u32 v46, v22, v39, 2
	ds_bpermute_b32 v22, v46, v19
	v_cmp_le_u32_e32 vcc, v47, v11
	;; [unrolled: 9-line block ×3, first 2 shown]
	s_waitcnt lgkmcnt(0)
	v_cndmask_b32_e32 v11, 0, v22, vcc
	v_add_u32_e32 v22, v19, v11
	v_mov_b32_e32 v19, 0
	s_branch .LBB428_65
.LBB428_64:                             ;   in Loop: Header=BB428_65 Depth=1
	s_or_b64 exec, exec, s[34:35]
	v_cmp_eq_u16_sdwa s[34:35], v23, v30 src0_sel:BYTE_0 src1_sel:DWORD
	v_and_b32_e32 v24, s35, v21
	v_or_b32_e32 v24, 0x80000000, v24
	ds_bpermute_b32 v50, v34, v22
	v_and_b32_e32 v25, s34, v20
	v_ffbl_b32_e32 v24, v24
	v_add_u32_e32 v24, 32, v24
	v_ffbl_b32_e32 v25, v25
	v_min_u32_e32 v24, v25, v24
	v_cmp_lt_u32_e32 vcc, v32, v24
	s_waitcnt lgkmcnt(0)
	v_cndmask_b32_e32 v25, 0, v50, vcc
	v_add_u32_e32 v22, v25, v22
	ds_bpermute_b32 v25, v36, v22
	v_cmp_le_u32_e32 vcc, v38, v24
	v_subrev_u32_e32 v18, 64, v18
	s_waitcnt lgkmcnt(0)
	v_cndmask_b32_e32 v25, 0, v25, vcc
	v_add_u32_e32 v22, v22, v25
	ds_bpermute_b32 v25, v40, v22
	v_cmp_le_u32_e32 vcc, v43, v24
	s_waitcnt lgkmcnt(0)
	v_cndmask_b32_e32 v25, 0, v25, vcc
	v_add_u32_e32 v22, v22, v25
	ds_bpermute_b32 v25, v44, v22
	v_cmp_le_u32_e32 vcc, v45, v24
	;; [unrolled: 5-line block ×4, first 2 shown]
	s_waitcnt lgkmcnt(0)
	v_cndmask_b32_e32 v24, 0, v25, vcc
	v_add3_u32 v22, v24, v11, v22
.LBB428_65:                             ; =>This Loop Header: Depth=1
                                        ;     Child Loop BB428_68 Depth 2
                                        ;       Child Loop BB428_69 Depth 3
	v_cmp_ne_u16_sdwa s[34:35], v23, v30 src0_sel:BYTE_0 src1_sel:DWORD
	v_cndmask_b32_e64 v11, 0, 1, s[34:35]
	;;#ASMSTART
	;;#ASMEND
	v_cmp_ne_u32_e32 vcc, 0, v11
	s_cmp_lg_u64 vcc, exec
	v_mov_b32_e32 v11, v22
	s_cbranch_scc1 .LBB428_72
; %bb.66:                               ;   in Loop: Header=BB428_65 Depth=1
	v_lshlrev_b64 v[22:23], 3, v[18:19]
	v_mov_b32_e32 v25, s21
	v_add_co_u32_e32 v24, vcc, s20, v22
	v_addc_co_u32_e32 v25, vcc, v25, v23, vcc
	global_load_dwordx2 v[22:23], v[24:25], off glc
	s_waitcnt vmcnt(0)
	v_cmp_eq_u16_sdwa s[36:37], v23, v19 src0_sel:BYTE_0 src1_sel:DWORD
	s_and_saveexec_b64 s[34:35], s[36:37]
	s_cbranch_execz .LBB428_64
; %bb.67:                               ;   in Loop: Header=BB428_65 Depth=1
	s_mov_b32 s7, 1
	s_mov_b64 s[36:37], 0
.LBB428_68:                             ;   Parent Loop BB428_65 Depth=1
                                        ; =>  This Loop Header: Depth=2
                                        ;       Child Loop BB428_69 Depth 3
	s_max_u32 s33, s7, 1
.LBB428_69:                             ;   Parent Loop BB428_65 Depth=1
                                        ;     Parent Loop BB428_68 Depth=2
                                        ; =>    This Inner Loop Header: Depth=3
	s_add_i32 s33, s33, -1
	s_cmp_eq_u32 s33, 0
	s_sleep 1
	s_cbranch_scc0 .LBB428_69
; %bb.70:                               ;   in Loop: Header=BB428_68 Depth=2
	global_load_dwordx2 v[22:23], v[24:25], off glc
	s_cmp_lt_u32 s7, 32
	s_cselect_b64 s[38:39], -1, 0
	s_cmp_lg_u64 s[38:39], 0
	s_addc_u32 s7, s7, 0
	s_waitcnt vmcnt(0)
	v_cmp_ne_u16_sdwa s[38:39], v23, v19 src0_sel:BYTE_0 src1_sel:DWORD
	s_or_b64 s[36:37], s[38:39], s[36:37]
	s_andn2_b64 exec, exec, s[36:37]
	s_cbranch_execnz .LBB428_68
; %bb.71:                               ;   in Loop: Header=BB428_65 Depth=1
	s_or_b64 exec, exec, s[36:37]
	s_branch .LBB428_64
.LBB428_72:                             ;   in Loop: Header=BB428_65 Depth=1
                                        ; implicit-def: $vgpr22
                                        ; implicit-def: $vgpr23
	s_cbranch_execz .LBB428_65
; %bb.73:
	s_and_saveexec_b64 s[34:35], s[16:17]
	s_cbranch_execz .LBB428_75
; %bb.74:
	s_add_i32 s6, s6, 64
	s_mov_b32 s7, 0
	s_lshl_b64 s[6:7], s[6:7], 3
	s_add_u32 s6, s20, s6
	v_add_u32_e32 v18, v11, v10
	v_mov_b32_e32 v19, 2
	s_addc_u32 s7, s21, s7
	v_mov_b32_e32 v20, 0
	global_store_dwordx2 v20, v[18:19], s[6:7]
	ds_write_b64 v20, v[10:11] offset:10240
.LBB428_75:
	s_or_b64 exec, exec, s[34:35]
	v_cmp_eq_u32_e32 vcc, 0, v0
	s_and_b64 exec, exec, vcc
	s_cbranch_execz .LBB428_77
; %bb.76:
	v_mov_b32_e32 v10, 0
	ds_write_b32 v10, v11 offset:12
.LBB428_77:
	s_or_b64 exec, exec, s[30:31]
	v_mov_b32_e32 v10, 0
	s_waitcnt lgkmcnt(0)
	s_barrier
	ds_read_b32 v11, v10 offset:12
	v_cndmask_b32_e64 v18, v28, v26, s[16:17]
	v_cmp_ne_u32_e32 vcc, 0, v0
	v_cndmask_b32_e32 v18, 0, v18, vcc
	s_waitcnt lgkmcnt(0)
	v_add_u32_e32 v40, v11, v18
	v_add_u32_sdwa v38, v40, v16 dst_sel:DWORD dst_unused:UNUSED_PAD src0_sel:DWORD src1_sel:BYTE_0
	v_add_u32_sdwa v36, v38, v16 dst_sel:DWORD dst_unused:UNUSED_PAD src0_sel:DWORD src1_sel:BYTE_1
	v_add_u32_e32 v34, v36, v27
	v_add_u32_e32 v32, v34, v29
	s_barrier
	ds_read_b64 v[10:11], v10 offset:10240
	v_add_u32_e32 v30, v32, v31
	v_add_u32_e32 v28, v30, v33
	;; [unrolled: 1-line block ×5, first 2 shown]
	s_waitcnt lgkmcnt(0)
	v_mov_b32_e32 v18, v11
	s_load_dwordx2 s[4:5], s[4:5], 0x28
	v_lshrrev_b64 v[24:25], 24, v[16:17]
	s_branch .LBB428_88
.LBB428_78:
                                        ; implicit-def: $vgpr18
                                        ; implicit-def: $vgpr10
                                        ; implicit-def: $vgpr20
                                        ; implicit-def: $vgpr22
                                        ; implicit-def: $vgpr26
                                        ; implicit-def: $vgpr28
                                        ; implicit-def: $vgpr30
                                        ; implicit-def: $vgpr32
                                        ; implicit-def: $vgpr34
                                        ; implicit-def: $vgpr36
                                        ; implicit-def: $vgpr38
                                        ; implicit-def: $vgpr40
	s_load_dwordx2 s[4:5], s[4:5], 0x28
	v_lshrrev_b64 v[24:25], 24, v[16:17]
	s_cbranch_execz .LBB428_88
; %bb.79:
	v_mov_b32_dpp v10, v42 row_shr:1 row_mask:0xf bank_mask:0xf
	v_cndmask_b32_e64 v10, v10, 0, s[14:15]
	v_add_u32_e32 v10, v10, v42
	s_nop 1
	v_mov_b32_dpp v11, v10 row_shr:2 row_mask:0xf bank_mask:0xf
	v_cndmask_b32_e64 v11, 0, v11, s[12:13]
	v_add_u32_e32 v10, v10, v11
	s_nop 1
	;; [unrolled: 4-line block ×4, first 2 shown]
	v_mov_b32_dpp v11, v10 row_bcast:15 row_mask:0xf bank_mask:0xf
	v_cndmask_b32_e64 v11, v11, 0, s[18:19]
	v_add_u32_e32 v10, v10, v11
	s_nop 1
	v_mov_b32_dpp v11, v10 row_bcast:31 row_mask:0xf bank_mask:0xf
	v_cndmask_b32_e64 v11, 0, v11, s[0:1]
	v_add_u32_e32 v10, v10, v11
	s_and_saveexec_b64 s[0:1], s[2:3]
	s_cbranch_execz .LBB428_81
; %bb.80:
	v_lshlrev_b32_e32 v11, 2, v41
	ds_write_b32 v11, v10
.LBB428_81:
	s_or_b64 exec, exec, s[0:1]
	v_cmp_gt_u32_e32 vcc, 4, v0
	s_waitcnt lgkmcnt(0)
	s_barrier
	s_and_saveexec_b64 s[0:1], vcc
	s_cbranch_execz .LBB428_83
; %bb.82:
	s_movk_i32 s2, 0xffdc
	v_mad_i32_i24 v1, v0, s2, v1
	ds_read_b32 v11, v1
	v_and_b32_e32 v18, 3, v39
	v_cmp_ne_u32_e32 vcc, 0, v18
	s_waitcnt lgkmcnt(0)
	v_mov_b32_dpp v19, v11 row_shr:1 row_mask:0xf bank_mask:0xf
	v_cndmask_b32_e32 v19, 0, v19, vcc
	v_add_u32_e32 v11, v19, v11
	v_cmp_lt_u32_e32 vcc, 1, v18
	s_nop 0
	v_mov_b32_dpp v19, v11 row_shr:2 row_mask:0xf bank_mask:0xf
	v_cndmask_b32_e32 v18, 0, v19, vcc
	v_add_u32_e32 v11, v11, v18
	ds_write_b32 v1, v11
.LBB428_83:
	s_or_b64 exec, exec, s[0:1]
	v_cmp_lt_u32_e32 vcc, 63, v0
	v_mov_b32_e32 v11, 0
	v_mov_b32_e32 v1, 0
	s_waitcnt lgkmcnt(0)
	s_barrier
	s_and_saveexec_b64 s[0:1], vcc
	s_cbranch_execz .LBB428_85
; %bb.84:
	v_lshl_add_u32 v1, v41, 2, -4
	ds_read_b32 v1, v1
.LBB428_85:
	s_or_b64 exec, exec, s[0:1]
	v_add_u32_e32 v18, -1, v39
	v_and_b32_e32 v19, 64, v39
	v_cmp_lt_i32_e32 vcc, v18, v19
	v_cndmask_b32_e32 v18, v18, v39, vcc
	s_waitcnt lgkmcnt(0)
	v_add_u32_e32 v10, v1, v10
	v_lshlrev_b32_e32 v18, 2, v18
	ds_bpermute_b32 v18, v18, v10
	ds_read_b32 v10, v11 offset:12
	v_cmp_eq_u32_e32 vcc, 0, v0
	s_and_saveexec_b64 s[0:1], vcc
	s_cbranch_execz .LBB428_87
; %bb.86:
	v_mov_b32_e32 v19, 0
	v_mov_b32_e32 v11, 2
	s_waitcnt lgkmcnt(0)
	global_store_dwordx2 v19, v[10:11], s[20:21] offset:512
.LBB428_87:
	s_or_b64 exec, exec, s[0:1]
	v_cmp_eq_u32_e64 s[0:1], 0, v39
	s_waitcnt lgkmcnt(1)
	v_cndmask_b32_e64 v1, v18, v1, s[0:1]
	v_cndmask_b32_e64 v40, v1, 0, vcc
	v_add_u32_sdwa v38, v40, v16 dst_sel:DWORD dst_unused:UNUSED_PAD src0_sel:DWORD src1_sel:BYTE_0
	v_add_u32_sdwa v36, v38, v16 dst_sel:DWORD dst_unused:UNUSED_PAD src0_sel:DWORD src1_sel:BYTE_1
	v_add_u32_e32 v34, v36, v27
	v_add_u32_e32 v32, v34, v29
	;; [unrolled: 1-line block ×6, first 2 shown]
	v_mov_b32_e32 v18, 0
	v_add_u32_e32 v20, v22, v37
	s_waitcnt lgkmcnt(0)
	s_barrier
.LBB428_88:
	s_movk_i32 s0, 0x101
	v_cmp_gt_u32_e32 vcc, s0, v10
	v_lshrrev_b32_e32 v19, 8, v16
	v_lshrrev_b32_e32 v11, 8, v17
	;; [unrolled: 1-line block ×3, first 2 shown]
	s_mov_b64 s[0:1], -1
	s_cbranch_vccnz .LBB428_92
; %bb.89:
	s_and_b64 vcc, exec, s[0:1]
	s_cbranch_vccnz .LBB428_123
.LBB428_90:
	v_cmp_eq_u32_e32 vcc, 0, v0
	s_and_b64 s[0:1], vcc, s[26:27]
	s_and_saveexec_b64 s[2:3], s[0:1]
	s_cbranch_execnz .LBB428_159
.LBB428_91:
	s_endpgm
.LBB428_92:
	v_add_u32_e32 v21, v18, v10
	s_lshl_b64 s[0:1], s[22:23], 2
	s_waitcnt lgkmcnt(0)
	s_add_u32 s2, s4, s0
	v_cmp_lt_u32_e32 vcc, v40, v21
	s_addc_u32 s3, s5, s1
	s_or_b64 s[6:7], s[28:29], vcc
	s_and_saveexec_b64 s[0:1], s[6:7]
	s_cbranch_execz .LBB428_95
; %bb.93:
	v_and_b32_e32 v23, 1, v16
	v_cmp_eq_u32_e32 vcc, 1, v23
	s_and_b64 exec, exec, vcc
	s_cbranch_execz .LBB428_95
; %bb.94:
	v_mov_b32_e32 v41, 0
	v_lshlrev_b64 v[42:43], 2, v[40:41]
	v_mov_b32_e32 v23, s3
	v_add_co_u32_e32 v42, vcc, s2, v42
	v_addc_co_u32_e32 v43, vcc, v23, v43, vcc
	global_store_dword v[42:43], v6, off
.LBB428_95:
	s_or_b64 exec, exec, s[0:1]
	v_cmp_lt_u32_e32 vcc, v38, v21
	s_or_b64 s[6:7], s[28:29], vcc
	s_and_saveexec_b64 s[0:1], s[6:7]
	s_cbranch_execz .LBB428_98
; %bb.96:
	v_and_b32_e32 v23, 1, v19
	v_cmp_eq_u32_e32 vcc, 1, v23
	s_and_b64 exec, exec, vcc
	s_cbranch_execz .LBB428_98
; %bb.97:
	v_mov_b32_e32 v39, 0
	v_lshlrev_b64 v[42:43], 2, v[38:39]
	v_mov_b32_e32 v23, s3
	v_add_co_u32_e32 v42, vcc, s2, v42
	v_addc_co_u32_e32 v43, vcc, v23, v43, vcc
	global_store_dword v[42:43], v7, off
.LBB428_98:
	s_or_b64 exec, exec, s[0:1]
	v_cmp_lt_u32_e32 vcc, v36, v21
	s_or_b64 s[6:7], s[28:29], vcc
	s_and_saveexec_b64 s[0:1], s[6:7]
	s_cbranch_execz .LBB428_101
; %bb.99:
	v_mov_b32_e32 v23, 1
	v_and_b32_sdwa v23, v23, v16 dst_sel:DWORD dst_unused:UNUSED_PAD src0_sel:DWORD src1_sel:WORD_1
	v_cmp_eq_u32_e32 vcc, 1, v23
	s_and_b64 exec, exec, vcc
	s_cbranch_execz .LBB428_101
; %bb.100:
	v_mov_b32_e32 v37, 0
	v_lshlrev_b64 v[42:43], 2, v[36:37]
	v_mov_b32_e32 v23, s3
	v_add_co_u32_e32 v42, vcc, s2, v42
	v_addc_co_u32_e32 v43, vcc, v23, v43, vcc
	global_store_dword v[42:43], v8, off
.LBB428_101:
	s_or_b64 exec, exec, s[0:1]
	v_cmp_lt_u32_e32 vcc, v34, v21
	s_or_b64 s[6:7], s[28:29], vcc
	s_and_saveexec_b64 s[0:1], s[6:7]
	s_cbranch_execz .LBB428_104
; %bb.102:
	v_and_b32_e32 v23, 1, v24
	v_cmp_eq_u32_e32 vcc, 1, v23
	s_and_b64 exec, exec, vcc
	s_cbranch_execz .LBB428_104
; %bb.103:
	v_mov_b32_e32 v35, 0
	v_lshlrev_b64 v[42:43], 2, v[34:35]
	v_mov_b32_e32 v23, s3
	v_add_co_u32_e32 v42, vcc, s2, v42
	v_addc_co_u32_e32 v43, vcc, v23, v43, vcc
	global_store_dword v[42:43], v9, off
.LBB428_104:
	s_or_b64 exec, exec, s[0:1]
	v_cmp_lt_u32_e32 vcc, v32, v21
	s_or_b64 s[6:7], s[28:29], vcc
	s_and_saveexec_b64 s[0:1], s[6:7]
	s_cbranch_execz .LBB428_107
; %bb.105:
	v_and_b32_e32 v23, 1, v17
	v_cmp_eq_u32_e32 vcc, 1, v23
	s_and_b64 exec, exec, vcc
	s_cbranch_execz .LBB428_107
; %bb.106:
	v_mov_b32_e32 v33, 0
	v_lshlrev_b64 v[42:43], 2, v[32:33]
	v_mov_b32_e32 v23, s3
	v_add_co_u32_e32 v42, vcc, s2, v42
	v_addc_co_u32_e32 v43, vcc, v23, v43, vcc
	global_store_dword v[42:43], v2, off
.LBB428_107:
	;; [unrolled: 18-line block ×3, first 2 shown]
	s_or_b64 exec, exec, s[0:1]
	v_cmp_lt_u32_e32 vcc, v28, v21
	s_or_b64 s[6:7], s[28:29], vcc
	s_and_saveexec_b64 s[0:1], s[6:7]
	s_cbranch_execz .LBB428_113
; %bb.111:
	v_mov_b32_e32 v23, 1
	v_and_b32_sdwa v23, v23, v17 dst_sel:DWORD dst_unused:UNUSED_PAD src0_sel:DWORD src1_sel:WORD_1
	v_cmp_eq_u32_e32 vcc, 1, v23
	s_and_b64 exec, exec, vcc
	s_cbranch_execz .LBB428_113
; %bb.112:
	v_mov_b32_e32 v29, 0
	v_lshlrev_b64 v[42:43], 2, v[28:29]
	v_mov_b32_e32 v23, s3
	v_add_co_u32_e32 v42, vcc, s2, v42
	v_addc_co_u32_e32 v43, vcc, v23, v43, vcc
	global_store_dword v[42:43], v4, off
.LBB428_113:
	s_or_b64 exec, exec, s[0:1]
	v_cmp_lt_u32_e32 vcc, v26, v21
	s_or_b64 s[6:7], s[28:29], vcc
	s_and_saveexec_b64 s[0:1], s[6:7]
	s_cbranch_execz .LBB428_116
; %bb.114:
	v_and_b32_e32 v23, 1, v13
	v_cmp_eq_u32_e32 vcc, 1, v23
	s_and_b64 exec, exec, vcc
	s_cbranch_execz .LBB428_116
; %bb.115:
	v_mov_b32_e32 v27, 0
	v_lshlrev_b64 v[42:43], 2, v[26:27]
	v_mov_b32_e32 v23, s3
	v_add_co_u32_e32 v42, vcc, s2, v42
	v_addc_co_u32_e32 v43, vcc, v23, v43, vcc
	global_store_dword v[42:43], v5, off
.LBB428_116:
	s_or_b64 exec, exec, s[0:1]
	v_cmp_lt_u32_e32 vcc, v22, v21
	s_or_b64 s[6:7], s[28:29], vcc
	s_and_saveexec_b64 s[0:1], s[6:7]
	s_cbranch_execz .LBB428_119
; %bb.117:
	v_and_b32_e32 v23, 1, v12
	v_cmp_eq_u32_e32 vcc, 1, v23
	s_and_b64 exec, exec, vcc
	s_cbranch_execz .LBB428_119
; %bb.118:
	v_mov_b32_e32 v23, 0
	v_lshlrev_b64 v[42:43], 2, v[22:23]
	v_mov_b32_e32 v23, s3
	v_add_co_u32_e32 v42, vcc, s2, v42
	v_addc_co_u32_e32 v43, vcc, v23, v43, vcc
	global_store_dword v[42:43], v14, off
.LBB428_119:
	;; [unrolled: 18-line block ×3, first 2 shown]
	s_or_b64 exec, exec, s[0:1]
	s_branch .LBB428_90
.LBB428_123:
	v_and_b32_e32 v21, 1, v16
	v_cmp_eq_u32_e32 vcc, 1, v21
	s_and_saveexec_b64 s[0:1], vcc
	s_cbranch_execz .LBB428_125
; %bb.124:
	v_sub_u32_e32 v21, v40, v18
	v_lshlrev_b32_e32 v21, 2, v21
	ds_write_b32 v21, v6
.LBB428_125:
	s_or_b64 exec, exec, s[0:1]
	v_and_b32_e32 v6, 1, v19
	v_cmp_eq_u32_e32 vcc, 1, v6
	s_and_saveexec_b64 s[0:1], vcc
	s_cbranch_execz .LBB428_127
; %bb.126:
	v_sub_u32_e32 v6, v38, v18
	v_lshlrev_b32_e32 v6, 2, v6
	ds_write_b32 v6, v7
.LBB428_127:
	s_or_b64 exec, exec, s[0:1]
	v_mov_b32_e32 v6, 1
	v_and_b32_sdwa v6, v6, v16 dst_sel:DWORD dst_unused:UNUSED_PAD src0_sel:DWORD src1_sel:WORD_1
	v_cmp_eq_u32_e32 vcc, 1, v6
	s_and_saveexec_b64 s[0:1], vcc
	s_cbranch_execz .LBB428_129
; %bb.128:
	v_sub_u32_e32 v6, v36, v18
	v_lshlrev_b32_e32 v6, 2, v6
	ds_write_b32 v6, v8
.LBB428_129:
	s_or_b64 exec, exec, s[0:1]
	v_and_b32_e32 v6, 1, v24
	v_cmp_eq_u32_e32 vcc, 1, v6
	s_and_saveexec_b64 s[0:1], vcc
	s_cbranch_execz .LBB428_131
; %bb.130:
	v_sub_u32_e32 v6, v34, v18
	v_lshlrev_b32_e32 v6, 2, v6
	ds_write_b32 v6, v9
.LBB428_131:
	s_or_b64 exec, exec, s[0:1]
	v_and_b32_e32 v6, 1, v17
	;; [unrolled: 10-line block ×3, first 2 shown]
	v_cmp_eq_u32_e32 vcc, 1, v2
	s_and_saveexec_b64 s[0:1], vcc
	s_cbranch_execz .LBB428_135
; %bb.134:
	v_sub_u32_e32 v2, v30, v18
	v_lshlrev_b32_e32 v2, 2, v2
	ds_write_b32 v2, v3
.LBB428_135:
	s_or_b64 exec, exec, s[0:1]
	v_mov_b32_e32 v2, 1
	v_and_b32_sdwa v2, v2, v17 dst_sel:DWORD dst_unused:UNUSED_PAD src0_sel:DWORD src1_sel:WORD_1
	v_cmp_eq_u32_e32 vcc, 1, v2
	s_and_saveexec_b64 s[0:1], vcc
	s_cbranch_execz .LBB428_137
; %bb.136:
	v_sub_u32_e32 v2, v28, v18
	v_lshlrev_b32_e32 v2, 2, v2
	ds_write_b32 v2, v4
.LBB428_137:
	s_or_b64 exec, exec, s[0:1]
	v_and_b32_e32 v2, 1, v13
	v_cmp_eq_u32_e32 vcc, 1, v2
	s_and_saveexec_b64 s[0:1], vcc
	s_cbranch_execz .LBB428_139
; %bb.138:
	v_sub_u32_e32 v2, v26, v18
	v_lshlrev_b32_e32 v2, 2, v2
	ds_write_b32 v2, v5
.LBB428_139:
	s_or_b64 exec, exec, s[0:1]
	v_and_b32_e32 v2, 1, v12
	;; [unrolled: 10-line block ×3, first 2 shown]
	v_cmp_eq_u32_e32 vcc, 1, v1
	s_and_saveexec_b64 s[0:1], vcc
	s_cbranch_execz .LBB428_143
; %bb.142:
	v_sub_u32_e32 v1, v20, v18
	v_lshlrev_b32_e32 v1, 2, v1
	ds_write_b32 v1, v15
.LBB428_143:
	s_or_b64 exec, exec, s[0:1]
	v_cmp_lt_u32_e32 vcc, v0, v10
	s_waitcnt lgkmcnt(0)
	s_barrier
	s_and_saveexec_b64 s[6:7], vcc
	s_cbranch_execz .LBB428_158
; %bb.144:
	s_lshl_b64 s[0:1], s[22:23], 2
	v_mov_b32_e32 v19, 0
	s_add_u32 s0, s4, s0
	s_addc_u32 s1, s5, s1
	v_lshlrev_b64 v[2:3], 2, v[18:19]
	v_mov_b32_e32 v1, s1
	v_add_co_u32_e32 v6, vcc, s0, v2
	v_addc_co_u32_e32 v7, vcc, v1, v3, vcc
	v_xad_u32 v1, v0, -1, v10
	s_movk_i32 s0, 0x1700
	v_cmp_gt_u32_e32 vcc, s0, v1
	s_movk_i32 s0, 0x16ff
	v_cmp_lt_u32_e64 s[0:1], s0, v1
	v_mov_b32_e32 v2, v0
	s_and_saveexec_b64 s[4:5], s[0:1]
	s_cbranch_execz .LBB428_155
; %bb.145:
	v_sub_u32_e32 v2, v0, v10
	v_or_b32_e32 v2, 0xff, v2
	v_cmp_ge_u32_e64 s[0:1], v2, v0
	s_mov_b64 s[2:3], -1
	v_mov_b32_e32 v2, v0
	s_and_saveexec_b64 s[8:9], s[0:1]
	s_cbranch_execz .LBB428_154
; %bb.146:
	v_lshrrev_b32_e32 v8, 8, v1
	v_add_u32_e32 v2, -1, v8
	v_or_b32_e32 v1, 0x100, v0
	v_lshrrev_b32_e32 v3, 1, v2
	v_add_u32_e32 v11, 1, v3
	v_cmp_lt_u32_e64 s[0:1], 13, v2
	v_mov_b32_e32 v14, 0
	v_lshlrev_b32_e32 v9, 2, v0
	v_pk_mov_b32 v[2:3], v[0:1], v[0:1] op_sel:[0,1]
	s_and_saveexec_b64 s[10:11], s[0:1]
	s_cbranch_execz .LBB428_150
; %bb.147:
	v_and_b32_e32 v12, -8, v11
	s_mov_b32 s14, 0
	s_mov_b64 s[12:13], 0
	v_mov_b32_e32 v5, 0
	v_mov_b32_e32 v13, v9
	v_pk_mov_b32 v[2:3], v[0:1], v[0:1] op_sel:[0,1]
.LBB428_148:                            ; =>This Inner Loop Header: Depth=1
	v_mov_b32_e32 v4, v2
	v_add_u32_e32 v12, -8, v12
	v_lshlrev_b64 v[46:47], 2, v[4:5]
	v_mov_b32_e32 v4, v3
	ds_read2st64_b32 v[16:17], v13 offset1:4
	s_add_i32 s14, s14, 16
	v_cmp_eq_u32_e64 s[0:1], 0, v12
	v_lshlrev_b64 v[50:51], 2, v[4:5]
	v_add_u32_e32 v4, 0x200, v2
	s_or_b64 s[12:13], s[0:1], s[12:13]
	v_add_co_u32_e64 v50, s[0:1], v6, v50
	v_add_u32_e32 v14, 0x200, v3
	ds_read2st64_b32 v[20:21], v13 offset0:8 offset1:12
	v_mov_b32_e32 v15, v5
	ds_read2st64_b32 v[24:25], v13 offset0:16 offset1:20
	v_add_co_u32_e64 v46, s[2:3], v6, v46
	v_addc_co_u32_e64 v51, s[0:1], v7, v51, s[0:1]
	v_lshlrev_b64 v[52:53], 2, v[4:5]
	v_lshlrev_b64 v[48:49], 2, v[14:15]
	v_addc_co_u32_e64 v47, s[2:3], v7, v47, s[2:3]
	v_add_u32_e32 v4, 0x400, v2
	v_add_co_u32_e64 v52, s[0:1], v6, v52
	v_add_u32_e32 v22, 0x400, v3
	v_mov_b32_e32 v23, v5
	ds_read2st64_b32 v[28:29], v13 offset0:24 offset1:28
	v_add_co_u32_e64 v48, s[2:3], v6, v48
	v_addc_co_u32_e64 v53, s[0:1], v7, v53, s[0:1]
	v_lshlrev_b64 v[54:55], 2, v[4:5]
	ds_read2st64_b32 v[32:33], v13 offset0:32 offset1:36
	ds_read2st64_b32 v[36:37], v13 offset0:40 offset1:44
	ds_read2st64_b32 v[40:41], v13 offset0:48 offset1:52
	ds_read2st64_b32 v[44:45], v13 offset0:56 offset1:60
	v_lshlrev_b64 v[22:23], 2, v[22:23]
	v_addc_co_u32_e64 v49, s[2:3], v7, v49, s[2:3]
	v_add_u32_e32 v4, 0x600, v2
	s_waitcnt lgkmcnt(7)
	global_store_dword v[46:47], v16, off
	global_store_dword v[50:51], v17, off
	s_waitcnt lgkmcnt(6)
	global_store_dword v[52:53], v20, off
	global_store_dword v[48:49], v21, off
	v_add_co_u32_e64 v16, s[0:1], v6, v54
	v_add_u32_e32 v26, 0x600, v3
	v_mov_b32_e32 v27, v5
	v_add_co_u32_e64 v22, s[2:3], v6, v22
	v_addc_co_u32_e64 v17, s[0:1], v7, v55, s[0:1]
	v_lshlrev_b64 v[20:21], 2, v[4:5]
	v_lshlrev_b64 v[26:27], 2, v[26:27]
	v_addc_co_u32_e64 v23, s[2:3], v7, v23, s[2:3]
	v_add_u32_e32 v4, 0x800, v2
	s_waitcnt lgkmcnt(5)
	global_store_dword v[16:17], v24, off
	global_store_dword v[22:23], v25, off
	v_add_co_u32_e64 v16, s[0:1], v6, v20
	v_add_u32_e32 v30, 0x800, v3
	v_mov_b32_e32 v31, v5
	v_add_co_u32_e64 v26, s[2:3], v6, v26
	v_addc_co_u32_e64 v17, s[0:1], v7, v21, s[0:1]
	v_lshlrev_b64 v[20:21], 2, v[4:5]
	v_lshlrev_b64 v[30:31], 2, v[30:31]
	v_addc_co_u32_e64 v27, s[2:3], v7, v27, s[2:3]
	v_add_u32_e32 v4, 0xa00, v2
	;; [unrolled: 12-line block ×4, first 2 shown]
	s_waitcnt lgkmcnt(2)
	global_store_dword v[16:17], v36, off
	global_store_dword v[34:35], v37, off
	v_add_co_u32_e64 v16, s[0:1], v6, v20
	v_add_u32_e32 v42, 0xe00, v3
	v_mov_b32_e32 v43, v5
	v_add_co_u32_e64 v38, s[2:3], v6, v38
	v_addc_co_u32_e64 v17, s[0:1], v7, v21, s[0:1]
	v_lshlrev_b64 v[20:21], 2, v[4:5]
	v_lshlrev_b64 v[42:43], 2, v[42:43]
	v_addc_co_u32_e64 v39, s[2:3], v7, v39, s[2:3]
	s_waitcnt lgkmcnt(1)
	global_store_dword v[16:17], v40, off
	global_store_dword v[38:39], v41, off
	v_add_co_u32_e64 v16, s[0:1], v6, v20
	v_add_u32_e32 v13, 0x4000, v13
	v_add_u32_e32 v3, 0x1000, v3
	v_mov_b32_e32 v14, s14
	v_add_co_u32_e64 v42, s[2:3], v6, v42
	v_add_u32_e32 v2, 0x1000, v2
	v_addc_co_u32_e64 v17, s[0:1], v7, v21, s[0:1]
	v_addc_co_u32_e64 v43, s[2:3], v7, v43, s[2:3]
	s_waitcnt lgkmcnt(0)
	global_store_dword v[16:17], v44, off
	global_store_dword v[42:43], v45, off
	s_andn2_b64 exec, exec, s[12:13]
	s_cbranch_execnz .LBB428_148
; %bb.149:
	s_or_b64 exec, exec, s[12:13]
.LBB428_150:
	s_or_b64 exec, exec, s[10:11]
	v_and_b32_e32 v1, 7, v11
	v_cmp_ne_u32_e64 s[0:1], 0, v1
	s_and_saveexec_b64 s[10:11], s[0:1]
	s_cbranch_execz .LBB428_153
; %bb.151:
	v_lshl_or_b32 v9, v14, 10, v9
	s_mov_b64 s[12:13], 0
	v_mov_b32_e32 v5, 0
.LBB428_152:                            ; =>This Inner Loop Header: Depth=1
	ds_read2st64_b32 v[12:13], v9 offset1:4
	v_mov_b32_e32 v4, v2
	v_add_u32_e32 v1, -1, v1
	v_lshlrev_b64 v[14:15], 2, v[4:5]
	v_mov_b32_e32 v4, v3
	v_cmp_eq_u32_e64 s[0:1], 0, v1
	v_add_co_u32_e64 v14, s[2:3], v6, v14
	v_lshlrev_b64 v[16:17], 2, v[4:5]
	v_add_u32_e32 v2, 0x200, v2
	v_add_u32_e32 v9, 0x800, v9
	;; [unrolled: 1-line block ×3, first 2 shown]
	v_addc_co_u32_e64 v15, s[2:3], v7, v15, s[2:3]
	s_or_b64 s[12:13], s[0:1], s[12:13]
	v_add_co_u32_e64 v16, s[0:1], v6, v16
	v_addc_co_u32_e64 v17, s[0:1], v7, v17, s[0:1]
	s_waitcnt lgkmcnt(0)
	global_store_dword v[14:15], v12, off
	global_store_dword v[16:17], v13, off
	s_andn2_b64 exec, exec, s[12:13]
	s_cbranch_execnz .LBB428_152
.LBB428_153:
	s_or_b64 exec, exec, s[10:11]
	v_add_u32_e32 v1, 1, v8
	v_and_b32_e32 v3, 0x1fffffe, v1
	v_cmp_ne_u32_e64 s[0:1], v1, v3
	v_lshl_or_b32 v2, v3, 8, v0
	s_orn2_b64 s[2:3], s[0:1], exec
.LBB428_154:
	s_or_b64 exec, exec, s[8:9]
	s_andn2_b64 s[0:1], vcc, exec
	s_and_b64 s[2:3], s[2:3], exec
	s_or_b64 vcc, s[0:1], s[2:3]
.LBB428_155:
	s_or_b64 exec, exec, s[4:5]
	s_and_b64 exec, exec, vcc
	s_cbranch_execz .LBB428_158
; %bb.156:
	v_lshlrev_b32_e32 v1, 2, v2
	s_mov_b64 s[0:1], 0
	v_mov_b32_e32 v3, 0
.LBB428_157:                            ; =>This Inner Loop Header: Depth=1
	ds_read_b32 v8, v1
	v_lshlrev_b64 v[4:5], 2, v[2:3]
	v_add_co_u32_e32 v4, vcc, v6, v4
	v_add_u32_e32 v2, 0x100, v2
	v_addc_co_u32_e32 v5, vcc, v7, v5, vcc
	v_cmp_ge_u32_e32 vcc, v2, v10
	v_add_u32_e32 v1, 0x400, v1
	s_or_b64 s[0:1], vcc, s[0:1]
	s_waitcnt lgkmcnt(0)
	global_store_dword v[4:5], v8, off
	s_andn2_b64 exec, exec, s[0:1]
	s_cbranch_execnz .LBB428_157
.LBB428_158:
	s_or_b64 exec, exec, s[6:7]
	v_cmp_eq_u32_e32 vcc, 0, v0
	s_and_b64 s[0:1], vcc, s[26:27]
	s_and_saveexec_b64 s[2:3], s[0:1]
	s_cbranch_execz .LBB428_91
.LBB428_159:
	v_mov_b32_e32 v0, s23
	v_add_co_u32_e32 v1, vcc, s22, v10
	v_addc_co_u32_e32 v3, vcc, 0, v0, vcc
	v_add_co_u32_e32 v0, vcc, v1, v18
	v_mov_b32_e32 v2, 0
	v_addc_co_u32_e32 v1, vcc, 0, v3, vcc
	global_store_dwordx2 v2, v[0:1], s[24:25]
	s_endpgm
.LBB428_160:
	s_or_b64 exec, exec, s[2:3]
	s_and_saveexec_b64 s[2:3], s[36:37]
	s_cbranch_execnz .LBB428_44
	s_branch .LBB428_45
	.section	.rodata,"a",@progbits
	.p2align	6, 0x0
	.amdhsa_kernel _ZN7rocprim17ROCPRIM_400000_NS6detail17trampoline_kernelINS0_14default_configENS1_25partition_config_selectorILNS1_17partition_subalgoE8EiNS0_10empty_typeEbEEZZNS1_14partition_implILS5_8ELb0ES3_jPKiPS6_PKS6_NS0_5tupleIJPiS6_EEENSE_IJSB_SB_EEENS0_18inequality_wrapperIN6hipcub16HIPCUB_304000_NS8EqualityEEEPlJS6_EEE10hipError_tPvRmT3_T4_T5_T6_T7_T9_mT8_P12ihipStream_tbDpT10_ENKUlT_T0_E_clISt17integral_constantIbLb1EES16_IbLb0EEEEDaS12_S13_EUlS12_E_NS1_11comp_targetILNS1_3genE4ELNS1_11target_archE910ELNS1_3gpuE8ELNS1_3repE0EEENS1_30default_config_static_selectorELNS0_4arch9wavefront6targetE1EEEvT1_
		.amdhsa_group_segment_fixed_size 10248
		.amdhsa_private_segment_fixed_size 0
		.amdhsa_kernarg_size 112
		.amdhsa_user_sgpr_count 6
		.amdhsa_user_sgpr_private_segment_buffer 1
		.amdhsa_user_sgpr_dispatch_ptr 0
		.amdhsa_user_sgpr_queue_ptr 0
		.amdhsa_user_sgpr_kernarg_segment_ptr 1
		.amdhsa_user_sgpr_dispatch_id 0
		.amdhsa_user_sgpr_flat_scratch_init 0
		.amdhsa_user_sgpr_kernarg_preload_length 0
		.amdhsa_user_sgpr_kernarg_preload_offset 0
		.amdhsa_user_sgpr_private_segment_size 0
		.amdhsa_uses_dynamic_stack 0
		.amdhsa_system_sgpr_private_segment_wavefront_offset 0
		.amdhsa_system_sgpr_workgroup_id_x 1
		.amdhsa_system_sgpr_workgroup_id_y 0
		.amdhsa_system_sgpr_workgroup_id_z 0
		.amdhsa_system_sgpr_workgroup_info 0
		.amdhsa_system_vgpr_workitem_id 0
		.amdhsa_next_free_vgpr 56
		.amdhsa_next_free_sgpr 40
		.amdhsa_accum_offset 56
		.amdhsa_reserve_vcc 1
		.amdhsa_reserve_flat_scratch 0
		.amdhsa_float_round_mode_32 0
		.amdhsa_float_round_mode_16_64 0
		.amdhsa_float_denorm_mode_32 3
		.amdhsa_float_denorm_mode_16_64 3
		.amdhsa_dx10_clamp 1
		.amdhsa_ieee_mode 1
		.amdhsa_fp16_overflow 0
		.amdhsa_tg_split 0
		.amdhsa_exception_fp_ieee_invalid_op 0
		.amdhsa_exception_fp_denorm_src 0
		.amdhsa_exception_fp_ieee_div_zero 0
		.amdhsa_exception_fp_ieee_overflow 0
		.amdhsa_exception_fp_ieee_underflow 0
		.amdhsa_exception_fp_ieee_inexact 0
		.amdhsa_exception_int_div_zero 0
	.end_amdhsa_kernel
	.section	.text._ZN7rocprim17ROCPRIM_400000_NS6detail17trampoline_kernelINS0_14default_configENS1_25partition_config_selectorILNS1_17partition_subalgoE8EiNS0_10empty_typeEbEEZZNS1_14partition_implILS5_8ELb0ES3_jPKiPS6_PKS6_NS0_5tupleIJPiS6_EEENSE_IJSB_SB_EEENS0_18inequality_wrapperIN6hipcub16HIPCUB_304000_NS8EqualityEEEPlJS6_EEE10hipError_tPvRmT3_T4_T5_T6_T7_T9_mT8_P12ihipStream_tbDpT10_ENKUlT_T0_E_clISt17integral_constantIbLb1EES16_IbLb0EEEEDaS12_S13_EUlS12_E_NS1_11comp_targetILNS1_3genE4ELNS1_11target_archE910ELNS1_3gpuE8ELNS1_3repE0EEENS1_30default_config_static_selectorELNS0_4arch9wavefront6targetE1EEEvT1_,"axG",@progbits,_ZN7rocprim17ROCPRIM_400000_NS6detail17trampoline_kernelINS0_14default_configENS1_25partition_config_selectorILNS1_17partition_subalgoE8EiNS0_10empty_typeEbEEZZNS1_14partition_implILS5_8ELb0ES3_jPKiPS6_PKS6_NS0_5tupleIJPiS6_EEENSE_IJSB_SB_EEENS0_18inequality_wrapperIN6hipcub16HIPCUB_304000_NS8EqualityEEEPlJS6_EEE10hipError_tPvRmT3_T4_T5_T6_T7_T9_mT8_P12ihipStream_tbDpT10_ENKUlT_T0_E_clISt17integral_constantIbLb1EES16_IbLb0EEEEDaS12_S13_EUlS12_E_NS1_11comp_targetILNS1_3genE4ELNS1_11target_archE910ELNS1_3gpuE8ELNS1_3repE0EEENS1_30default_config_static_selectorELNS0_4arch9wavefront6targetE1EEEvT1_,comdat
.Lfunc_end428:
	.size	_ZN7rocprim17ROCPRIM_400000_NS6detail17trampoline_kernelINS0_14default_configENS1_25partition_config_selectorILNS1_17partition_subalgoE8EiNS0_10empty_typeEbEEZZNS1_14partition_implILS5_8ELb0ES3_jPKiPS6_PKS6_NS0_5tupleIJPiS6_EEENSE_IJSB_SB_EEENS0_18inequality_wrapperIN6hipcub16HIPCUB_304000_NS8EqualityEEEPlJS6_EEE10hipError_tPvRmT3_T4_T5_T6_T7_T9_mT8_P12ihipStream_tbDpT10_ENKUlT_T0_E_clISt17integral_constantIbLb1EES16_IbLb0EEEEDaS12_S13_EUlS12_E_NS1_11comp_targetILNS1_3genE4ELNS1_11target_archE910ELNS1_3gpuE8ELNS1_3repE0EEENS1_30default_config_static_selectorELNS0_4arch9wavefront6targetE1EEEvT1_, .Lfunc_end428-_ZN7rocprim17ROCPRIM_400000_NS6detail17trampoline_kernelINS0_14default_configENS1_25partition_config_selectorILNS1_17partition_subalgoE8EiNS0_10empty_typeEbEEZZNS1_14partition_implILS5_8ELb0ES3_jPKiPS6_PKS6_NS0_5tupleIJPiS6_EEENSE_IJSB_SB_EEENS0_18inequality_wrapperIN6hipcub16HIPCUB_304000_NS8EqualityEEEPlJS6_EEE10hipError_tPvRmT3_T4_T5_T6_T7_T9_mT8_P12ihipStream_tbDpT10_ENKUlT_T0_E_clISt17integral_constantIbLb1EES16_IbLb0EEEEDaS12_S13_EUlS12_E_NS1_11comp_targetILNS1_3genE4ELNS1_11target_archE910ELNS1_3gpuE8ELNS1_3repE0EEENS1_30default_config_static_selectorELNS0_4arch9wavefront6targetE1EEEvT1_
                                        ; -- End function
	.section	.AMDGPU.csdata,"",@progbits
; Kernel info:
; codeLenInByte = 7348
; NumSgprs: 44
; NumVgprs: 56
; NumAgprs: 0
; TotalNumVgprs: 56
; ScratchSize: 0
; MemoryBound: 0
; FloatMode: 240
; IeeeMode: 1
; LDSByteSize: 10248 bytes/workgroup (compile time only)
; SGPRBlocks: 5
; VGPRBlocks: 6
; NumSGPRsForWavesPerEU: 44
; NumVGPRsForWavesPerEU: 56
; AccumOffset: 56
; Occupancy: 6
; WaveLimiterHint : 1
; COMPUTE_PGM_RSRC2:SCRATCH_EN: 0
; COMPUTE_PGM_RSRC2:USER_SGPR: 6
; COMPUTE_PGM_RSRC2:TRAP_HANDLER: 0
; COMPUTE_PGM_RSRC2:TGID_X_EN: 1
; COMPUTE_PGM_RSRC2:TGID_Y_EN: 0
; COMPUTE_PGM_RSRC2:TGID_Z_EN: 0
; COMPUTE_PGM_RSRC2:TIDIG_COMP_CNT: 0
; COMPUTE_PGM_RSRC3_GFX90A:ACCUM_OFFSET: 13
; COMPUTE_PGM_RSRC3_GFX90A:TG_SPLIT: 0
	.section	.text._ZN7rocprim17ROCPRIM_400000_NS6detail17trampoline_kernelINS0_14default_configENS1_25partition_config_selectorILNS1_17partition_subalgoE8EiNS0_10empty_typeEbEEZZNS1_14partition_implILS5_8ELb0ES3_jPKiPS6_PKS6_NS0_5tupleIJPiS6_EEENSE_IJSB_SB_EEENS0_18inequality_wrapperIN6hipcub16HIPCUB_304000_NS8EqualityEEEPlJS6_EEE10hipError_tPvRmT3_T4_T5_T6_T7_T9_mT8_P12ihipStream_tbDpT10_ENKUlT_T0_E_clISt17integral_constantIbLb1EES16_IbLb0EEEEDaS12_S13_EUlS12_E_NS1_11comp_targetILNS1_3genE3ELNS1_11target_archE908ELNS1_3gpuE7ELNS1_3repE0EEENS1_30default_config_static_selectorELNS0_4arch9wavefront6targetE1EEEvT1_,"axG",@progbits,_ZN7rocprim17ROCPRIM_400000_NS6detail17trampoline_kernelINS0_14default_configENS1_25partition_config_selectorILNS1_17partition_subalgoE8EiNS0_10empty_typeEbEEZZNS1_14partition_implILS5_8ELb0ES3_jPKiPS6_PKS6_NS0_5tupleIJPiS6_EEENSE_IJSB_SB_EEENS0_18inequality_wrapperIN6hipcub16HIPCUB_304000_NS8EqualityEEEPlJS6_EEE10hipError_tPvRmT3_T4_T5_T6_T7_T9_mT8_P12ihipStream_tbDpT10_ENKUlT_T0_E_clISt17integral_constantIbLb1EES16_IbLb0EEEEDaS12_S13_EUlS12_E_NS1_11comp_targetILNS1_3genE3ELNS1_11target_archE908ELNS1_3gpuE7ELNS1_3repE0EEENS1_30default_config_static_selectorELNS0_4arch9wavefront6targetE1EEEvT1_,comdat
	.protected	_ZN7rocprim17ROCPRIM_400000_NS6detail17trampoline_kernelINS0_14default_configENS1_25partition_config_selectorILNS1_17partition_subalgoE8EiNS0_10empty_typeEbEEZZNS1_14partition_implILS5_8ELb0ES3_jPKiPS6_PKS6_NS0_5tupleIJPiS6_EEENSE_IJSB_SB_EEENS0_18inequality_wrapperIN6hipcub16HIPCUB_304000_NS8EqualityEEEPlJS6_EEE10hipError_tPvRmT3_T4_T5_T6_T7_T9_mT8_P12ihipStream_tbDpT10_ENKUlT_T0_E_clISt17integral_constantIbLb1EES16_IbLb0EEEEDaS12_S13_EUlS12_E_NS1_11comp_targetILNS1_3genE3ELNS1_11target_archE908ELNS1_3gpuE7ELNS1_3repE0EEENS1_30default_config_static_selectorELNS0_4arch9wavefront6targetE1EEEvT1_ ; -- Begin function _ZN7rocprim17ROCPRIM_400000_NS6detail17trampoline_kernelINS0_14default_configENS1_25partition_config_selectorILNS1_17partition_subalgoE8EiNS0_10empty_typeEbEEZZNS1_14partition_implILS5_8ELb0ES3_jPKiPS6_PKS6_NS0_5tupleIJPiS6_EEENSE_IJSB_SB_EEENS0_18inequality_wrapperIN6hipcub16HIPCUB_304000_NS8EqualityEEEPlJS6_EEE10hipError_tPvRmT3_T4_T5_T6_T7_T9_mT8_P12ihipStream_tbDpT10_ENKUlT_T0_E_clISt17integral_constantIbLb1EES16_IbLb0EEEEDaS12_S13_EUlS12_E_NS1_11comp_targetILNS1_3genE3ELNS1_11target_archE908ELNS1_3gpuE7ELNS1_3repE0EEENS1_30default_config_static_selectorELNS0_4arch9wavefront6targetE1EEEvT1_
	.globl	_ZN7rocprim17ROCPRIM_400000_NS6detail17trampoline_kernelINS0_14default_configENS1_25partition_config_selectorILNS1_17partition_subalgoE8EiNS0_10empty_typeEbEEZZNS1_14partition_implILS5_8ELb0ES3_jPKiPS6_PKS6_NS0_5tupleIJPiS6_EEENSE_IJSB_SB_EEENS0_18inequality_wrapperIN6hipcub16HIPCUB_304000_NS8EqualityEEEPlJS6_EEE10hipError_tPvRmT3_T4_T5_T6_T7_T9_mT8_P12ihipStream_tbDpT10_ENKUlT_T0_E_clISt17integral_constantIbLb1EES16_IbLb0EEEEDaS12_S13_EUlS12_E_NS1_11comp_targetILNS1_3genE3ELNS1_11target_archE908ELNS1_3gpuE7ELNS1_3repE0EEENS1_30default_config_static_selectorELNS0_4arch9wavefront6targetE1EEEvT1_
	.p2align	8
	.type	_ZN7rocprim17ROCPRIM_400000_NS6detail17trampoline_kernelINS0_14default_configENS1_25partition_config_selectorILNS1_17partition_subalgoE8EiNS0_10empty_typeEbEEZZNS1_14partition_implILS5_8ELb0ES3_jPKiPS6_PKS6_NS0_5tupleIJPiS6_EEENSE_IJSB_SB_EEENS0_18inequality_wrapperIN6hipcub16HIPCUB_304000_NS8EqualityEEEPlJS6_EEE10hipError_tPvRmT3_T4_T5_T6_T7_T9_mT8_P12ihipStream_tbDpT10_ENKUlT_T0_E_clISt17integral_constantIbLb1EES16_IbLb0EEEEDaS12_S13_EUlS12_E_NS1_11comp_targetILNS1_3genE3ELNS1_11target_archE908ELNS1_3gpuE7ELNS1_3repE0EEENS1_30default_config_static_selectorELNS0_4arch9wavefront6targetE1EEEvT1_,@function
_ZN7rocprim17ROCPRIM_400000_NS6detail17trampoline_kernelINS0_14default_configENS1_25partition_config_selectorILNS1_17partition_subalgoE8EiNS0_10empty_typeEbEEZZNS1_14partition_implILS5_8ELb0ES3_jPKiPS6_PKS6_NS0_5tupleIJPiS6_EEENSE_IJSB_SB_EEENS0_18inequality_wrapperIN6hipcub16HIPCUB_304000_NS8EqualityEEEPlJS6_EEE10hipError_tPvRmT3_T4_T5_T6_T7_T9_mT8_P12ihipStream_tbDpT10_ENKUlT_T0_E_clISt17integral_constantIbLb1EES16_IbLb0EEEEDaS12_S13_EUlS12_E_NS1_11comp_targetILNS1_3genE3ELNS1_11target_archE908ELNS1_3gpuE7ELNS1_3repE0EEENS1_30default_config_static_selectorELNS0_4arch9wavefront6targetE1EEEvT1_: ; @_ZN7rocprim17ROCPRIM_400000_NS6detail17trampoline_kernelINS0_14default_configENS1_25partition_config_selectorILNS1_17partition_subalgoE8EiNS0_10empty_typeEbEEZZNS1_14partition_implILS5_8ELb0ES3_jPKiPS6_PKS6_NS0_5tupleIJPiS6_EEENSE_IJSB_SB_EEENS0_18inequality_wrapperIN6hipcub16HIPCUB_304000_NS8EqualityEEEPlJS6_EEE10hipError_tPvRmT3_T4_T5_T6_T7_T9_mT8_P12ihipStream_tbDpT10_ENKUlT_T0_E_clISt17integral_constantIbLb1EES16_IbLb0EEEEDaS12_S13_EUlS12_E_NS1_11comp_targetILNS1_3genE3ELNS1_11target_archE908ELNS1_3gpuE7ELNS1_3repE0EEENS1_30default_config_static_selectorELNS0_4arch9wavefront6targetE1EEEvT1_
; %bb.0:
	.section	.rodata,"a",@progbits
	.p2align	6, 0x0
	.amdhsa_kernel _ZN7rocprim17ROCPRIM_400000_NS6detail17trampoline_kernelINS0_14default_configENS1_25partition_config_selectorILNS1_17partition_subalgoE8EiNS0_10empty_typeEbEEZZNS1_14partition_implILS5_8ELb0ES3_jPKiPS6_PKS6_NS0_5tupleIJPiS6_EEENSE_IJSB_SB_EEENS0_18inequality_wrapperIN6hipcub16HIPCUB_304000_NS8EqualityEEEPlJS6_EEE10hipError_tPvRmT3_T4_T5_T6_T7_T9_mT8_P12ihipStream_tbDpT10_ENKUlT_T0_E_clISt17integral_constantIbLb1EES16_IbLb0EEEEDaS12_S13_EUlS12_E_NS1_11comp_targetILNS1_3genE3ELNS1_11target_archE908ELNS1_3gpuE7ELNS1_3repE0EEENS1_30default_config_static_selectorELNS0_4arch9wavefront6targetE1EEEvT1_
		.amdhsa_group_segment_fixed_size 0
		.amdhsa_private_segment_fixed_size 0
		.amdhsa_kernarg_size 112
		.amdhsa_user_sgpr_count 6
		.amdhsa_user_sgpr_private_segment_buffer 1
		.amdhsa_user_sgpr_dispatch_ptr 0
		.amdhsa_user_sgpr_queue_ptr 0
		.amdhsa_user_sgpr_kernarg_segment_ptr 1
		.amdhsa_user_sgpr_dispatch_id 0
		.amdhsa_user_sgpr_flat_scratch_init 0
		.amdhsa_user_sgpr_kernarg_preload_length 0
		.amdhsa_user_sgpr_kernarg_preload_offset 0
		.amdhsa_user_sgpr_private_segment_size 0
		.amdhsa_uses_dynamic_stack 0
		.amdhsa_system_sgpr_private_segment_wavefront_offset 0
		.amdhsa_system_sgpr_workgroup_id_x 1
		.amdhsa_system_sgpr_workgroup_id_y 0
		.amdhsa_system_sgpr_workgroup_id_z 0
		.amdhsa_system_sgpr_workgroup_info 0
		.amdhsa_system_vgpr_workitem_id 0
		.amdhsa_next_free_vgpr 1
		.amdhsa_next_free_sgpr 0
		.amdhsa_accum_offset 4
		.amdhsa_reserve_vcc 0
		.amdhsa_reserve_flat_scratch 0
		.amdhsa_float_round_mode_32 0
		.amdhsa_float_round_mode_16_64 0
		.amdhsa_float_denorm_mode_32 3
		.amdhsa_float_denorm_mode_16_64 3
		.amdhsa_dx10_clamp 1
		.amdhsa_ieee_mode 1
		.amdhsa_fp16_overflow 0
		.amdhsa_tg_split 0
		.amdhsa_exception_fp_ieee_invalid_op 0
		.amdhsa_exception_fp_denorm_src 0
		.amdhsa_exception_fp_ieee_div_zero 0
		.amdhsa_exception_fp_ieee_overflow 0
		.amdhsa_exception_fp_ieee_underflow 0
		.amdhsa_exception_fp_ieee_inexact 0
		.amdhsa_exception_int_div_zero 0
	.end_amdhsa_kernel
	.section	.text._ZN7rocprim17ROCPRIM_400000_NS6detail17trampoline_kernelINS0_14default_configENS1_25partition_config_selectorILNS1_17partition_subalgoE8EiNS0_10empty_typeEbEEZZNS1_14partition_implILS5_8ELb0ES3_jPKiPS6_PKS6_NS0_5tupleIJPiS6_EEENSE_IJSB_SB_EEENS0_18inequality_wrapperIN6hipcub16HIPCUB_304000_NS8EqualityEEEPlJS6_EEE10hipError_tPvRmT3_T4_T5_T6_T7_T9_mT8_P12ihipStream_tbDpT10_ENKUlT_T0_E_clISt17integral_constantIbLb1EES16_IbLb0EEEEDaS12_S13_EUlS12_E_NS1_11comp_targetILNS1_3genE3ELNS1_11target_archE908ELNS1_3gpuE7ELNS1_3repE0EEENS1_30default_config_static_selectorELNS0_4arch9wavefront6targetE1EEEvT1_,"axG",@progbits,_ZN7rocprim17ROCPRIM_400000_NS6detail17trampoline_kernelINS0_14default_configENS1_25partition_config_selectorILNS1_17partition_subalgoE8EiNS0_10empty_typeEbEEZZNS1_14partition_implILS5_8ELb0ES3_jPKiPS6_PKS6_NS0_5tupleIJPiS6_EEENSE_IJSB_SB_EEENS0_18inequality_wrapperIN6hipcub16HIPCUB_304000_NS8EqualityEEEPlJS6_EEE10hipError_tPvRmT3_T4_T5_T6_T7_T9_mT8_P12ihipStream_tbDpT10_ENKUlT_T0_E_clISt17integral_constantIbLb1EES16_IbLb0EEEEDaS12_S13_EUlS12_E_NS1_11comp_targetILNS1_3genE3ELNS1_11target_archE908ELNS1_3gpuE7ELNS1_3repE0EEENS1_30default_config_static_selectorELNS0_4arch9wavefront6targetE1EEEvT1_,comdat
.Lfunc_end429:
	.size	_ZN7rocprim17ROCPRIM_400000_NS6detail17trampoline_kernelINS0_14default_configENS1_25partition_config_selectorILNS1_17partition_subalgoE8EiNS0_10empty_typeEbEEZZNS1_14partition_implILS5_8ELb0ES3_jPKiPS6_PKS6_NS0_5tupleIJPiS6_EEENSE_IJSB_SB_EEENS0_18inequality_wrapperIN6hipcub16HIPCUB_304000_NS8EqualityEEEPlJS6_EEE10hipError_tPvRmT3_T4_T5_T6_T7_T9_mT8_P12ihipStream_tbDpT10_ENKUlT_T0_E_clISt17integral_constantIbLb1EES16_IbLb0EEEEDaS12_S13_EUlS12_E_NS1_11comp_targetILNS1_3genE3ELNS1_11target_archE908ELNS1_3gpuE7ELNS1_3repE0EEENS1_30default_config_static_selectorELNS0_4arch9wavefront6targetE1EEEvT1_, .Lfunc_end429-_ZN7rocprim17ROCPRIM_400000_NS6detail17trampoline_kernelINS0_14default_configENS1_25partition_config_selectorILNS1_17partition_subalgoE8EiNS0_10empty_typeEbEEZZNS1_14partition_implILS5_8ELb0ES3_jPKiPS6_PKS6_NS0_5tupleIJPiS6_EEENSE_IJSB_SB_EEENS0_18inequality_wrapperIN6hipcub16HIPCUB_304000_NS8EqualityEEEPlJS6_EEE10hipError_tPvRmT3_T4_T5_T6_T7_T9_mT8_P12ihipStream_tbDpT10_ENKUlT_T0_E_clISt17integral_constantIbLb1EES16_IbLb0EEEEDaS12_S13_EUlS12_E_NS1_11comp_targetILNS1_3genE3ELNS1_11target_archE908ELNS1_3gpuE7ELNS1_3repE0EEENS1_30default_config_static_selectorELNS0_4arch9wavefront6targetE1EEEvT1_
                                        ; -- End function
	.section	.AMDGPU.csdata,"",@progbits
; Kernel info:
; codeLenInByte = 0
; NumSgprs: 4
; NumVgprs: 0
; NumAgprs: 0
; TotalNumVgprs: 0
; ScratchSize: 0
; MemoryBound: 0
; FloatMode: 240
; IeeeMode: 1
; LDSByteSize: 0 bytes/workgroup (compile time only)
; SGPRBlocks: 0
; VGPRBlocks: 0
; NumSGPRsForWavesPerEU: 4
; NumVGPRsForWavesPerEU: 1
; AccumOffset: 4
; Occupancy: 8
; WaveLimiterHint : 0
; COMPUTE_PGM_RSRC2:SCRATCH_EN: 0
; COMPUTE_PGM_RSRC2:USER_SGPR: 6
; COMPUTE_PGM_RSRC2:TRAP_HANDLER: 0
; COMPUTE_PGM_RSRC2:TGID_X_EN: 1
; COMPUTE_PGM_RSRC2:TGID_Y_EN: 0
; COMPUTE_PGM_RSRC2:TGID_Z_EN: 0
; COMPUTE_PGM_RSRC2:TIDIG_COMP_CNT: 0
; COMPUTE_PGM_RSRC3_GFX90A:ACCUM_OFFSET: 0
; COMPUTE_PGM_RSRC3_GFX90A:TG_SPLIT: 0
	.section	.text._ZN7rocprim17ROCPRIM_400000_NS6detail17trampoline_kernelINS0_14default_configENS1_25partition_config_selectorILNS1_17partition_subalgoE8EiNS0_10empty_typeEbEEZZNS1_14partition_implILS5_8ELb0ES3_jPKiPS6_PKS6_NS0_5tupleIJPiS6_EEENSE_IJSB_SB_EEENS0_18inequality_wrapperIN6hipcub16HIPCUB_304000_NS8EqualityEEEPlJS6_EEE10hipError_tPvRmT3_T4_T5_T6_T7_T9_mT8_P12ihipStream_tbDpT10_ENKUlT_T0_E_clISt17integral_constantIbLb1EES16_IbLb0EEEEDaS12_S13_EUlS12_E_NS1_11comp_targetILNS1_3genE2ELNS1_11target_archE906ELNS1_3gpuE6ELNS1_3repE0EEENS1_30default_config_static_selectorELNS0_4arch9wavefront6targetE1EEEvT1_,"axG",@progbits,_ZN7rocprim17ROCPRIM_400000_NS6detail17trampoline_kernelINS0_14default_configENS1_25partition_config_selectorILNS1_17partition_subalgoE8EiNS0_10empty_typeEbEEZZNS1_14partition_implILS5_8ELb0ES3_jPKiPS6_PKS6_NS0_5tupleIJPiS6_EEENSE_IJSB_SB_EEENS0_18inequality_wrapperIN6hipcub16HIPCUB_304000_NS8EqualityEEEPlJS6_EEE10hipError_tPvRmT3_T4_T5_T6_T7_T9_mT8_P12ihipStream_tbDpT10_ENKUlT_T0_E_clISt17integral_constantIbLb1EES16_IbLb0EEEEDaS12_S13_EUlS12_E_NS1_11comp_targetILNS1_3genE2ELNS1_11target_archE906ELNS1_3gpuE6ELNS1_3repE0EEENS1_30default_config_static_selectorELNS0_4arch9wavefront6targetE1EEEvT1_,comdat
	.protected	_ZN7rocprim17ROCPRIM_400000_NS6detail17trampoline_kernelINS0_14default_configENS1_25partition_config_selectorILNS1_17partition_subalgoE8EiNS0_10empty_typeEbEEZZNS1_14partition_implILS5_8ELb0ES3_jPKiPS6_PKS6_NS0_5tupleIJPiS6_EEENSE_IJSB_SB_EEENS0_18inequality_wrapperIN6hipcub16HIPCUB_304000_NS8EqualityEEEPlJS6_EEE10hipError_tPvRmT3_T4_T5_T6_T7_T9_mT8_P12ihipStream_tbDpT10_ENKUlT_T0_E_clISt17integral_constantIbLb1EES16_IbLb0EEEEDaS12_S13_EUlS12_E_NS1_11comp_targetILNS1_3genE2ELNS1_11target_archE906ELNS1_3gpuE6ELNS1_3repE0EEENS1_30default_config_static_selectorELNS0_4arch9wavefront6targetE1EEEvT1_ ; -- Begin function _ZN7rocprim17ROCPRIM_400000_NS6detail17trampoline_kernelINS0_14default_configENS1_25partition_config_selectorILNS1_17partition_subalgoE8EiNS0_10empty_typeEbEEZZNS1_14partition_implILS5_8ELb0ES3_jPKiPS6_PKS6_NS0_5tupleIJPiS6_EEENSE_IJSB_SB_EEENS0_18inequality_wrapperIN6hipcub16HIPCUB_304000_NS8EqualityEEEPlJS6_EEE10hipError_tPvRmT3_T4_T5_T6_T7_T9_mT8_P12ihipStream_tbDpT10_ENKUlT_T0_E_clISt17integral_constantIbLb1EES16_IbLb0EEEEDaS12_S13_EUlS12_E_NS1_11comp_targetILNS1_3genE2ELNS1_11target_archE906ELNS1_3gpuE6ELNS1_3repE0EEENS1_30default_config_static_selectorELNS0_4arch9wavefront6targetE1EEEvT1_
	.globl	_ZN7rocprim17ROCPRIM_400000_NS6detail17trampoline_kernelINS0_14default_configENS1_25partition_config_selectorILNS1_17partition_subalgoE8EiNS0_10empty_typeEbEEZZNS1_14partition_implILS5_8ELb0ES3_jPKiPS6_PKS6_NS0_5tupleIJPiS6_EEENSE_IJSB_SB_EEENS0_18inequality_wrapperIN6hipcub16HIPCUB_304000_NS8EqualityEEEPlJS6_EEE10hipError_tPvRmT3_T4_T5_T6_T7_T9_mT8_P12ihipStream_tbDpT10_ENKUlT_T0_E_clISt17integral_constantIbLb1EES16_IbLb0EEEEDaS12_S13_EUlS12_E_NS1_11comp_targetILNS1_3genE2ELNS1_11target_archE906ELNS1_3gpuE6ELNS1_3repE0EEENS1_30default_config_static_selectorELNS0_4arch9wavefront6targetE1EEEvT1_
	.p2align	8
	.type	_ZN7rocprim17ROCPRIM_400000_NS6detail17trampoline_kernelINS0_14default_configENS1_25partition_config_selectorILNS1_17partition_subalgoE8EiNS0_10empty_typeEbEEZZNS1_14partition_implILS5_8ELb0ES3_jPKiPS6_PKS6_NS0_5tupleIJPiS6_EEENSE_IJSB_SB_EEENS0_18inequality_wrapperIN6hipcub16HIPCUB_304000_NS8EqualityEEEPlJS6_EEE10hipError_tPvRmT3_T4_T5_T6_T7_T9_mT8_P12ihipStream_tbDpT10_ENKUlT_T0_E_clISt17integral_constantIbLb1EES16_IbLb0EEEEDaS12_S13_EUlS12_E_NS1_11comp_targetILNS1_3genE2ELNS1_11target_archE906ELNS1_3gpuE6ELNS1_3repE0EEENS1_30default_config_static_selectorELNS0_4arch9wavefront6targetE1EEEvT1_,@function
_ZN7rocprim17ROCPRIM_400000_NS6detail17trampoline_kernelINS0_14default_configENS1_25partition_config_selectorILNS1_17partition_subalgoE8EiNS0_10empty_typeEbEEZZNS1_14partition_implILS5_8ELb0ES3_jPKiPS6_PKS6_NS0_5tupleIJPiS6_EEENSE_IJSB_SB_EEENS0_18inequality_wrapperIN6hipcub16HIPCUB_304000_NS8EqualityEEEPlJS6_EEE10hipError_tPvRmT3_T4_T5_T6_T7_T9_mT8_P12ihipStream_tbDpT10_ENKUlT_T0_E_clISt17integral_constantIbLb1EES16_IbLb0EEEEDaS12_S13_EUlS12_E_NS1_11comp_targetILNS1_3genE2ELNS1_11target_archE906ELNS1_3gpuE6ELNS1_3repE0EEENS1_30default_config_static_selectorELNS0_4arch9wavefront6targetE1EEEvT1_: ; @_ZN7rocprim17ROCPRIM_400000_NS6detail17trampoline_kernelINS0_14default_configENS1_25partition_config_selectorILNS1_17partition_subalgoE8EiNS0_10empty_typeEbEEZZNS1_14partition_implILS5_8ELb0ES3_jPKiPS6_PKS6_NS0_5tupleIJPiS6_EEENSE_IJSB_SB_EEENS0_18inequality_wrapperIN6hipcub16HIPCUB_304000_NS8EqualityEEEPlJS6_EEE10hipError_tPvRmT3_T4_T5_T6_T7_T9_mT8_P12ihipStream_tbDpT10_ENKUlT_T0_E_clISt17integral_constantIbLb1EES16_IbLb0EEEEDaS12_S13_EUlS12_E_NS1_11comp_targetILNS1_3genE2ELNS1_11target_archE906ELNS1_3gpuE6ELNS1_3repE0EEENS1_30default_config_static_selectorELNS0_4arch9wavefront6targetE1EEEvT1_
; %bb.0:
	.section	.rodata,"a",@progbits
	.p2align	6, 0x0
	.amdhsa_kernel _ZN7rocprim17ROCPRIM_400000_NS6detail17trampoline_kernelINS0_14default_configENS1_25partition_config_selectorILNS1_17partition_subalgoE8EiNS0_10empty_typeEbEEZZNS1_14partition_implILS5_8ELb0ES3_jPKiPS6_PKS6_NS0_5tupleIJPiS6_EEENSE_IJSB_SB_EEENS0_18inequality_wrapperIN6hipcub16HIPCUB_304000_NS8EqualityEEEPlJS6_EEE10hipError_tPvRmT3_T4_T5_T6_T7_T9_mT8_P12ihipStream_tbDpT10_ENKUlT_T0_E_clISt17integral_constantIbLb1EES16_IbLb0EEEEDaS12_S13_EUlS12_E_NS1_11comp_targetILNS1_3genE2ELNS1_11target_archE906ELNS1_3gpuE6ELNS1_3repE0EEENS1_30default_config_static_selectorELNS0_4arch9wavefront6targetE1EEEvT1_
		.amdhsa_group_segment_fixed_size 0
		.amdhsa_private_segment_fixed_size 0
		.amdhsa_kernarg_size 112
		.amdhsa_user_sgpr_count 6
		.amdhsa_user_sgpr_private_segment_buffer 1
		.amdhsa_user_sgpr_dispatch_ptr 0
		.amdhsa_user_sgpr_queue_ptr 0
		.amdhsa_user_sgpr_kernarg_segment_ptr 1
		.amdhsa_user_sgpr_dispatch_id 0
		.amdhsa_user_sgpr_flat_scratch_init 0
		.amdhsa_user_sgpr_kernarg_preload_length 0
		.amdhsa_user_sgpr_kernarg_preload_offset 0
		.amdhsa_user_sgpr_private_segment_size 0
		.amdhsa_uses_dynamic_stack 0
		.amdhsa_system_sgpr_private_segment_wavefront_offset 0
		.amdhsa_system_sgpr_workgroup_id_x 1
		.amdhsa_system_sgpr_workgroup_id_y 0
		.amdhsa_system_sgpr_workgroup_id_z 0
		.amdhsa_system_sgpr_workgroup_info 0
		.amdhsa_system_vgpr_workitem_id 0
		.amdhsa_next_free_vgpr 1
		.amdhsa_next_free_sgpr 0
		.amdhsa_accum_offset 4
		.amdhsa_reserve_vcc 0
		.amdhsa_reserve_flat_scratch 0
		.amdhsa_float_round_mode_32 0
		.amdhsa_float_round_mode_16_64 0
		.amdhsa_float_denorm_mode_32 3
		.amdhsa_float_denorm_mode_16_64 3
		.amdhsa_dx10_clamp 1
		.amdhsa_ieee_mode 1
		.amdhsa_fp16_overflow 0
		.amdhsa_tg_split 0
		.amdhsa_exception_fp_ieee_invalid_op 0
		.amdhsa_exception_fp_denorm_src 0
		.amdhsa_exception_fp_ieee_div_zero 0
		.amdhsa_exception_fp_ieee_overflow 0
		.amdhsa_exception_fp_ieee_underflow 0
		.amdhsa_exception_fp_ieee_inexact 0
		.amdhsa_exception_int_div_zero 0
	.end_amdhsa_kernel
	.section	.text._ZN7rocprim17ROCPRIM_400000_NS6detail17trampoline_kernelINS0_14default_configENS1_25partition_config_selectorILNS1_17partition_subalgoE8EiNS0_10empty_typeEbEEZZNS1_14partition_implILS5_8ELb0ES3_jPKiPS6_PKS6_NS0_5tupleIJPiS6_EEENSE_IJSB_SB_EEENS0_18inequality_wrapperIN6hipcub16HIPCUB_304000_NS8EqualityEEEPlJS6_EEE10hipError_tPvRmT3_T4_T5_T6_T7_T9_mT8_P12ihipStream_tbDpT10_ENKUlT_T0_E_clISt17integral_constantIbLb1EES16_IbLb0EEEEDaS12_S13_EUlS12_E_NS1_11comp_targetILNS1_3genE2ELNS1_11target_archE906ELNS1_3gpuE6ELNS1_3repE0EEENS1_30default_config_static_selectorELNS0_4arch9wavefront6targetE1EEEvT1_,"axG",@progbits,_ZN7rocprim17ROCPRIM_400000_NS6detail17trampoline_kernelINS0_14default_configENS1_25partition_config_selectorILNS1_17partition_subalgoE8EiNS0_10empty_typeEbEEZZNS1_14partition_implILS5_8ELb0ES3_jPKiPS6_PKS6_NS0_5tupleIJPiS6_EEENSE_IJSB_SB_EEENS0_18inequality_wrapperIN6hipcub16HIPCUB_304000_NS8EqualityEEEPlJS6_EEE10hipError_tPvRmT3_T4_T5_T6_T7_T9_mT8_P12ihipStream_tbDpT10_ENKUlT_T0_E_clISt17integral_constantIbLb1EES16_IbLb0EEEEDaS12_S13_EUlS12_E_NS1_11comp_targetILNS1_3genE2ELNS1_11target_archE906ELNS1_3gpuE6ELNS1_3repE0EEENS1_30default_config_static_selectorELNS0_4arch9wavefront6targetE1EEEvT1_,comdat
.Lfunc_end430:
	.size	_ZN7rocprim17ROCPRIM_400000_NS6detail17trampoline_kernelINS0_14default_configENS1_25partition_config_selectorILNS1_17partition_subalgoE8EiNS0_10empty_typeEbEEZZNS1_14partition_implILS5_8ELb0ES3_jPKiPS6_PKS6_NS0_5tupleIJPiS6_EEENSE_IJSB_SB_EEENS0_18inequality_wrapperIN6hipcub16HIPCUB_304000_NS8EqualityEEEPlJS6_EEE10hipError_tPvRmT3_T4_T5_T6_T7_T9_mT8_P12ihipStream_tbDpT10_ENKUlT_T0_E_clISt17integral_constantIbLb1EES16_IbLb0EEEEDaS12_S13_EUlS12_E_NS1_11comp_targetILNS1_3genE2ELNS1_11target_archE906ELNS1_3gpuE6ELNS1_3repE0EEENS1_30default_config_static_selectorELNS0_4arch9wavefront6targetE1EEEvT1_, .Lfunc_end430-_ZN7rocprim17ROCPRIM_400000_NS6detail17trampoline_kernelINS0_14default_configENS1_25partition_config_selectorILNS1_17partition_subalgoE8EiNS0_10empty_typeEbEEZZNS1_14partition_implILS5_8ELb0ES3_jPKiPS6_PKS6_NS0_5tupleIJPiS6_EEENSE_IJSB_SB_EEENS0_18inequality_wrapperIN6hipcub16HIPCUB_304000_NS8EqualityEEEPlJS6_EEE10hipError_tPvRmT3_T4_T5_T6_T7_T9_mT8_P12ihipStream_tbDpT10_ENKUlT_T0_E_clISt17integral_constantIbLb1EES16_IbLb0EEEEDaS12_S13_EUlS12_E_NS1_11comp_targetILNS1_3genE2ELNS1_11target_archE906ELNS1_3gpuE6ELNS1_3repE0EEENS1_30default_config_static_selectorELNS0_4arch9wavefront6targetE1EEEvT1_
                                        ; -- End function
	.section	.AMDGPU.csdata,"",@progbits
; Kernel info:
; codeLenInByte = 0
; NumSgprs: 4
; NumVgprs: 0
; NumAgprs: 0
; TotalNumVgprs: 0
; ScratchSize: 0
; MemoryBound: 0
; FloatMode: 240
; IeeeMode: 1
; LDSByteSize: 0 bytes/workgroup (compile time only)
; SGPRBlocks: 0
; VGPRBlocks: 0
; NumSGPRsForWavesPerEU: 4
; NumVGPRsForWavesPerEU: 1
; AccumOffset: 4
; Occupancy: 8
; WaveLimiterHint : 0
; COMPUTE_PGM_RSRC2:SCRATCH_EN: 0
; COMPUTE_PGM_RSRC2:USER_SGPR: 6
; COMPUTE_PGM_RSRC2:TRAP_HANDLER: 0
; COMPUTE_PGM_RSRC2:TGID_X_EN: 1
; COMPUTE_PGM_RSRC2:TGID_Y_EN: 0
; COMPUTE_PGM_RSRC2:TGID_Z_EN: 0
; COMPUTE_PGM_RSRC2:TIDIG_COMP_CNT: 0
; COMPUTE_PGM_RSRC3_GFX90A:ACCUM_OFFSET: 0
; COMPUTE_PGM_RSRC3_GFX90A:TG_SPLIT: 0
	.section	.text._ZN7rocprim17ROCPRIM_400000_NS6detail17trampoline_kernelINS0_14default_configENS1_25partition_config_selectorILNS1_17partition_subalgoE8EiNS0_10empty_typeEbEEZZNS1_14partition_implILS5_8ELb0ES3_jPKiPS6_PKS6_NS0_5tupleIJPiS6_EEENSE_IJSB_SB_EEENS0_18inequality_wrapperIN6hipcub16HIPCUB_304000_NS8EqualityEEEPlJS6_EEE10hipError_tPvRmT3_T4_T5_T6_T7_T9_mT8_P12ihipStream_tbDpT10_ENKUlT_T0_E_clISt17integral_constantIbLb1EES16_IbLb0EEEEDaS12_S13_EUlS12_E_NS1_11comp_targetILNS1_3genE10ELNS1_11target_archE1200ELNS1_3gpuE4ELNS1_3repE0EEENS1_30default_config_static_selectorELNS0_4arch9wavefront6targetE1EEEvT1_,"axG",@progbits,_ZN7rocprim17ROCPRIM_400000_NS6detail17trampoline_kernelINS0_14default_configENS1_25partition_config_selectorILNS1_17partition_subalgoE8EiNS0_10empty_typeEbEEZZNS1_14partition_implILS5_8ELb0ES3_jPKiPS6_PKS6_NS0_5tupleIJPiS6_EEENSE_IJSB_SB_EEENS0_18inequality_wrapperIN6hipcub16HIPCUB_304000_NS8EqualityEEEPlJS6_EEE10hipError_tPvRmT3_T4_T5_T6_T7_T9_mT8_P12ihipStream_tbDpT10_ENKUlT_T0_E_clISt17integral_constantIbLb1EES16_IbLb0EEEEDaS12_S13_EUlS12_E_NS1_11comp_targetILNS1_3genE10ELNS1_11target_archE1200ELNS1_3gpuE4ELNS1_3repE0EEENS1_30default_config_static_selectorELNS0_4arch9wavefront6targetE1EEEvT1_,comdat
	.protected	_ZN7rocprim17ROCPRIM_400000_NS6detail17trampoline_kernelINS0_14default_configENS1_25partition_config_selectorILNS1_17partition_subalgoE8EiNS0_10empty_typeEbEEZZNS1_14partition_implILS5_8ELb0ES3_jPKiPS6_PKS6_NS0_5tupleIJPiS6_EEENSE_IJSB_SB_EEENS0_18inequality_wrapperIN6hipcub16HIPCUB_304000_NS8EqualityEEEPlJS6_EEE10hipError_tPvRmT3_T4_T5_T6_T7_T9_mT8_P12ihipStream_tbDpT10_ENKUlT_T0_E_clISt17integral_constantIbLb1EES16_IbLb0EEEEDaS12_S13_EUlS12_E_NS1_11comp_targetILNS1_3genE10ELNS1_11target_archE1200ELNS1_3gpuE4ELNS1_3repE0EEENS1_30default_config_static_selectorELNS0_4arch9wavefront6targetE1EEEvT1_ ; -- Begin function _ZN7rocprim17ROCPRIM_400000_NS6detail17trampoline_kernelINS0_14default_configENS1_25partition_config_selectorILNS1_17partition_subalgoE8EiNS0_10empty_typeEbEEZZNS1_14partition_implILS5_8ELb0ES3_jPKiPS6_PKS6_NS0_5tupleIJPiS6_EEENSE_IJSB_SB_EEENS0_18inequality_wrapperIN6hipcub16HIPCUB_304000_NS8EqualityEEEPlJS6_EEE10hipError_tPvRmT3_T4_T5_T6_T7_T9_mT8_P12ihipStream_tbDpT10_ENKUlT_T0_E_clISt17integral_constantIbLb1EES16_IbLb0EEEEDaS12_S13_EUlS12_E_NS1_11comp_targetILNS1_3genE10ELNS1_11target_archE1200ELNS1_3gpuE4ELNS1_3repE0EEENS1_30default_config_static_selectorELNS0_4arch9wavefront6targetE1EEEvT1_
	.globl	_ZN7rocprim17ROCPRIM_400000_NS6detail17trampoline_kernelINS0_14default_configENS1_25partition_config_selectorILNS1_17partition_subalgoE8EiNS0_10empty_typeEbEEZZNS1_14partition_implILS5_8ELb0ES3_jPKiPS6_PKS6_NS0_5tupleIJPiS6_EEENSE_IJSB_SB_EEENS0_18inequality_wrapperIN6hipcub16HIPCUB_304000_NS8EqualityEEEPlJS6_EEE10hipError_tPvRmT3_T4_T5_T6_T7_T9_mT8_P12ihipStream_tbDpT10_ENKUlT_T0_E_clISt17integral_constantIbLb1EES16_IbLb0EEEEDaS12_S13_EUlS12_E_NS1_11comp_targetILNS1_3genE10ELNS1_11target_archE1200ELNS1_3gpuE4ELNS1_3repE0EEENS1_30default_config_static_selectorELNS0_4arch9wavefront6targetE1EEEvT1_
	.p2align	8
	.type	_ZN7rocprim17ROCPRIM_400000_NS6detail17trampoline_kernelINS0_14default_configENS1_25partition_config_selectorILNS1_17partition_subalgoE8EiNS0_10empty_typeEbEEZZNS1_14partition_implILS5_8ELb0ES3_jPKiPS6_PKS6_NS0_5tupleIJPiS6_EEENSE_IJSB_SB_EEENS0_18inequality_wrapperIN6hipcub16HIPCUB_304000_NS8EqualityEEEPlJS6_EEE10hipError_tPvRmT3_T4_T5_T6_T7_T9_mT8_P12ihipStream_tbDpT10_ENKUlT_T0_E_clISt17integral_constantIbLb1EES16_IbLb0EEEEDaS12_S13_EUlS12_E_NS1_11comp_targetILNS1_3genE10ELNS1_11target_archE1200ELNS1_3gpuE4ELNS1_3repE0EEENS1_30default_config_static_selectorELNS0_4arch9wavefront6targetE1EEEvT1_,@function
_ZN7rocprim17ROCPRIM_400000_NS6detail17trampoline_kernelINS0_14default_configENS1_25partition_config_selectorILNS1_17partition_subalgoE8EiNS0_10empty_typeEbEEZZNS1_14partition_implILS5_8ELb0ES3_jPKiPS6_PKS6_NS0_5tupleIJPiS6_EEENSE_IJSB_SB_EEENS0_18inequality_wrapperIN6hipcub16HIPCUB_304000_NS8EqualityEEEPlJS6_EEE10hipError_tPvRmT3_T4_T5_T6_T7_T9_mT8_P12ihipStream_tbDpT10_ENKUlT_T0_E_clISt17integral_constantIbLb1EES16_IbLb0EEEEDaS12_S13_EUlS12_E_NS1_11comp_targetILNS1_3genE10ELNS1_11target_archE1200ELNS1_3gpuE4ELNS1_3repE0EEENS1_30default_config_static_selectorELNS0_4arch9wavefront6targetE1EEEvT1_: ; @_ZN7rocprim17ROCPRIM_400000_NS6detail17trampoline_kernelINS0_14default_configENS1_25partition_config_selectorILNS1_17partition_subalgoE8EiNS0_10empty_typeEbEEZZNS1_14partition_implILS5_8ELb0ES3_jPKiPS6_PKS6_NS0_5tupleIJPiS6_EEENSE_IJSB_SB_EEENS0_18inequality_wrapperIN6hipcub16HIPCUB_304000_NS8EqualityEEEPlJS6_EEE10hipError_tPvRmT3_T4_T5_T6_T7_T9_mT8_P12ihipStream_tbDpT10_ENKUlT_T0_E_clISt17integral_constantIbLb1EES16_IbLb0EEEEDaS12_S13_EUlS12_E_NS1_11comp_targetILNS1_3genE10ELNS1_11target_archE1200ELNS1_3gpuE4ELNS1_3repE0EEENS1_30default_config_static_selectorELNS0_4arch9wavefront6targetE1EEEvT1_
; %bb.0:
	.section	.rodata,"a",@progbits
	.p2align	6, 0x0
	.amdhsa_kernel _ZN7rocprim17ROCPRIM_400000_NS6detail17trampoline_kernelINS0_14default_configENS1_25partition_config_selectorILNS1_17partition_subalgoE8EiNS0_10empty_typeEbEEZZNS1_14partition_implILS5_8ELb0ES3_jPKiPS6_PKS6_NS0_5tupleIJPiS6_EEENSE_IJSB_SB_EEENS0_18inequality_wrapperIN6hipcub16HIPCUB_304000_NS8EqualityEEEPlJS6_EEE10hipError_tPvRmT3_T4_T5_T6_T7_T9_mT8_P12ihipStream_tbDpT10_ENKUlT_T0_E_clISt17integral_constantIbLb1EES16_IbLb0EEEEDaS12_S13_EUlS12_E_NS1_11comp_targetILNS1_3genE10ELNS1_11target_archE1200ELNS1_3gpuE4ELNS1_3repE0EEENS1_30default_config_static_selectorELNS0_4arch9wavefront6targetE1EEEvT1_
		.amdhsa_group_segment_fixed_size 0
		.amdhsa_private_segment_fixed_size 0
		.amdhsa_kernarg_size 112
		.amdhsa_user_sgpr_count 6
		.amdhsa_user_sgpr_private_segment_buffer 1
		.amdhsa_user_sgpr_dispatch_ptr 0
		.amdhsa_user_sgpr_queue_ptr 0
		.amdhsa_user_sgpr_kernarg_segment_ptr 1
		.amdhsa_user_sgpr_dispatch_id 0
		.amdhsa_user_sgpr_flat_scratch_init 0
		.amdhsa_user_sgpr_kernarg_preload_length 0
		.amdhsa_user_sgpr_kernarg_preload_offset 0
		.amdhsa_user_sgpr_private_segment_size 0
		.amdhsa_uses_dynamic_stack 0
		.amdhsa_system_sgpr_private_segment_wavefront_offset 0
		.amdhsa_system_sgpr_workgroup_id_x 1
		.amdhsa_system_sgpr_workgroup_id_y 0
		.amdhsa_system_sgpr_workgroup_id_z 0
		.amdhsa_system_sgpr_workgroup_info 0
		.amdhsa_system_vgpr_workitem_id 0
		.amdhsa_next_free_vgpr 1
		.amdhsa_next_free_sgpr 0
		.amdhsa_accum_offset 4
		.amdhsa_reserve_vcc 0
		.amdhsa_reserve_flat_scratch 0
		.amdhsa_float_round_mode_32 0
		.amdhsa_float_round_mode_16_64 0
		.amdhsa_float_denorm_mode_32 3
		.amdhsa_float_denorm_mode_16_64 3
		.amdhsa_dx10_clamp 1
		.amdhsa_ieee_mode 1
		.amdhsa_fp16_overflow 0
		.amdhsa_tg_split 0
		.amdhsa_exception_fp_ieee_invalid_op 0
		.amdhsa_exception_fp_denorm_src 0
		.amdhsa_exception_fp_ieee_div_zero 0
		.amdhsa_exception_fp_ieee_overflow 0
		.amdhsa_exception_fp_ieee_underflow 0
		.amdhsa_exception_fp_ieee_inexact 0
		.amdhsa_exception_int_div_zero 0
	.end_amdhsa_kernel
	.section	.text._ZN7rocprim17ROCPRIM_400000_NS6detail17trampoline_kernelINS0_14default_configENS1_25partition_config_selectorILNS1_17partition_subalgoE8EiNS0_10empty_typeEbEEZZNS1_14partition_implILS5_8ELb0ES3_jPKiPS6_PKS6_NS0_5tupleIJPiS6_EEENSE_IJSB_SB_EEENS0_18inequality_wrapperIN6hipcub16HIPCUB_304000_NS8EqualityEEEPlJS6_EEE10hipError_tPvRmT3_T4_T5_T6_T7_T9_mT8_P12ihipStream_tbDpT10_ENKUlT_T0_E_clISt17integral_constantIbLb1EES16_IbLb0EEEEDaS12_S13_EUlS12_E_NS1_11comp_targetILNS1_3genE10ELNS1_11target_archE1200ELNS1_3gpuE4ELNS1_3repE0EEENS1_30default_config_static_selectorELNS0_4arch9wavefront6targetE1EEEvT1_,"axG",@progbits,_ZN7rocprim17ROCPRIM_400000_NS6detail17trampoline_kernelINS0_14default_configENS1_25partition_config_selectorILNS1_17partition_subalgoE8EiNS0_10empty_typeEbEEZZNS1_14partition_implILS5_8ELb0ES3_jPKiPS6_PKS6_NS0_5tupleIJPiS6_EEENSE_IJSB_SB_EEENS0_18inequality_wrapperIN6hipcub16HIPCUB_304000_NS8EqualityEEEPlJS6_EEE10hipError_tPvRmT3_T4_T5_T6_T7_T9_mT8_P12ihipStream_tbDpT10_ENKUlT_T0_E_clISt17integral_constantIbLb1EES16_IbLb0EEEEDaS12_S13_EUlS12_E_NS1_11comp_targetILNS1_3genE10ELNS1_11target_archE1200ELNS1_3gpuE4ELNS1_3repE0EEENS1_30default_config_static_selectorELNS0_4arch9wavefront6targetE1EEEvT1_,comdat
.Lfunc_end431:
	.size	_ZN7rocprim17ROCPRIM_400000_NS6detail17trampoline_kernelINS0_14default_configENS1_25partition_config_selectorILNS1_17partition_subalgoE8EiNS0_10empty_typeEbEEZZNS1_14partition_implILS5_8ELb0ES3_jPKiPS6_PKS6_NS0_5tupleIJPiS6_EEENSE_IJSB_SB_EEENS0_18inequality_wrapperIN6hipcub16HIPCUB_304000_NS8EqualityEEEPlJS6_EEE10hipError_tPvRmT3_T4_T5_T6_T7_T9_mT8_P12ihipStream_tbDpT10_ENKUlT_T0_E_clISt17integral_constantIbLb1EES16_IbLb0EEEEDaS12_S13_EUlS12_E_NS1_11comp_targetILNS1_3genE10ELNS1_11target_archE1200ELNS1_3gpuE4ELNS1_3repE0EEENS1_30default_config_static_selectorELNS0_4arch9wavefront6targetE1EEEvT1_, .Lfunc_end431-_ZN7rocprim17ROCPRIM_400000_NS6detail17trampoline_kernelINS0_14default_configENS1_25partition_config_selectorILNS1_17partition_subalgoE8EiNS0_10empty_typeEbEEZZNS1_14partition_implILS5_8ELb0ES3_jPKiPS6_PKS6_NS0_5tupleIJPiS6_EEENSE_IJSB_SB_EEENS0_18inequality_wrapperIN6hipcub16HIPCUB_304000_NS8EqualityEEEPlJS6_EEE10hipError_tPvRmT3_T4_T5_T6_T7_T9_mT8_P12ihipStream_tbDpT10_ENKUlT_T0_E_clISt17integral_constantIbLb1EES16_IbLb0EEEEDaS12_S13_EUlS12_E_NS1_11comp_targetILNS1_3genE10ELNS1_11target_archE1200ELNS1_3gpuE4ELNS1_3repE0EEENS1_30default_config_static_selectorELNS0_4arch9wavefront6targetE1EEEvT1_
                                        ; -- End function
	.section	.AMDGPU.csdata,"",@progbits
; Kernel info:
; codeLenInByte = 0
; NumSgprs: 4
; NumVgprs: 0
; NumAgprs: 0
; TotalNumVgprs: 0
; ScratchSize: 0
; MemoryBound: 0
; FloatMode: 240
; IeeeMode: 1
; LDSByteSize: 0 bytes/workgroup (compile time only)
; SGPRBlocks: 0
; VGPRBlocks: 0
; NumSGPRsForWavesPerEU: 4
; NumVGPRsForWavesPerEU: 1
; AccumOffset: 4
; Occupancy: 8
; WaveLimiterHint : 0
; COMPUTE_PGM_RSRC2:SCRATCH_EN: 0
; COMPUTE_PGM_RSRC2:USER_SGPR: 6
; COMPUTE_PGM_RSRC2:TRAP_HANDLER: 0
; COMPUTE_PGM_RSRC2:TGID_X_EN: 1
; COMPUTE_PGM_RSRC2:TGID_Y_EN: 0
; COMPUTE_PGM_RSRC2:TGID_Z_EN: 0
; COMPUTE_PGM_RSRC2:TIDIG_COMP_CNT: 0
; COMPUTE_PGM_RSRC3_GFX90A:ACCUM_OFFSET: 0
; COMPUTE_PGM_RSRC3_GFX90A:TG_SPLIT: 0
	.section	.text._ZN7rocprim17ROCPRIM_400000_NS6detail17trampoline_kernelINS0_14default_configENS1_25partition_config_selectorILNS1_17partition_subalgoE8EiNS0_10empty_typeEbEEZZNS1_14partition_implILS5_8ELb0ES3_jPKiPS6_PKS6_NS0_5tupleIJPiS6_EEENSE_IJSB_SB_EEENS0_18inequality_wrapperIN6hipcub16HIPCUB_304000_NS8EqualityEEEPlJS6_EEE10hipError_tPvRmT3_T4_T5_T6_T7_T9_mT8_P12ihipStream_tbDpT10_ENKUlT_T0_E_clISt17integral_constantIbLb1EES16_IbLb0EEEEDaS12_S13_EUlS12_E_NS1_11comp_targetILNS1_3genE9ELNS1_11target_archE1100ELNS1_3gpuE3ELNS1_3repE0EEENS1_30default_config_static_selectorELNS0_4arch9wavefront6targetE1EEEvT1_,"axG",@progbits,_ZN7rocprim17ROCPRIM_400000_NS6detail17trampoline_kernelINS0_14default_configENS1_25partition_config_selectorILNS1_17partition_subalgoE8EiNS0_10empty_typeEbEEZZNS1_14partition_implILS5_8ELb0ES3_jPKiPS6_PKS6_NS0_5tupleIJPiS6_EEENSE_IJSB_SB_EEENS0_18inequality_wrapperIN6hipcub16HIPCUB_304000_NS8EqualityEEEPlJS6_EEE10hipError_tPvRmT3_T4_T5_T6_T7_T9_mT8_P12ihipStream_tbDpT10_ENKUlT_T0_E_clISt17integral_constantIbLb1EES16_IbLb0EEEEDaS12_S13_EUlS12_E_NS1_11comp_targetILNS1_3genE9ELNS1_11target_archE1100ELNS1_3gpuE3ELNS1_3repE0EEENS1_30default_config_static_selectorELNS0_4arch9wavefront6targetE1EEEvT1_,comdat
	.protected	_ZN7rocprim17ROCPRIM_400000_NS6detail17trampoline_kernelINS0_14default_configENS1_25partition_config_selectorILNS1_17partition_subalgoE8EiNS0_10empty_typeEbEEZZNS1_14partition_implILS5_8ELb0ES3_jPKiPS6_PKS6_NS0_5tupleIJPiS6_EEENSE_IJSB_SB_EEENS0_18inequality_wrapperIN6hipcub16HIPCUB_304000_NS8EqualityEEEPlJS6_EEE10hipError_tPvRmT3_T4_T5_T6_T7_T9_mT8_P12ihipStream_tbDpT10_ENKUlT_T0_E_clISt17integral_constantIbLb1EES16_IbLb0EEEEDaS12_S13_EUlS12_E_NS1_11comp_targetILNS1_3genE9ELNS1_11target_archE1100ELNS1_3gpuE3ELNS1_3repE0EEENS1_30default_config_static_selectorELNS0_4arch9wavefront6targetE1EEEvT1_ ; -- Begin function _ZN7rocprim17ROCPRIM_400000_NS6detail17trampoline_kernelINS0_14default_configENS1_25partition_config_selectorILNS1_17partition_subalgoE8EiNS0_10empty_typeEbEEZZNS1_14partition_implILS5_8ELb0ES3_jPKiPS6_PKS6_NS0_5tupleIJPiS6_EEENSE_IJSB_SB_EEENS0_18inequality_wrapperIN6hipcub16HIPCUB_304000_NS8EqualityEEEPlJS6_EEE10hipError_tPvRmT3_T4_T5_T6_T7_T9_mT8_P12ihipStream_tbDpT10_ENKUlT_T0_E_clISt17integral_constantIbLb1EES16_IbLb0EEEEDaS12_S13_EUlS12_E_NS1_11comp_targetILNS1_3genE9ELNS1_11target_archE1100ELNS1_3gpuE3ELNS1_3repE0EEENS1_30default_config_static_selectorELNS0_4arch9wavefront6targetE1EEEvT1_
	.globl	_ZN7rocprim17ROCPRIM_400000_NS6detail17trampoline_kernelINS0_14default_configENS1_25partition_config_selectorILNS1_17partition_subalgoE8EiNS0_10empty_typeEbEEZZNS1_14partition_implILS5_8ELb0ES3_jPKiPS6_PKS6_NS0_5tupleIJPiS6_EEENSE_IJSB_SB_EEENS0_18inequality_wrapperIN6hipcub16HIPCUB_304000_NS8EqualityEEEPlJS6_EEE10hipError_tPvRmT3_T4_T5_T6_T7_T9_mT8_P12ihipStream_tbDpT10_ENKUlT_T0_E_clISt17integral_constantIbLb1EES16_IbLb0EEEEDaS12_S13_EUlS12_E_NS1_11comp_targetILNS1_3genE9ELNS1_11target_archE1100ELNS1_3gpuE3ELNS1_3repE0EEENS1_30default_config_static_selectorELNS0_4arch9wavefront6targetE1EEEvT1_
	.p2align	8
	.type	_ZN7rocprim17ROCPRIM_400000_NS6detail17trampoline_kernelINS0_14default_configENS1_25partition_config_selectorILNS1_17partition_subalgoE8EiNS0_10empty_typeEbEEZZNS1_14partition_implILS5_8ELb0ES3_jPKiPS6_PKS6_NS0_5tupleIJPiS6_EEENSE_IJSB_SB_EEENS0_18inequality_wrapperIN6hipcub16HIPCUB_304000_NS8EqualityEEEPlJS6_EEE10hipError_tPvRmT3_T4_T5_T6_T7_T9_mT8_P12ihipStream_tbDpT10_ENKUlT_T0_E_clISt17integral_constantIbLb1EES16_IbLb0EEEEDaS12_S13_EUlS12_E_NS1_11comp_targetILNS1_3genE9ELNS1_11target_archE1100ELNS1_3gpuE3ELNS1_3repE0EEENS1_30default_config_static_selectorELNS0_4arch9wavefront6targetE1EEEvT1_,@function
_ZN7rocprim17ROCPRIM_400000_NS6detail17trampoline_kernelINS0_14default_configENS1_25partition_config_selectorILNS1_17partition_subalgoE8EiNS0_10empty_typeEbEEZZNS1_14partition_implILS5_8ELb0ES3_jPKiPS6_PKS6_NS0_5tupleIJPiS6_EEENSE_IJSB_SB_EEENS0_18inequality_wrapperIN6hipcub16HIPCUB_304000_NS8EqualityEEEPlJS6_EEE10hipError_tPvRmT3_T4_T5_T6_T7_T9_mT8_P12ihipStream_tbDpT10_ENKUlT_T0_E_clISt17integral_constantIbLb1EES16_IbLb0EEEEDaS12_S13_EUlS12_E_NS1_11comp_targetILNS1_3genE9ELNS1_11target_archE1100ELNS1_3gpuE3ELNS1_3repE0EEENS1_30default_config_static_selectorELNS0_4arch9wavefront6targetE1EEEvT1_: ; @_ZN7rocprim17ROCPRIM_400000_NS6detail17trampoline_kernelINS0_14default_configENS1_25partition_config_selectorILNS1_17partition_subalgoE8EiNS0_10empty_typeEbEEZZNS1_14partition_implILS5_8ELb0ES3_jPKiPS6_PKS6_NS0_5tupleIJPiS6_EEENSE_IJSB_SB_EEENS0_18inequality_wrapperIN6hipcub16HIPCUB_304000_NS8EqualityEEEPlJS6_EEE10hipError_tPvRmT3_T4_T5_T6_T7_T9_mT8_P12ihipStream_tbDpT10_ENKUlT_T0_E_clISt17integral_constantIbLb1EES16_IbLb0EEEEDaS12_S13_EUlS12_E_NS1_11comp_targetILNS1_3genE9ELNS1_11target_archE1100ELNS1_3gpuE3ELNS1_3repE0EEENS1_30default_config_static_selectorELNS0_4arch9wavefront6targetE1EEEvT1_
; %bb.0:
	.section	.rodata,"a",@progbits
	.p2align	6, 0x0
	.amdhsa_kernel _ZN7rocprim17ROCPRIM_400000_NS6detail17trampoline_kernelINS0_14default_configENS1_25partition_config_selectorILNS1_17partition_subalgoE8EiNS0_10empty_typeEbEEZZNS1_14partition_implILS5_8ELb0ES3_jPKiPS6_PKS6_NS0_5tupleIJPiS6_EEENSE_IJSB_SB_EEENS0_18inequality_wrapperIN6hipcub16HIPCUB_304000_NS8EqualityEEEPlJS6_EEE10hipError_tPvRmT3_T4_T5_T6_T7_T9_mT8_P12ihipStream_tbDpT10_ENKUlT_T0_E_clISt17integral_constantIbLb1EES16_IbLb0EEEEDaS12_S13_EUlS12_E_NS1_11comp_targetILNS1_3genE9ELNS1_11target_archE1100ELNS1_3gpuE3ELNS1_3repE0EEENS1_30default_config_static_selectorELNS0_4arch9wavefront6targetE1EEEvT1_
		.amdhsa_group_segment_fixed_size 0
		.amdhsa_private_segment_fixed_size 0
		.amdhsa_kernarg_size 112
		.amdhsa_user_sgpr_count 6
		.amdhsa_user_sgpr_private_segment_buffer 1
		.amdhsa_user_sgpr_dispatch_ptr 0
		.amdhsa_user_sgpr_queue_ptr 0
		.amdhsa_user_sgpr_kernarg_segment_ptr 1
		.amdhsa_user_sgpr_dispatch_id 0
		.amdhsa_user_sgpr_flat_scratch_init 0
		.amdhsa_user_sgpr_kernarg_preload_length 0
		.amdhsa_user_sgpr_kernarg_preload_offset 0
		.amdhsa_user_sgpr_private_segment_size 0
		.amdhsa_uses_dynamic_stack 0
		.amdhsa_system_sgpr_private_segment_wavefront_offset 0
		.amdhsa_system_sgpr_workgroup_id_x 1
		.amdhsa_system_sgpr_workgroup_id_y 0
		.amdhsa_system_sgpr_workgroup_id_z 0
		.amdhsa_system_sgpr_workgroup_info 0
		.amdhsa_system_vgpr_workitem_id 0
		.amdhsa_next_free_vgpr 1
		.amdhsa_next_free_sgpr 0
		.amdhsa_accum_offset 4
		.amdhsa_reserve_vcc 0
		.amdhsa_reserve_flat_scratch 0
		.amdhsa_float_round_mode_32 0
		.amdhsa_float_round_mode_16_64 0
		.amdhsa_float_denorm_mode_32 3
		.amdhsa_float_denorm_mode_16_64 3
		.amdhsa_dx10_clamp 1
		.amdhsa_ieee_mode 1
		.amdhsa_fp16_overflow 0
		.amdhsa_tg_split 0
		.amdhsa_exception_fp_ieee_invalid_op 0
		.amdhsa_exception_fp_denorm_src 0
		.amdhsa_exception_fp_ieee_div_zero 0
		.amdhsa_exception_fp_ieee_overflow 0
		.amdhsa_exception_fp_ieee_underflow 0
		.amdhsa_exception_fp_ieee_inexact 0
		.amdhsa_exception_int_div_zero 0
	.end_amdhsa_kernel
	.section	.text._ZN7rocprim17ROCPRIM_400000_NS6detail17trampoline_kernelINS0_14default_configENS1_25partition_config_selectorILNS1_17partition_subalgoE8EiNS0_10empty_typeEbEEZZNS1_14partition_implILS5_8ELb0ES3_jPKiPS6_PKS6_NS0_5tupleIJPiS6_EEENSE_IJSB_SB_EEENS0_18inequality_wrapperIN6hipcub16HIPCUB_304000_NS8EqualityEEEPlJS6_EEE10hipError_tPvRmT3_T4_T5_T6_T7_T9_mT8_P12ihipStream_tbDpT10_ENKUlT_T0_E_clISt17integral_constantIbLb1EES16_IbLb0EEEEDaS12_S13_EUlS12_E_NS1_11comp_targetILNS1_3genE9ELNS1_11target_archE1100ELNS1_3gpuE3ELNS1_3repE0EEENS1_30default_config_static_selectorELNS0_4arch9wavefront6targetE1EEEvT1_,"axG",@progbits,_ZN7rocprim17ROCPRIM_400000_NS6detail17trampoline_kernelINS0_14default_configENS1_25partition_config_selectorILNS1_17partition_subalgoE8EiNS0_10empty_typeEbEEZZNS1_14partition_implILS5_8ELb0ES3_jPKiPS6_PKS6_NS0_5tupleIJPiS6_EEENSE_IJSB_SB_EEENS0_18inequality_wrapperIN6hipcub16HIPCUB_304000_NS8EqualityEEEPlJS6_EEE10hipError_tPvRmT3_T4_T5_T6_T7_T9_mT8_P12ihipStream_tbDpT10_ENKUlT_T0_E_clISt17integral_constantIbLb1EES16_IbLb0EEEEDaS12_S13_EUlS12_E_NS1_11comp_targetILNS1_3genE9ELNS1_11target_archE1100ELNS1_3gpuE3ELNS1_3repE0EEENS1_30default_config_static_selectorELNS0_4arch9wavefront6targetE1EEEvT1_,comdat
.Lfunc_end432:
	.size	_ZN7rocprim17ROCPRIM_400000_NS6detail17trampoline_kernelINS0_14default_configENS1_25partition_config_selectorILNS1_17partition_subalgoE8EiNS0_10empty_typeEbEEZZNS1_14partition_implILS5_8ELb0ES3_jPKiPS6_PKS6_NS0_5tupleIJPiS6_EEENSE_IJSB_SB_EEENS0_18inequality_wrapperIN6hipcub16HIPCUB_304000_NS8EqualityEEEPlJS6_EEE10hipError_tPvRmT3_T4_T5_T6_T7_T9_mT8_P12ihipStream_tbDpT10_ENKUlT_T0_E_clISt17integral_constantIbLb1EES16_IbLb0EEEEDaS12_S13_EUlS12_E_NS1_11comp_targetILNS1_3genE9ELNS1_11target_archE1100ELNS1_3gpuE3ELNS1_3repE0EEENS1_30default_config_static_selectorELNS0_4arch9wavefront6targetE1EEEvT1_, .Lfunc_end432-_ZN7rocprim17ROCPRIM_400000_NS6detail17trampoline_kernelINS0_14default_configENS1_25partition_config_selectorILNS1_17partition_subalgoE8EiNS0_10empty_typeEbEEZZNS1_14partition_implILS5_8ELb0ES3_jPKiPS6_PKS6_NS0_5tupleIJPiS6_EEENSE_IJSB_SB_EEENS0_18inequality_wrapperIN6hipcub16HIPCUB_304000_NS8EqualityEEEPlJS6_EEE10hipError_tPvRmT3_T4_T5_T6_T7_T9_mT8_P12ihipStream_tbDpT10_ENKUlT_T0_E_clISt17integral_constantIbLb1EES16_IbLb0EEEEDaS12_S13_EUlS12_E_NS1_11comp_targetILNS1_3genE9ELNS1_11target_archE1100ELNS1_3gpuE3ELNS1_3repE0EEENS1_30default_config_static_selectorELNS0_4arch9wavefront6targetE1EEEvT1_
                                        ; -- End function
	.section	.AMDGPU.csdata,"",@progbits
; Kernel info:
; codeLenInByte = 0
; NumSgprs: 4
; NumVgprs: 0
; NumAgprs: 0
; TotalNumVgprs: 0
; ScratchSize: 0
; MemoryBound: 0
; FloatMode: 240
; IeeeMode: 1
; LDSByteSize: 0 bytes/workgroup (compile time only)
; SGPRBlocks: 0
; VGPRBlocks: 0
; NumSGPRsForWavesPerEU: 4
; NumVGPRsForWavesPerEU: 1
; AccumOffset: 4
; Occupancy: 8
; WaveLimiterHint : 0
; COMPUTE_PGM_RSRC2:SCRATCH_EN: 0
; COMPUTE_PGM_RSRC2:USER_SGPR: 6
; COMPUTE_PGM_RSRC2:TRAP_HANDLER: 0
; COMPUTE_PGM_RSRC2:TGID_X_EN: 1
; COMPUTE_PGM_RSRC2:TGID_Y_EN: 0
; COMPUTE_PGM_RSRC2:TGID_Z_EN: 0
; COMPUTE_PGM_RSRC2:TIDIG_COMP_CNT: 0
; COMPUTE_PGM_RSRC3_GFX90A:ACCUM_OFFSET: 0
; COMPUTE_PGM_RSRC3_GFX90A:TG_SPLIT: 0
	.section	.text._ZN7rocprim17ROCPRIM_400000_NS6detail17trampoline_kernelINS0_14default_configENS1_25partition_config_selectorILNS1_17partition_subalgoE8EiNS0_10empty_typeEbEEZZNS1_14partition_implILS5_8ELb0ES3_jPKiPS6_PKS6_NS0_5tupleIJPiS6_EEENSE_IJSB_SB_EEENS0_18inequality_wrapperIN6hipcub16HIPCUB_304000_NS8EqualityEEEPlJS6_EEE10hipError_tPvRmT3_T4_T5_T6_T7_T9_mT8_P12ihipStream_tbDpT10_ENKUlT_T0_E_clISt17integral_constantIbLb1EES16_IbLb0EEEEDaS12_S13_EUlS12_E_NS1_11comp_targetILNS1_3genE8ELNS1_11target_archE1030ELNS1_3gpuE2ELNS1_3repE0EEENS1_30default_config_static_selectorELNS0_4arch9wavefront6targetE1EEEvT1_,"axG",@progbits,_ZN7rocprim17ROCPRIM_400000_NS6detail17trampoline_kernelINS0_14default_configENS1_25partition_config_selectorILNS1_17partition_subalgoE8EiNS0_10empty_typeEbEEZZNS1_14partition_implILS5_8ELb0ES3_jPKiPS6_PKS6_NS0_5tupleIJPiS6_EEENSE_IJSB_SB_EEENS0_18inequality_wrapperIN6hipcub16HIPCUB_304000_NS8EqualityEEEPlJS6_EEE10hipError_tPvRmT3_T4_T5_T6_T7_T9_mT8_P12ihipStream_tbDpT10_ENKUlT_T0_E_clISt17integral_constantIbLb1EES16_IbLb0EEEEDaS12_S13_EUlS12_E_NS1_11comp_targetILNS1_3genE8ELNS1_11target_archE1030ELNS1_3gpuE2ELNS1_3repE0EEENS1_30default_config_static_selectorELNS0_4arch9wavefront6targetE1EEEvT1_,comdat
	.protected	_ZN7rocprim17ROCPRIM_400000_NS6detail17trampoline_kernelINS0_14default_configENS1_25partition_config_selectorILNS1_17partition_subalgoE8EiNS0_10empty_typeEbEEZZNS1_14partition_implILS5_8ELb0ES3_jPKiPS6_PKS6_NS0_5tupleIJPiS6_EEENSE_IJSB_SB_EEENS0_18inequality_wrapperIN6hipcub16HIPCUB_304000_NS8EqualityEEEPlJS6_EEE10hipError_tPvRmT3_T4_T5_T6_T7_T9_mT8_P12ihipStream_tbDpT10_ENKUlT_T0_E_clISt17integral_constantIbLb1EES16_IbLb0EEEEDaS12_S13_EUlS12_E_NS1_11comp_targetILNS1_3genE8ELNS1_11target_archE1030ELNS1_3gpuE2ELNS1_3repE0EEENS1_30default_config_static_selectorELNS0_4arch9wavefront6targetE1EEEvT1_ ; -- Begin function _ZN7rocprim17ROCPRIM_400000_NS6detail17trampoline_kernelINS0_14default_configENS1_25partition_config_selectorILNS1_17partition_subalgoE8EiNS0_10empty_typeEbEEZZNS1_14partition_implILS5_8ELb0ES3_jPKiPS6_PKS6_NS0_5tupleIJPiS6_EEENSE_IJSB_SB_EEENS0_18inequality_wrapperIN6hipcub16HIPCUB_304000_NS8EqualityEEEPlJS6_EEE10hipError_tPvRmT3_T4_T5_T6_T7_T9_mT8_P12ihipStream_tbDpT10_ENKUlT_T0_E_clISt17integral_constantIbLb1EES16_IbLb0EEEEDaS12_S13_EUlS12_E_NS1_11comp_targetILNS1_3genE8ELNS1_11target_archE1030ELNS1_3gpuE2ELNS1_3repE0EEENS1_30default_config_static_selectorELNS0_4arch9wavefront6targetE1EEEvT1_
	.globl	_ZN7rocprim17ROCPRIM_400000_NS6detail17trampoline_kernelINS0_14default_configENS1_25partition_config_selectorILNS1_17partition_subalgoE8EiNS0_10empty_typeEbEEZZNS1_14partition_implILS5_8ELb0ES3_jPKiPS6_PKS6_NS0_5tupleIJPiS6_EEENSE_IJSB_SB_EEENS0_18inequality_wrapperIN6hipcub16HIPCUB_304000_NS8EqualityEEEPlJS6_EEE10hipError_tPvRmT3_T4_T5_T6_T7_T9_mT8_P12ihipStream_tbDpT10_ENKUlT_T0_E_clISt17integral_constantIbLb1EES16_IbLb0EEEEDaS12_S13_EUlS12_E_NS1_11comp_targetILNS1_3genE8ELNS1_11target_archE1030ELNS1_3gpuE2ELNS1_3repE0EEENS1_30default_config_static_selectorELNS0_4arch9wavefront6targetE1EEEvT1_
	.p2align	8
	.type	_ZN7rocprim17ROCPRIM_400000_NS6detail17trampoline_kernelINS0_14default_configENS1_25partition_config_selectorILNS1_17partition_subalgoE8EiNS0_10empty_typeEbEEZZNS1_14partition_implILS5_8ELb0ES3_jPKiPS6_PKS6_NS0_5tupleIJPiS6_EEENSE_IJSB_SB_EEENS0_18inequality_wrapperIN6hipcub16HIPCUB_304000_NS8EqualityEEEPlJS6_EEE10hipError_tPvRmT3_T4_T5_T6_T7_T9_mT8_P12ihipStream_tbDpT10_ENKUlT_T0_E_clISt17integral_constantIbLb1EES16_IbLb0EEEEDaS12_S13_EUlS12_E_NS1_11comp_targetILNS1_3genE8ELNS1_11target_archE1030ELNS1_3gpuE2ELNS1_3repE0EEENS1_30default_config_static_selectorELNS0_4arch9wavefront6targetE1EEEvT1_,@function
_ZN7rocprim17ROCPRIM_400000_NS6detail17trampoline_kernelINS0_14default_configENS1_25partition_config_selectorILNS1_17partition_subalgoE8EiNS0_10empty_typeEbEEZZNS1_14partition_implILS5_8ELb0ES3_jPKiPS6_PKS6_NS0_5tupleIJPiS6_EEENSE_IJSB_SB_EEENS0_18inequality_wrapperIN6hipcub16HIPCUB_304000_NS8EqualityEEEPlJS6_EEE10hipError_tPvRmT3_T4_T5_T6_T7_T9_mT8_P12ihipStream_tbDpT10_ENKUlT_T0_E_clISt17integral_constantIbLb1EES16_IbLb0EEEEDaS12_S13_EUlS12_E_NS1_11comp_targetILNS1_3genE8ELNS1_11target_archE1030ELNS1_3gpuE2ELNS1_3repE0EEENS1_30default_config_static_selectorELNS0_4arch9wavefront6targetE1EEEvT1_: ; @_ZN7rocprim17ROCPRIM_400000_NS6detail17trampoline_kernelINS0_14default_configENS1_25partition_config_selectorILNS1_17partition_subalgoE8EiNS0_10empty_typeEbEEZZNS1_14partition_implILS5_8ELb0ES3_jPKiPS6_PKS6_NS0_5tupleIJPiS6_EEENSE_IJSB_SB_EEENS0_18inequality_wrapperIN6hipcub16HIPCUB_304000_NS8EqualityEEEPlJS6_EEE10hipError_tPvRmT3_T4_T5_T6_T7_T9_mT8_P12ihipStream_tbDpT10_ENKUlT_T0_E_clISt17integral_constantIbLb1EES16_IbLb0EEEEDaS12_S13_EUlS12_E_NS1_11comp_targetILNS1_3genE8ELNS1_11target_archE1030ELNS1_3gpuE2ELNS1_3repE0EEENS1_30default_config_static_selectorELNS0_4arch9wavefront6targetE1EEEvT1_
; %bb.0:
	.section	.rodata,"a",@progbits
	.p2align	6, 0x0
	.amdhsa_kernel _ZN7rocprim17ROCPRIM_400000_NS6detail17trampoline_kernelINS0_14default_configENS1_25partition_config_selectorILNS1_17partition_subalgoE8EiNS0_10empty_typeEbEEZZNS1_14partition_implILS5_8ELb0ES3_jPKiPS6_PKS6_NS0_5tupleIJPiS6_EEENSE_IJSB_SB_EEENS0_18inequality_wrapperIN6hipcub16HIPCUB_304000_NS8EqualityEEEPlJS6_EEE10hipError_tPvRmT3_T4_T5_T6_T7_T9_mT8_P12ihipStream_tbDpT10_ENKUlT_T0_E_clISt17integral_constantIbLb1EES16_IbLb0EEEEDaS12_S13_EUlS12_E_NS1_11comp_targetILNS1_3genE8ELNS1_11target_archE1030ELNS1_3gpuE2ELNS1_3repE0EEENS1_30default_config_static_selectorELNS0_4arch9wavefront6targetE1EEEvT1_
		.amdhsa_group_segment_fixed_size 0
		.amdhsa_private_segment_fixed_size 0
		.amdhsa_kernarg_size 112
		.amdhsa_user_sgpr_count 6
		.amdhsa_user_sgpr_private_segment_buffer 1
		.amdhsa_user_sgpr_dispatch_ptr 0
		.amdhsa_user_sgpr_queue_ptr 0
		.amdhsa_user_sgpr_kernarg_segment_ptr 1
		.amdhsa_user_sgpr_dispatch_id 0
		.amdhsa_user_sgpr_flat_scratch_init 0
		.amdhsa_user_sgpr_kernarg_preload_length 0
		.amdhsa_user_sgpr_kernarg_preload_offset 0
		.amdhsa_user_sgpr_private_segment_size 0
		.amdhsa_uses_dynamic_stack 0
		.amdhsa_system_sgpr_private_segment_wavefront_offset 0
		.amdhsa_system_sgpr_workgroup_id_x 1
		.amdhsa_system_sgpr_workgroup_id_y 0
		.amdhsa_system_sgpr_workgroup_id_z 0
		.amdhsa_system_sgpr_workgroup_info 0
		.amdhsa_system_vgpr_workitem_id 0
		.amdhsa_next_free_vgpr 1
		.amdhsa_next_free_sgpr 0
		.amdhsa_accum_offset 4
		.amdhsa_reserve_vcc 0
		.amdhsa_reserve_flat_scratch 0
		.amdhsa_float_round_mode_32 0
		.amdhsa_float_round_mode_16_64 0
		.amdhsa_float_denorm_mode_32 3
		.amdhsa_float_denorm_mode_16_64 3
		.amdhsa_dx10_clamp 1
		.amdhsa_ieee_mode 1
		.amdhsa_fp16_overflow 0
		.amdhsa_tg_split 0
		.amdhsa_exception_fp_ieee_invalid_op 0
		.amdhsa_exception_fp_denorm_src 0
		.amdhsa_exception_fp_ieee_div_zero 0
		.amdhsa_exception_fp_ieee_overflow 0
		.amdhsa_exception_fp_ieee_underflow 0
		.amdhsa_exception_fp_ieee_inexact 0
		.amdhsa_exception_int_div_zero 0
	.end_amdhsa_kernel
	.section	.text._ZN7rocprim17ROCPRIM_400000_NS6detail17trampoline_kernelINS0_14default_configENS1_25partition_config_selectorILNS1_17partition_subalgoE8EiNS0_10empty_typeEbEEZZNS1_14partition_implILS5_8ELb0ES3_jPKiPS6_PKS6_NS0_5tupleIJPiS6_EEENSE_IJSB_SB_EEENS0_18inequality_wrapperIN6hipcub16HIPCUB_304000_NS8EqualityEEEPlJS6_EEE10hipError_tPvRmT3_T4_T5_T6_T7_T9_mT8_P12ihipStream_tbDpT10_ENKUlT_T0_E_clISt17integral_constantIbLb1EES16_IbLb0EEEEDaS12_S13_EUlS12_E_NS1_11comp_targetILNS1_3genE8ELNS1_11target_archE1030ELNS1_3gpuE2ELNS1_3repE0EEENS1_30default_config_static_selectorELNS0_4arch9wavefront6targetE1EEEvT1_,"axG",@progbits,_ZN7rocprim17ROCPRIM_400000_NS6detail17trampoline_kernelINS0_14default_configENS1_25partition_config_selectorILNS1_17partition_subalgoE8EiNS0_10empty_typeEbEEZZNS1_14partition_implILS5_8ELb0ES3_jPKiPS6_PKS6_NS0_5tupleIJPiS6_EEENSE_IJSB_SB_EEENS0_18inequality_wrapperIN6hipcub16HIPCUB_304000_NS8EqualityEEEPlJS6_EEE10hipError_tPvRmT3_T4_T5_T6_T7_T9_mT8_P12ihipStream_tbDpT10_ENKUlT_T0_E_clISt17integral_constantIbLb1EES16_IbLb0EEEEDaS12_S13_EUlS12_E_NS1_11comp_targetILNS1_3genE8ELNS1_11target_archE1030ELNS1_3gpuE2ELNS1_3repE0EEENS1_30default_config_static_selectorELNS0_4arch9wavefront6targetE1EEEvT1_,comdat
.Lfunc_end433:
	.size	_ZN7rocprim17ROCPRIM_400000_NS6detail17trampoline_kernelINS0_14default_configENS1_25partition_config_selectorILNS1_17partition_subalgoE8EiNS0_10empty_typeEbEEZZNS1_14partition_implILS5_8ELb0ES3_jPKiPS6_PKS6_NS0_5tupleIJPiS6_EEENSE_IJSB_SB_EEENS0_18inequality_wrapperIN6hipcub16HIPCUB_304000_NS8EqualityEEEPlJS6_EEE10hipError_tPvRmT3_T4_T5_T6_T7_T9_mT8_P12ihipStream_tbDpT10_ENKUlT_T0_E_clISt17integral_constantIbLb1EES16_IbLb0EEEEDaS12_S13_EUlS12_E_NS1_11comp_targetILNS1_3genE8ELNS1_11target_archE1030ELNS1_3gpuE2ELNS1_3repE0EEENS1_30default_config_static_selectorELNS0_4arch9wavefront6targetE1EEEvT1_, .Lfunc_end433-_ZN7rocprim17ROCPRIM_400000_NS6detail17trampoline_kernelINS0_14default_configENS1_25partition_config_selectorILNS1_17partition_subalgoE8EiNS0_10empty_typeEbEEZZNS1_14partition_implILS5_8ELb0ES3_jPKiPS6_PKS6_NS0_5tupleIJPiS6_EEENSE_IJSB_SB_EEENS0_18inequality_wrapperIN6hipcub16HIPCUB_304000_NS8EqualityEEEPlJS6_EEE10hipError_tPvRmT3_T4_T5_T6_T7_T9_mT8_P12ihipStream_tbDpT10_ENKUlT_T0_E_clISt17integral_constantIbLb1EES16_IbLb0EEEEDaS12_S13_EUlS12_E_NS1_11comp_targetILNS1_3genE8ELNS1_11target_archE1030ELNS1_3gpuE2ELNS1_3repE0EEENS1_30default_config_static_selectorELNS0_4arch9wavefront6targetE1EEEvT1_
                                        ; -- End function
	.section	.AMDGPU.csdata,"",@progbits
; Kernel info:
; codeLenInByte = 0
; NumSgprs: 4
; NumVgprs: 0
; NumAgprs: 0
; TotalNumVgprs: 0
; ScratchSize: 0
; MemoryBound: 0
; FloatMode: 240
; IeeeMode: 1
; LDSByteSize: 0 bytes/workgroup (compile time only)
; SGPRBlocks: 0
; VGPRBlocks: 0
; NumSGPRsForWavesPerEU: 4
; NumVGPRsForWavesPerEU: 1
; AccumOffset: 4
; Occupancy: 8
; WaveLimiterHint : 0
; COMPUTE_PGM_RSRC2:SCRATCH_EN: 0
; COMPUTE_PGM_RSRC2:USER_SGPR: 6
; COMPUTE_PGM_RSRC2:TRAP_HANDLER: 0
; COMPUTE_PGM_RSRC2:TGID_X_EN: 1
; COMPUTE_PGM_RSRC2:TGID_Y_EN: 0
; COMPUTE_PGM_RSRC2:TGID_Z_EN: 0
; COMPUTE_PGM_RSRC2:TIDIG_COMP_CNT: 0
; COMPUTE_PGM_RSRC3_GFX90A:ACCUM_OFFSET: 0
; COMPUTE_PGM_RSRC3_GFX90A:TG_SPLIT: 0
	.section	.text._ZN7rocprim17ROCPRIM_400000_NS6detail17trampoline_kernelINS0_14default_configENS1_25partition_config_selectorILNS1_17partition_subalgoE8EiNS0_10empty_typeEbEEZZNS1_14partition_implILS5_8ELb0ES3_jPKiPS6_PKS6_NS0_5tupleIJPiS6_EEENSE_IJSB_SB_EEENS0_18inequality_wrapperIN6hipcub16HIPCUB_304000_NS8EqualityEEEPlJS6_EEE10hipError_tPvRmT3_T4_T5_T6_T7_T9_mT8_P12ihipStream_tbDpT10_ENKUlT_T0_E_clISt17integral_constantIbLb0EES16_IbLb1EEEEDaS12_S13_EUlS12_E_NS1_11comp_targetILNS1_3genE0ELNS1_11target_archE4294967295ELNS1_3gpuE0ELNS1_3repE0EEENS1_30default_config_static_selectorELNS0_4arch9wavefront6targetE1EEEvT1_,"axG",@progbits,_ZN7rocprim17ROCPRIM_400000_NS6detail17trampoline_kernelINS0_14default_configENS1_25partition_config_selectorILNS1_17partition_subalgoE8EiNS0_10empty_typeEbEEZZNS1_14partition_implILS5_8ELb0ES3_jPKiPS6_PKS6_NS0_5tupleIJPiS6_EEENSE_IJSB_SB_EEENS0_18inequality_wrapperIN6hipcub16HIPCUB_304000_NS8EqualityEEEPlJS6_EEE10hipError_tPvRmT3_T4_T5_T6_T7_T9_mT8_P12ihipStream_tbDpT10_ENKUlT_T0_E_clISt17integral_constantIbLb0EES16_IbLb1EEEEDaS12_S13_EUlS12_E_NS1_11comp_targetILNS1_3genE0ELNS1_11target_archE4294967295ELNS1_3gpuE0ELNS1_3repE0EEENS1_30default_config_static_selectorELNS0_4arch9wavefront6targetE1EEEvT1_,comdat
	.protected	_ZN7rocprim17ROCPRIM_400000_NS6detail17trampoline_kernelINS0_14default_configENS1_25partition_config_selectorILNS1_17partition_subalgoE8EiNS0_10empty_typeEbEEZZNS1_14partition_implILS5_8ELb0ES3_jPKiPS6_PKS6_NS0_5tupleIJPiS6_EEENSE_IJSB_SB_EEENS0_18inequality_wrapperIN6hipcub16HIPCUB_304000_NS8EqualityEEEPlJS6_EEE10hipError_tPvRmT3_T4_T5_T6_T7_T9_mT8_P12ihipStream_tbDpT10_ENKUlT_T0_E_clISt17integral_constantIbLb0EES16_IbLb1EEEEDaS12_S13_EUlS12_E_NS1_11comp_targetILNS1_3genE0ELNS1_11target_archE4294967295ELNS1_3gpuE0ELNS1_3repE0EEENS1_30default_config_static_selectorELNS0_4arch9wavefront6targetE1EEEvT1_ ; -- Begin function _ZN7rocprim17ROCPRIM_400000_NS6detail17trampoline_kernelINS0_14default_configENS1_25partition_config_selectorILNS1_17partition_subalgoE8EiNS0_10empty_typeEbEEZZNS1_14partition_implILS5_8ELb0ES3_jPKiPS6_PKS6_NS0_5tupleIJPiS6_EEENSE_IJSB_SB_EEENS0_18inequality_wrapperIN6hipcub16HIPCUB_304000_NS8EqualityEEEPlJS6_EEE10hipError_tPvRmT3_T4_T5_T6_T7_T9_mT8_P12ihipStream_tbDpT10_ENKUlT_T0_E_clISt17integral_constantIbLb0EES16_IbLb1EEEEDaS12_S13_EUlS12_E_NS1_11comp_targetILNS1_3genE0ELNS1_11target_archE4294967295ELNS1_3gpuE0ELNS1_3repE0EEENS1_30default_config_static_selectorELNS0_4arch9wavefront6targetE1EEEvT1_
	.globl	_ZN7rocprim17ROCPRIM_400000_NS6detail17trampoline_kernelINS0_14default_configENS1_25partition_config_selectorILNS1_17partition_subalgoE8EiNS0_10empty_typeEbEEZZNS1_14partition_implILS5_8ELb0ES3_jPKiPS6_PKS6_NS0_5tupleIJPiS6_EEENSE_IJSB_SB_EEENS0_18inequality_wrapperIN6hipcub16HIPCUB_304000_NS8EqualityEEEPlJS6_EEE10hipError_tPvRmT3_T4_T5_T6_T7_T9_mT8_P12ihipStream_tbDpT10_ENKUlT_T0_E_clISt17integral_constantIbLb0EES16_IbLb1EEEEDaS12_S13_EUlS12_E_NS1_11comp_targetILNS1_3genE0ELNS1_11target_archE4294967295ELNS1_3gpuE0ELNS1_3repE0EEENS1_30default_config_static_selectorELNS0_4arch9wavefront6targetE1EEEvT1_
	.p2align	8
	.type	_ZN7rocprim17ROCPRIM_400000_NS6detail17trampoline_kernelINS0_14default_configENS1_25partition_config_selectorILNS1_17partition_subalgoE8EiNS0_10empty_typeEbEEZZNS1_14partition_implILS5_8ELb0ES3_jPKiPS6_PKS6_NS0_5tupleIJPiS6_EEENSE_IJSB_SB_EEENS0_18inequality_wrapperIN6hipcub16HIPCUB_304000_NS8EqualityEEEPlJS6_EEE10hipError_tPvRmT3_T4_T5_T6_T7_T9_mT8_P12ihipStream_tbDpT10_ENKUlT_T0_E_clISt17integral_constantIbLb0EES16_IbLb1EEEEDaS12_S13_EUlS12_E_NS1_11comp_targetILNS1_3genE0ELNS1_11target_archE4294967295ELNS1_3gpuE0ELNS1_3repE0EEENS1_30default_config_static_selectorELNS0_4arch9wavefront6targetE1EEEvT1_,@function
_ZN7rocprim17ROCPRIM_400000_NS6detail17trampoline_kernelINS0_14default_configENS1_25partition_config_selectorILNS1_17partition_subalgoE8EiNS0_10empty_typeEbEEZZNS1_14partition_implILS5_8ELb0ES3_jPKiPS6_PKS6_NS0_5tupleIJPiS6_EEENSE_IJSB_SB_EEENS0_18inequality_wrapperIN6hipcub16HIPCUB_304000_NS8EqualityEEEPlJS6_EEE10hipError_tPvRmT3_T4_T5_T6_T7_T9_mT8_P12ihipStream_tbDpT10_ENKUlT_T0_E_clISt17integral_constantIbLb0EES16_IbLb1EEEEDaS12_S13_EUlS12_E_NS1_11comp_targetILNS1_3genE0ELNS1_11target_archE4294967295ELNS1_3gpuE0ELNS1_3repE0EEENS1_30default_config_static_selectorELNS0_4arch9wavefront6targetE1EEEvT1_: ; @_ZN7rocprim17ROCPRIM_400000_NS6detail17trampoline_kernelINS0_14default_configENS1_25partition_config_selectorILNS1_17partition_subalgoE8EiNS0_10empty_typeEbEEZZNS1_14partition_implILS5_8ELb0ES3_jPKiPS6_PKS6_NS0_5tupleIJPiS6_EEENSE_IJSB_SB_EEENS0_18inequality_wrapperIN6hipcub16HIPCUB_304000_NS8EqualityEEEPlJS6_EEE10hipError_tPvRmT3_T4_T5_T6_T7_T9_mT8_P12ihipStream_tbDpT10_ENKUlT_T0_E_clISt17integral_constantIbLb0EES16_IbLb1EEEEDaS12_S13_EUlS12_E_NS1_11comp_targetILNS1_3genE0ELNS1_11target_archE4294967295ELNS1_3gpuE0ELNS1_3repE0EEENS1_30default_config_static_selectorELNS0_4arch9wavefront6targetE1EEEvT1_
; %bb.0:
	.section	.rodata,"a",@progbits
	.p2align	6, 0x0
	.amdhsa_kernel _ZN7rocprim17ROCPRIM_400000_NS6detail17trampoline_kernelINS0_14default_configENS1_25partition_config_selectorILNS1_17partition_subalgoE8EiNS0_10empty_typeEbEEZZNS1_14partition_implILS5_8ELb0ES3_jPKiPS6_PKS6_NS0_5tupleIJPiS6_EEENSE_IJSB_SB_EEENS0_18inequality_wrapperIN6hipcub16HIPCUB_304000_NS8EqualityEEEPlJS6_EEE10hipError_tPvRmT3_T4_T5_T6_T7_T9_mT8_P12ihipStream_tbDpT10_ENKUlT_T0_E_clISt17integral_constantIbLb0EES16_IbLb1EEEEDaS12_S13_EUlS12_E_NS1_11comp_targetILNS1_3genE0ELNS1_11target_archE4294967295ELNS1_3gpuE0ELNS1_3repE0EEENS1_30default_config_static_selectorELNS0_4arch9wavefront6targetE1EEEvT1_
		.amdhsa_group_segment_fixed_size 0
		.amdhsa_private_segment_fixed_size 0
		.amdhsa_kernarg_size 128
		.amdhsa_user_sgpr_count 6
		.amdhsa_user_sgpr_private_segment_buffer 1
		.amdhsa_user_sgpr_dispatch_ptr 0
		.amdhsa_user_sgpr_queue_ptr 0
		.amdhsa_user_sgpr_kernarg_segment_ptr 1
		.amdhsa_user_sgpr_dispatch_id 0
		.amdhsa_user_sgpr_flat_scratch_init 0
		.amdhsa_user_sgpr_kernarg_preload_length 0
		.amdhsa_user_sgpr_kernarg_preload_offset 0
		.amdhsa_user_sgpr_private_segment_size 0
		.amdhsa_uses_dynamic_stack 0
		.amdhsa_system_sgpr_private_segment_wavefront_offset 0
		.amdhsa_system_sgpr_workgroup_id_x 1
		.amdhsa_system_sgpr_workgroup_id_y 0
		.amdhsa_system_sgpr_workgroup_id_z 0
		.amdhsa_system_sgpr_workgroup_info 0
		.amdhsa_system_vgpr_workitem_id 0
		.amdhsa_next_free_vgpr 1
		.amdhsa_next_free_sgpr 0
		.amdhsa_accum_offset 4
		.amdhsa_reserve_vcc 0
		.amdhsa_reserve_flat_scratch 0
		.amdhsa_float_round_mode_32 0
		.amdhsa_float_round_mode_16_64 0
		.amdhsa_float_denorm_mode_32 3
		.amdhsa_float_denorm_mode_16_64 3
		.amdhsa_dx10_clamp 1
		.amdhsa_ieee_mode 1
		.amdhsa_fp16_overflow 0
		.amdhsa_tg_split 0
		.amdhsa_exception_fp_ieee_invalid_op 0
		.amdhsa_exception_fp_denorm_src 0
		.amdhsa_exception_fp_ieee_div_zero 0
		.amdhsa_exception_fp_ieee_overflow 0
		.amdhsa_exception_fp_ieee_underflow 0
		.amdhsa_exception_fp_ieee_inexact 0
		.amdhsa_exception_int_div_zero 0
	.end_amdhsa_kernel
	.section	.text._ZN7rocprim17ROCPRIM_400000_NS6detail17trampoline_kernelINS0_14default_configENS1_25partition_config_selectorILNS1_17partition_subalgoE8EiNS0_10empty_typeEbEEZZNS1_14partition_implILS5_8ELb0ES3_jPKiPS6_PKS6_NS0_5tupleIJPiS6_EEENSE_IJSB_SB_EEENS0_18inequality_wrapperIN6hipcub16HIPCUB_304000_NS8EqualityEEEPlJS6_EEE10hipError_tPvRmT3_T4_T5_T6_T7_T9_mT8_P12ihipStream_tbDpT10_ENKUlT_T0_E_clISt17integral_constantIbLb0EES16_IbLb1EEEEDaS12_S13_EUlS12_E_NS1_11comp_targetILNS1_3genE0ELNS1_11target_archE4294967295ELNS1_3gpuE0ELNS1_3repE0EEENS1_30default_config_static_selectorELNS0_4arch9wavefront6targetE1EEEvT1_,"axG",@progbits,_ZN7rocprim17ROCPRIM_400000_NS6detail17trampoline_kernelINS0_14default_configENS1_25partition_config_selectorILNS1_17partition_subalgoE8EiNS0_10empty_typeEbEEZZNS1_14partition_implILS5_8ELb0ES3_jPKiPS6_PKS6_NS0_5tupleIJPiS6_EEENSE_IJSB_SB_EEENS0_18inequality_wrapperIN6hipcub16HIPCUB_304000_NS8EqualityEEEPlJS6_EEE10hipError_tPvRmT3_T4_T5_T6_T7_T9_mT8_P12ihipStream_tbDpT10_ENKUlT_T0_E_clISt17integral_constantIbLb0EES16_IbLb1EEEEDaS12_S13_EUlS12_E_NS1_11comp_targetILNS1_3genE0ELNS1_11target_archE4294967295ELNS1_3gpuE0ELNS1_3repE0EEENS1_30default_config_static_selectorELNS0_4arch9wavefront6targetE1EEEvT1_,comdat
.Lfunc_end434:
	.size	_ZN7rocprim17ROCPRIM_400000_NS6detail17trampoline_kernelINS0_14default_configENS1_25partition_config_selectorILNS1_17partition_subalgoE8EiNS0_10empty_typeEbEEZZNS1_14partition_implILS5_8ELb0ES3_jPKiPS6_PKS6_NS0_5tupleIJPiS6_EEENSE_IJSB_SB_EEENS0_18inequality_wrapperIN6hipcub16HIPCUB_304000_NS8EqualityEEEPlJS6_EEE10hipError_tPvRmT3_T4_T5_T6_T7_T9_mT8_P12ihipStream_tbDpT10_ENKUlT_T0_E_clISt17integral_constantIbLb0EES16_IbLb1EEEEDaS12_S13_EUlS12_E_NS1_11comp_targetILNS1_3genE0ELNS1_11target_archE4294967295ELNS1_3gpuE0ELNS1_3repE0EEENS1_30default_config_static_selectorELNS0_4arch9wavefront6targetE1EEEvT1_, .Lfunc_end434-_ZN7rocprim17ROCPRIM_400000_NS6detail17trampoline_kernelINS0_14default_configENS1_25partition_config_selectorILNS1_17partition_subalgoE8EiNS0_10empty_typeEbEEZZNS1_14partition_implILS5_8ELb0ES3_jPKiPS6_PKS6_NS0_5tupleIJPiS6_EEENSE_IJSB_SB_EEENS0_18inequality_wrapperIN6hipcub16HIPCUB_304000_NS8EqualityEEEPlJS6_EEE10hipError_tPvRmT3_T4_T5_T6_T7_T9_mT8_P12ihipStream_tbDpT10_ENKUlT_T0_E_clISt17integral_constantIbLb0EES16_IbLb1EEEEDaS12_S13_EUlS12_E_NS1_11comp_targetILNS1_3genE0ELNS1_11target_archE4294967295ELNS1_3gpuE0ELNS1_3repE0EEENS1_30default_config_static_selectorELNS0_4arch9wavefront6targetE1EEEvT1_
                                        ; -- End function
	.section	.AMDGPU.csdata,"",@progbits
; Kernel info:
; codeLenInByte = 0
; NumSgprs: 4
; NumVgprs: 0
; NumAgprs: 0
; TotalNumVgprs: 0
; ScratchSize: 0
; MemoryBound: 0
; FloatMode: 240
; IeeeMode: 1
; LDSByteSize: 0 bytes/workgroup (compile time only)
; SGPRBlocks: 0
; VGPRBlocks: 0
; NumSGPRsForWavesPerEU: 4
; NumVGPRsForWavesPerEU: 1
; AccumOffset: 4
; Occupancy: 8
; WaveLimiterHint : 0
; COMPUTE_PGM_RSRC2:SCRATCH_EN: 0
; COMPUTE_PGM_RSRC2:USER_SGPR: 6
; COMPUTE_PGM_RSRC2:TRAP_HANDLER: 0
; COMPUTE_PGM_RSRC2:TGID_X_EN: 1
; COMPUTE_PGM_RSRC2:TGID_Y_EN: 0
; COMPUTE_PGM_RSRC2:TGID_Z_EN: 0
; COMPUTE_PGM_RSRC2:TIDIG_COMP_CNT: 0
; COMPUTE_PGM_RSRC3_GFX90A:ACCUM_OFFSET: 0
; COMPUTE_PGM_RSRC3_GFX90A:TG_SPLIT: 0
	.section	.text._ZN7rocprim17ROCPRIM_400000_NS6detail17trampoline_kernelINS0_14default_configENS1_25partition_config_selectorILNS1_17partition_subalgoE8EiNS0_10empty_typeEbEEZZNS1_14partition_implILS5_8ELb0ES3_jPKiPS6_PKS6_NS0_5tupleIJPiS6_EEENSE_IJSB_SB_EEENS0_18inequality_wrapperIN6hipcub16HIPCUB_304000_NS8EqualityEEEPlJS6_EEE10hipError_tPvRmT3_T4_T5_T6_T7_T9_mT8_P12ihipStream_tbDpT10_ENKUlT_T0_E_clISt17integral_constantIbLb0EES16_IbLb1EEEEDaS12_S13_EUlS12_E_NS1_11comp_targetILNS1_3genE5ELNS1_11target_archE942ELNS1_3gpuE9ELNS1_3repE0EEENS1_30default_config_static_selectorELNS0_4arch9wavefront6targetE1EEEvT1_,"axG",@progbits,_ZN7rocprim17ROCPRIM_400000_NS6detail17trampoline_kernelINS0_14default_configENS1_25partition_config_selectorILNS1_17partition_subalgoE8EiNS0_10empty_typeEbEEZZNS1_14partition_implILS5_8ELb0ES3_jPKiPS6_PKS6_NS0_5tupleIJPiS6_EEENSE_IJSB_SB_EEENS0_18inequality_wrapperIN6hipcub16HIPCUB_304000_NS8EqualityEEEPlJS6_EEE10hipError_tPvRmT3_T4_T5_T6_T7_T9_mT8_P12ihipStream_tbDpT10_ENKUlT_T0_E_clISt17integral_constantIbLb0EES16_IbLb1EEEEDaS12_S13_EUlS12_E_NS1_11comp_targetILNS1_3genE5ELNS1_11target_archE942ELNS1_3gpuE9ELNS1_3repE0EEENS1_30default_config_static_selectorELNS0_4arch9wavefront6targetE1EEEvT1_,comdat
	.protected	_ZN7rocprim17ROCPRIM_400000_NS6detail17trampoline_kernelINS0_14default_configENS1_25partition_config_selectorILNS1_17partition_subalgoE8EiNS0_10empty_typeEbEEZZNS1_14partition_implILS5_8ELb0ES3_jPKiPS6_PKS6_NS0_5tupleIJPiS6_EEENSE_IJSB_SB_EEENS0_18inequality_wrapperIN6hipcub16HIPCUB_304000_NS8EqualityEEEPlJS6_EEE10hipError_tPvRmT3_T4_T5_T6_T7_T9_mT8_P12ihipStream_tbDpT10_ENKUlT_T0_E_clISt17integral_constantIbLb0EES16_IbLb1EEEEDaS12_S13_EUlS12_E_NS1_11comp_targetILNS1_3genE5ELNS1_11target_archE942ELNS1_3gpuE9ELNS1_3repE0EEENS1_30default_config_static_selectorELNS0_4arch9wavefront6targetE1EEEvT1_ ; -- Begin function _ZN7rocprim17ROCPRIM_400000_NS6detail17trampoline_kernelINS0_14default_configENS1_25partition_config_selectorILNS1_17partition_subalgoE8EiNS0_10empty_typeEbEEZZNS1_14partition_implILS5_8ELb0ES3_jPKiPS6_PKS6_NS0_5tupleIJPiS6_EEENSE_IJSB_SB_EEENS0_18inequality_wrapperIN6hipcub16HIPCUB_304000_NS8EqualityEEEPlJS6_EEE10hipError_tPvRmT3_T4_T5_T6_T7_T9_mT8_P12ihipStream_tbDpT10_ENKUlT_T0_E_clISt17integral_constantIbLb0EES16_IbLb1EEEEDaS12_S13_EUlS12_E_NS1_11comp_targetILNS1_3genE5ELNS1_11target_archE942ELNS1_3gpuE9ELNS1_3repE0EEENS1_30default_config_static_selectorELNS0_4arch9wavefront6targetE1EEEvT1_
	.globl	_ZN7rocprim17ROCPRIM_400000_NS6detail17trampoline_kernelINS0_14default_configENS1_25partition_config_selectorILNS1_17partition_subalgoE8EiNS0_10empty_typeEbEEZZNS1_14partition_implILS5_8ELb0ES3_jPKiPS6_PKS6_NS0_5tupleIJPiS6_EEENSE_IJSB_SB_EEENS0_18inequality_wrapperIN6hipcub16HIPCUB_304000_NS8EqualityEEEPlJS6_EEE10hipError_tPvRmT3_T4_T5_T6_T7_T9_mT8_P12ihipStream_tbDpT10_ENKUlT_T0_E_clISt17integral_constantIbLb0EES16_IbLb1EEEEDaS12_S13_EUlS12_E_NS1_11comp_targetILNS1_3genE5ELNS1_11target_archE942ELNS1_3gpuE9ELNS1_3repE0EEENS1_30default_config_static_selectorELNS0_4arch9wavefront6targetE1EEEvT1_
	.p2align	8
	.type	_ZN7rocprim17ROCPRIM_400000_NS6detail17trampoline_kernelINS0_14default_configENS1_25partition_config_selectorILNS1_17partition_subalgoE8EiNS0_10empty_typeEbEEZZNS1_14partition_implILS5_8ELb0ES3_jPKiPS6_PKS6_NS0_5tupleIJPiS6_EEENSE_IJSB_SB_EEENS0_18inequality_wrapperIN6hipcub16HIPCUB_304000_NS8EqualityEEEPlJS6_EEE10hipError_tPvRmT3_T4_T5_T6_T7_T9_mT8_P12ihipStream_tbDpT10_ENKUlT_T0_E_clISt17integral_constantIbLb0EES16_IbLb1EEEEDaS12_S13_EUlS12_E_NS1_11comp_targetILNS1_3genE5ELNS1_11target_archE942ELNS1_3gpuE9ELNS1_3repE0EEENS1_30default_config_static_selectorELNS0_4arch9wavefront6targetE1EEEvT1_,@function
_ZN7rocprim17ROCPRIM_400000_NS6detail17trampoline_kernelINS0_14default_configENS1_25partition_config_selectorILNS1_17partition_subalgoE8EiNS0_10empty_typeEbEEZZNS1_14partition_implILS5_8ELb0ES3_jPKiPS6_PKS6_NS0_5tupleIJPiS6_EEENSE_IJSB_SB_EEENS0_18inequality_wrapperIN6hipcub16HIPCUB_304000_NS8EqualityEEEPlJS6_EEE10hipError_tPvRmT3_T4_T5_T6_T7_T9_mT8_P12ihipStream_tbDpT10_ENKUlT_T0_E_clISt17integral_constantIbLb0EES16_IbLb1EEEEDaS12_S13_EUlS12_E_NS1_11comp_targetILNS1_3genE5ELNS1_11target_archE942ELNS1_3gpuE9ELNS1_3repE0EEENS1_30default_config_static_selectorELNS0_4arch9wavefront6targetE1EEEvT1_: ; @_ZN7rocprim17ROCPRIM_400000_NS6detail17trampoline_kernelINS0_14default_configENS1_25partition_config_selectorILNS1_17partition_subalgoE8EiNS0_10empty_typeEbEEZZNS1_14partition_implILS5_8ELb0ES3_jPKiPS6_PKS6_NS0_5tupleIJPiS6_EEENSE_IJSB_SB_EEENS0_18inequality_wrapperIN6hipcub16HIPCUB_304000_NS8EqualityEEEPlJS6_EEE10hipError_tPvRmT3_T4_T5_T6_T7_T9_mT8_P12ihipStream_tbDpT10_ENKUlT_T0_E_clISt17integral_constantIbLb0EES16_IbLb1EEEEDaS12_S13_EUlS12_E_NS1_11comp_targetILNS1_3genE5ELNS1_11target_archE942ELNS1_3gpuE9ELNS1_3repE0EEENS1_30default_config_static_selectorELNS0_4arch9wavefront6targetE1EEEvT1_
; %bb.0:
	.section	.rodata,"a",@progbits
	.p2align	6, 0x0
	.amdhsa_kernel _ZN7rocprim17ROCPRIM_400000_NS6detail17trampoline_kernelINS0_14default_configENS1_25partition_config_selectorILNS1_17partition_subalgoE8EiNS0_10empty_typeEbEEZZNS1_14partition_implILS5_8ELb0ES3_jPKiPS6_PKS6_NS0_5tupleIJPiS6_EEENSE_IJSB_SB_EEENS0_18inequality_wrapperIN6hipcub16HIPCUB_304000_NS8EqualityEEEPlJS6_EEE10hipError_tPvRmT3_T4_T5_T6_T7_T9_mT8_P12ihipStream_tbDpT10_ENKUlT_T0_E_clISt17integral_constantIbLb0EES16_IbLb1EEEEDaS12_S13_EUlS12_E_NS1_11comp_targetILNS1_3genE5ELNS1_11target_archE942ELNS1_3gpuE9ELNS1_3repE0EEENS1_30default_config_static_selectorELNS0_4arch9wavefront6targetE1EEEvT1_
		.amdhsa_group_segment_fixed_size 0
		.amdhsa_private_segment_fixed_size 0
		.amdhsa_kernarg_size 128
		.amdhsa_user_sgpr_count 6
		.amdhsa_user_sgpr_private_segment_buffer 1
		.amdhsa_user_sgpr_dispatch_ptr 0
		.amdhsa_user_sgpr_queue_ptr 0
		.amdhsa_user_sgpr_kernarg_segment_ptr 1
		.amdhsa_user_sgpr_dispatch_id 0
		.amdhsa_user_sgpr_flat_scratch_init 0
		.amdhsa_user_sgpr_kernarg_preload_length 0
		.amdhsa_user_sgpr_kernarg_preload_offset 0
		.amdhsa_user_sgpr_private_segment_size 0
		.amdhsa_uses_dynamic_stack 0
		.amdhsa_system_sgpr_private_segment_wavefront_offset 0
		.amdhsa_system_sgpr_workgroup_id_x 1
		.amdhsa_system_sgpr_workgroup_id_y 0
		.amdhsa_system_sgpr_workgroup_id_z 0
		.amdhsa_system_sgpr_workgroup_info 0
		.amdhsa_system_vgpr_workitem_id 0
		.amdhsa_next_free_vgpr 1
		.amdhsa_next_free_sgpr 0
		.amdhsa_accum_offset 4
		.amdhsa_reserve_vcc 0
		.amdhsa_reserve_flat_scratch 0
		.amdhsa_float_round_mode_32 0
		.amdhsa_float_round_mode_16_64 0
		.amdhsa_float_denorm_mode_32 3
		.amdhsa_float_denorm_mode_16_64 3
		.amdhsa_dx10_clamp 1
		.amdhsa_ieee_mode 1
		.amdhsa_fp16_overflow 0
		.amdhsa_tg_split 0
		.amdhsa_exception_fp_ieee_invalid_op 0
		.amdhsa_exception_fp_denorm_src 0
		.amdhsa_exception_fp_ieee_div_zero 0
		.amdhsa_exception_fp_ieee_overflow 0
		.amdhsa_exception_fp_ieee_underflow 0
		.amdhsa_exception_fp_ieee_inexact 0
		.amdhsa_exception_int_div_zero 0
	.end_amdhsa_kernel
	.section	.text._ZN7rocprim17ROCPRIM_400000_NS6detail17trampoline_kernelINS0_14default_configENS1_25partition_config_selectorILNS1_17partition_subalgoE8EiNS0_10empty_typeEbEEZZNS1_14partition_implILS5_8ELb0ES3_jPKiPS6_PKS6_NS0_5tupleIJPiS6_EEENSE_IJSB_SB_EEENS0_18inequality_wrapperIN6hipcub16HIPCUB_304000_NS8EqualityEEEPlJS6_EEE10hipError_tPvRmT3_T4_T5_T6_T7_T9_mT8_P12ihipStream_tbDpT10_ENKUlT_T0_E_clISt17integral_constantIbLb0EES16_IbLb1EEEEDaS12_S13_EUlS12_E_NS1_11comp_targetILNS1_3genE5ELNS1_11target_archE942ELNS1_3gpuE9ELNS1_3repE0EEENS1_30default_config_static_selectorELNS0_4arch9wavefront6targetE1EEEvT1_,"axG",@progbits,_ZN7rocprim17ROCPRIM_400000_NS6detail17trampoline_kernelINS0_14default_configENS1_25partition_config_selectorILNS1_17partition_subalgoE8EiNS0_10empty_typeEbEEZZNS1_14partition_implILS5_8ELb0ES3_jPKiPS6_PKS6_NS0_5tupleIJPiS6_EEENSE_IJSB_SB_EEENS0_18inequality_wrapperIN6hipcub16HIPCUB_304000_NS8EqualityEEEPlJS6_EEE10hipError_tPvRmT3_T4_T5_T6_T7_T9_mT8_P12ihipStream_tbDpT10_ENKUlT_T0_E_clISt17integral_constantIbLb0EES16_IbLb1EEEEDaS12_S13_EUlS12_E_NS1_11comp_targetILNS1_3genE5ELNS1_11target_archE942ELNS1_3gpuE9ELNS1_3repE0EEENS1_30default_config_static_selectorELNS0_4arch9wavefront6targetE1EEEvT1_,comdat
.Lfunc_end435:
	.size	_ZN7rocprim17ROCPRIM_400000_NS6detail17trampoline_kernelINS0_14default_configENS1_25partition_config_selectorILNS1_17partition_subalgoE8EiNS0_10empty_typeEbEEZZNS1_14partition_implILS5_8ELb0ES3_jPKiPS6_PKS6_NS0_5tupleIJPiS6_EEENSE_IJSB_SB_EEENS0_18inequality_wrapperIN6hipcub16HIPCUB_304000_NS8EqualityEEEPlJS6_EEE10hipError_tPvRmT3_T4_T5_T6_T7_T9_mT8_P12ihipStream_tbDpT10_ENKUlT_T0_E_clISt17integral_constantIbLb0EES16_IbLb1EEEEDaS12_S13_EUlS12_E_NS1_11comp_targetILNS1_3genE5ELNS1_11target_archE942ELNS1_3gpuE9ELNS1_3repE0EEENS1_30default_config_static_selectorELNS0_4arch9wavefront6targetE1EEEvT1_, .Lfunc_end435-_ZN7rocprim17ROCPRIM_400000_NS6detail17trampoline_kernelINS0_14default_configENS1_25partition_config_selectorILNS1_17partition_subalgoE8EiNS0_10empty_typeEbEEZZNS1_14partition_implILS5_8ELb0ES3_jPKiPS6_PKS6_NS0_5tupleIJPiS6_EEENSE_IJSB_SB_EEENS0_18inequality_wrapperIN6hipcub16HIPCUB_304000_NS8EqualityEEEPlJS6_EEE10hipError_tPvRmT3_T4_T5_T6_T7_T9_mT8_P12ihipStream_tbDpT10_ENKUlT_T0_E_clISt17integral_constantIbLb0EES16_IbLb1EEEEDaS12_S13_EUlS12_E_NS1_11comp_targetILNS1_3genE5ELNS1_11target_archE942ELNS1_3gpuE9ELNS1_3repE0EEENS1_30default_config_static_selectorELNS0_4arch9wavefront6targetE1EEEvT1_
                                        ; -- End function
	.section	.AMDGPU.csdata,"",@progbits
; Kernel info:
; codeLenInByte = 0
; NumSgprs: 4
; NumVgprs: 0
; NumAgprs: 0
; TotalNumVgprs: 0
; ScratchSize: 0
; MemoryBound: 0
; FloatMode: 240
; IeeeMode: 1
; LDSByteSize: 0 bytes/workgroup (compile time only)
; SGPRBlocks: 0
; VGPRBlocks: 0
; NumSGPRsForWavesPerEU: 4
; NumVGPRsForWavesPerEU: 1
; AccumOffset: 4
; Occupancy: 8
; WaveLimiterHint : 0
; COMPUTE_PGM_RSRC2:SCRATCH_EN: 0
; COMPUTE_PGM_RSRC2:USER_SGPR: 6
; COMPUTE_PGM_RSRC2:TRAP_HANDLER: 0
; COMPUTE_PGM_RSRC2:TGID_X_EN: 1
; COMPUTE_PGM_RSRC2:TGID_Y_EN: 0
; COMPUTE_PGM_RSRC2:TGID_Z_EN: 0
; COMPUTE_PGM_RSRC2:TIDIG_COMP_CNT: 0
; COMPUTE_PGM_RSRC3_GFX90A:ACCUM_OFFSET: 0
; COMPUTE_PGM_RSRC3_GFX90A:TG_SPLIT: 0
	.section	.text._ZN7rocprim17ROCPRIM_400000_NS6detail17trampoline_kernelINS0_14default_configENS1_25partition_config_selectorILNS1_17partition_subalgoE8EiNS0_10empty_typeEbEEZZNS1_14partition_implILS5_8ELb0ES3_jPKiPS6_PKS6_NS0_5tupleIJPiS6_EEENSE_IJSB_SB_EEENS0_18inequality_wrapperIN6hipcub16HIPCUB_304000_NS8EqualityEEEPlJS6_EEE10hipError_tPvRmT3_T4_T5_T6_T7_T9_mT8_P12ihipStream_tbDpT10_ENKUlT_T0_E_clISt17integral_constantIbLb0EES16_IbLb1EEEEDaS12_S13_EUlS12_E_NS1_11comp_targetILNS1_3genE4ELNS1_11target_archE910ELNS1_3gpuE8ELNS1_3repE0EEENS1_30default_config_static_selectorELNS0_4arch9wavefront6targetE1EEEvT1_,"axG",@progbits,_ZN7rocprim17ROCPRIM_400000_NS6detail17trampoline_kernelINS0_14default_configENS1_25partition_config_selectorILNS1_17partition_subalgoE8EiNS0_10empty_typeEbEEZZNS1_14partition_implILS5_8ELb0ES3_jPKiPS6_PKS6_NS0_5tupleIJPiS6_EEENSE_IJSB_SB_EEENS0_18inequality_wrapperIN6hipcub16HIPCUB_304000_NS8EqualityEEEPlJS6_EEE10hipError_tPvRmT3_T4_T5_T6_T7_T9_mT8_P12ihipStream_tbDpT10_ENKUlT_T0_E_clISt17integral_constantIbLb0EES16_IbLb1EEEEDaS12_S13_EUlS12_E_NS1_11comp_targetILNS1_3genE4ELNS1_11target_archE910ELNS1_3gpuE8ELNS1_3repE0EEENS1_30default_config_static_selectorELNS0_4arch9wavefront6targetE1EEEvT1_,comdat
	.protected	_ZN7rocprim17ROCPRIM_400000_NS6detail17trampoline_kernelINS0_14default_configENS1_25partition_config_selectorILNS1_17partition_subalgoE8EiNS0_10empty_typeEbEEZZNS1_14partition_implILS5_8ELb0ES3_jPKiPS6_PKS6_NS0_5tupleIJPiS6_EEENSE_IJSB_SB_EEENS0_18inequality_wrapperIN6hipcub16HIPCUB_304000_NS8EqualityEEEPlJS6_EEE10hipError_tPvRmT3_T4_T5_T6_T7_T9_mT8_P12ihipStream_tbDpT10_ENKUlT_T0_E_clISt17integral_constantIbLb0EES16_IbLb1EEEEDaS12_S13_EUlS12_E_NS1_11comp_targetILNS1_3genE4ELNS1_11target_archE910ELNS1_3gpuE8ELNS1_3repE0EEENS1_30default_config_static_selectorELNS0_4arch9wavefront6targetE1EEEvT1_ ; -- Begin function _ZN7rocprim17ROCPRIM_400000_NS6detail17trampoline_kernelINS0_14default_configENS1_25partition_config_selectorILNS1_17partition_subalgoE8EiNS0_10empty_typeEbEEZZNS1_14partition_implILS5_8ELb0ES3_jPKiPS6_PKS6_NS0_5tupleIJPiS6_EEENSE_IJSB_SB_EEENS0_18inequality_wrapperIN6hipcub16HIPCUB_304000_NS8EqualityEEEPlJS6_EEE10hipError_tPvRmT3_T4_T5_T6_T7_T9_mT8_P12ihipStream_tbDpT10_ENKUlT_T0_E_clISt17integral_constantIbLb0EES16_IbLb1EEEEDaS12_S13_EUlS12_E_NS1_11comp_targetILNS1_3genE4ELNS1_11target_archE910ELNS1_3gpuE8ELNS1_3repE0EEENS1_30default_config_static_selectorELNS0_4arch9wavefront6targetE1EEEvT1_
	.globl	_ZN7rocprim17ROCPRIM_400000_NS6detail17trampoline_kernelINS0_14default_configENS1_25partition_config_selectorILNS1_17partition_subalgoE8EiNS0_10empty_typeEbEEZZNS1_14partition_implILS5_8ELb0ES3_jPKiPS6_PKS6_NS0_5tupleIJPiS6_EEENSE_IJSB_SB_EEENS0_18inequality_wrapperIN6hipcub16HIPCUB_304000_NS8EqualityEEEPlJS6_EEE10hipError_tPvRmT3_T4_T5_T6_T7_T9_mT8_P12ihipStream_tbDpT10_ENKUlT_T0_E_clISt17integral_constantIbLb0EES16_IbLb1EEEEDaS12_S13_EUlS12_E_NS1_11comp_targetILNS1_3genE4ELNS1_11target_archE910ELNS1_3gpuE8ELNS1_3repE0EEENS1_30default_config_static_selectorELNS0_4arch9wavefront6targetE1EEEvT1_
	.p2align	8
	.type	_ZN7rocprim17ROCPRIM_400000_NS6detail17trampoline_kernelINS0_14default_configENS1_25partition_config_selectorILNS1_17partition_subalgoE8EiNS0_10empty_typeEbEEZZNS1_14partition_implILS5_8ELb0ES3_jPKiPS6_PKS6_NS0_5tupleIJPiS6_EEENSE_IJSB_SB_EEENS0_18inequality_wrapperIN6hipcub16HIPCUB_304000_NS8EqualityEEEPlJS6_EEE10hipError_tPvRmT3_T4_T5_T6_T7_T9_mT8_P12ihipStream_tbDpT10_ENKUlT_T0_E_clISt17integral_constantIbLb0EES16_IbLb1EEEEDaS12_S13_EUlS12_E_NS1_11comp_targetILNS1_3genE4ELNS1_11target_archE910ELNS1_3gpuE8ELNS1_3repE0EEENS1_30default_config_static_selectorELNS0_4arch9wavefront6targetE1EEEvT1_,@function
_ZN7rocprim17ROCPRIM_400000_NS6detail17trampoline_kernelINS0_14default_configENS1_25partition_config_selectorILNS1_17partition_subalgoE8EiNS0_10empty_typeEbEEZZNS1_14partition_implILS5_8ELb0ES3_jPKiPS6_PKS6_NS0_5tupleIJPiS6_EEENSE_IJSB_SB_EEENS0_18inequality_wrapperIN6hipcub16HIPCUB_304000_NS8EqualityEEEPlJS6_EEE10hipError_tPvRmT3_T4_T5_T6_T7_T9_mT8_P12ihipStream_tbDpT10_ENKUlT_T0_E_clISt17integral_constantIbLb0EES16_IbLb1EEEEDaS12_S13_EUlS12_E_NS1_11comp_targetILNS1_3genE4ELNS1_11target_archE910ELNS1_3gpuE8ELNS1_3repE0EEENS1_30default_config_static_selectorELNS0_4arch9wavefront6targetE1EEEvT1_: ; @_ZN7rocprim17ROCPRIM_400000_NS6detail17trampoline_kernelINS0_14default_configENS1_25partition_config_selectorILNS1_17partition_subalgoE8EiNS0_10empty_typeEbEEZZNS1_14partition_implILS5_8ELb0ES3_jPKiPS6_PKS6_NS0_5tupleIJPiS6_EEENSE_IJSB_SB_EEENS0_18inequality_wrapperIN6hipcub16HIPCUB_304000_NS8EqualityEEEPlJS6_EEE10hipError_tPvRmT3_T4_T5_T6_T7_T9_mT8_P12ihipStream_tbDpT10_ENKUlT_T0_E_clISt17integral_constantIbLb0EES16_IbLb1EEEEDaS12_S13_EUlS12_E_NS1_11comp_targetILNS1_3genE4ELNS1_11target_archE910ELNS1_3gpuE8ELNS1_3repE0EEENS1_30default_config_static_selectorELNS0_4arch9wavefront6targetE1EEEvT1_
; %bb.0:
	s_load_dwordx2 s[28:29], s[4:5], 0x28
	s_load_dwordx4 s[24:27], s[4:5], 0x40
	s_load_dwordx2 s[6:7], s[4:5], 0x50
	s_load_dwordx2 s[30:31], s[4:5], 0x60
	v_cmp_ne_u32_e64 s[2:3], 0, v0
	v_cmp_eq_u32_e64 s[0:1], 0, v0
	s_and_saveexec_b64 s[8:9], s[0:1]
	s_cbranch_execz .LBB436_4
; %bb.1:
	s_mov_b64 s[12:13], exec
	v_mbcnt_lo_u32_b32 v1, s12, 0
	v_mbcnt_hi_u32_b32 v1, s13, v1
	v_cmp_eq_u32_e32 vcc, 0, v1
                                        ; implicit-def: $vgpr2
	s_and_saveexec_b64 s[10:11], vcc
	s_cbranch_execz .LBB436_3
; %bb.2:
	s_load_dwordx2 s[14:15], s[4:5], 0x70
	s_bcnt1_i32_b64 s12, s[12:13]
	v_mov_b32_e32 v2, 0
	v_mov_b32_e32 v3, s12
	s_waitcnt lgkmcnt(0)
	global_atomic_add v2, v2, v3, s[14:15] glc
.LBB436_3:
	s_or_b64 exec, exec, s[10:11]
	s_waitcnt vmcnt(0)
	v_readfirstlane_b32 s10, v2
	v_add_u32_e32 v1, s10, v1
	v_mov_b32_e32 v2, 0
	ds_write_b32 v2, v1
.LBB436_4:
	s_or_b64 exec, exec, s[8:9]
	v_mov_b32_e32 v3, 0
	s_load_dwordx4 s[8:11], s[4:5], 0x8
	s_load_dword s12, s[4:5], 0x68
	s_waitcnt lgkmcnt(0)
	s_barrier
	ds_read_b32 v1, v3
	s_waitcnt lgkmcnt(0)
	s_barrier
	global_load_dwordx2 v[14:15], v3, s[26:27]
	s_lshl_b64 s[4:5], s[10:11], 2
	v_mov_b32_e32 v5, s7
	s_add_u32 s7, s8, s4
	s_movk_i32 s4, 0xa00
	v_mul_lo_u32 v2, v1, s4
	s_mul_i32 s4, s12, 0xa00
	s_addc_u32 s8, s9, s5
	s_add_i32 s5, s4, s10
	s_add_i32 s9, s12, -1
	s_sub_i32 s40, s6, s5
	s_add_u32 s4, s10, s4
	v_readfirstlane_b32 s33, v1
	s_addc_u32 s5, s11, 0
	v_mov_b32_e32 v4, s6
	s_cmp_eq_u32 s33, s9
	v_cmp_ge_u64_e32 vcc, s[4:5], v[4:5]
	s_cselect_b64 s[22:23], -1, 0
	v_lshlrev_b64 v[2:3], 2, v[2:3]
	s_and_b64 s[34:35], vcc, s[22:23]
	v_mov_b32_e32 v1, s8
	v_add_co_u32_e32 v12, vcc, s7, v2
	s_xor_b64 s[26:27], s[34:35], -1
	v_addc_co_u32_e32 v13, vcc, v1, v3, vcc
	s_mov_b64 s[4:5], -1
	s_and_b64 vcc, exec, s[26:27]
	s_cbranch_vccz .LBB436_6
; %bb.5:
	v_lshlrev_b32_e32 v1, 2, v0
	v_add_co_u32_e32 v4, vcc, v12, v1
	v_addc_co_u32_e32 v5, vcc, 0, v13, vcc
	v_add_co_u32_e32 v2, vcc, 0x1000, v4
	v_readfirstlane_b32 s4, v12
	v_readfirstlane_b32 s5, v13
	v_addc_co_u32_e32 v3, vcc, 0, v5, vcc
	s_nop 3
	global_load_dword v6, v1, s[4:5]
	global_load_dword v7, v1, s[4:5] offset:1024
	global_load_dword v8, v1, s[4:5] offset:2048
	global_load_dword v9, v1, s[4:5] offset:3072
	global_load_dword v10, v[2:3], off
	global_load_dword v11, v[2:3], off offset:1024
	global_load_dword v16, v[2:3], off offset:2048
	;; [unrolled: 1-line block ×3, first 2 shown]
	v_add_co_u32_e32 v2, vcc, 0x2000, v4
	v_addc_co_u32_e32 v3, vcc, 0, v5, vcc
	global_load_dword v4, v[2:3], off
	global_load_dword v5, v[2:3], off offset:1024
	s_mov_b64 s[4:5], 0
	s_waitcnt vmcnt(8)
	ds_write2st64_b32 v1, v6, v7 offset1:4
	s_waitcnt vmcnt(6)
	ds_write2st64_b32 v1, v8, v9 offset0:8 offset1:12
	s_waitcnt vmcnt(4)
	ds_write2st64_b32 v1, v10, v11 offset0:16 offset1:20
	;; [unrolled: 2-line block ×4, first 2 shown]
	s_waitcnt lgkmcnt(0)
	s_barrier
.LBB436_6:
	s_andn2_b64 vcc, exec, s[4:5]
	s_addk_i32 s40, 0xa00
	s_cbranch_vccnz .LBB436_28
; %bb.7:
	v_cmp_gt_u32_e32 vcc, s40, v0
                                        ; implicit-def: $vgpr2_vgpr3_vgpr4_vgpr5_vgpr6_vgpr7_vgpr8_vgpr9_vgpr10_vgpr11
	s_and_saveexec_b64 s[4:5], vcc
	s_cbranch_execz .LBB436_9
; %bb.8:
	v_lshlrev_b32_e32 v1, 2, v0
	v_readfirstlane_b32 s6, v12
	v_readfirstlane_b32 s7, v13
	s_nop 4
	global_load_dword v2, v1, s[6:7]
.LBB436_9:
	s_or_b64 exec, exec, s[4:5]
	v_or_b32_e32 v1, 0x100, v0
	v_cmp_gt_u32_e32 vcc, s40, v1
	s_and_saveexec_b64 s[4:5], vcc
	s_cbranch_execz .LBB436_11
; %bb.10:
	v_lshlrev_b32_e32 v1, 2, v0
	v_readfirstlane_b32 s6, v12
	v_readfirstlane_b32 s7, v13
	s_nop 4
	global_load_dword v3, v1, s[6:7] offset:1024
.LBB436_11:
	s_or_b64 exec, exec, s[4:5]
	v_or_b32_e32 v1, 0x200, v0
	v_cmp_gt_u32_e32 vcc, s40, v1
	s_and_saveexec_b64 s[4:5], vcc
	s_cbranch_execz .LBB436_13
; %bb.12:
	v_lshlrev_b32_e32 v1, 2, v0
	v_readfirstlane_b32 s6, v12
	v_readfirstlane_b32 s7, v13
	s_nop 4
	global_load_dword v4, v1, s[6:7] offset:2048
.LBB436_13:
	;; [unrolled: 12-line block ×3, first 2 shown]
	s_or_b64 exec, exec, s[4:5]
	v_or_b32_e32 v1, 0x400, v0
	v_cmp_gt_u32_e32 vcc, s40, v1
	s_and_saveexec_b64 s[4:5], vcc
	s_cbranch_execz .LBB436_17
; %bb.16:
	v_lshlrev_b32_e32 v1, 2, v1
	v_readfirstlane_b32 s6, v12
	v_readfirstlane_b32 s7, v13
	s_nop 4
	global_load_dword v6, v1, s[6:7]
.LBB436_17:
	s_or_b64 exec, exec, s[4:5]
	v_or_b32_e32 v1, 0x500, v0
	v_cmp_gt_u32_e32 vcc, s40, v1
	s_and_saveexec_b64 s[4:5], vcc
	s_cbranch_execz .LBB436_19
; %bb.18:
	v_lshlrev_b32_e32 v1, 2, v1
	v_readfirstlane_b32 s6, v12
	v_readfirstlane_b32 s7, v13
	s_nop 4
	global_load_dword v7, v1, s[6:7]
.LBB436_19:
	;; [unrolled: 12-line block ×6, first 2 shown]
	s_or_b64 exec, exec, s[4:5]
	v_lshlrev_b32_e32 v1, 2, v0
	s_waitcnt vmcnt(0)
	ds_write2st64_b32 v1, v2, v3 offset1:4
	ds_write2st64_b32 v1, v4, v5 offset0:8 offset1:12
	ds_write2st64_b32 v1, v6, v7 offset0:16 offset1:20
	;; [unrolled: 1-line block ×4, first 2 shown]
	s_waitcnt lgkmcnt(0)
	s_barrier
.LBB436_28:
	v_mul_u32_u24_e32 v28, 10, v0
	v_lshlrev_b32_e32 v1, 2, v28
	ds_read2_b64 v[6:9], v1 offset1:1
	ds_read2_b64 v[2:5], v1 offset0:2 offset1:3
	ds_read_b64 v[16:17], v1 offset:32
	s_cmp_lg_u32 s33, 0
	s_cselect_b64 s[36:37], -1, 0
	s_cmp_lg_u64 s[10:11], 0
	s_cselect_b64 s[4:5], -1, 0
	s_or_b64 s[4:5], s[4:5], s[36:37]
	v_or_b32_e32 v29, 1, v28
	v_mad_u32_u24 v27, v0, 10, 2
	v_mad_u32_u24 v26, v0, 10, 3
	;; [unrolled: 1-line block ×8, first 2 shown]
	s_mov_b64 s[38:39], 0
	s_and_b64 vcc, exec, s[4:5]
	s_waitcnt lgkmcnt(0)
	s_barrier
	s_cbranch_vccz .LBB436_33
; %bb.29:
	global_load_dword v10, v[12:13], off offset:-4
	v_lshlrev_b32_e32 v11, 2, v0
	s_and_b64 vcc, exec, s[26:27]
	ds_write_b32 v11, v17
	s_cbranch_vccz .LBB436_35
; %bb.30:
	s_waitcnt vmcnt(0)
	v_mov_b32_e32 v12, v10
	s_waitcnt lgkmcnt(0)
	s_barrier
	s_and_saveexec_b64 s[4:5], s[2:3]
	s_cbranch_execz .LBB436_32
; %bb.31:
	v_add_u32_e32 v12, -4, v11
	ds_read_b32 v12, v12
.LBB436_32:
	s_or_b64 exec, exec, s[4:5]
	v_cmp_ne_u32_e32 vcc, v16, v17
	v_cndmask_b32_e64 v13, 0, 1, vcc
	v_cmp_ne_u32_e32 vcc, v5, v16
	v_cndmask_b32_e64 v30, 0, 1, vcc
	;; [unrolled: 2-line block ×9, first 2 shown]
	s_waitcnt lgkmcnt(0)
	v_cmp_ne_u32_e64 s[4:5], v12, v6
	v_lshlrev_b16_e32 v12, 8, v18
	v_or_b32_sdwa v12, v34, v12 dst_sel:WORD_1 dst_unused:UNUSED_PAD src0_sel:DWORD src1_sel:DWORD
	v_lshlrev_b16_e32 v18, 8, v35
	v_or_b32_e32 v18, v18, v12
	v_lshlrev_b16_e32 v12, 8, v32
	v_lshlrev_b16_e32 v19, 8, v19
	v_or_b32_e32 v12, v33, v12
	v_or_b32_sdwa v19, v31, v19 dst_sel:WORD_1 dst_unused:UNUSED_PAD src0_sel:DWORD src1_sel:DWORD
	v_or_b32_sdwa v19, v12, v19 dst_sel:DWORD dst_unused:UNUSED_PAD src0_sel:WORD_0 src1_sel:DWORD
	s_branch .LBB436_39
.LBB436_33:
                                        ; implicit-def: $sgpr4_sgpr5
                                        ; implicit-def: $vgpr13
                                        ; implicit-def: $vgpr30
                                        ; implicit-def: $vgpr19
	s_branch .LBB436_40
.LBB436_34:
                                        ; implicit-def: $vgpr10_vgpr11_vgpr12
	s_and_saveexec_b64 s[2:3], s[38:39]
	s_cbranch_execnz .LBB436_48
	s_branch .LBB436_49
.LBB436_35:
                                        ; implicit-def: $sgpr4_sgpr5
                                        ; implicit-def: $vgpr13
                                        ; implicit-def: $vgpr30
                                        ; implicit-def: $vgpr19
	s_cbranch_execz .LBB436_39
; %bb.36:
	s_waitcnt lgkmcnt(0)
	s_barrier
	s_and_saveexec_b64 s[4:5], s[2:3]
	s_cbranch_execz .LBB436_38
; %bb.37:
	s_waitcnt vmcnt(0)
	v_add_u32_e32 v10, -4, v11
	ds_read_b32 v10, v10
.LBB436_38:
	s_or_b64 exec, exec, s[4:5]
	v_cmp_gt_u32_e32 vcc, s40, v20
	v_cmp_ne_u32_e64 s[4:5], v16, v17
	s_and_b64 s[4:5], vcc, s[4:5]
	v_cndmask_b32_e64 v13, 0, 1, s[4:5]
	v_cmp_gt_u32_e32 vcc, s40, v21
	v_cmp_ne_u32_e64 s[4:5], v5, v16
	s_and_b64 s[4:5], vcc, s[4:5]
	v_cndmask_b32_e64 v30, 0, 1, s[4:5]
	;; [unrolled: 4-line block ×9, first 2 shown]
	s_waitcnt vmcnt(0) lgkmcnt(0)
	v_cmp_ne_u32_e64 s[4:5], v10, v6
	v_lshlrev_b16_e32 v10, 8, v18
	v_or_b32_sdwa v10, v32, v10 dst_sel:WORD_1 dst_unused:UNUSED_PAD src0_sel:DWORD src1_sel:DWORD
	v_lshlrev_b16_e32 v18, 8, v33
	v_or_b32_e32 v18, v18, v10
	v_lshlrev_b16_e32 v10, 8, v19
	v_lshlrev_b16_e32 v11, 8, v11
	v_cmp_gt_u32_e32 vcc, s40, v28
	v_or_b32_e32 v10, v31, v10
	v_or_b32_sdwa v11, v12, v11 dst_sel:WORD_1 dst_unused:UNUSED_PAD src0_sel:DWORD src1_sel:DWORD
	s_and_b64 s[4:5], vcc, s[4:5]
	v_or_b32_sdwa v19, v10, v11 dst_sel:DWORD dst_unused:UNUSED_PAD src0_sel:WORD_0 src1_sel:DWORD
.LBB436_39:
	s_mov_b64 s[38:39], -1
	s_cbranch_execnz .LBB436_34
.LBB436_40:
	s_movk_i32 s4, 0xffdc
	v_mad_i32_i24 v31, v0, s4, v1
	s_and_b64 vcc, exec, s[26:27]
	v_cmp_ne_u32_e64 s[4:5], v16, v17
	v_cmp_ne_u32_e64 s[6:7], v5, v16
	;; [unrolled: 1-line block ×9, first 2 shown]
	ds_write_b32 v31, v17
	s_cbranch_vccz .LBB436_44
; %bb.41:
	s_waitcnt vmcnt(0)
	v_cndmask_b32_e64 v10, 0, 1, s[8:9]
	v_cndmask_b32_e64 v12, 0, 1, s[12:13]
	;; [unrolled: 1-line block ×4, first 2 shown]
	v_lshlrev_b16_e32 v12, 8, v12
	v_lshlrev_b16_e32 v10, 8, v10
	v_cndmask_b32_e64 v13, 0, 1, s[4:5]
	v_or_b32_e32 v12, v18, v12
	v_or_b32_sdwa v10, v11, v10 dst_sel:WORD_1 dst_unused:UNUSED_PAD src0_sel:DWORD src1_sel:DWORD
	v_cndmask_b32_e64 v30, 0, 1, s[6:7]
	v_or_b32_sdwa v19, v12, v10 dst_sel:DWORD dst_unused:UNUSED_PAD src0_sel:WORD_0 src1_sel:DWORD
	v_lshlrev_b16_e32 v10, 8, v13
	v_cndmask_b32_e64 v32, 0, 1, s[16:17]
	v_cndmask_b32_e64 v34, 0, 1, s[20:21]
	v_or_b32_e32 v10, v30, v10
	v_cndmask_b32_e64 v33, 0, 1, s[18:19]
	v_and_b32_e32 v12, 0xffff, v10
	v_lshlrev_b16_e32 v10, 8, v32
	v_lshlrev_b16_e32 v11, 8, v34
	v_or_b32_sdwa v10, v33, v10 dst_sel:WORD_1 dst_unused:UNUSED_PAD src0_sel:DWORD src1_sel:DWORD
	v_or_b32_e32 v11, 1, v11
	v_or_b32_sdwa v18, v11, v10 dst_sel:DWORD dst_unused:UNUSED_PAD src0_sel:WORD_0 src1_sel:DWORD
	s_waitcnt lgkmcnt(0)
	s_barrier
	s_waitcnt lgkmcnt(0)
                                        ; implicit-def: $sgpr4_sgpr5
	s_and_saveexec_b64 s[6:7], s[2:3]
	s_xor_b64 s[6:7], exec, s[6:7]
	s_cbranch_execz .LBB436_43
; %bb.42:
	v_add_u32_e32 v10, -4, v31
	ds_read_b32 v10, v10
	s_or_b64 s[38:39], s[38:39], exec
	s_waitcnt lgkmcnt(0)
	v_cmp_ne_u32_e32 vcc, v10, v6
	s_and_b64 s[4:5], vcc, exec
                                        ; implicit-def: $vgpr10_vgpr11_vgpr12
.LBB436_43:
	s_or_b64 exec, exec, s[6:7]
	s_branch .LBB436_47
.LBB436_44:
                                        ; implicit-def: $sgpr4_sgpr5
                                        ; implicit-def: $vgpr13
                                        ; implicit-def: $vgpr30
                                        ; implicit-def: $vgpr19
                                        ; implicit-def: $vgpr10_vgpr11_vgpr12
	s_cbranch_execz .LBB436_47
; %bb.45:
	v_cmp_gt_u32_e32 vcc, s40, v20
	v_cmp_ne_u32_e64 s[4:5], v16, v17
	s_and_b64 s[4:5], vcc, s[4:5]
	v_cndmask_b32_e64 v13, 0, 1, s[4:5]
	v_cmp_gt_u32_e32 vcc, s40, v21
	v_cmp_ne_u32_e64 s[4:5], v5, v16
	s_and_b64 s[4:5], vcc, s[4:5]
	v_cndmask_b32_e64 v30, 0, 1, s[4:5]
	v_cmp_gt_u32_e32 vcc, s40, v22
	v_cmp_ne_u32_e64 s[4:5], v4, v5
	s_and_b64 s[4:5], vcc, s[4:5]
	s_waitcnt vmcnt(0)
	v_cndmask_b32_e64 v10, 0, 1, s[4:5]
	v_cmp_gt_u32_e32 vcc, s40, v23
	v_cmp_ne_u32_e64 s[4:5], v3, v4
	s_and_b64 s[4:5], vcc, s[4:5]
	v_cndmask_b32_e64 v11, 0, 1, s[4:5]
	v_cmp_gt_u32_e32 vcc, s40, v24
	v_cmp_ne_u32_e64 s[4:5], v2, v3
	s_and_b64 s[4:5], vcc, s[4:5]
	;; [unrolled: 4-line block ×5, first 2 shown]
	v_lshlrev_b16_e32 v12, 8, v12
	v_lshlrev_b16_e32 v10, 8, v10
	v_cndmask_b32_e64 v33, 0, 1, s[4:5]
	v_cmp_gt_u32_e32 vcc, s40, v29
	v_cmp_ne_u32_e64 s[4:5], v6, v7
	v_or_b32_e32 v12, v18, v12
	v_or_b32_sdwa v10, v11, v10 dst_sel:WORD_1 dst_unused:UNUSED_PAD src0_sel:DWORD src1_sel:DWORD
	s_and_b64 s[4:5], vcc, s[4:5]
	v_or_b32_sdwa v19, v12, v10 dst_sel:DWORD dst_unused:UNUSED_PAD src0_sel:WORD_0 src1_sel:DWORD
	v_lshlrev_b16_e32 v10, 8, v13
	v_cndmask_b32_e64 v34, 0, 1, s[4:5]
	v_or_b32_e32 v10, v30, v10
	v_and_b32_e32 v12, 0xffff, v10
	v_lshlrev_b16_e32 v10, 8, v32
	v_lshlrev_b16_e32 v11, 8, v34
	v_or_b32_sdwa v10, v33, v10 dst_sel:WORD_1 dst_unused:UNUSED_PAD src0_sel:DWORD src1_sel:DWORD
	v_or_b32_e32 v11, 1, v11
	v_or_b32_sdwa v18, v11, v10 dst_sel:DWORD dst_unused:UNUSED_PAD src0_sel:WORD_0 src1_sel:DWORD
	s_waitcnt lgkmcnt(0)
	s_barrier
	s_waitcnt lgkmcnt(0)
                                        ; implicit-def: $sgpr4_sgpr5
	s_and_saveexec_b64 s[6:7], s[2:3]
	s_cbranch_execz .LBB436_160
; %bb.46:
	v_add_u32_e32 v10, -4, v31
	ds_read_b32 v10, v10
	v_cmp_gt_u32_e32 vcc, s40, v28
	s_or_b64 s[38:39], s[38:39], exec
	s_waitcnt lgkmcnt(0)
	v_cmp_ne_u32_e64 s[2:3], v10, v6
	s_and_b64 s[2:3], vcc, s[2:3]
	s_and_b64 s[4:5], s[2:3], exec
                                        ; implicit-def: $vgpr10_vgpr11_vgpr12
	s_or_b64 exec, exec, s[6:7]
.LBB436_47:
	s_and_saveexec_b64 s[2:3], s[38:39]
	s_cbranch_execz .LBB436_49
.LBB436_48:
	v_lshlrev_b16_e32 v11, 8, v13
	v_or_b32_sdwa v11, v30, v11 dst_sel:DWORD dst_unused:UNUSED_PAD src0_sel:BYTE_0 src1_sel:DWORD
	s_waitcnt vmcnt(0)
	v_cndmask_b32_e64 v10, 0, 1, s[4:5]
	s_movk_i32 s4, 0xff
	v_and_b32_e32 v12, 0xffff, v11
	v_lshrrev_b32_e32 v11, 24, v18
	v_lshlrev_b16_e32 v11, 8, v11
	v_and_b32_sdwa v13, v18, s4 dst_sel:DWORD dst_unused:UNUSED_PAD src0_sel:WORD_1 src1_sel:DWORD
	v_or_b32_sdwa v11, v13, v11 dst_sel:WORD_1 dst_unused:UNUSED_PAD src0_sel:DWORD src1_sel:DWORD
	v_mov_b32_e32 v13, 8
	v_lshrrev_b32_sdwa v13, v13, v18 dst_sel:BYTE_1 dst_unused:UNUSED_PAD src0_sel:DWORD src1_sel:DWORD
	v_or_b32_e32 v10, v10, v13
	v_or_b32_sdwa v18, v10, v11 dst_sel:DWORD dst_unused:UNUSED_PAD src0_sel:WORD_0 src1_sel:DWORD
.LBB436_49:
	s_or_b64 exec, exec, s[2:3]
	s_andn2_b64 vcc, exec, s[34:35]
	s_cbranch_vccnz .LBB436_51
; %bb.50:
	v_and_b32_e32 v11, 0xffff0000, v18
	v_cmp_gt_u32_e32 vcc, s40, v28
	v_cndmask_b32_e32 v11, v11, v18, vcc
	v_and_b32_e32 v11, 0xffff00ff, v11
	v_cmp_gt_u32_e32 vcc, s40, v29
	v_cndmask_b32_e32 v11, v11, v18, vcc
	v_lshrrev_b32_e32 v13, 24, v11
	s_mov_b32 s2, 0x40c0100
	v_perm_b32 v11, v13, v11, s2
	v_cmp_gt_u32_e32 vcc, s40, v27
	v_cndmask_b32_e32 v11, v11, v18, vcc
	v_and_b32_e32 v11, 0xffffff, v11
	v_cmp_gt_u32_e32 vcc, s40, v26
	v_cndmask_b32_e32 v11, v11, v18, vcc
	v_and_b32_e32 v13, 0xffffff00, v19
	;; [unrolled: 3-line block ×3, first 2 shown]
	v_cndmask_b32_e32 v11, v11, v18, vcc
	v_cmp_gt_u32_e32 vcc, s40, v24
	v_cndmask_b32_e32 v13, v13, v19, vcc
	v_lshrrev_b32_e32 v24, 24, v13
	s_waitcnt vmcnt(0)
	v_and_b32_e32 v10, 0xffff0000, v12
	v_cndmask_b32_e32 v11, v11, v18, vcc
	v_perm_b32 v13, v24, v13, s2
	v_cmp_gt_u32_e32 vcc, s40, v23
	v_cmp_gt_u32_e64 s[2:3], s40, v21
	v_cmp_gt_u32_e64 s[4:5], s40, v20
	v_cndmask_b32_e32 v13, v13, v19, vcc
	v_cndmask_b32_e32 v11, v11, v18, vcc
	v_cmp_gt_u32_e32 vcc, s40, v22
	v_cndmask_b32_e64 v10, v10, v12, s[2:3]
	s_or_b64 s[2:3], s[4:5], s[2:3]
	s_or_b64 vcc, s[2:3], vcc
	v_and_b32_e32 v10, 0xffff00ff, v10
	v_cndmask_b32_e32 v11, v11, v18, vcc
	s_mov_b32 s2, 0x3020104
	v_cndmask_b32_e64 v10, v10, v12, s[4:5]
	v_perm_b32 v18, v11, v11, s2
	v_mov_b32_e32 v11, 8
	v_lshrrev_b32_sdwa v11, v11, v10 dst_sel:BYTE_1 dst_unused:UNUSED_PAD src0_sel:DWORD src1_sel:DWORD
	v_and_b32_e32 v13, 0xffffff, v13
	v_or_b32_sdwa v10, v10, v11 dst_sel:DWORD dst_unused:UNUSED_PAD src0_sel:BYTE_0 src1_sel:DWORD
	v_cndmask_b32_e32 v19, v13, v19, vcc
	v_and_b32_e32 v12, 0xffff, v10
.LBB436_51:
	s_waitcnt vmcnt(0)
	v_alignbit_b32 v10, v19, v18, 24
	v_bfe_u32 v29, v18, 16, 8
	v_and_b32_e32 v31, 0xff, v10
	v_add_u32_sdwa v11, v18, v18 dst_sel:DWORD dst_unused:UNUSED_PAD src0_sel:BYTE_1 src1_sel:BYTE_0
	v_and_b32_e32 v33, 0xff, v19
	v_bfe_u32 v35, v19, 8, 8
	v_add3_u32 v11, v11, v29, v31
	v_bfe_u32 v37, v19, 16, 8
	v_lshrrev_b32_e32 v13, 24, v19
	v_add3_u32 v11, v11, v33, v35
	v_and_b32_e32 v39, 0xff, v12
	v_bfe_u32 v10, v12, 8, 8
	v_add3_u32 v11, v11, v37, v13
	v_add3_u32 v44, v11, v39, v10
	v_mbcnt_lo_u32_b32 v10, -1, 0
	v_mbcnt_hi_u32_b32 v41, -1, v10
	v_and_b32_e32 v10, 15, v41
	v_cmp_eq_u32_e64 s[14:15], 0, v10
	v_cmp_lt_u32_e64 s[12:13], 1, v10
	v_cmp_lt_u32_e64 s[10:11], 3, v10
	;; [unrolled: 1-line block ×3, first 2 shown]
	v_and_b32_e32 v10, 16, v41
	v_cmp_eq_u32_e64 s[6:7], 0, v10
	v_or_b32_e32 v10, 63, v0
	v_cmp_lt_u32_e64 s[2:3], 31, v41
	v_lshrrev_b32_e32 v43, 6, v0
	v_cmp_eq_u32_e64 s[4:5], v10, v0
	s_and_b64 vcc, exec, s[36:37]
	s_waitcnt lgkmcnt(0)
	s_barrier
	s_cbranch_vccz .LBB436_78
; %bb.52:
	v_mov_b32_dpp v10, v44 row_shr:1 row_mask:0xf bank_mask:0xf
	v_cndmask_b32_e64 v10, v10, 0, s[14:15]
	v_add_u32_e32 v10, v10, v44
	s_nop 1
	v_mov_b32_dpp v11, v10 row_shr:2 row_mask:0xf bank_mask:0xf
	v_cndmask_b32_e64 v11, 0, v11, s[12:13]
	v_add_u32_e32 v10, v10, v11
	s_nop 1
	;; [unrolled: 4-line block ×4, first 2 shown]
	v_mov_b32_dpp v11, v10 row_bcast:15 row_mask:0xf bank_mask:0xf
	v_cndmask_b32_e64 v11, v11, 0, s[6:7]
	v_add_u32_e32 v10, v10, v11
	s_nop 1
	v_mov_b32_dpp v11, v10 row_bcast:31 row_mask:0xf bank_mask:0xf
	v_cndmask_b32_e64 v11, 0, v11, s[2:3]
	v_add_u32_e32 v10, v10, v11
	s_and_saveexec_b64 s[16:17], s[4:5]
	s_cbranch_execz .LBB436_54
; %bb.53:
	v_lshlrev_b32_e32 v11, 2, v43
	ds_write_b32 v11, v10
.LBB436_54:
	s_or_b64 exec, exec, s[16:17]
	v_cmp_gt_u32_e32 vcc, 4, v0
	s_waitcnt lgkmcnt(0)
	s_barrier
	s_and_saveexec_b64 s[16:17], vcc
	s_cbranch_execz .LBB436_56
; %bb.55:
	v_lshlrev_b32_e32 v11, 2, v0
	ds_read_b32 v20, v11
	v_and_b32_e32 v21, 3, v41
	v_cmp_ne_u32_e32 vcc, 0, v21
	s_waitcnt lgkmcnt(0)
	v_mov_b32_dpp v22, v20 row_shr:1 row_mask:0xf bank_mask:0xf
	v_cndmask_b32_e32 v22, 0, v22, vcc
	v_add_u32_e32 v20, v22, v20
	v_cmp_lt_u32_e32 vcc, 1, v21
	s_nop 0
	v_mov_b32_dpp v22, v20 row_shr:2 row_mask:0xf bank_mask:0xf
	v_cndmask_b32_e32 v21, 0, v22, vcc
	v_add_u32_e32 v20, v20, v21
	ds_write_b32 v11, v20
.LBB436_56:
	s_or_b64 exec, exec, s[16:17]
	v_cmp_gt_u32_e32 vcc, 64, v0
	v_cmp_lt_u32_e64 s[16:17], 63, v0
	s_waitcnt lgkmcnt(0)
	s_barrier
	s_waitcnt lgkmcnt(0)
                                        ; implicit-def: $vgpr28
	s_and_saveexec_b64 s[18:19], s[16:17]
	s_cbranch_execz .LBB436_58
; %bb.57:
	v_lshl_add_u32 v11, v43, 2, -4
	ds_read_b32 v28, v11
	s_waitcnt lgkmcnt(0)
	v_add_u32_e32 v10, v28, v10
.LBB436_58:
	s_or_b64 exec, exec, s[18:19]
	v_add_u32_e32 v11, -1, v41
	v_and_b32_e32 v20, 64, v41
	v_cmp_lt_i32_e64 s[16:17], v11, v20
	v_cndmask_b32_e64 v11, v11, v41, s[16:17]
	v_lshlrev_b32_e32 v11, 2, v11
	ds_bpermute_b32 v30, v11, v10
	v_cmp_eq_u32_e64 s[16:17], 0, v41
	s_and_saveexec_b64 s[18:19], vcc
	s_cbranch_execz .LBB436_77
; %bb.59:
	v_mov_b32_e32 v25, 0
	ds_read_b32 v10, v25 offset:12
	s_and_saveexec_b64 s[20:21], s[16:17]
	s_cbranch_execz .LBB436_61
; %bb.60:
	s_add_i32 s34, s33, 64
	s_mov_b32 s35, 0
	s_lshl_b64 s[34:35], s[34:35], 3
	s_add_u32 s34, s30, s34
	v_mov_b32_e32 v11, 1
	s_addc_u32 s35, s31, s35
	s_waitcnt lgkmcnt(0)
	global_store_dwordx2 v25, v[10:11], s[34:35]
.LBB436_61:
	s_or_b64 exec, exec, s[20:21]
	v_xad_u32 v20, v41, -1, s33
	v_add_u32_e32 v24, 64, v20
	v_lshlrev_b64 v[22:23], 3, v[24:25]
	v_mov_b32_e32 v11, s31
	v_add_co_u32_e32 v26, vcc, s30, v22
	v_addc_co_u32_e32 v27, vcc, v11, v23, vcc
	global_load_dwordx2 v[22:23], v[26:27], off glc
	s_waitcnt vmcnt(0)
	v_cmp_eq_u16_sdwa s[34:35], v23, v25 src0_sel:BYTE_0 src1_sel:DWORD
	s_and_saveexec_b64 s[20:21], s[34:35]
	s_cbranch_execz .LBB436_65
; %bb.62:
	s_mov_b64 s[34:35], 0
	v_mov_b32_e32 v11, 0
.LBB436_63:                             ; =>This Inner Loop Header: Depth=1
	global_load_dwordx2 v[22:23], v[26:27], off glc
	s_waitcnt vmcnt(0)
	v_cmp_ne_u16_sdwa s[36:37], v23, v11 src0_sel:BYTE_0 src1_sel:DWORD
	s_or_b64 s[34:35], s[36:37], s[34:35]
	s_andn2_b64 exec, exec, s[34:35]
	s_cbranch_execnz .LBB436_63
; %bb.64:
	s_or_b64 exec, exec, s[34:35]
.LBB436_65:
	s_or_b64 exec, exec, s[20:21]
	v_and_b32_e32 v34, 63, v41
	v_mov_b32_e32 v32, 2
	v_cmp_ne_u32_e32 vcc, 63, v34
	v_cmp_eq_u16_sdwa s[20:21], v23, v32 src0_sel:BYTE_0 src1_sel:DWORD
	v_lshlrev_b64 v[24:25], v41, -1
	v_addc_co_u32_e32 v26, vcc, 0, v41, vcc
	v_and_b32_e32 v11, s21, v25
	v_lshlrev_b32_e32 v36, 2, v26
	v_or_b32_e32 v11, 0x80000000, v11
	ds_bpermute_b32 v26, v36, v22
	v_and_b32_e32 v21, s20, v24
	v_ffbl_b32_e32 v11, v11
	v_add_u32_e32 v11, 32, v11
	v_ffbl_b32_e32 v21, v21
	v_min_u32_e32 v11, v21, v11
	v_cmp_lt_u32_e32 vcc, v34, v11
	s_waitcnt lgkmcnt(0)
	v_cndmask_b32_e32 v21, 0, v26, vcc
	v_cmp_gt_u32_e32 vcc, 62, v34
	v_add_u32_e32 v21, v21, v22
	v_cndmask_b32_e64 v22, 0, 1, vcc
	v_lshlrev_b32_e32 v22, 1, v22
	v_add_lshl_u32 v38, v22, v41, 2
	ds_bpermute_b32 v22, v38, v21
	v_add_u32_e32 v40, 2, v34
	v_cmp_le_u32_e32 vcc, v40, v11
	v_add_u32_e32 v45, 4, v34
	v_add_u32_e32 v47, 8, v34
	s_waitcnt lgkmcnt(0)
	v_cndmask_b32_e32 v22, 0, v22, vcc
	v_cmp_gt_u32_e32 vcc, 60, v34
	v_add_u32_e32 v21, v21, v22
	v_cndmask_b32_e64 v22, 0, 1, vcc
	v_lshlrev_b32_e32 v22, 2, v22
	v_add_lshl_u32 v42, v22, v41, 2
	ds_bpermute_b32 v22, v42, v21
	v_cmp_le_u32_e32 vcc, v45, v11
	v_add_u32_e32 v49, 16, v34
	v_add_u32_e32 v51, 32, v34
	s_waitcnt lgkmcnt(0)
	v_cndmask_b32_e32 v22, 0, v22, vcc
	v_cmp_gt_u32_e32 vcc, 56, v34
	v_add_u32_e32 v21, v21, v22
	v_cndmask_b32_e64 v22, 0, 1, vcc
	v_lshlrev_b32_e32 v22, 3, v22
	v_add_lshl_u32 v46, v22, v41, 2
	ds_bpermute_b32 v22, v46, v21
	v_cmp_le_u32_e32 vcc, v47, v11
	s_waitcnt lgkmcnt(0)
	v_cndmask_b32_e32 v22, 0, v22, vcc
	v_cmp_gt_u32_e32 vcc, 48, v34
	v_add_u32_e32 v21, v21, v22
	v_cndmask_b32_e64 v22, 0, 1, vcc
	v_lshlrev_b32_e32 v22, 4, v22
	v_add_lshl_u32 v48, v22, v41, 2
	ds_bpermute_b32 v22, v48, v21
	v_cmp_le_u32_e32 vcc, v49, v11
	;; [unrolled: 9-line block ×3, first 2 shown]
	s_waitcnt lgkmcnt(0)
	v_cndmask_b32_e32 v11, 0, v22, vcc
	v_add_u32_e32 v22, v21, v11
	v_mov_b32_e32 v21, 0
	s_branch .LBB436_67
.LBB436_66:                             ;   in Loop: Header=BB436_67 Depth=1
	s_or_b64 exec, exec, s[20:21]
	v_cmp_eq_u16_sdwa s[20:21], v23, v32 src0_sel:BYTE_0 src1_sel:DWORD
	v_and_b32_e32 v26, s21, v25
	v_or_b32_e32 v26, 0x80000000, v26
	ds_bpermute_b32 v52, v36, v22
	v_and_b32_e32 v27, s20, v24
	v_ffbl_b32_e32 v26, v26
	v_add_u32_e32 v26, 32, v26
	v_ffbl_b32_e32 v27, v27
	v_min_u32_e32 v26, v27, v26
	v_cmp_lt_u32_e32 vcc, v34, v26
	s_waitcnt lgkmcnt(0)
	v_cndmask_b32_e32 v27, 0, v52, vcc
	v_add_u32_e32 v22, v27, v22
	ds_bpermute_b32 v27, v38, v22
	v_cmp_le_u32_e32 vcc, v40, v26
	v_subrev_u32_e32 v20, 64, v20
	s_waitcnt lgkmcnt(0)
	v_cndmask_b32_e32 v27, 0, v27, vcc
	v_add_u32_e32 v22, v22, v27
	ds_bpermute_b32 v27, v42, v22
	v_cmp_le_u32_e32 vcc, v45, v26
	s_waitcnt lgkmcnt(0)
	v_cndmask_b32_e32 v27, 0, v27, vcc
	v_add_u32_e32 v22, v22, v27
	ds_bpermute_b32 v27, v46, v22
	v_cmp_le_u32_e32 vcc, v47, v26
	;; [unrolled: 5-line block ×4, first 2 shown]
	s_waitcnt lgkmcnt(0)
	v_cndmask_b32_e32 v26, 0, v27, vcc
	v_add3_u32 v22, v26, v11, v22
.LBB436_67:                             ; =>This Loop Header: Depth=1
                                        ;     Child Loop BB436_70 Depth 2
	v_cmp_ne_u16_sdwa s[20:21], v23, v32 src0_sel:BYTE_0 src1_sel:DWORD
	v_cndmask_b32_e64 v11, 0, 1, s[20:21]
	;;#ASMSTART
	;;#ASMEND
	v_cmp_ne_u32_e32 vcc, 0, v11
	s_cmp_lg_u64 vcc, exec
	v_mov_b32_e32 v11, v22
	s_cbranch_scc1 .LBB436_72
; %bb.68:                               ;   in Loop: Header=BB436_67 Depth=1
	v_lshlrev_b64 v[22:23], 3, v[20:21]
	v_mov_b32_e32 v27, s31
	v_add_co_u32_e32 v26, vcc, s30, v22
	v_addc_co_u32_e32 v27, vcc, v27, v23, vcc
	global_load_dwordx2 v[22:23], v[26:27], off glc
	s_waitcnt vmcnt(0)
	v_cmp_eq_u16_sdwa s[34:35], v23, v21 src0_sel:BYTE_0 src1_sel:DWORD
	s_and_saveexec_b64 s[20:21], s[34:35]
	s_cbranch_execz .LBB436_66
; %bb.69:                               ;   in Loop: Header=BB436_67 Depth=1
	s_mov_b64 s[34:35], 0
.LBB436_70:                             ;   Parent Loop BB436_67 Depth=1
                                        ; =>  This Inner Loop Header: Depth=2
	global_load_dwordx2 v[22:23], v[26:27], off glc
	s_waitcnt vmcnt(0)
	v_cmp_ne_u16_sdwa s[36:37], v23, v21 src0_sel:BYTE_0 src1_sel:DWORD
	s_or_b64 s[34:35], s[36:37], s[34:35]
	s_andn2_b64 exec, exec, s[34:35]
	s_cbranch_execnz .LBB436_70
; %bb.71:                               ;   in Loop: Header=BB436_67 Depth=1
	s_or_b64 exec, exec, s[34:35]
	s_branch .LBB436_66
.LBB436_72:                             ;   in Loop: Header=BB436_67 Depth=1
                                        ; implicit-def: $vgpr22
                                        ; implicit-def: $vgpr23
	s_cbranch_execz .LBB436_67
; %bb.73:
	s_and_saveexec_b64 s[20:21], s[16:17]
	s_cbranch_execz .LBB436_75
; %bb.74:
	s_add_i32 s34, s33, 64
	s_mov_b32 s35, 0
	s_lshl_b64 s[34:35], s[34:35], 3
	s_add_u32 s34, s30, s34
	v_add_u32_e32 v20, v11, v10
	v_mov_b32_e32 v21, 2
	s_addc_u32 s35, s31, s35
	v_mov_b32_e32 v22, 0
	global_store_dwordx2 v22, v[20:21], s[34:35]
	ds_write_b64 v22, v[10:11] offset:10240
.LBB436_75:
	s_or_b64 exec, exec, s[20:21]
	s_and_b64 exec, exec, s[0:1]
	s_cbranch_execz .LBB436_77
; %bb.76:
	v_mov_b32_e32 v10, 0
	ds_write_b32 v10, v11 offset:12
.LBB436_77:
	s_or_b64 exec, exec, s[18:19]
	v_mov_b32_e32 v10, 0
	s_waitcnt lgkmcnt(0)
	s_barrier
	ds_read_b32 v11, v10 offset:12
	v_cndmask_b32_e64 v20, v30, v28, s[16:17]
	v_cndmask_b32_e64 v20, v20, 0, s[0:1]
	s_waitcnt lgkmcnt(0)
	s_barrier
	v_add_u32_e32 v42, v11, v20
	v_add_u32_sdwa v40, v42, v18 dst_sel:DWORD dst_unused:UNUSED_PAD src0_sel:DWORD src1_sel:BYTE_0
	v_add_u32_sdwa v38, v40, v18 dst_sel:DWORD dst_unused:UNUSED_PAD src0_sel:DWORD src1_sel:BYTE_1
	v_add_u32_e32 v36, v38, v29
	v_add_u32_e32 v34, v36, v31
	ds_read_b64 v[10:11], v10 offset:10240
	v_add_u32_e32 v32, v34, v33
	v_add_u32_e32 v30, v32, v35
	;; [unrolled: 1-line block ×5, first 2 shown]
	s_waitcnt lgkmcnt(0)
	v_mov_b32_e32 v20, v11
	v_lshrrev_b64 v[26:27], 24, v[18:19]
	s_branch .LBB436_88
.LBB436_78:
                                        ; implicit-def: $vgpr20
                                        ; implicit-def: $vgpr10
                                        ; implicit-def: $vgpr22
                                        ; implicit-def: $vgpr24
                                        ; implicit-def: $vgpr28
                                        ; implicit-def: $vgpr30
                                        ; implicit-def: $vgpr32
                                        ; implicit-def: $vgpr34
                                        ; implicit-def: $vgpr36
                                        ; implicit-def: $vgpr38
                                        ; implicit-def: $vgpr40
                                        ; implicit-def: $vgpr42
	v_lshrrev_b64 v[26:27], 24, v[18:19]
	s_cbranch_execz .LBB436_88
; %bb.79:
	v_mov_b32_dpp v10, v44 row_shr:1 row_mask:0xf bank_mask:0xf
	v_cndmask_b32_e64 v10, v10, 0, s[14:15]
	v_add_u32_e32 v10, v10, v44
	s_nop 1
	v_mov_b32_dpp v11, v10 row_shr:2 row_mask:0xf bank_mask:0xf
	v_cndmask_b32_e64 v11, 0, v11, s[12:13]
	v_add_u32_e32 v10, v10, v11
	s_nop 1
	;; [unrolled: 4-line block ×4, first 2 shown]
	v_mov_b32_dpp v11, v10 row_bcast:15 row_mask:0xf bank_mask:0xf
	v_cndmask_b32_e64 v11, v11, 0, s[6:7]
	v_add_u32_e32 v10, v10, v11
	s_nop 1
	v_mov_b32_dpp v11, v10 row_bcast:31 row_mask:0xf bank_mask:0xf
	v_cndmask_b32_e64 v11, 0, v11, s[2:3]
	v_add_u32_e32 v10, v10, v11
	s_and_saveexec_b64 s[2:3], s[4:5]
	s_cbranch_execz .LBB436_81
; %bb.80:
	v_lshlrev_b32_e32 v11, 2, v43
	ds_write_b32 v11, v10
.LBB436_81:
	s_or_b64 exec, exec, s[2:3]
	v_cmp_gt_u32_e32 vcc, 4, v0
	s_waitcnt lgkmcnt(0)
	s_barrier
	s_and_saveexec_b64 s[2:3], vcc
	s_cbranch_execz .LBB436_83
; %bb.82:
	s_movk_i32 s4, 0xffdc
	v_mad_i32_i24 v1, v0, s4, v1
	ds_read_b32 v11, v1
	v_and_b32_e32 v20, 3, v41
	v_cmp_ne_u32_e32 vcc, 0, v20
	s_waitcnt lgkmcnt(0)
	v_mov_b32_dpp v21, v11 row_shr:1 row_mask:0xf bank_mask:0xf
	v_cndmask_b32_e32 v21, 0, v21, vcc
	v_add_u32_e32 v11, v21, v11
	v_cmp_lt_u32_e32 vcc, 1, v20
	s_nop 0
	v_mov_b32_dpp v21, v11 row_shr:2 row_mask:0xf bank_mask:0xf
	v_cndmask_b32_e32 v20, 0, v21, vcc
	v_add_u32_e32 v11, v11, v20
	ds_write_b32 v1, v11
.LBB436_83:
	s_or_b64 exec, exec, s[2:3]
	v_cmp_lt_u32_e32 vcc, 63, v0
	v_mov_b32_e32 v11, 0
	v_mov_b32_e32 v1, 0
	s_waitcnt lgkmcnt(0)
	s_barrier
	s_and_saveexec_b64 s[2:3], vcc
	s_cbranch_execz .LBB436_85
; %bb.84:
	v_lshl_add_u32 v1, v43, 2, -4
	ds_read_b32 v1, v1
.LBB436_85:
	s_or_b64 exec, exec, s[2:3]
	v_add_u32_e32 v20, -1, v41
	v_and_b32_e32 v21, 64, v41
	v_cmp_lt_i32_e32 vcc, v20, v21
	v_cndmask_b32_e32 v20, v20, v41, vcc
	s_waitcnt lgkmcnt(0)
	v_add_u32_e32 v10, v1, v10
	v_lshlrev_b32_e32 v20, 2, v20
	ds_bpermute_b32 v20, v20, v10
	ds_read_b32 v10, v11 offset:12
	s_and_saveexec_b64 s[2:3], s[0:1]
	s_cbranch_execz .LBB436_87
; %bb.86:
	v_mov_b32_e32 v21, 0
	v_mov_b32_e32 v11, 2
	s_waitcnt lgkmcnt(0)
	global_store_dwordx2 v21, v[10:11], s[30:31] offset:512
.LBB436_87:
	s_or_b64 exec, exec, s[2:3]
	v_cmp_eq_u32_e32 vcc, 0, v41
	s_waitcnt lgkmcnt(1)
	v_cndmask_b32_e32 v1, v20, v1, vcc
	v_cndmask_b32_e64 v42, v1, 0, s[0:1]
	v_add_u32_sdwa v40, v42, v18 dst_sel:DWORD dst_unused:UNUSED_PAD src0_sel:DWORD src1_sel:BYTE_0
	v_add_u32_sdwa v38, v40, v18 dst_sel:DWORD dst_unused:UNUSED_PAD src0_sel:DWORD src1_sel:BYTE_1
	v_add_u32_e32 v36, v38, v29
	v_add_u32_e32 v34, v36, v31
	;; [unrolled: 1-line block ×6, first 2 shown]
	v_mov_b32_e32 v20, 0
	v_add_u32_e32 v22, v24, v39
	s_waitcnt lgkmcnt(0)
	s_barrier
.LBB436_88:
	s_movk_i32 s2, 0x101
	v_cmp_gt_u32_e32 vcc, s2, v10
	v_lshrrev_b32_e32 v21, 8, v18
	v_lshrrev_b32_e32 v11, 8, v19
	;; [unrolled: 1-line block ×3, first 2 shown]
	s_mov_b64 s[2:3], -1
	s_cbranch_vccnz .LBB436_92
; %bb.89:
	s_and_b64 vcc, exec, s[2:3]
	s_cbranch_vccnz .LBB436_123
.LBB436_90:
	s_and_b64 s[0:1], s[0:1], s[22:23]
	s_and_saveexec_b64 s[2:3], s[0:1]
	s_cbranch_execnz .LBB436_159
.LBB436_91:
	s_endpgm
.LBB436_92:
	v_lshlrev_b64 v[44:45], 2, v[14:15]
	v_mov_b32_e32 v25, s29
	v_add_co_u32_e32 v27, vcc, s28, v44
	v_add_u32_e32 v23, v20, v10
	v_addc_co_u32_e32 v44, vcc, v25, v45, vcc
	v_cmp_lt_u32_e32 vcc, v42, v23
	s_or_b64 s[4:5], s[26:27], vcc
	s_and_saveexec_b64 s[2:3], s[4:5]
	s_cbranch_execz .LBB436_95
; %bb.93:
	v_and_b32_e32 v25, 1, v18
	v_cmp_eq_u32_e32 vcc, 1, v25
	s_and_b64 exec, exec, vcc
	s_cbranch_execz .LBB436_95
; %bb.94:
	v_mov_b32_e32 v43, 0
	v_lshlrev_b64 v[46:47], 2, v[42:43]
	v_add_co_u32_e32 v46, vcc, v27, v46
	v_addc_co_u32_e32 v47, vcc, v44, v47, vcc
	global_store_dword v[46:47], v6, off
.LBB436_95:
	s_or_b64 exec, exec, s[2:3]
	v_cmp_lt_u32_e32 vcc, v40, v23
	s_or_b64 s[4:5], s[26:27], vcc
	s_and_saveexec_b64 s[2:3], s[4:5]
	s_cbranch_execz .LBB436_98
; %bb.96:
	v_and_b32_e32 v25, 1, v21
	v_cmp_eq_u32_e32 vcc, 1, v25
	s_and_b64 exec, exec, vcc
	s_cbranch_execz .LBB436_98
; %bb.97:
	v_mov_b32_e32 v41, 0
	v_lshlrev_b64 v[46:47], 2, v[40:41]
	v_add_co_u32_e32 v46, vcc, v27, v46
	v_addc_co_u32_e32 v47, vcc, v44, v47, vcc
	global_store_dword v[46:47], v7, off
.LBB436_98:
	s_or_b64 exec, exec, s[2:3]
	v_cmp_lt_u32_e32 vcc, v38, v23
	s_or_b64 s[4:5], s[26:27], vcc
	s_and_saveexec_b64 s[2:3], s[4:5]
	s_cbranch_execz .LBB436_101
; %bb.99:
	v_mov_b32_e32 v25, 1
	v_and_b32_sdwa v25, v25, v18 dst_sel:DWORD dst_unused:UNUSED_PAD src0_sel:DWORD src1_sel:WORD_1
	v_cmp_eq_u32_e32 vcc, 1, v25
	s_and_b64 exec, exec, vcc
	s_cbranch_execz .LBB436_101
; %bb.100:
	v_mov_b32_e32 v39, 0
	v_lshlrev_b64 v[46:47], 2, v[38:39]
	v_add_co_u32_e32 v46, vcc, v27, v46
	v_addc_co_u32_e32 v47, vcc, v44, v47, vcc
	global_store_dword v[46:47], v8, off
.LBB436_101:
	s_or_b64 exec, exec, s[2:3]
	v_cmp_lt_u32_e32 vcc, v36, v23
	s_or_b64 s[4:5], s[26:27], vcc
	s_and_saveexec_b64 s[2:3], s[4:5]
	s_cbranch_execz .LBB436_104
; %bb.102:
	v_and_b32_e32 v25, 1, v26
	v_cmp_eq_u32_e32 vcc, 1, v25
	s_and_b64 exec, exec, vcc
	s_cbranch_execz .LBB436_104
; %bb.103:
	v_mov_b32_e32 v37, 0
	v_lshlrev_b64 v[46:47], 2, v[36:37]
	v_add_co_u32_e32 v46, vcc, v27, v46
	v_addc_co_u32_e32 v47, vcc, v44, v47, vcc
	global_store_dword v[46:47], v9, off
.LBB436_104:
	s_or_b64 exec, exec, s[2:3]
	v_cmp_lt_u32_e32 vcc, v34, v23
	s_or_b64 s[4:5], s[26:27], vcc
	s_and_saveexec_b64 s[2:3], s[4:5]
	s_cbranch_execz .LBB436_107
; %bb.105:
	v_and_b32_e32 v25, 1, v19
	v_cmp_eq_u32_e32 vcc, 1, v25
	s_and_b64 exec, exec, vcc
	s_cbranch_execz .LBB436_107
; %bb.106:
	v_mov_b32_e32 v35, 0
	v_lshlrev_b64 v[46:47], 2, v[34:35]
	v_add_co_u32_e32 v46, vcc, v27, v46
	v_addc_co_u32_e32 v47, vcc, v44, v47, vcc
	global_store_dword v[46:47], v2, off
.LBB436_107:
	;; [unrolled: 17-line block ×3, first 2 shown]
	s_or_b64 exec, exec, s[2:3]
	v_cmp_lt_u32_e32 vcc, v30, v23
	s_or_b64 s[4:5], s[26:27], vcc
	s_and_saveexec_b64 s[2:3], s[4:5]
	s_cbranch_execz .LBB436_113
; %bb.111:
	v_mov_b32_e32 v25, 1
	v_and_b32_sdwa v25, v25, v19 dst_sel:DWORD dst_unused:UNUSED_PAD src0_sel:DWORD src1_sel:WORD_1
	v_cmp_eq_u32_e32 vcc, 1, v25
	s_and_b64 exec, exec, vcc
	s_cbranch_execz .LBB436_113
; %bb.112:
	v_mov_b32_e32 v31, 0
	v_lshlrev_b64 v[46:47], 2, v[30:31]
	v_add_co_u32_e32 v46, vcc, v27, v46
	v_addc_co_u32_e32 v47, vcc, v44, v47, vcc
	global_store_dword v[46:47], v4, off
.LBB436_113:
	s_or_b64 exec, exec, s[2:3]
	v_cmp_lt_u32_e32 vcc, v28, v23
	s_or_b64 s[4:5], s[26:27], vcc
	s_and_saveexec_b64 s[2:3], s[4:5]
	s_cbranch_execz .LBB436_116
; %bb.114:
	v_and_b32_e32 v25, 1, v13
	v_cmp_eq_u32_e32 vcc, 1, v25
	s_and_b64 exec, exec, vcc
	s_cbranch_execz .LBB436_116
; %bb.115:
	v_mov_b32_e32 v29, 0
	v_lshlrev_b64 v[46:47], 2, v[28:29]
	v_add_co_u32_e32 v46, vcc, v27, v46
	v_addc_co_u32_e32 v47, vcc, v44, v47, vcc
	global_store_dword v[46:47], v5, off
.LBB436_116:
	s_or_b64 exec, exec, s[2:3]
	v_cmp_lt_u32_e32 vcc, v24, v23
	s_or_b64 s[4:5], s[26:27], vcc
	s_and_saveexec_b64 s[2:3], s[4:5]
	s_cbranch_execz .LBB436_119
; %bb.117:
	v_and_b32_e32 v25, 1, v12
	v_cmp_eq_u32_e32 vcc, 1, v25
	s_and_b64 exec, exec, vcc
	s_cbranch_execz .LBB436_119
; %bb.118:
	v_mov_b32_e32 v25, 0
	v_lshlrev_b64 v[46:47], 2, v[24:25]
	v_add_co_u32_e32 v46, vcc, v27, v46
	v_addc_co_u32_e32 v47, vcc, v44, v47, vcc
	global_store_dword v[46:47], v16, off
.LBB436_119:
	s_or_b64 exec, exec, s[2:3]
	v_cmp_lt_u32_e32 vcc, v22, v23
	s_or_b64 s[4:5], s[26:27], vcc
	s_and_saveexec_b64 s[2:3], s[4:5]
	s_cbranch_execz .LBB436_122
; %bb.120:
	v_and_b32_e32 v23, 1, v1
	v_cmp_eq_u32_e32 vcc, 1, v23
	s_and_b64 exec, exec, vcc
	s_cbranch_execz .LBB436_122
; %bb.121:
	v_mov_b32_e32 v23, 0
	v_lshlrev_b64 v[46:47], 2, v[22:23]
	v_add_co_u32_e32 v46, vcc, v27, v46
	v_addc_co_u32_e32 v47, vcc, v44, v47, vcc
	global_store_dword v[46:47], v17, off
.LBB436_122:
	s_or_b64 exec, exec, s[2:3]
	s_branch .LBB436_90
.LBB436_123:
	v_and_b32_e32 v23, 1, v18
	v_cmp_eq_u32_e32 vcc, 1, v23
	s_and_saveexec_b64 s[2:3], vcc
	s_cbranch_execz .LBB436_125
; %bb.124:
	v_sub_u32_e32 v23, v42, v20
	v_lshlrev_b32_e32 v23, 2, v23
	ds_write_b32 v23, v6
.LBB436_125:
	s_or_b64 exec, exec, s[2:3]
	v_and_b32_e32 v6, 1, v21
	v_cmp_eq_u32_e32 vcc, 1, v6
	s_and_saveexec_b64 s[2:3], vcc
	s_cbranch_execz .LBB436_127
; %bb.126:
	v_sub_u32_e32 v6, v40, v20
	v_lshlrev_b32_e32 v6, 2, v6
	ds_write_b32 v6, v7
.LBB436_127:
	s_or_b64 exec, exec, s[2:3]
	v_mov_b32_e32 v6, 1
	v_and_b32_sdwa v6, v6, v18 dst_sel:DWORD dst_unused:UNUSED_PAD src0_sel:DWORD src1_sel:WORD_1
	v_cmp_eq_u32_e32 vcc, 1, v6
	s_and_saveexec_b64 s[2:3], vcc
	s_cbranch_execz .LBB436_129
; %bb.128:
	v_sub_u32_e32 v6, v38, v20
	v_lshlrev_b32_e32 v6, 2, v6
	ds_write_b32 v6, v8
.LBB436_129:
	s_or_b64 exec, exec, s[2:3]
	v_and_b32_e32 v6, 1, v26
	v_cmp_eq_u32_e32 vcc, 1, v6
	s_and_saveexec_b64 s[2:3], vcc
	s_cbranch_execz .LBB436_131
; %bb.130:
	v_sub_u32_e32 v6, v36, v20
	v_lshlrev_b32_e32 v6, 2, v6
	ds_write_b32 v6, v9
.LBB436_131:
	s_or_b64 exec, exec, s[2:3]
	v_and_b32_e32 v6, 1, v19
	;; [unrolled: 10-line block ×3, first 2 shown]
	v_cmp_eq_u32_e32 vcc, 1, v2
	s_and_saveexec_b64 s[2:3], vcc
	s_cbranch_execz .LBB436_135
; %bb.134:
	v_sub_u32_e32 v2, v32, v20
	v_lshlrev_b32_e32 v2, 2, v2
	ds_write_b32 v2, v3
.LBB436_135:
	s_or_b64 exec, exec, s[2:3]
	v_mov_b32_e32 v2, 1
	v_and_b32_sdwa v2, v2, v19 dst_sel:DWORD dst_unused:UNUSED_PAD src0_sel:DWORD src1_sel:WORD_1
	v_cmp_eq_u32_e32 vcc, 1, v2
	s_and_saveexec_b64 s[2:3], vcc
	s_cbranch_execz .LBB436_137
; %bb.136:
	v_sub_u32_e32 v2, v30, v20
	v_lshlrev_b32_e32 v2, 2, v2
	ds_write_b32 v2, v4
.LBB436_137:
	s_or_b64 exec, exec, s[2:3]
	v_and_b32_e32 v2, 1, v13
	v_cmp_eq_u32_e32 vcc, 1, v2
	s_and_saveexec_b64 s[2:3], vcc
	s_cbranch_execz .LBB436_139
; %bb.138:
	v_sub_u32_e32 v2, v28, v20
	v_lshlrev_b32_e32 v2, 2, v2
	ds_write_b32 v2, v5
.LBB436_139:
	s_or_b64 exec, exec, s[2:3]
	v_and_b32_e32 v2, 1, v12
	;; [unrolled: 10-line block ×3, first 2 shown]
	v_cmp_eq_u32_e32 vcc, 1, v1
	s_and_saveexec_b64 s[2:3], vcc
	s_cbranch_execz .LBB436_143
; %bb.142:
	v_sub_u32_e32 v1, v22, v20
	v_lshlrev_b32_e32 v1, 2, v1
	ds_write_b32 v1, v17
.LBB436_143:
	s_or_b64 exec, exec, s[2:3]
	v_cmp_lt_u32_e32 vcc, v0, v10
	s_waitcnt lgkmcnt(0)
	s_barrier
	s_and_saveexec_b64 s[6:7], vcc
	s_cbranch_execz .LBB436_158
; %bb.144:
	v_lshlrev_b64 v[2:3], 2, v[14:15]
	v_mov_b32_e32 v21, 0
	v_mov_b32_e32 v1, s29
	v_add_co_u32_e32 v4, vcc, s28, v2
	v_addc_co_u32_e32 v1, vcc, v1, v3, vcc
	v_lshlrev_b64 v[2:3], 2, v[20:21]
	v_add_co_u32_e32 v6, vcc, v4, v2
	v_addc_co_u32_e32 v7, vcc, v1, v3, vcc
	v_xad_u32 v1, v0, -1, v10
	s_movk_i32 s2, 0x1700
	v_cmp_gt_u32_e32 vcc, s2, v1
	s_movk_i32 s2, 0x16ff
	v_cmp_lt_u32_e64 s[2:3], s2, v1
	s_and_saveexec_b64 s[8:9], s[2:3]
	s_cbranch_execz .LBB436_155
; %bb.145:
	v_sub_u32_e32 v2, v0, v10
	v_or_b32_e32 v2, 0xff, v2
	v_cmp_ge_u32_e64 s[2:3], v2, v0
	s_mov_b64 s[4:5], -1
	s_and_saveexec_b64 s[10:11], s[2:3]
	s_cbranch_execz .LBB436_154
; %bb.146:
	v_lshrrev_b32_e32 v8, 8, v1
	v_add_u32_e32 v2, -1, v8
	v_or_b32_e32 v1, 0x100, v0
	v_lshrrev_b32_e32 v3, 1, v2
	v_add_u32_e32 v11, 1, v3
	v_cmp_lt_u32_e64 s[2:3], 13, v2
	v_mov_b32_e32 v16, 0
	v_lshlrev_b32_e32 v9, 2, v0
	v_pk_mov_b32 v[2:3], v[0:1], v[0:1] op_sel:[0,1]
	s_and_saveexec_b64 s[12:13], s[2:3]
	s_cbranch_execz .LBB436_150
; %bb.147:
	v_and_b32_e32 v12, -8, v11
	s_mov_b32 s16, 0
	s_mov_b64 s[14:15], 0
	v_mov_b32_e32 v5, 0
	v_mov_b32_e32 v13, v9
	v_pk_mov_b32 v[2:3], v[0:1], v[0:1] op_sel:[0,1]
.LBB436_148:                            ; =>This Inner Loop Header: Depth=1
	v_mov_b32_e32 v4, v2
	v_add_u32_e32 v12, -8, v12
	v_lshlrev_b64 v[48:49], 2, v[4:5]
	v_mov_b32_e32 v4, v3
	ds_read2st64_b32 v[18:19], v13 offset1:4
	s_add_i32 s16, s16, 16
	v_cmp_eq_u32_e64 s[2:3], 0, v12
	v_lshlrev_b64 v[52:53], 2, v[4:5]
	v_add_u32_e32 v4, 0x200, v2
	s_or_b64 s[14:15], s[2:3], s[14:15]
	v_add_co_u32_e64 v52, s[2:3], v6, v52
	v_add_u32_e32 v16, 0x200, v3
	ds_read2st64_b32 v[22:23], v13 offset0:8 offset1:12
	v_mov_b32_e32 v17, v5
	ds_read2st64_b32 v[26:27], v13 offset0:16 offset1:20
	v_add_co_u32_e64 v48, s[4:5], v6, v48
	v_addc_co_u32_e64 v53, s[2:3], v7, v53, s[2:3]
	v_lshlrev_b64 v[54:55], 2, v[4:5]
	v_lshlrev_b64 v[50:51], 2, v[16:17]
	v_addc_co_u32_e64 v49, s[4:5], v7, v49, s[4:5]
	v_add_u32_e32 v4, 0x400, v2
	v_add_co_u32_e64 v54, s[2:3], v6, v54
	v_add_u32_e32 v24, 0x400, v3
	v_mov_b32_e32 v25, v5
	ds_read2st64_b32 v[30:31], v13 offset0:24 offset1:28
	v_add_co_u32_e64 v50, s[4:5], v6, v50
	v_addc_co_u32_e64 v55, s[2:3], v7, v55, s[2:3]
	v_lshlrev_b64 v[56:57], 2, v[4:5]
	ds_read2st64_b32 v[34:35], v13 offset0:32 offset1:36
	ds_read2st64_b32 v[38:39], v13 offset0:40 offset1:44
	;; [unrolled: 1-line block ×4, first 2 shown]
	v_lshlrev_b64 v[24:25], 2, v[24:25]
	v_addc_co_u32_e64 v51, s[4:5], v7, v51, s[4:5]
	v_add_u32_e32 v4, 0x600, v2
	s_waitcnt lgkmcnt(7)
	global_store_dword v[48:49], v18, off
	global_store_dword v[52:53], v19, off
	s_waitcnt lgkmcnt(6)
	global_store_dword v[54:55], v22, off
	global_store_dword v[50:51], v23, off
	v_add_co_u32_e64 v18, s[2:3], v6, v56
	v_add_u32_e32 v28, 0x600, v3
	v_mov_b32_e32 v29, v5
	v_add_co_u32_e64 v24, s[4:5], v6, v24
	v_addc_co_u32_e64 v19, s[2:3], v7, v57, s[2:3]
	v_lshlrev_b64 v[22:23], 2, v[4:5]
	v_lshlrev_b64 v[28:29], 2, v[28:29]
	v_addc_co_u32_e64 v25, s[4:5], v7, v25, s[4:5]
	v_add_u32_e32 v4, 0x800, v2
	s_waitcnt lgkmcnt(5)
	global_store_dword v[18:19], v26, off
	global_store_dword v[24:25], v27, off
	v_add_co_u32_e64 v18, s[2:3], v6, v22
	v_add_u32_e32 v32, 0x800, v3
	v_mov_b32_e32 v33, v5
	v_add_co_u32_e64 v28, s[4:5], v6, v28
	v_addc_co_u32_e64 v19, s[2:3], v7, v23, s[2:3]
	v_lshlrev_b64 v[22:23], 2, v[4:5]
	v_lshlrev_b64 v[32:33], 2, v[32:33]
	v_addc_co_u32_e64 v29, s[4:5], v7, v29, s[4:5]
	v_add_u32_e32 v4, 0xa00, v2
	;; [unrolled: 12-line block ×4, first 2 shown]
	s_waitcnt lgkmcnt(2)
	global_store_dword v[18:19], v38, off
	global_store_dword v[36:37], v39, off
	v_add_co_u32_e64 v18, s[2:3], v6, v22
	v_add_u32_e32 v44, 0xe00, v3
	v_mov_b32_e32 v45, v5
	v_add_co_u32_e64 v40, s[4:5], v6, v40
	v_addc_co_u32_e64 v19, s[2:3], v7, v23, s[2:3]
	v_lshlrev_b64 v[22:23], 2, v[4:5]
	v_lshlrev_b64 v[44:45], 2, v[44:45]
	v_addc_co_u32_e64 v41, s[4:5], v7, v41, s[4:5]
	s_waitcnt lgkmcnt(1)
	global_store_dword v[18:19], v42, off
	global_store_dword v[40:41], v43, off
	v_add_co_u32_e64 v18, s[2:3], v6, v22
	v_add_u32_e32 v13, 0x4000, v13
	v_add_u32_e32 v3, 0x1000, v3
	v_mov_b32_e32 v16, s16
	v_add_co_u32_e64 v44, s[4:5], v6, v44
	v_add_u32_e32 v2, 0x1000, v2
	v_addc_co_u32_e64 v19, s[2:3], v7, v23, s[2:3]
	v_addc_co_u32_e64 v45, s[4:5], v7, v45, s[4:5]
	s_waitcnt lgkmcnt(0)
	global_store_dword v[18:19], v46, off
	global_store_dword v[44:45], v47, off
	s_andn2_b64 exec, exec, s[14:15]
	s_cbranch_execnz .LBB436_148
; %bb.149:
	s_or_b64 exec, exec, s[14:15]
.LBB436_150:
	s_or_b64 exec, exec, s[12:13]
	v_and_b32_e32 v1, 7, v11
	v_cmp_ne_u32_e64 s[2:3], 0, v1
	s_and_saveexec_b64 s[12:13], s[2:3]
	s_cbranch_execz .LBB436_153
; %bb.151:
	v_lshl_or_b32 v9, v16, 10, v9
	s_mov_b64 s[14:15], 0
	v_mov_b32_e32 v5, 0
.LBB436_152:                            ; =>This Inner Loop Header: Depth=1
	ds_read2st64_b32 v[12:13], v9 offset1:4
	v_mov_b32_e32 v4, v2
	v_add_u32_e32 v1, -1, v1
	v_lshlrev_b64 v[16:17], 2, v[4:5]
	v_mov_b32_e32 v4, v3
	v_cmp_eq_u32_e64 s[2:3], 0, v1
	v_add_co_u32_e64 v16, s[4:5], v6, v16
	v_lshlrev_b64 v[18:19], 2, v[4:5]
	v_add_u32_e32 v2, 0x200, v2
	v_add_u32_e32 v9, 0x800, v9
	;; [unrolled: 1-line block ×3, first 2 shown]
	v_addc_co_u32_e64 v17, s[4:5], v7, v17, s[4:5]
	s_or_b64 s[14:15], s[2:3], s[14:15]
	v_add_co_u32_e64 v18, s[2:3], v6, v18
	v_addc_co_u32_e64 v19, s[2:3], v7, v19, s[2:3]
	s_waitcnt lgkmcnt(0)
	global_store_dword v[16:17], v12, off
	global_store_dword v[18:19], v13, off
	s_andn2_b64 exec, exec, s[14:15]
	s_cbranch_execnz .LBB436_152
.LBB436_153:
	s_or_b64 exec, exec, s[12:13]
	v_add_u32_e32 v1, 1, v8
	v_and_b32_e32 v2, 0x1fffffe, v1
	v_cmp_ne_u32_e64 s[2:3], v1, v2
	v_lshl_or_b32 v0, v2, 8, v0
	s_orn2_b64 s[4:5], s[2:3], exec
.LBB436_154:
	s_or_b64 exec, exec, s[10:11]
	s_andn2_b64 s[2:3], vcc, exec
	s_and_b64 s[4:5], s[4:5], exec
	s_or_b64 vcc, s[2:3], s[4:5]
.LBB436_155:
	s_or_b64 exec, exec, s[8:9]
	s_and_b64 exec, exec, vcc
	s_cbranch_execz .LBB436_158
; %bb.156:
	v_lshlrev_b32_e32 v2, 2, v0
	s_mov_b64 s[2:3], 0
	v_mov_b32_e32 v1, 0
.LBB436_157:                            ; =>This Inner Loop Header: Depth=1
	ds_read_b32 v3, v2
	v_lshlrev_b64 v[4:5], 2, v[0:1]
	v_add_co_u32_e32 v4, vcc, v6, v4
	v_add_u32_e32 v0, 0x100, v0
	v_addc_co_u32_e32 v5, vcc, v7, v5, vcc
	v_cmp_ge_u32_e32 vcc, v0, v10
	v_add_u32_e32 v2, 0x400, v2
	s_or_b64 s[2:3], vcc, s[2:3]
	s_waitcnt lgkmcnt(0)
	global_store_dword v[4:5], v3, off
	s_andn2_b64 exec, exec, s[2:3]
	s_cbranch_execnz .LBB436_157
.LBB436_158:
	s_or_b64 exec, exec, s[6:7]
	s_and_b64 s[0:1], s[0:1], s[22:23]
	s_and_saveexec_b64 s[2:3], s[0:1]
	s_cbranch_execz .LBB436_91
.LBB436_159:
	v_add_co_u32_e32 v0, vcc, v14, v10
	v_addc_co_u32_e32 v1, vcc, 0, v15, vcc
	v_add_co_u32_e32 v0, vcc, v0, v20
	v_mov_b32_e32 v2, 0
	v_addc_co_u32_e32 v1, vcc, 0, v1, vcc
	global_store_dwordx2 v2, v[0:1], s[24:25]
	s_endpgm
.LBB436_160:
	s_or_b64 exec, exec, s[6:7]
	s_and_saveexec_b64 s[2:3], s[38:39]
	s_cbranch_execnz .LBB436_48
	s_branch .LBB436_49
	.section	.rodata,"a",@progbits
	.p2align	6, 0x0
	.amdhsa_kernel _ZN7rocprim17ROCPRIM_400000_NS6detail17trampoline_kernelINS0_14default_configENS1_25partition_config_selectorILNS1_17partition_subalgoE8EiNS0_10empty_typeEbEEZZNS1_14partition_implILS5_8ELb0ES3_jPKiPS6_PKS6_NS0_5tupleIJPiS6_EEENSE_IJSB_SB_EEENS0_18inequality_wrapperIN6hipcub16HIPCUB_304000_NS8EqualityEEEPlJS6_EEE10hipError_tPvRmT3_T4_T5_T6_T7_T9_mT8_P12ihipStream_tbDpT10_ENKUlT_T0_E_clISt17integral_constantIbLb0EES16_IbLb1EEEEDaS12_S13_EUlS12_E_NS1_11comp_targetILNS1_3genE4ELNS1_11target_archE910ELNS1_3gpuE8ELNS1_3repE0EEENS1_30default_config_static_selectorELNS0_4arch9wavefront6targetE1EEEvT1_
		.amdhsa_group_segment_fixed_size 10248
		.amdhsa_private_segment_fixed_size 0
		.amdhsa_kernarg_size 128
		.amdhsa_user_sgpr_count 6
		.amdhsa_user_sgpr_private_segment_buffer 1
		.amdhsa_user_sgpr_dispatch_ptr 0
		.amdhsa_user_sgpr_queue_ptr 0
		.amdhsa_user_sgpr_kernarg_segment_ptr 1
		.amdhsa_user_sgpr_dispatch_id 0
		.amdhsa_user_sgpr_flat_scratch_init 0
		.amdhsa_user_sgpr_kernarg_preload_length 0
		.amdhsa_user_sgpr_kernarg_preload_offset 0
		.amdhsa_user_sgpr_private_segment_size 0
		.amdhsa_uses_dynamic_stack 0
		.amdhsa_system_sgpr_private_segment_wavefront_offset 0
		.amdhsa_system_sgpr_workgroup_id_x 1
		.amdhsa_system_sgpr_workgroup_id_y 0
		.amdhsa_system_sgpr_workgroup_id_z 0
		.amdhsa_system_sgpr_workgroup_info 0
		.amdhsa_system_vgpr_workitem_id 0
		.amdhsa_next_free_vgpr 58
		.amdhsa_next_free_sgpr 41
		.amdhsa_accum_offset 60
		.amdhsa_reserve_vcc 1
		.amdhsa_reserve_flat_scratch 0
		.amdhsa_float_round_mode_32 0
		.amdhsa_float_round_mode_16_64 0
		.amdhsa_float_denorm_mode_32 3
		.amdhsa_float_denorm_mode_16_64 3
		.amdhsa_dx10_clamp 1
		.amdhsa_ieee_mode 1
		.amdhsa_fp16_overflow 0
		.amdhsa_tg_split 0
		.amdhsa_exception_fp_ieee_invalid_op 0
		.amdhsa_exception_fp_denorm_src 0
		.amdhsa_exception_fp_ieee_div_zero 0
		.amdhsa_exception_fp_ieee_overflow 0
		.amdhsa_exception_fp_ieee_underflow 0
		.amdhsa_exception_fp_ieee_inexact 0
		.amdhsa_exception_int_div_zero 0
	.end_amdhsa_kernel
	.section	.text._ZN7rocprim17ROCPRIM_400000_NS6detail17trampoline_kernelINS0_14default_configENS1_25partition_config_selectorILNS1_17partition_subalgoE8EiNS0_10empty_typeEbEEZZNS1_14partition_implILS5_8ELb0ES3_jPKiPS6_PKS6_NS0_5tupleIJPiS6_EEENSE_IJSB_SB_EEENS0_18inequality_wrapperIN6hipcub16HIPCUB_304000_NS8EqualityEEEPlJS6_EEE10hipError_tPvRmT3_T4_T5_T6_T7_T9_mT8_P12ihipStream_tbDpT10_ENKUlT_T0_E_clISt17integral_constantIbLb0EES16_IbLb1EEEEDaS12_S13_EUlS12_E_NS1_11comp_targetILNS1_3genE4ELNS1_11target_archE910ELNS1_3gpuE8ELNS1_3repE0EEENS1_30default_config_static_selectorELNS0_4arch9wavefront6targetE1EEEvT1_,"axG",@progbits,_ZN7rocprim17ROCPRIM_400000_NS6detail17trampoline_kernelINS0_14default_configENS1_25partition_config_selectorILNS1_17partition_subalgoE8EiNS0_10empty_typeEbEEZZNS1_14partition_implILS5_8ELb0ES3_jPKiPS6_PKS6_NS0_5tupleIJPiS6_EEENSE_IJSB_SB_EEENS0_18inequality_wrapperIN6hipcub16HIPCUB_304000_NS8EqualityEEEPlJS6_EEE10hipError_tPvRmT3_T4_T5_T6_T7_T9_mT8_P12ihipStream_tbDpT10_ENKUlT_T0_E_clISt17integral_constantIbLb0EES16_IbLb1EEEEDaS12_S13_EUlS12_E_NS1_11comp_targetILNS1_3genE4ELNS1_11target_archE910ELNS1_3gpuE8ELNS1_3repE0EEENS1_30default_config_static_selectorELNS0_4arch9wavefront6targetE1EEEvT1_,comdat
.Lfunc_end436:
	.size	_ZN7rocprim17ROCPRIM_400000_NS6detail17trampoline_kernelINS0_14default_configENS1_25partition_config_selectorILNS1_17partition_subalgoE8EiNS0_10empty_typeEbEEZZNS1_14partition_implILS5_8ELb0ES3_jPKiPS6_PKS6_NS0_5tupleIJPiS6_EEENSE_IJSB_SB_EEENS0_18inequality_wrapperIN6hipcub16HIPCUB_304000_NS8EqualityEEEPlJS6_EEE10hipError_tPvRmT3_T4_T5_T6_T7_T9_mT8_P12ihipStream_tbDpT10_ENKUlT_T0_E_clISt17integral_constantIbLb0EES16_IbLb1EEEEDaS12_S13_EUlS12_E_NS1_11comp_targetILNS1_3genE4ELNS1_11target_archE910ELNS1_3gpuE8ELNS1_3repE0EEENS1_30default_config_static_selectorELNS0_4arch9wavefront6targetE1EEEvT1_, .Lfunc_end436-_ZN7rocprim17ROCPRIM_400000_NS6detail17trampoline_kernelINS0_14default_configENS1_25partition_config_selectorILNS1_17partition_subalgoE8EiNS0_10empty_typeEbEEZZNS1_14partition_implILS5_8ELb0ES3_jPKiPS6_PKS6_NS0_5tupleIJPiS6_EEENSE_IJSB_SB_EEENS0_18inequality_wrapperIN6hipcub16HIPCUB_304000_NS8EqualityEEEPlJS6_EEE10hipError_tPvRmT3_T4_T5_T6_T7_T9_mT8_P12ihipStream_tbDpT10_ENKUlT_T0_E_clISt17integral_constantIbLb0EES16_IbLb1EEEEDaS12_S13_EUlS12_E_NS1_11comp_targetILNS1_3genE4ELNS1_11target_archE910ELNS1_3gpuE8ELNS1_3repE0EEENS1_30default_config_static_selectorELNS0_4arch9wavefront6targetE1EEEvT1_
                                        ; -- End function
	.section	.AMDGPU.csdata,"",@progbits
; Kernel info:
; codeLenInByte = 7468
; NumSgprs: 45
; NumVgprs: 58
; NumAgprs: 0
; TotalNumVgprs: 58
; ScratchSize: 0
; MemoryBound: 0
; FloatMode: 240
; IeeeMode: 1
; LDSByteSize: 10248 bytes/workgroup (compile time only)
; SGPRBlocks: 5
; VGPRBlocks: 7
; NumSGPRsForWavesPerEU: 45
; NumVGPRsForWavesPerEU: 58
; AccumOffset: 60
; Occupancy: 6
; WaveLimiterHint : 1
; COMPUTE_PGM_RSRC2:SCRATCH_EN: 0
; COMPUTE_PGM_RSRC2:USER_SGPR: 6
; COMPUTE_PGM_RSRC2:TRAP_HANDLER: 0
; COMPUTE_PGM_RSRC2:TGID_X_EN: 1
; COMPUTE_PGM_RSRC2:TGID_Y_EN: 0
; COMPUTE_PGM_RSRC2:TGID_Z_EN: 0
; COMPUTE_PGM_RSRC2:TIDIG_COMP_CNT: 0
; COMPUTE_PGM_RSRC3_GFX90A:ACCUM_OFFSET: 14
; COMPUTE_PGM_RSRC3_GFX90A:TG_SPLIT: 0
	.section	.text._ZN7rocprim17ROCPRIM_400000_NS6detail17trampoline_kernelINS0_14default_configENS1_25partition_config_selectorILNS1_17partition_subalgoE8EiNS0_10empty_typeEbEEZZNS1_14partition_implILS5_8ELb0ES3_jPKiPS6_PKS6_NS0_5tupleIJPiS6_EEENSE_IJSB_SB_EEENS0_18inequality_wrapperIN6hipcub16HIPCUB_304000_NS8EqualityEEEPlJS6_EEE10hipError_tPvRmT3_T4_T5_T6_T7_T9_mT8_P12ihipStream_tbDpT10_ENKUlT_T0_E_clISt17integral_constantIbLb0EES16_IbLb1EEEEDaS12_S13_EUlS12_E_NS1_11comp_targetILNS1_3genE3ELNS1_11target_archE908ELNS1_3gpuE7ELNS1_3repE0EEENS1_30default_config_static_selectorELNS0_4arch9wavefront6targetE1EEEvT1_,"axG",@progbits,_ZN7rocprim17ROCPRIM_400000_NS6detail17trampoline_kernelINS0_14default_configENS1_25partition_config_selectorILNS1_17partition_subalgoE8EiNS0_10empty_typeEbEEZZNS1_14partition_implILS5_8ELb0ES3_jPKiPS6_PKS6_NS0_5tupleIJPiS6_EEENSE_IJSB_SB_EEENS0_18inequality_wrapperIN6hipcub16HIPCUB_304000_NS8EqualityEEEPlJS6_EEE10hipError_tPvRmT3_T4_T5_T6_T7_T9_mT8_P12ihipStream_tbDpT10_ENKUlT_T0_E_clISt17integral_constantIbLb0EES16_IbLb1EEEEDaS12_S13_EUlS12_E_NS1_11comp_targetILNS1_3genE3ELNS1_11target_archE908ELNS1_3gpuE7ELNS1_3repE0EEENS1_30default_config_static_selectorELNS0_4arch9wavefront6targetE1EEEvT1_,comdat
	.protected	_ZN7rocprim17ROCPRIM_400000_NS6detail17trampoline_kernelINS0_14default_configENS1_25partition_config_selectorILNS1_17partition_subalgoE8EiNS0_10empty_typeEbEEZZNS1_14partition_implILS5_8ELb0ES3_jPKiPS6_PKS6_NS0_5tupleIJPiS6_EEENSE_IJSB_SB_EEENS0_18inequality_wrapperIN6hipcub16HIPCUB_304000_NS8EqualityEEEPlJS6_EEE10hipError_tPvRmT3_T4_T5_T6_T7_T9_mT8_P12ihipStream_tbDpT10_ENKUlT_T0_E_clISt17integral_constantIbLb0EES16_IbLb1EEEEDaS12_S13_EUlS12_E_NS1_11comp_targetILNS1_3genE3ELNS1_11target_archE908ELNS1_3gpuE7ELNS1_3repE0EEENS1_30default_config_static_selectorELNS0_4arch9wavefront6targetE1EEEvT1_ ; -- Begin function _ZN7rocprim17ROCPRIM_400000_NS6detail17trampoline_kernelINS0_14default_configENS1_25partition_config_selectorILNS1_17partition_subalgoE8EiNS0_10empty_typeEbEEZZNS1_14partition_implILS5_8ELb0ES3_jPKiPS6_PKS6_NS0_5tupleIJPiS6_EEENSE_IJSB_SB_EEENS0_18inequality_wrapperIN6hipcub16HIPCUB_304000_NS8EqualityEEEPlJS6_EEE10hipError_tPvRmT3_T4_T5_T6_T7_T9_mT8_P12ihipStream_tbDpT10_ENKUlT_T0_E_clISt17integral_constantIbLb0EES16_IbLb1EEEEDaS12_S13_EUlS12_E_NS1_11comp_targetILNS1_3genE3ELNS1_11target_archE908ELNS1_3gpuE7ELNS1_3repE0EEENS1_30default_config_static_selectorELNS0_4arch9wavefront6targetE1EEEvT1_
	.globl	_ZN7rocprim17ROCPRIM_400000_NS6detail17trampoline_kernelINS0_14default_configENS1_25partition_config_selectorILNS1_17partition_subalgoE8EiNS0_10empty_typeEbEEZZNS1_14partition_implILS5_8ELb0ES3_jPKiPS6_PKS6_NS0_5tupleIJPiS6_EEENSE_IJSB_SB_EEENS0_18inequality_wrapperIN6hipcub16HIPCUB_304000_NS8EqualityEEEPlJS6_EEE10hipError_tPvRmT3_T4_T5_T6_T7_T9_mT8_P12ihipStream_tbDpT10_ENKUlT_T0_E_clISt17integral_constantIbLb0EES16_IbLb1EEEEDaS12_S13_EUlS12_E_NS1_11comp_targetILNS1_3genE3ELNS1_11target_archE908ELNS1_3gpuE7ELNS1_3repE0EEENS1_30default_config_static_selectorELNS0_4arch9wavefront6targetE1EEEvT1_
	.p2align	8
	.type	_ZN7rocprim17ROCPRIM_400000_NS6detail17trampoline_kernelINS0_14default_configENS1_25partition_config_selectorILNS1_17partition_subalgoE8EiNS0_10empty_typeEbEEZZNS1_14partition_implILS5_8ELb0ES3_jPKiPS6_PKS6_NS0_5tupleIJPiS6_EEENSE_IJSB_SB_EEENS0_18inequality_wrapperIN6hipcub16HIPCUB_304000_NS8EqualityEEEPlJS6_EEE10hipError_tPvRmT3_T4_T5_T6_T7_T9_mT8_P12ihipStream_tbDpT10_ENKUlT_T0_E_clISt17integral_constantIbLb0EES16_IbLb1EEEEDaS12_S13_EUlS12_E_NS1_11comp_targetILNS1_3genE3ELNS1_11target_archE908ELNS1_3gpuE7ELNS1_3repE0EEENS1_30default_config_static_selectorELNS0_4arch9wavefront6targetE1EEEvT1_,@function
_ZN7rocprim17ROCPRIM_400000_NS6detail17trampoline_kernelINS0_14default_configENS1_25partition_config_selectorILNS1_17partition_subalgoE8EiNS0_10empty_typeEbEEZZNS1_14partition_implILS5_8ELb0ES3_jPKiPS6_PKS6_NS0_5tupleIJPiS6_EEENSE_IJSB_SB_EEENS0_18inequality_wrapperIN6hipcub16HIPCUB_304000_NS8EqualityEEEPlJS6_EEE10hipError_tPvRmT3_T4_T5_T6_T7_T9_mT8_P12ihipStream_tbDpT10_ENKUlT_T0_E_clISt17integral_constantIbLb0EES16_IbLb1EEEEDaS12_S13_EUlS12_E_NS1_11comp_targetILNS1_3genE3ELNS1_11target_archE908ELNS1_3gpuE7ELNS1_3repE0EEENS1_30default_config_static_selectorELNS0_4arch9wavefront6targetE1EEEvT1_: ; @_ZN7rocprim17ROCPRIM_400000_NS6detail17trampoline_kernelINS0_14default_configENS1_25partition_config_selectorILNS1_17partition_subalgoE8EiNS0_10empty_typeEbEEZZNS1_14partition_implILS5_8ELb0ES3_jPKiPS6_PKS6_NS0_5tupleIJPiS6_EEENSE_IJSB_SB_EEENS0_18inequality_wrapperIN6hipcub16HIPCUB_304000_NS8EqualityEEEPlJS6_EEE10hipError_tPvRmT3_T4_T5_T6_T7_T9_mT8_P12ihipStream_tbDpT10_ENKUlT_T0_E_clISt17integral_constantIbLb0EES16_IbLb1EEEEDaS12_S13_EUlS12_E_NS1_11comp_targetILNS1_3genE3ELNS1_11target_archE908ELNS1_3gpuE7ELNS1_3repE0EEENS1_30default_config_static_selectorELNS0_4arch9wavefront6targetE1EEEvT1_
; %bb.0:
	.section	.rodata,"a",@progbits
	.p2align	6, 0x0
	.amdhsa_kernel _ZN7rocprim17ROCPRIM_400000_NS6detail17trampoline_kernelINS0_14default_configENS1_25partition_config_selectorILNS1_17partition_subalgoE8EiNS0_10empty_typeEbEEZZNS1_14partition_implILS5_8ELb0ES3_jPKiPS6_PKS6_NS0_5tupleIJPiS6_EEENSE_IJSB_SB_EEENS0_18inequality_wrapperIN6hipcub16HIPCUB_304000_NS8EqualityEEEPlJS6_EEE10hipError_tPvRmT3_T4_T5_T6_T7_T9_mT8_P12ihipStream_tbDpT10_ENKUlT_T0_E_clISt17integral_constantIbLb0EES16_IbLb1EEEEDaS12_S13_EUlS12_E_NS1_11comp_targetILNS1_3genE3ELNS1_11target_archE908ELNS1_3gpuE7ELNS1_3repE0EEENS1_30default_config_static_selectorELNS0_4arch9wavefront6targetE1EEEvT1_
		.amdhsa_group_segment_fixed_size 0
		.amdhsa_private_segment_fixed_size 0
		.amdhsa_kernarg_size 128
		.amdhsa_user_sgpr_count 6
		.amdhsa_user_sgpr_private_segment_buffer 1
		.amdhsa_user_sgpr_dispatch_ptr 0
		.amdhsa_user_sgpr_queue_ptr 0
		.amdhsa_user_sgpr_kernarg_segment_ptr 1
		.amdhsa_user_sgpr_dispatch_id 0
		.amdhsa_user_sgpr_flat_scratch_init 0
		.amdhsa_user_sgpr_kernarg_preload_length 0
		.amdhsa_user_sgpr_kernarg_preload_offset 0
		.amdhsa_user_sgpr_private_segment_size 0
		.amdhsa_uses_dynamic_stack 0
		.amdhsa_system_sgpr_private_segment_wavefront_offset 0
		.amdhsa_system_sgpr_workgroup_id_x 1
		.amdhsa_system_sgpr_workgroup_id_y 0
		.amdhsa_system_sgpr_workgroup_id_z 0
		.amdhsa_system_sgpr_workgroup_info 0
		.amdhsa_system_vgpr_workitem_id 0
		.amdhsa_next_free_vgpr 1
		.amdhsa_next_free_sgpr 0
		.amdhsa_accum_offset 4
		.amdhsa_reserve_vcc 0
		.amdhsa_reserve_flat_scratch 0
		.amdhsa_float_round_mode_32 0
		.amdhsa_float_round_mode_16_64 0
		.amdhsa_float_denorm_mode_32 3
		.amdhsa_float_denorm_mode_16_64 3
		.amdhsa_dx10_clamp 1
		.amdhsa_ieee_mode 1
		.amdhsa_fp16_overflow 0
		.amdhsa_tg_split 0
		.amdhsa_exception_fp_ieee_invalid_op 0
		.amdhsa_exception_fp_denorm_src 0
		.amdhsa_exception_fp_ieee_div_zero 0
		.amdhsa_exception_fp_ieee_overflow 0
		.amdhsa_exception_fp_ieee_underflow 0
		.amdhsa_exception_fp_ieee_inexact 0
		.amdhsa_exception_int_div_zero 0
	.end_amdhsa_kernel
	.section	.text._ZN7rocprim17ROCPRIM_400000_NS6detail17trampoline_kernelINS0_14default_configENS1_25partition_config_selectorILNS1_17partition_subalgoE8EiNS0_10empty_typeEbEEZZNS1_14partition_implILS5_8ELb0ES3_jPKiPS6_PKS6_NS0_5tupleIJPiS6_EEENSE_IJSB_SB_EEENS0_18inequality_wrapperIN6hipcub16HIPCUB_304000_NS8EqualityEEEPlJS6_EEE10hipError_tPvRmT3_T4_T5_T6_T7_T9_mT8_P12ihipStream_tbDpT10_ENKUlT_T0_E_clISt17integral_constantIbLb0EES16_IbLb1EEEEDaS12_S13_EUlS12_E_NS1_11comp_targetILNS1_3genE3ELNS1_11target_archE908ELNS1_3gpuE7ELNS1_3repE0EEENS1_30default_config_static_selectorELNS0_4arch9wavefront6targetE1EEEvT1_,"axG",@progbits,_ZN7rocprim17ROCPRIM_400000_NS6detail17trampoline_kernelINS0_14default_configENS1_25partition_config_selectorILNS1_17partition_subalgoE8EiNS0_10empty_typeEbEEZZNS1_14partition_implILS5_8ELb0ES3_jPKiPS6_PKS6_NS0_5tupleIJPiS6_EEENSE_IJSB_SB_EEENS0_18inequality_wrapperIN6hipcub16HIPCUB_304000_NS8EqualityEEEPlJS6_EEE10hipError_tPvRmT3_T4_T5_T6_T7_T9_mT8_P12ihipStream_tbDpT10_ENKUlT_T0_E_clISt17integral_constantIbLb0EES16_IbLb1EEEEDaS12_S13_EUlS12_E_NS1_11comp_targetILNS1_3genE3ELNS1_11target_archE908ELNS1_3gpuE7ELNS1_3repE0EEENS1_30default_config_static_selectorELNS0_4arch9wavefront6targetE1EEEvT1_,comdat
.Lfunc_end437:
	.size	_ZN7rocprim17ROCPRIM_400000_NS6detail17trampoline_kernelINS0_14default_configENS1_25partition_config_selectorILNS1_17partition_subalgoE8EiNS0_10empty_typeEbEEZZNS1_14partition_implILS5_8ELb0ES3_jPKiPS6_PKS6_NS0_5tupleIJPiS6_EEENSE_IJSB_SB_EEENS0_18inequality_wrapperIN6hipcub16HIPCUB_304000_NS8EqualityEEEPlJS6_EEE10hipError_tPvRmT3_T4_T5_T6_T7_T9_mT8_P12ihipStream_tbDpT10_ENKUlT_T0_E_clISt17integral_constantIbLb0EES16_IbLb1EEEEDaS12_S13_EUlS12_E_NS1_11comp_targetILNS1_3genE3ELNS1_11target_archE908ELNS1_3gpuE7ELNS1_3repE0EEENS1_30default_config_static_selectorELNS0_4arch9wavefront6targetE1EEEvT1_, .Lfunc_end437-_ZN7rocprim17ROCPRIM_400000_NS6detail17trampoline_kernelINS0_14default_configENS1_25partition_config_selectorILNS1_17partition_subalgoE8EiNS0_10empty_typeEbEEZZNS1_14partition_implILS5_8ELb0ES3_jPKiPS6_PKS6_NS0_5tupleIJPiS6_EEENSE_IJSB_SB_EEENS0_18inequality_wrapperIN6hipcub16HIPCUB_304000_NS8EqualityEEEPlJS6_EEE10hipError_tPvRmT3_T4_T5_T6_T7_T9_mT8_P12ihipStream_tbDpT10_ENKUlT_T0_E_clISt17integral_constantIbLb0EES16_IbLb1EEEEDaS12_S13_EUlS12_E_NS1_11comp_targetILNS1_3genE3ELNS1_11target_archE908ELNS1_3gpuE7ELNS1_3repE0EEENS1_30default_config_static_selectorELNS0_4arch9wavefront6targetE1EEEvT1_
                                        ; -- End function
	.section	.AMDGPU.csdata,"",@progbits
; Kernel info:
; codeLenInByte = 0
; NumSgprs: 4
; NumVgprs: 0
; NumAgprs: 0
; TotalNumVgprs: 0
; ScratchSize: 0
; MemoryBound: 0
; FloatMode: 240
; IeeeMode: 1
; LDSByteSize: 0 bytes/workgroup (compile time only)
; SGPRBlocks: 0
; VGPRBlocks: 0
; NumSGPRsForWavesPerEU: 4
; NumVGPRsForWavesPerEU: 1
; AccumOffset: 4
; Occupancy: 8
; WaveLimiterHint : 0
; COMPUTE_PGM_RSRC2:SCRATCH_EN: 0
; COMPUTE_PGM_RSRC2:USER_SGPR: 6
; COMPUTE_PGM_RSRC2:TRAP_HANDLER: 0
; COMPUTE_PGM_RSRC2:TGID_X_EN: 1
; COMPUTE_PGM_RSRC2:TGID_Y_EN: 0
; COMPUTE_PGM_RSRC2:TGID_Z_EN: 0
; COMPUTE_PGM_RSRC2:TIDIG_COMP_CNT: 0
; COMPUTE_PGM_RSRC3_GFX90A:ACCUM_OFFSET: 0
; COMPUTE_PGM_RSRC3_GFX90A:TG_SPLIT: 0
	.section	.text._ZN7rocprim17ROCPRIM_400000_NS6detail17trampoline_kernelINS0_14default_configENS1_25partition_config_selectorILNS1_17partition_subalgoE8EiNS0_10empty_typeEbEEZZNS1_14partition_implILS5_8ELb0ES3_jPKiPS6_PKS6_NS0_5tupleIJPiS6_EEENSE_IJSB_SB_EEENS0_18inequality_wrapperIN6hipcub16HIPCUB_304000_NS8EqualityEEEPlJS6_EEE10hipError_tPvRmT3_T4_T5_T6_T7_T9_mT8_P12ihipStream_tbDpT10_ENKUlT_T0_E_clISt17integral_constantIbLb0EES16_IbLb1EEEEDaS12_S13_EUlS12_E_NS1_11comp_targetILNS1_3genE2ELNS1_11target_archE906ELNS1_3gpuE6ELNS1_3repE0EEENS1_30default_config_static_selectorELNS0_4arch9wavefront6targetE1EEEvT1_,"axG",@progbits,_ZN7rocprim17ROCPRIM_400000_NS6detail17trampoline_kernelINS0_14default_configENS1_25partition_config_selectorILNS1_17partition_subalgoE8EiNS0_10empty_typeEbEEZZNS1_14partition_implILS5_8ELb0ES3_jPKiPS6_PKS6_NS0_5tupleIJPiS6_EEENSE_IJSB_SB_EEENS0_18inequality_wrapperIN6hipcub16HIPCUB_304000_NS8EqualityEEEPlJS6_EEE10hipError_tPvRmT3_T4_T5_T6_T7_T9_mT8_P12ihipStream_tbDpT10_ENKUlT_T0_E_clISt17integral_constantIbLb0EES16_IbLb1EEEEDaS12_S13_EUlS12_E_NS1_11comp_targetILNS1_3genE2ELNS1_11target_archE906ELNS1_3gpuE6ELNS1_3repE0EEENS1_30default_config_static_selectorELNS0_4arch9wavefront6targetE1EEEvT1_,comdat
	.protected	_ZN7rocprim17ROCPRIM_400000_NS6detail17trampoline_kernelINS0_14default_configENS1_25partition_config_selectorILNS1_17partition_subalgoE8EiNS0_10empty_typeEbEEZZNS1_14partition_implILS5_8ELb0ES3_jPKiPS6_PKS6_NS0_5tupleIJPiS6_EEENSE_IJSB_SB_EEENS0_18inequality_wrapperIN6hipcub16HIPCUB_304000_NS8EqualityEEEPlJS6_EEE10hipError_tPvRmT3_T4_T5_T6_T7_T9_mT8_P12ihipStream_tbDpT10_ENKUlT_T0_E_clISt17integral_constantIbLb0EES16_IbLb1EEEEDaS12_S13_EUlS12_E_NS1_11comp_targetILNS1_3genE2ELNS1_11target_archE906ELNS1_3gpuE6ELNS1_3repE0EEENS1_30default_config_static_selectorELNS0_4arch9wavefront6targetE1EEEvT1_ ; -- Begin function _ZN7rocprim17ROCPRIM_400000_NS6detail17trampoline_kernelINS0_14default_configENS1_25partition_config_selectorILNS1_17partition_subalgoE8EiNS0_10empty_typeEbEEZZNS1_14partition_implILS5_8ELb0ES3_jPKiPS6_PKS6_NS0_5tupleIJPiS6_EEENSE_IJSB_SB_EEENS0_18inequality_wrapperIN6hipcub16HIPCUB_304000_NS8EqualityEEEPlJS6_EEE10hipError_tPvRmT3_T4_T5_T6_T7_T9_mT8_P12ihipStream_tbDpT10_ENKUlT_T0_E_clISt17integral_constantIbLb0EES16_IbLb1EEEEDaS12_S13_EUlS12_E_NS1_11comp_targetILNS1_3genE2ELNS1_11target_archE906ELNS1_3gpuE6ELNS1_3repE0EEENS1_30default_config_static_selectorELNS0_4arch9wavefront6targetE1EEEvT1_
	.globl	_ZN7rocprim17ROCPRIM_400000_NS6detail17trampoline_kernelINS0_14default_configENS1_25partition_config_selectorILNS1_17partition_subalgoE8EiNS0_10empty_typeEbEEZZNS1_14partition_implILS5_8ELb0ES3_jPKiPS6_PKS6_NS0_5tupleIJPiS6_EEENSE_IJSB_SB_EEENS0_18inequality_wrapperIN6hipcub16HIPCUB_304000_NS8EqualityEEEPlJS6_EEE10hipError_tPvRmT3_T4_T5_T6_T7_T9_mT8_P12ihipStream_tbDpT10_ENKUlT_T0_E_clISt17integral_constantIbLb0EES16_IbLb1EEEEDaS12_S13_EUlS12_E_NS1_11comp_targetILNS1_3genE2ELNS1_11target_archE906ELNS1_3gpuE6ELNS1_3repE0EEENS1_30default_config_static_selectorELNS0_4arch9wavefront6targetE1EEEvT1_
	.p2align	8
	.type	_ZN7rocprim17ROCPRIM_400000_NS6detail17trampoline_kernelINS0_14default_configENS1_25partition_config_selectorILNS1_17partition_subalgoE8EiNS0_10empty_typeEbEEZZNS1_14partition_implILS5_8ELb0ES3_jPKiPS6_PKS6_NS0_5tupleIJPiS6_EEENSE_IJSB_SB_EEENS0_18inequality_wrapperIN6hipcub16HIPCUB_304000_NS8EqualityEEEPlJS6_EEE10hipError_tPvRmT3_T4_T5_T6_T7_T9_mT8_P12ihipStream_tbDpT10_ENKUlT_T0_E_clISt17integral_constantIbLb0EES16_IbLb1EEEEDaS12_S13_EUlS12_E_NS1_11comp_targetILNS1_3genE2ELNS1_11target_archE906ELNS1_3gpuE6ELNS1_3repE0EEENS1_30default_config_static_selectorELNS0_4arch9wavefront6targetE1EEEvT1_,@function
_ZN7rocprim17ROCPRIM_400000_NS6detail17trampoline_kernelINS0_14default_configENS1_25partition_config_selectorILNS1_17partition_subalgoE8EiNS0_10empty_typeEbEEZZNS1_14partition_implILS5_8ELb0ES3_jPKiPS6_PKS6_NS0_5tupleIJPiS6_EEENSE_IJSB_SB_EEENS0_18inequality_wrapperIN6hipcub16HIPCUB_304000_NS8EqualityEEEPlJS6_EEE10hipError_tPvRmT3_T4_T5_T6_T7_T9_mT8_P12ihipStream_tbDpT10_ENKUlT_T0_E_clISt17integral_constantIbLb0EES16_IbLb1EEEEDaS12_S13_EUlS12_E_NS1_11comp_targetILNS1_3genE2ELNS1_11target_archE906ELNS1_3gpuE6ELNS1_3repE0EEENS1_30default_config_static_selectorELNS0_4arch9wavefront6targetE1EEEvT1_: ; @_ZN7rocprim17ROCPRIM_400000_NS6detail17trampoline_kernelINS0_14default_configENS1_25partition_config_selectorILNS1_17partition_subalgoE8EiNS0_10empty_typeEbEEZZNS1_14partition_implILS5_8ELb0ES3_jPKiPS6_PKS6_NS0_5tupleIJPiS6_EEENSE_IJSB_SB_EEENS0_18inequality_wrapperIN6hipcub16HIPCUB_304000_NS8EqualityEEEPlJS6_EEE10hipError_tPvRmT3_T4_T5_T6_T7_T9_mT8_P12ihipStream_tbDpT10_ENKUlT_T0_E_clISt17integral_constantIbLb0EES16_IbLb1EEEEDaS12_S13_EUlS12_E_NS1_11comp_targetILNS1_3genE2ELNS1_11target_archE906ELNS1_3gpuE6ELNS1_3repE0EEENS1_30default_config_static_selectorELNS0_4arch9wavefront6targetE1EEEvT1_
; %bb.0:
	.section	.rodata,"a",@progbits
	.p2align	6, 0x0
	.amdhsa_kernel _ZN7rocprim17ROCPRIM_400000_NS6detail17trampoline_kernelINS0_14default_configENS1_25partition_config_selectorILNS1_17partition_subalgoE8EiNS0_10empty_typeEbEEZZNS1_14partition_implILS5_8ELb0ES3_jPKiPS6_PKS6_NS0_5tupleIJPiS6_EEENSE_IJSB_SB_EEENS0_18inequality_wrapperIN6hipcub16HIPCUB_304000_NS8EqualityEEEPlJS6_EEE10hipError_tPvRmT3_T4_T5_T6_T7_T9_mT8_P12ihipStream_tbDpT10_ENKUlT_T0_E_clISt17integral_constantIbLb0EES16_IbLb1EEEEDaS12_S13_EUlS12_E_NS1_11comp_targetILNS1_3genE2ELNS1_11target_archE906ELNS1_3gpuE6ELNS1_3repE0EEENS1_30default_config_static_selectorELNS0_4arch9wavefront6targetE1EEEvT1_
		.amdhsa_group_segment_fixed_size 0
		.amdhsa_private_segment_fixed_size 0
		.amdhsa_kernarg_size 128
		.amdhsa_user_sgpr_count 6
		.amdhsa_user_sgpr_private_segment_buffer 1
		.amdhsa_user_sgpr_dispatch_ptr 0
		.amdhsa_user_sgpr_queue_ptr 0
		.amdhsa_user_sgpr_kernarg_segment_ptr 1
		.amdhsa_user_sgpr_dispatch_id 0
		.amdhsa_user_sgpr_flat_scratch_init 0
		.amdhsa_user_sgpr_kernarg_preload_length 0
		.amdhsa_user_sgpr_kernarg_preload_offset 0
		.amdhsa_user_sgpr_private_segment_size 0
		.amdhsa_uses_dynamic_stack 0
		.amdhsa_system_sgpr_private_segment_wavefront_offset 0
		.amdhsa_system_sgpr_workgroup_id_x 1
		.amdhsa_system_sgpr_workgroup_id_y 0
		.amdhsa_system_sgpr_workgroup_id_z 0
		.amdhsa_system_sgpr_workgroup_info 0
		.amdhsa_system_vgpr_workitem_id 0
		.amdhsa_next_free_vgpr 1
		.amdhsa_next_free_sgpr 0
		.amdhsa_accum_offset 4
		.amdhsa_reserve_vcc 0
		.amdhsa_reserve_flat_scratch 0
		.amdhsa_float_round_mode_32 0
		.amdhsa_float_round_mode_16_64 0
		.amdhsa_float_denorm_mode_32 3
		.amdhsa_float_denorm_mode_16_64 3
		.amdhsa_dx10_clamp 1
		.amdhsa_ieee_mode 1
		.amdhsa_fp16_overflow 0
		.amdhsa_tg_split 0
		.amdhsa_exception_fp_ieee_invalid_op 0
		.amdhsa_exception_fp_denorm_src 0
		.amdhsa_exception_fp_ieee_div_zero 0
		.amdhsa_exception_fp_ieee_overflow 0
		.amdhsa_exception_fp_ieee_underflow 0
		.amdhsa_exception_fp_ieee_inexact 0
		.amdhsa_exception_int_div_zero 0
	.end_amdhsa_kernel
	.section	.text._ZN7rocprim17ROCPRIM_400000_NS6detail17trampoline_kernelINS0_14default_configENS1_25partition_config_selectorILNS1_17partition_subalgoE8EiNS0_10empty_typeEbEEZZNS1_14partition_implILS5_8ELb0ES3_jPKiPS6_PKS6_NS0_5tupleIJPiS6_EEENSE_IJSB_SB_EEENS0_18inequality_wrapperIN6hipcub16HIPCUB_304000_NS8EqualityEEEPlJS6_EEE10hipError_tPvRmT3_T4_T5_T6_T7_T9_mT8_P12ihipStream_tbDpT10_ENKUlT_T0_E_clISt17integral_constantIbLb0EES16_IbLb1EEEEDaS12_S13_EUlS12_E_NS1_11comp_targetILNS1_3genE2ELNS1_11target_archE906ELNS1_3gpuE6ELNS1_3repE0EEENS1_30default_config_static_selectorELNS0_4arch9wavefront6targetE1EEEvT1_,"axG",@progbits,_ZN7rocprim17ROCPRIM_400000_NS6detail17trampoline_kernelINS0_14default_configENS1_25partition_config_selectorILNS1_17partition_subalgoE8EiNS0_10empty_typeEbEEZZNS1_14partition_implILS5_8ELb0ES3_jPKiPS6_PKS6_NS0_5tupleIJPiS6_EEENSE_IJSB_SB_EEENS0_18inequality_wrapperIN6hipcub16HIPCUB_304000_NS8EqualityEEEPlJS6_EEE10hipError_tPvRmT3_T4_T5_T6_T7_T9_mT8_P12ihipStream_tbDpT10_ENKUlT_T0_E_clISt17integral_constantIbLb0EES16_IbLb1EEEEDaS12_S13_EUlS12_E_NS1_11comp_targetILNS1_3genE2ELNS1_11target_archE906ELNS1_3gpuE6ELNS1_3repE0EEENS1_30default_config_static_selectorELNS0_4arch9wavefront6targetE1EEEvT1_,comdat
.Lfunc_end438:
	.size	_ZN7rocprim17ROCPRIM_400000_NS6detail17trampoline_kernelINS0_14default_configENS1_25partition_config_selectorILNS1_17partition_subalgoE8EiNS0_10empty_typeEbEEZZNS1_14partition_implILS5_8ELb0ES3_jPKiPS6_PKS6_NS0_5tupleIJPiS6_EEENSE_IJSB_SB_EEENS0_18inequality_wrapperIN6hipcub16HIPCUB_304000_NS8EqualityEEEPlJS6_EEE10hipError_tPvRmT3_T4_T5_T6_T7_T9_mT8_P12ihipStream_tbDpT10_ENKUlT_T0_E_clISt17integral_constantIbLb0EES16_IbLb1EEEEDaS12_S13_EUlS12_E_NS1_11comp_targetILNS1_3genE2ELNS1_11target_archE906ELNS1_3gpuE6ELNS1_3repE0EEENS1_30default_config_static_selectorELNS0_4arch9wavefront6targetE1EEEvT1_, .Lfunc_end438-_ZN7rocprim17ROCPRIM_400000_NS6detail17trampoline_kernelINS0_14default_configENS1_25partition_config_selectorILNS1_17partition_subalgoE8EiNS0_10empty_typeEbEEZZNS1_14partition_implILS5_8ELb0ES3_jPKiPS6_PKS6_NS0_5tupleIJPiS6_EEENSE_IJSB_SB_EEENS0_18inequality_wrapperIN6hipcub16HIPCUB_304000_NS8EqualityEEEPlJS6_EEE10hipError_tPvRmT3_T4_T5_T6_T7_T9_mT8_P12ihipStream_tbDpT10_ENKUlT_T0_E_clISt17integral_constantIbLb0EES16_IbLb1EEEEDaS12_S13_EUlS12_E_NS1_11comp_targetILNS1_3genE2ELNS1_11target_archE906ELNS1_3gpuE6ELNS1_3repE0EEENS1_30default_config_static_selectorELNS0_4arch9wavefront6targetE1EEEvT1_
                                        ; -- End function
	.section	.AMDGPU.csdata,"",@progbits
; Kernel info:
; codeLenInByte = 0
; NumSgprs: 4
; NumVgprs: 0
; NumAgprs: 0
; TotalNumVgprs: 0
; ScratchSize: 0
; MemoryBound: 0
; FloatMode: 240
; IeeeMode: 1
; LDSByteSize: 0 bytes/workgroup (compile time only)
; SGPRBlocks: 0
; VGPRBlocks: 0
; NumSGPRsForWavesPerEU: 4
; NumVGPRsForWavesPerEU: 1
; AccumOffset: 4
; Occupancy: 8
; WaveLimiterHint : 0
; COMPUTE_PGM_RSRC2:SCRATCH_EN: 0
; COMPUTE_PGM_RSRC2:USER_SGPR: 6
; COMPUTE_PGM_RSRC2:TRAP_HANDLER: 0
; COMPUTE_PGM_RSRC2:TGID_X_EN: 1
; COMPUTE_PGM_RSRC2:TGID_Y_EN: 0
; COMPUTE_PGM_RSRC2:TGID_Z_EN: 0
; COMPUTE_PGM_RSRC2:TIDIG_COMP_CNT: 0
; COMPUTE_PGM_RSRC3_GFX90A:ACCUM_OFFSET: 0
; COMPUTE_PGM_RSRC3_GFX90A:TG_SPLIT: 0
	.section	.text._ZN7rocprim17ROCPRIM_400000_NS6detail17trampoline_kernelINS0_14default_configENS1_25partition_config_selectorILNS1_17partition_subalgoE8EiNS0_10empty_typeEbEEZZNS1_14partition_implILS5_8ELb0ES3_jPKiPS6_PKS6_NS0_5tupleIJPiS6_EEENSE_IJSB_SB_EEENS0_18inequality_wrapperIN6hipcub16HIPCUB_304000_NS8EqualityEEEPlJS6_EEE10hipError_tPvRmT3_T4_T5_T6_T7_T9_mT8_P12ihipStream_tbDpT10_ENKUlT_T0_E_clISt17integral_constantIbLb0EES16_IbLb1EEEEDaS12_S13_EUlS12_E_NS1_11comp_targetILNS1_3genE10ELNS1_11target_archE1200ELNS1_3gpuE4ELNS1_3repE0EEENS1_30default_config_static_selectorELNS0_4arch9wavefront6targetE1EEEvT1_,"axG",@progbits,_ZN7rocprim17ROCPRIM_400000_NS6detail17trampoline_kernelINS0_14default_configENS1_25partition_config_selectorILNS1_17partition_subalgoE8EiNS0_10empty_typeEbEEZZNS1_14partition_implILS5_8ELb0ES3_jPKiPS6_PKS6_NS0_5tupleIJPiS6_EEENSE_IJSB_SB_EEENS0_18inequality_wrapperIN6hipcub16HIPCUB_304000_NS8EqualityEEEPlJS6_EEE10hipError_tPvRmT3_T4_T5_T6_T7_T9_mT8_P12ihipStream_tbDpT10_ENKUlT_T0_E_clISt17integral_constantIbLb0EES16_IbLb1EEEEDaS12_S13_EUlS12_E_NS1_11comp_targetILNS1_3genE10ELNS1_11target_archE1200ELNS1_3gpuE4ELNS1_3repE0EEENS1_30default_config_static_selectorELNS0_4arch9wavefront6targetE1EEEvT1_,comdat
	.protected	_ZN7rocprim17ROCPRIM_400000_NS6detail17trampoline_kernelINS0_14default_configENS1_25partition_config_selectorILNS1_17partition_subalgoE8EiNS0_10empty_typeEbEEZZNS1_14partition_implILS5_8ELb0ES3_jPKiPS6_PKS6_NS0_5tupleIJPiS6_EEENSE_IJSB_SB_EEENS0_18inequality_wrapperIN6hipcub16HIPCUB_304000_NS8EqualityEEEPlJS6_EEE10hipError_tPvRmT3_T4_T5_T6_T7_T9_mT8_P12ihipStream_tbDpT10_ENKUlT_T0_E_clISt17integral_constantIbLb0EES16_IbLb1EEEEDaS12_S13_EUlS12_E_NS1_11comp_targetILNS1_3genE10ELNS1_11target_archE1200ELNS1_3gpuE4ELNS1_3repE0EEENS1_30default_config_static_selectorELNS0_4arch9wavefront6targetE1EEEvT1_ ; -- Begin function _ZN7rocprim17ROCPRIM_400000_NS6detail17trampoline_kernelINS0_14default_configENS1_25partition_config_selectorILNS1_17partition_subalgoE8EiNS0_10empty_typeEbEEZZNS1_14partition_implILS5_8ELb0ES3_jPKiPS6_PKS6_NS0_5tupleIJPiS6_EEENSE_IJSB_SB_EEENS0_18inequality_wrapperIN6hipcub16HIPCUB_304000_NS8EqualityEEEPlJS6_EEE10hipError_tPvRmT3_T4_T5_T6_T7_T9_mT8_P12ihipStream_tbDpT10_ENKUlT_T0_E_clISt17integral_constantIbLb0EES16_IbLb1EEEEDaS12_S13_EUlS12_E_NS1_11comp_targetILNS1_3genE10ELNS1_11target_archE1200ELNS1_3gpuE4ELNS1_3repE0EEENS1_30default_config_static_selectorELNS0_4arch9wavefront6targetE1EEEvT1_
	.globl	_ZN7rocprim17ROCPRIM_400000_NS6detail17trampoline_kernelINS0_14default_configENS1_25partition_config_selectorILNS1_17partition_subalgoE8EiNS0_10empty_typeEbEEZZNS1_14partition_implILS5_8ELb0ES3_jPKiPS6_PKS6_NS0_5tupleIJPiS6_EEENSE_IJSB_SB_EEENS0_18inequality_wrapperIN6hipcub16HIPCUB_304000_NS8EqualityEEEPlJS6_EEE10hipError_tPvRmT3_T4_T5_T6_T7_T9_mT8_P12ihipStream_tbDpT10_ENKUlT_T0_E_clISt17integral_constantIbLb0EES16_IbLb1EEEEDaS12_S13_EUlS12_E_NS1_11comp_targetILNS1_3genE10ELNS1_11target_archE1200ELNS1_3gpuE4ELNS1_3repE0EEENS1_30default_config_static_selectorELNS0_4arch9wavefront6targetE1EEEvT1_
	.p2align	8
	.type	_ZN7rocprim17ROCPRIM_400000_NS6detail17trampoline_kernelINS0_14default_configENS1_25partition_config_selectorILNS1_17partition_subalgoE8EiNS0_10empty_typeEbEEZZNS1_14partition_implILS5_8ELb0ES3_jPKiPS6_PKS6_NS0_5tupleIJPiS6_EEENSE_IJSB_SB_EEENS0_18inequality_wrapperIN6hipcub16HIPCUB_304000_NS8EqualityEEEPlJS6_EEE10hipError_tPvRmT3_T4_T5_T6_T7_T9_mT8_P12ihipStream_tbDpT10_ENKUlT_T0_E_clISt17integral_constantIbLb0EES16_IbLb1EEEEDaS12_S13_EUlS12_E_NS1_11comp_targetILNS1_3genE10ELNS1_11target_archE1200ELNS1_3gpuE4ELNS1_3repE0EEENS1_30default_config_static_selectorELNS0_4arch9wavefront6targetE1EEEvT1_,@function
_ZN7rocprim17ROCPRIM_400000_NS6detail17trampoline_kernelINS0_14default_configENS1_25partition_config_selectorILNS1_17partition_subalgoE8EiNS0_10empty_typeEbEEZZNS1_14partition_implILS5_8ELb0ES3_jPKiPS6_PKS6_NS0_5tupleIJPiS6_EEENSE_IJSB_SB_EEENS0_18inequality_wrapperIN6hipcub16HIPCUB_304000_NS8EqualityEEEPlJS6_EEE10hipError_tPvRmT3_T4_T5_T6_T7_T9_mT8_P12ihipStream_tbDpT10_ENKUlT_T0_E_clISt17integral_constantIbLb0EES16_IbLb1EEEEDaS12_S13_EUlS12_E_NS1_11comp_targetILNS1_3genE10ELNS1_11target_archE1200ELNS1_3gpuE4ELNS1_3repE0EEENS1_30default_config_static_selectorELNS0_4arch9wavefront6targetE1EEEvT1_: ; @_ZN7rocprim17ROCPRIM_400000_NS6detail17trampoline_kernelINS0_14default_configENS1_25partition_config_selectorILNS1_17partition_subalgoE8EiNS0_10empty_typeEbEEZZNS1_14partition_implILS5_8ELb0ES3_jPKiPS6_PKS6_NS0_5tupleIJPiS6_EEENSE_IJSB_SB_EEENS0_18inequality_wrapperIN6hipcub16HIPCUB_304000_NS8EqualityEEEPlJS6_EEE10hipError_tPvRmT3_T4_T5_T6_T7_T9_mT8_P12ihipStream_tbDpT10_ENKUlT_T0_E_clISt17integral_constantIbLb0EES16_IbLb1EEEEDaS12_S13_EUlS12_E_NS1_11comp_targetILNS1_3genE10ELNS1_11target_archE1200ELNS1_3gpuE4ELNS1_3repE0EEENS1_30default_config_static_selectorELNS0_4arch9wavefront6targetE1EEEvT1_
; %bb.0:
	.section	.rodata,"a",@progbits
	.p2align	6, 0x0
	.amdhsa_kernel _ZN7rocprim17ROCPRIM_400000_NS6detail17trampoline_kernelINS0_14default_configENS1_25partition_config_selectorILNS1_17partition_subalgoE8EiNS0_10empty_typeEbEEZZNS1_14partition_implILS5_8ELb0ES3_jPKiPS6_PKS6_NS0_5tupleIJPiS6_EEENSE_IJSB_SB_EEENS0_18inequality_wrapperIN6hipcub16HIPCUB_304000_NS8EqualityEEEPlJS6_EEE10hipError_tPvRmT3_T4_T5_T6_T7_T9_mT8_P12ihipStream_tbDpT10_ENKUlT_T0_E_clISt17integral_constantIbLb0EES16_IbLb1EEEEDaS12_S13_EUlS12_E_NS1_11comp_targetILNS1_3genE10ELNS1_11target_archE1200ELNS1_3gpuE4ELNS1_3repE0EEENS1_30default_config_static_selectorELNS0_4arch9wavefront6targetE1EEEvT1_
		.amdhsa_group_segment_fixed_size 0
		.amdhsa_private_segment_fixed_size 0
		.amdhsa_kernarg_size 128
		.amdhsa_user_sgpr_count 6
		.amdhsa_user_sgpr_private_segment_buffer 1
		.amdhsa_user_sgpr_dispatch_ptr 0
		.amdhsa_user_sgpr_queue_ptr 0
		.amdhsa_user_sgpr_kernarg_segment_ptr 1
		.amdhsa_user_sgpr_dispatch_id 0
		.amdhsa_user_sgpr_flat_scratch_init 0
		.amdhsa_user_sgpr_kernarg_preload_length 0
		.amdhsa_user_sgpr_kernarg_preload_offset 0
		.amdhsa_user_sgpr_private_segment_size 0
		.amdhsa_uses_dynamic_stack 0
		.amdhsa_system_sgpr_private_segment_wavefront_offset 0
		.amdhsa_system_sgpr_workgroup_id_x 1
		.amdhsa_system_sgpr_workgroup_id_y 0
		.amdhsa_system_sgpr_workgroup_id_z 0
		.amdhsa_system_sgpr_workgroup_info 0
		.amdhsa_system_vgpr_workitem_id 0
		.amdhsa_next_free_vgpr 1
		.amdhsa_next_free_sgpr 0
		.amdhsa_accum_offset 4
		.amdhsa_reserve_vcc 0
		.amdhsa_reserve_flat_scratch 0
		.amdhsa_float_round_mode_32 0
		.amdhsa_float_round_mode_16_64 0
		.amdhsa_float_denorm_mode_32 3
		.amdhsa_float_denorm_mode_16_64 3
		.amdhsa_dx10_clamp 1
		.amdhsa_ieee_mode 1
		.amdhsa_fp16_overflow 0
		.amdhsa_tg_split 0
		.amdhsa_exception_fp_ieee_invalid_op 0
		.amdhsa_exception_fp_denorm_src 0
		.amdhsa_exception_fp_ieee_div_zero 0
		.amdhsa_exception_fp_ieee_overflow 0
		.amdhsa_exception_fp_ieee_underflow 0
		.amdhsa_exception_fp_ieee_inexact 0
		.amdhsa_exception_int_div_zero 0
	.end_amdhsa_kernel
	.section	.text._ZN7rocprim17ROCPRIM_400000_NS6detail17trampoline_kernelINS0_14default_configENS1_25partition_config_selectorILNS1_17partition_subalgoE8EiNS0_10empty_typeEbEEZZNS1_14partition_implILS5_8ELb0ES3_jPKiPS6_PKS6_NS0_5tupleIJPiS6_EEENSE_IJSB_SB_EEENS0_18inequality_wrapperIN6hipcub16HIPCUB_304000_NS8EqualityEEEPlJS6_EEE10hipError_tPvRmT3_T4_T5_T6_T7_T9_mT8_P12ihipStream_tbDpT10_ENKUlT_T0_E_clISt17integral_constantIbLb0EES16_IbLb1EEEEDaS12_S13_EUlS12_E_NS1_11comp_targetILNS1_3genE10ELNS1_11target_archE1200ELNS1_3gpuE4ELNS1_3repE0EEENS1_30default_config_static_selectorELNS0_4arch9wavefront6targetE1EEEvT1_,"axG",@progbits,_ZN7rocprim17ROCPRIM_400000_NS6detail17trampoline_kernelINS0_14default_configENS1_25partition_config_selectorILNS1_17partition_subalgoE8EiNS0_10empty_typeEbEEZZNS1_14partition_implILS5_8ELb0ES3_jPKiPS6_PKS6_NS0_5tupleIJPiS6_EEENSE_IJSB_SB_EEENS0_18inequality_wrapperIN6hipcub16HIPCUB_304000_NS8EqualityEEEPlJS6_EEE10hipError_tPvRmT3_T4_T5_T6_T7_T9_mT8_P12ihipStream_tbDpT10_ENKUlT_T0_E_clISt17integral_constantIbLb0EES16_IbLb1EEEEDaS12_S13_EUlS12_E_NS1_11comp_targetILNS1_3genE10ELNS1_11target_archE1200ELNS1_3gpuE4ELNS1_3repE0EEENS1_30default_config_static_selectorELNS0_4arch9wavefront6targetE1EEEvT1_,comdat
.Lfunc_end439:
	.size	_ZN7rocprim17ROCPRIM_400000_NS6detail17trampoline_kernelINS0_14default_configENS1_25partition_config_selectorILNS1_17partition_subalgoE8EiNS0_10empty_typeEbEEZZNS1_14partition_implILS5_8ELb0ES3_jPKiPS6_PKS6_NS0_5tupleIJPiS6_EEENSE_IJSB_SB_EEENS0_18inequality_wrapperIN6hipcub16HIPCUB_304000_NS8EqualityEEEPlJS6_EEE10hipError_tPvRmT3_T4_T5_T6_T7_T9_mT8_P12ihipStream_tbDpT10_ENKUlT_T0_E_clISt17integral_constantIbLb0EES16_IbLb1EEEEDaS12_S13_EUlS12_E_NS1_11comp_targetILNS1_3genE10ELNS1_11target_archE1200ELNS1_3gpuE4ELNS1_3repE0EEENS1_30default_config_static_selectorELNS0_4arch9wavefront6targetE1EEEvT1_, .Lfunc_end439-_ZN7rocprim17ROCPRIM_400000_NS6detail17trampoline_kernelINS0_14default_configENS1_25partition_config_selectorILNS1_17partition_subalgoE8EiNS0_10empty_typeEbEEZZNS1_14partition_implILS5_8ELb0ES3_jPKiPS6_PKS6_NS0_5tupleIJPiS6_EEENSE_IJSB_SB_EEENS0_18inequality_wrapperIN6hipcub16HIPCUB_304000_NS8EqualityEEEPlJS6_EEE10hipError_tPvRmT3_T4_T5_T6_T7_T9_mT8_P12ihipStream_tbDpT10_ENKUlT_T0_E_clISt17integral_constantIbLb0EES16_IbLb1EEEEDaS12_S13_EUlS12_E_NS1_11comp_targetILNS1_3genE10ELNS1_11target_archE1200ELNS1_3gpuE4ELNS1_3repE0EEENS1_30default_config_static_selectorELNS0_4arch9wavefront6targetE1EEEvT1_
                                        ; -- End function
	.section	.AMDGPU.csdata,"",@progbits
; Kernel info:
; codeLenInByte = 0
; NumSgprs: 4
; NumVgprs: 0
; NumAgprs: 0
; TotalNumVgprs: 0
; ScratchSize: 0
; MemoryBound: 0
; FloatMode: 240
; IeeeMode: 1
; LDSByteSize: 0 bytes/workgroup (compile time only)
; SGPRBlocks: 0
; VGPRBlocks: 0
; NumSGPRsForWavesPerEU: 4
; NumVGPRsForWavesPerEU: 1
; AccumOffset: 4
; Occupancy: 8
; WaveLimiterHint : 0
; COMPUTE_PGM_RSRC2:SCRATCH_EN: 0
; COMPUTE_PGM_RSRC2:USER_SGPR: 6
; COMPUTE_PGM_RSRC2:TRAP_HANDLER: 0
; COMPUTE_PGM_RSRC2:TGID_X_EN: 1
; COMPUTE_PGM_RSRC2:TGID_Y_EN: 0
; COMPUTE_PGM_RSRC2:TGID_Z_EN: 0
; COMPUTE_PGM_RSRC2:TIDIG_COMP_CNT: 0
; COMPUTE_PGM_RSRC3_GFX90A:ACCUM_OFFSET: 0
; COMPUTE_PGM_RSRC3_GFX90A:TG_SPLIT: 0
	.section	.text._ZN7rocprim17ROCPRIM_400000_NS6detail17trampoline_kernelINS0_14default_configENS1_25partition_config_selectorILNS1_17partition_subalgoE8EiNS0_10empty_typeEbEEZZNS1_14partition_implILS5_8ELb0ES3_jPKiPS6_PKS6_NS0_5tupleIJPiS6_EEENSE_IJSB_SB_EEENS0_18inequality_wrapperIN6hipcub16HIPCUB_304000_NS8EqualityEEEPlJS6_EEE10hipError_tPvRmT3_T4_T5_T6_T7_T9_mT8_P12ihipStream_tbDpT10_ENKUlT_T0_E_clISt17integral_constantIbLb0EES16_IbLb1EEEEDaS12_S13_EUlS12_E_NS1_11comp_targetILNS1_3genE9ELNS1_11target_archE1100ELNS1_3gpuE3ELNS1_3repE0EEENS1_30default_config_static_selectorELNS0_4arch9wavefront6targetE1EEEvT1_,"axG",@progbits,_ZN7rocprim17ROCPRIM_400000_NS6detail17trampoline_kernelINS0_14default_configENS1_25partition_config_selectorILNS1_17partition_subalgoE8EiNS0_10empty_typeEbEEZZNS1_14partition_implILS5_8ELb0ES3_jPKiPS6_PKS6_NS0_5tupleIJPiS6_EEENSE_IJSB_SB_EEENS0_18inequality_wrapperIN6hipcub16HIPCUB_304000_NS8EqualityEEEPlJS6_EEE10hipError_tPvRmT3_T4_T5_T6_T7_T9_mT8_P12ihipStream_tbDpT10_ENKUlT_T0_E_clISt17integral_constantIbLb0EES16_IbLb1EEEEDaS12_S13_EUlS12_E_NS1_11comp_targetILNS1_3genE9ELNS1_11target_archE1100ELNS1_3gpuE3ELNS1_3repE0EEENS1_30default_config_static_selectorELNS0_4arch9wavefront6targetE1EEEvT1_,comdat
	.protected	_ZN7rocprim17ROCPRIM_400000_NS6detail17trampoline_kernelINS0_14default_configENS1_25partition_config_selectorILNS1_17partition_subalgoE8EiNS0_10empty_typeEbEEZZNS1_14partition_implILS5_8ELb0ES3_jPKiPS6_PKS6_NS0_5tupleIJPiS6_EEENSE_IJSB_SB_EEENS0_18inequality_wrapperIN6hipcub16HIPCUB_304000_NS8EqualityEEEPlJS6_EEE10hipError_tPvRmT3_T4_T5_T6_T7_T9_mT8_P12ihipStream_tbDpT10_ENKUlT_T0_E_clISt17integral_constantIbLb0EES16_IbLb1EEEEDaS12_S13_EUlS12_E_NS1_11comp_targetILNS1_3genE9ELNS1_11target_archE1100ELNS1_3gpuE3ELNS1_3repE0EEENS1_30default_config_static_selectorELNS0_4arch9wavefront6targetE1EEEvT1_ ; -- Begin function _ZN7rocprim17ROCPRIM_400000_NS6detail17trampoline_kernelINS0_14default_configENS1_25partition_config_selectorILNS1_17partition_subalgoE8EiNS0_10empty_typeEbEEZZNS1_14partition_implILS5_8ELb0ES3_jPKiPS6_PKS6_NS0_5tupleIJPiS6_EEENSE_IJSB_SB_EEENS0_18inequality_wrapperIN6hipcub16HIPCUB_304000_NS8EqualityEEEPlJS6_EEE10hipError_tPvRmT3_T4_T5_T6_T7_T9_mT8_P12ihipStream_tbDpT10_ENKUlT_T0_E_clISt17integral_constantIbLb0EES16_IbLb1EEEEDaS12_S13_EUlS12_E_NS1_11comp_targetILNS1_3genE9ELNS1_11target_archE1100ELNS1_3gpuE3ELNS1_3repE0EEENS1_30default_config_static_selectorELNS0_4arch9wavefront6targetE1EEEvT1_
	.globl	_ZN7rocprim17ROCPRIM_400000_NS6detail17trampoline_kernelINS0_14default_configENS1_25partition_config_selectorILNS1_17partition_subalgoE8EiNS0_10empty_typeEbEEZZNS1_14partition_implILS5_8ELb0ES3_jPKiPS6_PKS6_NS0_5tupleIJPiS6_EEENSE_IJSB_SB_EEENS0_18inequality_wrapperIN6hipcub16HIPCUB_304000_NS8EqualityEEEPlJS6_EEE10hipError_tPvRmT3_T4_T5_T6_T7_T9_mT8_P12ihipStream_tbDpT10_ENKUlT_T0_E_clISt17integral_constantIbLb0EES16_IbLb1EEEEDaS12_S13_EUlS12_E_NS1_11comp_targetILNS1_3genE9ELNS1_11target_archE1100ELNS1_3gpuE3ELNS1_3repE0EEENS1_30default_config_static_selectorELNS0_4arch9wavefront6targetE1EEEvT1_
	.p2align	8
	.type	_ZN7rocprim17ROCPRIM_400000_NS6detail17trampoline_kernelINS0_14default_configENS1_25partition_config_selectorILNS1_17partition_subalgoE8EiNS0_10empty_typeEbEEZZNS1_14partition_implILS5_8ELb0ES3_jPKiPS6_PKS6_NS0_5tupleIJPiS6_EEENSE_IJSB_SB_EEENS0_18inequality_wrapperIN6hipcub16HIPCUB_304000_NS8EqualityEEEPlJS6_EEE10hipError_tPvRmT3_T4_T5_T6_T7_T9_mT8_P12ihipStream_tbDpT10_ENKUlT_T0_E_clISt17integral_constantIbLb0EES16_IbLb1EEEEDaS12_S13_EUlS12_E_NS1_11comp_targetILNS1_3genE9ELNS1_11target_archE1100ELNS1_3gpuE3ELNS1_3repE0EEENS1_30default_config_static_selectorELNS0_4arch9wavefront6targetE1EEEvT1_,@function
_ZN7rocprim17ROCPRIM_400000_NS6detail17trampoline_kernelINS0_14default_configENS1_25partition_config_selectorILNS1_17partition_subalgoE8EiNS0_10empty_typeEbEEZZNS1_14partition_implILS5_8ELb0ES3_jPKiPS6_PKS6_NS0_5tupleIJPiS6_EEENSE_IJSB_SB_EEENS0_18inequality_wrapperIN6hipcub16HIPCUB_304000_NS8EqualityEEEPlJS6_EEE10hipError_tPvRmT3_T4_T5_T6_T7_T9_mT8_P12ihipStream_tbDpT10_ENKUlT_T0_E_clISt17integral_constantIbLb0EES16_IbLb1EEEEDaS12_S13_EUlS12_E_NS1_11comp_targetILNS1_3genE9ELNS1_11target_archE1100ELNS1_3gpuE3ELNS1_3repE0EEENS1_30default_config_static_selectorELNS0_4arch9wavefront6targetE1EEEvT1_: ; @_ZN7rocprim17ROCPRIM_400000_NS6detail17trampoline_kernelINS0_14default_configENS1_25partition_config_selectorILNS1_17partition_subalgoE8EiNS0_10empty_typeEbEEZZNS1_14partition_implILS5_8ELb0ES3_jPKiPS6_PKS6_NS0_5tupleIJPiS6_EEENSE_IJSB_SB_EEENS0_18inequality_wrapperIN6hipcub16HIPCUB_304000_NS8EqualityEEEPlJS6_EEE10hipError_tPvRmT3_T4_T5_T6_T7_T9_mT8_P12ihipStream_tbDpT10_ENKUlT_T0_E_clISt17integral_constantIbLb0EES16_IbLb1EEEEDaS12_S13_EUlS12_E_NS1_11comp_targetILNS1_3genE9ELNS1_11target_archE1100ELNS1_3gpuE3ELNS1_3repE0EEENS1_30default_config_static_selectorELNS0_4arch9wavefront6targetE1EEEvT1_
; %bb.0:
	.section	.rodata,"a",@progbits
	.p2align	6, 0x0
	.amdhsa_kernel _ZN7rocprim17ROCPRIM_400000_NS6detail17trampoline_kernelINS0_14default_configENS1_25partition_config_selectorILNS1_17partition_subalgoE8EiNS0_10empty_typeEbEEZZNS1_14partition_implILS5_8ELb0ES3_jPKiPS6_PKS6_NS0_5tupleIJPiS6_EEENSE_IJSB_SB_EEENS0_18inequality_wrapperIN6hipcub16HIPCUB_304000_NS8EqualityEEEPlJS6_EEE10hipError_tPvRmT3_T4_T5_T6_T7_T9_mT8_P12ihipStream_tbDpT10_ENKUlT_T0_E_clISt17integral_constantIbLb0EES16_IbLb1EEEEDaS12_S13_EUlS12_E_NS1_11comp_targetILNS1_3genE9ELNS1_11target_archE1100ELNS1_3gpuE3ELNS1_3repE0EEENS1_30default_config_static_selectorELNS0_4arch9wavefront6targetE1EEEvT1_
		.amdhsa_group_segment_fixed_size 0
		.amdhsa_private_segment_fixed_size 0
		.amdhsa_kernarg_size 128
		.amdhsa_user_sgpr_count 6
		.amdhsa_user_sgpr_private_segment_buffer 1
		.amdhsa_user_sgpr_dispatch_ptr 0
		.amdhsa_user_sgpr_queue_ptr 0
		.amdhsa_user_sgpr_kernarg_segment_ptr 1
		.amdhsa_user_sgpr_dispatch_id 0
		.amdhsa_user_sgpr_flat_scratch_init 0
		.amdhsa_user_sgpr_kernarg_preload_length 0
		.amdhsa_user_sgpr_kernarg_preload_offset 0
		.amdhsa_user_sgpr_private_segment_size 0
		.amdhsa_uses_dynamic_stack 0
		.amdhsa_system_sgpr_private_segment_wavefront_offset 0
		.amdhsa_system_sgpr_workgroup_id_x 1
		.amdhsa_system_sgpr_workgroup_id_y 0
		.amdhsa_system_sgpr_workgroup_id_z 0
		.amdhsa_system_sgpr_workgroup_info 0
		.amdhsa_system_vgpr_workitem_id 0
		.amdhsa_next_free_vgpr 1
		.amdhsa_next_free_sgpr 0
		.amdhsa_accum_offset 4
		.amdhsa_reserve_vcc 0
		.amdhsa_reserve_flat_scratch 0
		.amdhsa_float_round_mode_32 0
		.amdhsa_float_round_mode_16_64 0
		.amdhsa_float_denorm_mode_32 3
		.amdhsa_float_denorm_mode_16_64 3
		.amdhsa_dx10_clamp 1
		.amdhsa_ieee_mode 1
		.amdhsa_fp16_overflow 0
		.amdhsa_tg_split 0
		.amdhsa_exception_fp_ieee_invalid_op 0
		.amdhsa_exception_fp_denorm_src 0
		.amdhsa_exception_fp_ieee_div_zero 0
		.amdhsa_exception_fp_ieee_overflow 0
		.amdhsa_exception_fp_ieee_underflow 0
		.amdhsa_exception_fp_ieee_inexact 0
		.amdhsa_exception_int_div_zero 0
	.end_amdhsa_kernel
	.section	.text._ZN7rocprim17ROCPRIM_400000_NS6detail17trampoline_kernelINS0_14default_configENS1_25partition_config_selectorILNS1_17partition_subalgoE8EiNS0_10empty_typeEbEEZZNS1_14partition_implILS5_8ELb0ES3_jPKiPS6_PKS6_NS0_5tupleIJPiS6_EEENSE_IJSB_SB_EEENS0_18inequality_wrapperIN6hipcub16HIPCUB_304000_NS8EqualityEEEPlJS6_EEE10hipError_tPvRmT3_T4_T5_T6_T7_T9_mT8_P12ihipStream_tbDpT10_ENKUlT_T0_E_clISt17integral_constantIbLb0EES16_IbLb1EEEEDaS12_S13_EUlS12_E_NS1_11comp_targetILNS1_3genE9ELNS1_11target_archE1100ELNS1_3gpuE3ELNS1_3repE0EEENS1_30default_config_static_selectorELNS0_4arch9wavefront6targetE1EEEvT1_,"axG",@progbits,_ZN7rocprim17ROCPRIM_400000_NS6detail17trampoline_kernelINS0_14default_configENS1_25partition_config_selectorILNS1_17partition_subalgoE8EiNS0_10empty_typeEbEEZZNS1_14partition_implILS5_8ELb0ES3_jPKiPS6_PKS6_NS0_5tupleIJPiS6_EEENSE_IJSB_SB_EEENS0_18inequality_wrapperIN6hipcub16HIPCUB_304000_NS8EqualityEEEPlJS6_EEE10hipError_tPvRmT3_T4_T5_T6_T7_T9_mT8_P12ihipStream_tbDpT10_ENKUlT_T0_E_clISt17integral_constantIbLb0EES16_IbLb1EEEEDaS12_S13_EUlS12_E_NS1_11comp_targetILNS1_3genE9ELNS1_11target_archE1100ELNS1_3gpuE3ELNS1_3repE0EEENS1_30default_config_static_selectorELNS0_4arch9wavefront6targetE1EEEvT1_,comdat
.Lfunc_end440:
	.size	_ZN7rocprim17ROCPRIM_400000_NS6detail17trampoline_kernelINS0_14default_configENS1_25partition_config_selectorILNS1_17partition_subalgoE8EiNS0_10empty_typeEbEEZZNS1_14partition_implILS5_8ELb0ES3_jPKiPS6_PKS6_NS0_5tupleIJPiS6_EEENSE_IJSB_SB_EEENS0_18inequality_wrapperIN6hipcub16HIPCUB_304000_NS8EqualityEEEPlJS6_EEE10hipError_tPvRmT3_T4_T5_T6_T7_T9_mT8_P12ihipStream_tbDpT10_ENKUlT_T0_E_clISt17integral_constantIbLb0EES16_IbLb1EEEEDaS12_S13_EUlS12_E_NS1_11comp_targetILNS1_3genE9ELNS1_11target_archE1100ELNS1_3gpuE3ELNS1_3repE0EEENS1_30default_config_static_selectorELNS0_4arch9wavefront6targetE1EEEvT1_, .Lfunc_end440-_ZN7rocprim17ROCPRIM_400000_NS6detail17trampoline_kernelINS0_14default_configENS1_25partition_config_selectorILNS1_17partition_subalgoE8EiNS0_10empty_typeEbEEZZNS1_14partition_implILS5_8ELb0ES3_jPKiPS6_PKS6_NS0_5tupleIJPiS6_EEENSE_IJSB_SB_EEENS0_18inequality_wrapperIN6hipcub16HIPCUB_304000_NS8EqualityEEEPlJS6_EEE10hipError_tPvRmT3_T4_T5_T6_T7_T9_mT8_P12ihipStream_tbDpT10_ENKUlT_T0_E_clISt17integral_constantIbLb0EES16_IbLb1EEEEDaS12_S13_EUlS12_E_NS1_11comp_targetILNS1_3genE9ELNS1_11target_archE1100ELNS1_3gpuE3ELNS1_3repE0EEENS1_30default_config_static_selectorELNS0_4arch9wavefront6targetE1EEEvT1_
                                        ; -- End function
	.section	.AMDGPU.csdata,"",@progbits
; Kernel info:
; codeLenInByte = 0
; NumSgprs: 4
; NumVgprs: 0
; NumAgprs: 0
; TotalNumVgprs: 0
; ScratchSize: 0
; MemoryBound: 0
; FloatMode: 240
; IeeeMode: 1
; LDSByteSize: 0 bytes/workgroup (compile time only)
; SGPRBlocks: 0
; VGPRBlocks: 0
; NumSGPRsForWavesPerEU: 4
; NumVGPRsForWavesPerEU: 1
; AccumOffset: 4
; Occupancy: 8
; WaveLimiterHint : 0
; COMPUTE_PGM_RSRC2:SCRATCH_EN: 0
; COMPUTE_PGM_RSRC2:USER_SGPR: 6
; COMPUTE_PGM_RSRC2:TRAP_HANDLER: 0
; COMPUTE_PGM_RSRC2:TGID_X_EN: 1
; COMPUTE_PGM_RSRC2:TGID_Y_EN: 0
; COMPUTE_PGM_RSRC2:TGID_Z_EN: 0
; COMPUTE_PGM_RSRC2:TIDIG_COMP_CNT: 0
; COMPUTE_PGM_RSRC3_GFX90A:ACCUM_OFFSET: 0
; COMPUTE_PGM_RSRC3_GFX90A:TG_SPLIT: 0
	.section	.text._ZN7rocprim17ROCPRIM_400000_NS6detail17trampoline_kernelINS0_14default_configENS1_25partition_config_selectorILNS1_17partition_subalgoE8EiNS0_10empty_typeEbEEZZNS1_14partition_implILS5_8ELb0ES3_jPKiPS6_PKS6_NS0_5tupleIJPiS6_EEENSE_IJSB_SB_EEENS0_18inequality_wrapperIN6hipcub16HIPCUB_304000_NS8EqualityEEEPlJS6_EEE10hipError_tPvRmT3_T4_T5_T6_T7_T9_mT8_P12ihipStream_tbDpT10_ENKUlT_T0_E_clISt17integral_constantIbLb0EES16_IbLb1EEEEDaS12_S13_EUlS12_E_NS1_11comp_targetILNS1_3genE8ELNS1_11target_archE1030ELNS1_3gpuE2ELNS1_3repE0EEENS1_30default_config_static_selectorELNS0_4arch9wavefront6targetE1EEEvT1_,"axG",@progbits,_ZN7rocprim17ROCPRIM_400000_NS6detail17trampoline_kernelINS0_14default_configENS1_25partition_config_selectorILNS1_17partition_subalgoE8EiNS0_10empty_typeEbEEZZNS1_14partition_implILS5_8ELb0ES3_jPKiPS6_PKS6_NS0_5tupleIJPiS6_EEENSE_IJSB_SB_EEENS0_18inequality_wrapperIN6hipcub16HIPCUB_304000_NS8EqualityEEEPlJS6_EEE10hipError_tPvRmT3_T4_T5_T6_T7_T9_mT8_P12ihipStream_tbDpT10_ENKUlT_T0_E_clISt17integral_constantIbLb0EES16_IbLb1EEEEDaS12_S13_EUlS12_E_NS1_11comp_targetILNS1_3genE8ELNS1_11target_archE1030ELNS1_3gpuE2ELNS1_3repE0EEENS1_30default_config_static_selectorELNS0_4arch9wavefront6targetE1EEEvT1_,comdat
	.protected	_ZN7rocprim17ROCPRIM_400000_NS6detail17trampoline_kernelINS0_14default_configENS1_25partition_config_selectorILNS1_17partition_subalgoE8EiNS0_10empty_typeEbEEZZNS1_14partition_implILS5_8ELb0ES3_jPKiPS6_PKS6_NS0_5tupleIJPiS6_EEENSE_IJSB_SB_EEENS0_18inequality_wrapperIN6hipcub16HIPCUB_304000_NS8EqualityEEEPlJS6_EEE10hipError_tPvRmT3_T4_T5_T6_T7_T9_mT8_P12ihipStream_tbDpT10_ENKUlT_T0_E_clISt17integral_constantIbLb0EES16_IbLb1EEEEDaS12_S13_EUlS12_E_NS1_11comp_targetILNS1_3genE8ELNS1_11target_archE1030ELNS1_3gpuE2ELNS1_3repE0EEENS1_30default_config_static_selectorELNS0_4arch9wavefront6targetE1EEEvT1_ ; -- Begin function _ZN7rocprim17ROCPRIM_400000_NS6detail17trampoline_kernelINS0_14default_configENS1_25partition_config_selectorILNS1_17partition_subalgoE8EiNS0_10empty_typeEbEEZZNS1_14partition_implILS5_8ELb0ES3_jPKiPS6_PKS6_NS0_5tupleIJPiS6_EEENSE_IJSB_SB_EEENS0_18inequality_wrapperIN6hipcub16HIPCUB_304000_NS8EqualityEEEPlJS6_EEE10hipError_tPvRmT3_T4_T5_T6_T7_T9_mT8_P12ihipStream_tbDpT10_ENKUlT_T0_E_clISt17integral_constantIbLb0EES16_IbLb1EEEEDaS12_S13_EUlS12_E_NS1_11comp_targetILNS1_3genE8ELNS1_11target_archE1030ELNS1_3gpuE2ELNS1_3repE0EEENS1_30default_config_static_selectorELNS0_4arch9wavefront6targetE1EEEvT1_
	.globl	_ZN7rocprim17ROCPRIM_400000_NS6detail17trampoline_kernelINS0_14default_configENS1_25partition_config_selectorILNS1_17partition_subalgoE8EiNS0_10empty_typeEbEEZZNS1_14partition_implILS5_8ELb0ES3_jPKiPS6_PKS6_NS0_5tupleIJPiS6_EEENSE_IJSB_SB_EEENS0_18inequality_wrapperIN6hipcub16HIPCUB_304000_NS8EqualityEEEPlJS6_EEE10hipError_tPvRmT3_T4_T5_T6_T7_T9_mT8_P12ihipStream_tbDpT10_ENKUlT_T0_E_clISt17integral_constantIbLb0EES16_IbLb1EEEEDaS12_S13_EUlS12_E_NS1_11comp_targetILNS1_3genE8ELNS1_11target_archE1030ELNS1_3gpuE2ELNS1_3repE0EEENS1_30default_config_static_selectorELNS0_4arch9wavefront6targetE1EEEvT1_
	.p2align	8
	.type	_ZN7rocprim17ROCPRIM_400000_NS6detail17trampoline_kernelINS0_14default_configENS1_25partition_config_selectorILNS1_17partition_subalgoE8EiNS0_10empty_typeEbEEZZNS1_14partition_implILS5_8ELb0ES3_jPKiPS6_PKS6_NS0_5tupleIJPiS6_EEENSE_IJSB_SB_EEENS0_18inequality_wrapperIN6hipcub16HIPCUB_304000_NS8EqualityEEEPlJS6_EEE10hipError_tPvRmT3_T4_T5_T6_T7_T9_mT8_P12ihipStream_tbDpT10_ENKUlT_T0_E_clISt17integral_constantIbLb0EES16_IbLb1EEEEDaS12_S13_EUlS12_E_NS1_11comp_targetILNS1_3genE8ELNS1_11target_archE1030ELNS1_3gpuE2ELNS1_3repE0EEENS1_30default_config_static_selectorELNS0_4arch9wavefront6targetE1EEEvT1_,@function
_ZN7rocprim17ROCPRIM_400000_NS6detail17trampoline_kernelINS0_14default_configENS1_25partition_config_selectorILNS1_17partition_subalgoE8EiNS0_10empty_typeEbEEZZNS1_14partition_implILS5_8ELb0ES3_jPKiPS6_PKS6_NS0_5tupleIJPiS6_EEENSE_IJSB_SB_EEENS0_18inequality_wrapperIN6hipcub16HIPCUB_304000_NS8EqualityEEEPlJS6_EEE10hipError_tPvRmT3_T4_T5_T6_T7_T9_mT8_P12ihipStream_tbDpT10_ENKUlT_T0_E_clISt17integral_constantIbLb0EES16_IbLb1EEEEDaS12_S13_EUlS12_E_NS1_11comp_targetILNS1_3genE8ELNS1_11target_archE1030ELNS1_3gpuE2ELNS1_3repE0EEENS1_30default_config_static_selectorELNS0_4arch9wavefront6targetE1EEEvT1_: ; @_ZN7rocprim17ROCPRIM_400000_NS6detail17trampoline_kernelINS0_14default_configENS1_25partition_config_selectorILNS1_17partition_subalgoE8EiNS0_10empty_typeEbEEZZNS1_14partition_implILS5_8ELb0ES3_jPKiPS6_PKS6_NS0_5tupleIJPiS6_EEENSE_IJSB_SB_EEENS0_18inequality_wrapperIN6hipcub16HIPCUB_304000_NS8EqualityEEEPlJS6_EEE10hipError_tPvRmT3_T4_T5_T6_T7_T9_mT8_P12ihipStream_tbDpT10_ENKUlT_T0_E_clISt17integral_constantIbLb0EES16_IbLb1EEEEDaS12_S13_EUlS12_E_NS1_11comp_targetILNS1_3genE8ELNS1_11target_archE1030ELNS1_3gpuE2ELNS1_3repE0EEENS1_30default_config_static_selectorELNS0_4arch9wavefront6targetE1EEEvT1_
; %bb.0:
	.section	.rodata,"a",@progbits
	.p2align	6, 0x0
	.amdhsa_kernel _ZN7rocprim17ROCPRIM_400000_NS6detail17trampoline_kernelINS0_14default_configENS1_25partition_config_selectorILNS1_17partition_subalgoE8EiNS0_10empty_typeEbEEZZNS1_14partition_implILS5_8ELb0ES3_jPKiPS6_PKS6_NS0_5tupleIJPiS6_EEENSE_IJSB_SB_EEENS0_18inequality_wrapperIN6hipcub16HIPCUB_304000_NS8EqualityEEEPlJS6_EEE10hipError_tPvRmT3_T4_T5_T6_T7_T9_mT8_P12ihipStream_tbDpT10_ENKUlT_T0_E_clISt17integral_constantIbLb0EES16_IbLb1EEEEDaS12_S13_EUlS12_E_NS1_11comp_targetILNS1_3genE8ELNS1_11target_archE1030ELNS1_3gpuE2ELNS1_3repE0EEENS1_30default_config_static_selectorELNS0_4arch9wavefront6targetE1EEEvT1_
		.amdhsa_group_segment_fixed_size 0
		.amdhsa_private_segment_fixed_size 0
		.amdhsa_kernarg_size 128
		.amdhsa_user_sgpr_count 6
		.amdhsa_user_sgpr_private_segment_buffer 1
		.amdhsa_user_sgpr_dispatch_ptr 0
		.amdhsa_user_sgpr_queue_ptr 0
		.amdhsa_user_sgpr_kernarg_segment_ptr 1
		.amdhsa_user_sgpr_dispatch_id 0
		.amdhsa_user_sgpr_flat_scratch_init 0
		.amdhsa_user_sgpr_kernarg_preload_length 0
		.amdhsa_user_sgpr_kernarg_preload_offset 0
		.amdhsa_user_sgpr_private_segment_size 0
		.amdhsa_uses_dynamic_stack 0
		.amdhsa_system_sgpr_private_segment_wavefront_offset 0
		.amdhsa_system_sgpr_workgroup_id_x 1
		.amdhsa_system_sgpr_workgroup_id_y 0
		.amdhsa_system_sgpr_workgroup_id_z 0
		.amdhsa_system_sgpr_workgroup_info 0
		.amdhsa_system_vgpr_workitem_id 0
		.amdhsa_next_free_vgpr 1
		.amdhsa_next_free_sgpr 0
		.amdhsa_accum_offset 4
		.amdhsa_reserve_vcc 0
		.amdhsa_reserve_flat_scratch 0
		.amdhsa_float_round_mode_32 0
		.amdhsa_float_round_mode_16_64 0
		.amdhsa_float_denorm_mode_32 3
		.amdhsa_float_denorm_mode_16_64 3
		.amdhsa_dx10_clamp 1
		.amdhsa_ieee_mode 1
		.amdhsa_fp16_overflow 0
		.amdhsa_tg_split 0
		.amdhsa_exception_fp_ieee_invalid_op 0
		.amdhsa_exception_fp_denorm_src 0
		.amdhsa_exception_fp_ieee_div_zero 0
		.amdhsa_exception_fp_ieee_overflow 0
		.amdhsa_exception_fp_ieee_underflow 0
		.amdhsa_exception_fp_ieee_inexact 0
		.amdhsa_exception_int_div_zero 0
	.end_amdhsa_kernel
	.section	.text._ZN7rocprim17ROCPRIM_400000_NS6detail17trampoline_kernelINS0_14default_configENS1_25partition_config_selectorILNS1_17partition_subalgoE8EiNS0_10empty_typeEbEEZZNS1_14partition_implILS5_8ELb0ES3_jPKiPS6_PKS6_NS0_5tupleIJPiS6_EEENSE_IJSB_SB_EEENS0_18inequality_wrapperIN6hipcub16HIPCUB_304000_NS8EqualityEEEPlJS6_EEE10hipError_tPvRmT3_T4_T5_T6_T7_T9_mT8_P12ihipStream_tbDpT10_ENKUlT_T0_E_clISt17integral_constantIbLb0EES16_IbLb1EEEEDaS12_S13_EUlS12_E_NS1_11comp_targetILNS1_3genE8ELNS1_11target_archE1030ELNS1_3gpuE2ELNS1_3repE0EEENS1_30default_config_static_selectorELNS0_4arch9wavefront6targetE1EEEvT1_,"axG",@progbits,_ZN7rocprim17ROCPRIM_400000_NS6detail17trampoline_kernelINS0_14default_configENS1_25partition_config_selectorILNS1_17partition_subalgoE8EiNS0_10empty_typeEbEEZZNS1_14partition_implILS5_8ELb0ES3_jPKiPS6_PKS6_NS0_5tupleIJPiS6_EEENSE_IJSB_SB_EEENS0_18inequality_wrapperIN6hipcub16HIPCUB_304000_NS8EqualityEEEPlJS6_EEE10hipError_tPvRmT3_T4_T5_T6_T7_T9_mT8_P12ihipStream_tbDpT10_ENKUlT_T0_E_clISt17integral_constantIbLb0EES16_IbLb1EEEEDaS12_S13_EUlS12_E_NS1_11comp_targetILNS1_3genE8ELNS1_11target_archE1030ELNS1_3gpuE2ELNS1_3repE0EEENS1_30default_config_static_selectorELNS0_4arch9wavefront6targetE1EEEvT1_,comdat
.Lfunc_end441:
	.size	_ZN7rocprim17ROCPRIM_400000_NS6detail17trampoline_kernelINS0_14default_configENS1_25partition_config_selectorILNS1_17partition_subalgoE8EiNS0_10empty_typeEbEEZZNS1_14partition_implILS5_8ELb0ES3_jPKiPS6_PKS6_NS0_5tupleIJPiS6_EEENSE_IJSB_SB_EEENS0_18inequality_wrapperIN6hipcub16HIPCUB_304000_NS8EqualityEEEPlJS6_EEE10hipError_tPvRmT3_T4_T5_T6_T7_T9_mT8_P12ihipStream_tbDpT10_ENKUlT_T0_E_clISt17integral_constantIbLb0EES16_IbLb1EEEEDaS12_S13_EUlS12_E_NS1_11comp_targetILNS1_3genE8ELNS1_11target_archE1030ELNS1_3gpuE2ELNS1_3repE0EEENS1_30default_config_static_selectorELNS0_4arch9wavefront6targetE1EEEvT1_, .Lfunc_end441-_ZN7rocprim17ROCPRIM_400000_NS6detail17trampoline_kernelINS0_14default_configENS1_25partition_config_selectorILNS1_17partition_subalgoE8EiNS0_10empty_typeEbEEZZNS1_14partition_implILS5_8ELb0ES3_jPKiPS6_PKS6_NS0_5tupleIJPiS6_EEENSE_IJSB_SB_EEENS0_18inequality_wrapperIN6hipcub16HIPCUB_304000_NS8EqualityEEEPlJS6_EEE10hipError_tPvRmT3_T4_T5_T6_T7_T9_mT8_P12ihipStream_tbDpT10_ENKUlT_T0_E_clISt17integral_constantIbLb0EES16_IbLb1EEEEDaS12_S13_EUlS12_E_NS1_11comp_targetILNS1_3genE8ELNS1_11target_archE1030ELNS1_3gpuE2ELNS1_3repE0EEENS1_30default_config_static_selectorELNS0_4arch9wavefront6targetE1EEEvT1_
                                        ; -- End function
	.section	.AMDGPU.csdata,"",@progbits
; Kernel info:
; codeLenInByte = 0
; NumSgprs: 4
; NumVgprs: 0
; NumAgprs: 0
; TotalNumVgprs: 0
; ScratchSize: 0
; MemoryBound: 0
; FloatMode: 240
; IeeeMode: 1
; LDSByteSize: 0 bytes/workgroup (compile time only)
; SGPRBlocks: 0
; VGPRBlocks: 0
; NumSGPRsForWavesPerEU: 4
; NumVGPRsForWavesPerEU: 1
; AccumOffset: 4
; Occupancy: 8
; WaveLimiterHint : 0
; COMPUTE_PGM_RSRC2:SCRATCH_EN: 0
; COMPUTE_PGM_RSRC2:USER_SGPR: 6
; COMPUTE_PGM_RSRC2:TRAP_HANDLER: 0
; COMPUTE_PGM_RSRC2:TGID_X_EN: 1
; COMPUTE_PGM_RSRC2:TGID_Y_EN: 0
; COMPUTE_PGM_RSRC2:TGID_Z_EN: 0
; COMPUTE_PGM_RSRC2:TIDIG_COMP_CNT: 0
; COMPUTE_PGM_RSRC3_GFX90A:ACCUM_OFFSET: 0
; COMPUTE_PGM_RSRC3_GFX90A:TG_SPLIT: 0
	.section	.text._ZN7rocprim17ROCPRIM_400000_NS6detail17trampoline_kernelINS0_14default_configENS1_33run_length_encode_config_selectorIijNS0_4plusIjEEEEZZNS1_33reduce_by_key_impl_wrapped_configILNS1_25lookback_scan_determinismE0ES3_S7_PKiNS0_17constant_iteratorIjlEEPiPlSF_S6_NS0_8equal_toIiEEEE10hipError_tPvRmT2_T3_mT4_T5_T6_T7_T8_P12ihipStream_tbENKUlT_T0_E_clISt17integral_constantIbLb0EESZ_EEDaSU_SV_EUlSU_E_NS1_11comp_targetILNS1_3genE0ELNS1_11target_archE4294967295ELNS1_3gpuE0ELNS1_3repE0EEENS1_30default_config_static_selectorELNS0_4arch9wavefront6targetE1EEEvT1_,"axG",@progbits,_ZN7rocprim17ROCPRIM_400000_NS6detail17trampoline_kernelINS0_14default_configENS1_33run_length_encode_config_selectorIijNS0_4plusIjEEEEZZNS1_33reduce_by_key_impl_wrapped_configILNS1_25lookback_scan_determinismE0ES3_S7_PKiNS0_17constant_iteratorIjlEEPiPlSF_S6_NS0_8equal_toIiEEEE10hipError_tPvRmT2_T3_mT4_T5_T6_T7_T8_P12ihipStream_tbENKUlT_T0_E_clISt17integral_constantIbLb0EESZ_EEDaSU_SV_EUlSU_E_NS1_11comp_targetILNS1_3genE0ELNS1_11target_archE4294967295ELNS1_3gpuE0ELNS1_3repE0EEENS1_30default_config_static_selectorELNS0_4arch9wavefront6targetE1EEEvT1_,comdat
	.protected	_ZN7rocprim17ROCPRIM_400000_NS6detail17trampoline_kernelINS0_14default_configENS1_33run_length_encode_config_selectorIijNS0_4plusIjEEEEZZNS1_33reduce_by_key_impl_wrapped_configILNS1_25lookback_scan_determinismE0ES3_S7_PKiNS0_17constant_iteratorIjlEEPiPlSF_S6_NS0_8equal_toIiEEEE10hipError_tPvRmT2_T3_mT4_T5_T6_T7_T8_P12ihipStream_tbENKUlT_T0_E_clISt17integral_constantIbLb0EESZ_EEDaSU_SV_EUlSU_E_NS1_11comp_targetILNS1_3genE0ELNS1_11target_archE4294967295ELNS1_3gpuE0ELNS1_3repE0EEENS1_30default_config_static_selectorELNS0_4arch9wavefront6targetE1EEEvT1_ ; -- Begin function _ZN7rocprim17ROCPRIM_400000_NS6detail17trampoline_kernelINS0_14default_configENS1_33run_length_encode_config_selectorIijNS0_4plusIjEEEEZZNS1_33reduce_by_key_impl_wrapped_configILNS1_25lookback_scan_determinismE0ES3_S7_PKiNS0_17constant_iteratorIjlEEPiPlSF_S6_NS0_8equal_toIiEEEE10hipError_tPvRmT2_T3_mT4_T5_T6_T7_T8_P12ihipStream_tbENKUlT_T0_E_clISt17integral_constantIbLb0EESZ_EEDaSU_SV_EUlSU_E_NS1_11comp_targetILNS1_3genE0ELNS1_11target_archE4294967295ELNS1_3gpuE0ELNS1_3repE0EEENS1_30default_config_static_selectorELNS0_4arch9wavefront6targetE1EEEvT1_
	.globl	_ZN7rocprim17ROCPRIM_400000_NS6detail17trampoline_kernelINS0_14default_configENS1_33run_length_encode_config_selectorIijNS0_4plusIjEEEEZZNS1_33reduce_by_key_impl_wrapped_configILNS1_25lookback_scan_determinismE0ES3_S7_PKiNS0_17constant_iteratorIjlEEPiPlSF_S6_NS0_8equal_toIiEEEE10hipError_tPvRmT2_T3_mT4_T5_T6_T7_T8_P12ihipStream_tbENKUlT_T0_E_clISt17integral_constantIbLb0EESZ_EEDaSU_SV_EUlSU_E_NS1_11comp_targetILNS1_3genE0ELNS1_11target_archE4294967295ELNS1_3gpuE0ELNS1_3repE0EEENS1_30default_config_static_selectorELNS0_4arch9wavefront6targetE1EEEvT1_
	.p2align	8
	.type	_ZN7rocprim17ROCPRIM_400000_NS6detail17trampoline_kernelINS0_14default_configENS1_33run_length_encode_config_selectorIijNS0_4plusIjEEEEZZNS1_33reduce_by_key_impl_wrapped_configILNS1_25lookback_scan_determinismE0ES3_S7_PKiNS0_17constant_iteratorIjlEEPiPlSF_S6_NS0_8equal_toIiEEEE10hipError_tPvRmT2_T3_mT4_T5_T6_T7_T8_P12ihipStream_tbENKUlT_T0_E_clISt17integral_constantIbLb0EESZ_EEDaSU_SV_EUlSU_E_NS1_11comp_targetILNS1_3genE0ELNS1_11target_archE4294967295ELNS1_3gpuE0ELNS1_3repE0EEENS1_30default_config_static_selectorELNS0_4arch9wavefront6targetE1EEEvT1_,@function
_ZN7rocprim17ROCPRIM_400000_NS6detail17trampoline_kernelINS0_14default_configENS1_33run_length_encode_config_selectorIijNS0_4plusIjEEEEZZNS1_33reduce_by_key_impl_wrapped_configILNS1_25lookback_scan_determinismE0ES3_S7_PKiNS0_17constant_iteratorIjlEEPiPlSF_S6_NS0_8equal_toIiEEEE10hipError_tPvRmT2_T3_mT4_T5_T6_T7_T8_P12ihipStream_tbENKUlT_T0_E_clISt17integral_constantIbLb0EESZ_EEDaSU_SV_EUlSU_E_NS1_11comp_targetILNS1_3genE0ELNS1_11target_archE4294967295ELNS1_3gpuE0ELNS1_3repE0EEENS1_30default_config_static_selectorELNS0_4arch9wavefront6targetE1EEEvT1_: ; @_ZN7rocprim17ROCPRIM_400000_NS6detail17trampoline_kernelINS0_14default_configENS1_33run_length_encode_config_selectorIijNS0_4plusIjEEEEZZNS1_33reduce_by_key_impl_wrapped_configILNS1_25lookback_scan_determinismE0ES3_S7_PKiNS0_17constant_iteratorIjlEEPiPlSF_S6_NS0_8equal_toIiEEEE10hipError_tPvRmT2_T3_mT4_T5_T6_T7_T8_P12ihipStream_tbENKUlT_T0_E_clISt17integral_constantIbLb0EESZ_EEDaSU_SV_EUlSU_E_NS1_11comp_targetILNS1_3genE0ELNS1_11target_archE4294967295ELNS1_3gpuE0ELNS1_3repE0EEENS1_30default_config_static_selectorELNS0_4arch9wavefront6targetE1EEEvT1_
; %bb.0:
	.section	.rodata,"a",@progbits
	.p2align	6, 0x0
	.amdhsa_kernel _ZN7rocprim17ROCPRIM_400000_NS6detail17trampoline_kernelINS0_14default_configENS1_33run_length_encode_config_selectorIijNS0_4plusIjEEEEZZNS1_33reduce_by_key_impl_wrapped_configILNS1_25lookback_scan_determinismE0ES3_S7_PKiNS0_17constant_iteratorIjlEEPiPlSF_S6_NS0_8equal_toIiEEEE10hipError_tPvRmT2_T3_mT4_T5_T6_T7_T8_P12ihipStream_tbENKUlT_T0_E_clISt17integral_constantIbLb0EESZ_EEDaSU_SV_EUlSU_E_NS1_11comp_targetILNS1_3genE0ELNS1_11target_archE4294967295ELNS1_3gpuE0ELNS1_3repE0EEENS1_30default_config_static_selectorELNS0_4arch9wavefront6targetE1EEEvT1_
		.amdhsa_group_segment_fixed_size 0
		.amdhsa_private_segment_fixed_size 0
		.amdhsa_kernarg_size 128
		.amdhsa_user_sgpr_count 6
		.amdhsa_user_sgpr_private_segment_buffer 1
		.amdhsa_user_sgpr_dispatch_ptr 0
		.amdhsa_user_sgpr_queue_ptr 0
		.amdhsa_user_sgpr_kernarg_segment_ptr 1
		.amdhsa_user_sgpr_dispatch_id 0
		.amdhsa_user_sgpr_flat_scratch_init 0
		.amdhsa_user_sgpr_kernarg_preload_length 0
		.amdhsa_user_sgpr_kernarg_preload_offset 0
		.amdhsa_user_sgpr_private_segment_size 0
		.amdhsa_uses_dynamic_stack 0
		.amdhsa_system_sgpr_private_segment_wavefront_offset 0
		.amdhsa_system_sgpr_workgroup_id_x 1
		.amdhsa_system_sgpr_workgroup_id_y 0
		.amdhsa_system_sgpr_workgroup_id_z 0
		.amdhsa_system_sgpr_workgroup_info 0
		.amdhsa_system_vgpr_workitem_id 0
		.amdhsa_next_free_vgpr 1
		.amdhsa_next_free_sgpr 0
		.amdhsa_accum_offset 4
		.amdhsa_reserve_vcc 0
		.amdhsa_reserve_flat_scratch 0
		.amdhsa_float_round_mode_32 0
		.amdhsa_float_round_mode_16_64 0
		.amdhsa_float_denorm_mode_32 3
		.amdhsa_float_denorm_mode_16_64 3
		.amdhsa_dx10_clamp 1
		.amdhsa_ieee_mode 1
		.amdhsa_fp16_overflow 0
		.amdhsa_tg_split 0
		.amdhsa_exception_fp_ieee_invalid_op 0
		.amdhsa_exception_fp_denorm_src 0
		.amdhsa_exception_fp_ieee_div_zero 0
		.amdhsa_exception_fp_ieee_overflow 0
		.amdhsa_exception_fp_ieee_underflow 0
		.amdhsa_exception_fp_ieee_inexact 0
		.amdhsa_exception_int_div_zero 0
	.end_amdhsa_kernel
	.section	.text._ZN7rocprim17ROCPRIM_400000_NS6detail17trampoline_kernelINS0_14default_configENS1_33run_length_encode_config_selectorIijNS0_4plusIjEEEEZZNS1_33reduce_by_key_impl_wrapped_configILNS1_25lookback_scan_determinismE0ES3_S7_PKiNS0_17constant_iteratorIjlEEPiPlSF_S6_NS0_8equal_toIiEEEE10hipError_tPvRmT2_T3_mT4_T5_T6_T7_T8_P12ihipStream_tbENKUlT_T0_E_clISt17integral_constantIbLb0EESZ_EEDaSU_SV_EUlSU_E_NS1_11comp_targetILNS1_3genE0ELNS1_11target_archE4294967295ELNS1_3gpuE0ELNS1_3repE0EEENS1_30default_config_static_selectorELNS0_4arch9wavefront6targetE1EEEvT1_,"axG",@progbits,_ZN7rocprim17ROCPRIM_400000_NS6detail17trampoline_kernelINS0_14default_configENS1_33run_length_encode_config_selectorIijNS0_4plusIjEEEEZZNS1_33reduce_by_key_impl_wrapped_configILNS1_25lookback_scan_determinismE0ES3_S7_PKiNS0_17constant_iteratorIjlEEPiPlSF_S6_NS0_8equal_toIiEEEE10hipError_tPvRmT2_T3_mT4_T5_T6_T7_T8_P12ihipStream_tbENKUlT_T0_E_clISt17integral_constantIbLb0EESZ_EEDaSU_SV_EUlSU_E_NS1_11comp_targetILNS1_3genE0ELNS1_11target_archE4294967295ELNS1_3gpuE0ELNS1_3repE0EEENS1_30default_config_static_selectorELNS0_4arch9wavefront6targetE1EEEvT1_,comdat
.Lfunc_end442:
	.size	_ZN7rocprim17ROCPRIM_400000_NS6detail17trampoline_kernelINS0_14default_configENS1_33run_length_encode_config_selectorIijNS0_4plusIjEEEEZZNS1_33reduce_by_key_impl_wrapped_configILNS1_25lookback_scan_determinismE0ES3_S7_PKiNS0_17constant_iteratorIjlEEPiPlSF_S6_NS0_8equal_toIiEEEE10hipError_tPvRmT2_T3_mT4_T5_T6_T7_T8_P12ihipStream_tbENKUlT_T0_E_clISt17integral_constantIbLb0EESZ_EEDaSU_SV_EUlSU_E_NS1_11comp_targetILNS1_3genE0ELNS1_11target_archE4294967295ELNS1_3gpuE0ELNS1_3repE0EEENS1_30default_config_static_selectorELNS0_4arch9wavefront6targetE1EEEvT1_, .Lfunc_end442-_ZN7rocprim17ROCPRIM_400000_NS6detail17trampoline_kernelINS0_14default_configENS1_33run_length_encode_config_selectorIijNS0_4plusIjEEEEZZNS1_33reduce_by_key_impl_wrapped_configILNS1_25lookback_scan_determinismE0ES3_S7_PKiNS0_17constant_iteratorIjlEEPiPlSF_S6_NS0_8equal_toIiEEEE10hipError_tPvRmT2_T3_mT4_T5_T6_T7_T8_P12ihipStream_tbENKUlT_T0_E_clISt17integral_constantIbLb0EESZ_EEDaSU_SV_EUlSU_E_NS1_11comp_targetILNS1_3genE0ELNS1_11target_archE4294967295ELNS1_3gpuE0ELNS1_3repE0EEENS1_30default_config_static_selectorELNS0_4arch9wavefront6targetE1EEEvT1_
                                        ; -- End function
	.section	.AMDGPU.csdata,"",@progbits
; Kernel info:
; codeLenInByte = 0
; NumSgprs: 4
; NumVgprs: 0
; NumAgprs: 0
; TotalNumVgprs: 0
; ScratchSize: 0
; MemoryBound: 0
; FloatMode: 240
; IeeeMode: 1
; LDSByteSize: 0 bytes/workgroup (compile time only)
; SGPRBlocks: 0
; VGPRBlocks: 0
; NumSGPRsForWavesPerEU: 4
; NumVGPRsForWavesPerEU: 1
; AccumOffset: 4
; Occupancy: 8
; WaveLimiterHint : 0
; COMPUTE_PGM_RSRC2:SCRATCH_EN: 0
; COMPUTE_PGM_RSRC2:USER_SGPR: 6
; COMPUTE_PGM_RSRC2:TRAP_HANDLER: 0
; COMPUTE_PGM_RSRC2:TGID_X_EN: 1
; COMPUTE_PGM_RSRC2:TGID_Y_EN: 0
; COMPUTE_PGM_RSRC2:TGID_Z_EN: 0
; COMPUTE_PGM_RSRC2:TIDIG_COMP_CNT: 0
; COMPUTE_PGM_RSRC3_GFX90A:ACCUM_OFFSET: 0
; COMPUTE_PGM_RSRC3_GFX90A:TG_SPLIT: 0
	.section	.text._ZN7rocprim17ROCPRIM_400000_NS6detail17trampoline_kernelINS0_14default_configENS1_33run_length_encode_config_selectorIijNS0_4plusIjEEEEZZNS1_33reduce_by_key_impl_wrapped_configILNS1_25lookback_scan_determinismE0ES3_S7_PKiNS0_17constant_iteratorIjlEEPiPlSF_S6_NS0_8equal_toIiEEEE10hipError_tPvRmT2_T3_mT4_T5_T6_T7_T8_P12ihipStream_tbENKUlT_T0_E_clISt17integral_constantIbLb0EESZ_EEDaSU_SV_EUlSU_E_NS1_11comp_targetILNS1_3genE5ELNS1_11target_archE942ELNS1_3gpuE9ELNS1_3repE0EEENS1_30default_config_static_selectorELNS0_4arch9wavefront6targetE1EEEvT1_,"axG",@progbits,_ZN7rocprim17ROCPRIM_400000_NS6detail17trampoline_kernelINS0_14default_configENS1_33run_length_encode_config_selectorIijNS0_4plusIjEEEEZZNS1_33reduce_by_key_impl_wrapped_configILNS1_25lookback_scan_determinismE0ES3_S7_PKiNS0_17constant_iteratorIjlEEPiPlSF_S6_NS0_8equal_toIiEEEE10hipError_tPvRmT2_T3_mT4_T5_T6_T7_T8_P12ihipStream_tbENKUlT_T0_E_clISt17integral_constantIbLb0EESZ_EEDaSU_SV_EUlSU_E_NS1_11comp_targetILNS1_3genE5ELNS1_11target_archE942ELNS1_3gpuE9ELNS1_3repE0EEENS1_30default_config_static_selectorELNS0_4arch9wavefront6targetE1EEEvT1_,comdat
	.protected	_ZN7rocprim17ROCPRIM_400000_NS6detail17trampoline_kernelINS0_14default_configENS1_33run_length_encode_config_selectorIijNS0_4plusIjEEEEZZNS1_33reduce_by_key_impl_wrapped_configILNS1_25lookback_scan_determinismE0ES3_S7_PKiNS0_17constant_iteratorIjlEEPiPlSF_S6_NS0_8equal_toIiEEEE10hipError_tPvRmT2_T3_mT4_T5_T6_T7_T8_P12ihipStream_tbENKUlT_T0_E_clISt17integral_constantIbLb0EESZ_EEDaSU_SV_EUlSU_E_NS1_11comp_targetILNS1_3genE5ELNS1_11target_archE942ELNS1_3gpuE9ELNS1_3repE0EEENS1_30default_config_static_selectorELNS0_4arch9wavefront6targetE1EEEvT1_ ; -- Begin function _ZN7rocprim17ROCPRIM_400000_NS6detail17trampoline_kernelINS0_14default_configENS1_33run_length_encode_config_selectorIijNS0_4plusIjEEEEZZNS1_33reduce_by_key_impl_wrapped_configILNS1_25lookback_scan_determinismE0ES3_S7_PKiNS0_17constant_iteratorIjlEEPiPlSF_S6_NS0_8equal_toIiEEEE10hipError_tPvRmT2_T3_mT4_T5_T6_T7_T8_P12ihipStream_tbENKUlT_T0_E_clISt17integral_constantIbLb0EESZ_EEDaSU_SV_EUlSU_E_NS1_11comp_targetILNS1_3genE5ELNS1_11target_archE942ELNS1_3gpuE9ELNS1_3repE0EEENS1_30default_config_static_selectorELNS0_4arch9wavefront6targetE1EEEvT1_
	.globl	_ZN7rocprim17ROCPRIM_400000_NS6detail17trampoline_kernelINS0_14default_configENS1_33run_length_encode_config_selectorIijNS0_4plusIjEEEEZZNS1_33reduce_by_key_impl_wrapped_configILNS1_25lookback_scan_determinismE0ES3_S7_PKiNS0_17constant_iteratorIjlEEPiPlSF_S6_NS0_8equal_toIiEEEE10hipError_tPvRmT2_T3_mT4_T5_T6_T7_T8_P12ihipStream_tbENKUlT_T0_E_clISt17integral_constantIbLb0EESZ_EEDaSU_SV_EUlSU_E_NS1_11comp_targetILNS1_3genE5ELNS1_11target_archE942ELNS1_3gpuE9ELNS1_3repE0EEENS1_30default_config_static_selectorELNS0_4arch9wavefront6targetE1EEEvT1_
	.p2align	8
	.type	_ZN7rocprim17ROCPRIM_400000_NS6detail17trampoline_kernelINS0_14default_configENS1_33run_length_encode_config_selectorIijNS0_4plusIjEEEEZZNS1_33reduce_by_key_impl_wrapped_configILNS1_25lookback_scan_determinismE0ES3_S7_PKiNS0_17constant_iteratorIjlEEPiPlSF_S6_NS0_8equal_toIiEEEE10hipError_tPvRmT2_T3_mT4_T5_T6_T7_T8_P12ihipStream_tbENKUlT_T0_E_clISt17integral_constantIbLb0EESZ_EEDaSU_SV_EUlSU_E_NS1_11comp_targetILNS1_3genE5ELNS1_11target_archE942ELNS1_3gpuE9ELNS1_3repE0EEENS1_30default_config_static_selectorELNS0_4arch9wavefront6targetE1EEEvT1_,@function
_ZN7rocprim17ROCPRIM_400000_NS6detail17trampoline_kernelINS0_14default_configENS1_33run_length_encode_config_selectorIijNS0_4plusIjEEEEZZNS1_33reduce_by_key_impl_wrapped_configILNS1_25lookback_scan_determinismE0ES3_S7_PKiNS0_17constant_iteratorIjlEEPiPlSF_S6_NS0_8equal_toIiEEEE10hipError_tPvRmT2_T3_mT4_T5_T6_T7_T8_P12ihipStream_tbENKUlT_T0_E_clISt17integral_constantIbLb0EESZ_EEDaSU_SV_EUlSU_E_NS1_11comp_targetILNS1_3genE5ELNS1_11target_archE942ELNS1_3gpuE9ELNS1_3repE0EEENS1_30default_config_static_selectorELNS0_4arch9wavefront6targetE1EEEvT1_: ; @_ZN7rocprim17ROCPRIM_400000_NS6detail17trampoline_kernelINS0_14default_configENS1_33run_length_encode_config_selectorIijNS0_4plusIjEEEEZZNS1_33reduce_by_key_impl_wrapped_configILNS1_25lookback_scan_determinismE0ES3_S7_PKiNS0_17constant_iteratorIjlEEPiPlSF_S6_NS0_8equal_toIiEEEE10hipError_tPvRmT2_T3_mT4_T5_T6_T7_T8_P12ihipStream_tbENKUlT_T0_E_clISt17integral_constantIbLb0EESZ_EEDaSU_SV_EUlSU_E_NS1_11comp_targetILNS1_3genE5ELNS1_11target_archE942ELNS1_3gpuE9ELNS1_3repE0EEENS1_30default_config_static_selectorELNS0_4arch9wavefront6targetE1EEEvT1_
; %bb.0:
	.section	.rodata,"a",@progbits
	.p2align	6, 0x0
	.amdhsa_kernel _ZN7rocprim17ROCPRIM_400000_NS6detail17trampoline_kernelINS0_14default_configENS1_33run_length_encode_config_selectorIijNS0_4plusIjEEEEZZNS1_33reduce_by_key_impl_wrapped_configILNS1_25lookback_scan_determinismE0ES3_S7_PKiNS0_17constant_iteratorIjlEEPiPlSF_S6_NS0_8equal_toIiEEEE10hipError_tPvRmT2_T3_mT4_T5_T6_T7_T8_P12ihipStream_tbENKUlT_T0_E_clISt17integral_constantIbLb0EESZ_EEDaSU_SV_EUlSU_E_NS1_11comp_targetILNS1_3genE5ELNS1_11target_archE942ELNS1_3gpuE9ELNS1_3repE0EEENS1_30default_config_static_selectorELNS0_4arch9wavefront6targetE1EEEvT1_
		.amdhsa_group_segment_fixed_size 0
		.amdhsa_private_segment_fixed_size 0
		.amdhsa_kernarg_size 128
		.amdhsa_user_sgpr_count 6
		.amdhsa_user_sgpr_private_segment_buffer 1
		.amdhsa_user_sgpr_dispatch_ptr 0
		.amdhsa_user_sgpr_queue_ptr 0
		.amdhsa_user_sgpr_kernarg_segment_ptr 1
		.amdhsa_user_sgpr_dispatch_id 0
		.amdhsa_user_sgpr_flat_scratch_init 0
		.amdhsa_user_sgpr_kernarg_preload_length 0
		.amdhsa_user_sgpr_kernarg_preload_offset 0
		.amdhsa_user_sgpr_private_segment_size 0
		.amdhsa_uses_dynamic_stack 0
		.amdhsa_system_sgpr_private_segment_wavefront_offset 0
		.amdhsa_system_sgpr_workgroup_id_x 1
		.amdhsa_system_sgpr_workgroup_id_y 0
		.amdhsa_system_sgpr_workgroup_id_z 0
		.amdhsa_system_sgpr_workgroup_info 0
		.amdhsa_system_vgpr_workitem_id 0
		.amdhsa_next_free_vgpr 1
		.amdhsa_next_free_sgpr 0
		.amdhsa_accum_offset 4
		.amdhsa_reserve_vcc 0
		.amdhsa_reserve_flat_scratch 0
		.amdhsa_float_round_mode_32 0
		.amdhsa_float_round_mode_16_64 0
		.amdhsa_float_denorm_mode_32 3
		.amdhsa_float_denorm_mode_16_64 3
		.amdhsa_dx10_clamp 1
		.amdhsa_ieee_mode 1
		.amdhsa_fp16_overflow 0
		.amdhsa_tg_split 0
		.amdhsa_exception_fp_ieee_invalid_op 0
		.amdhsa_exception_fp_denorm_src 0
		.amdhsa_exception_fp_ieee_div_zero 0
		.amdhsa_exception_fp_ieee_overflow 0
		.amdhsa_exception_fp_ieee_underflow 0
		.amdhsa_exception_fp_ieee_inexact 0
		.amdhsa_exception_int_div_zero 0
	.end_amdhsa_kernel
	.section	.text._ZN7rocprim17ROCPRIM_400000_NS6detail17trampoline_kernelINS0_14default_configENS1_33run_length_encode_config_selectorIijNS0_4plusIjEEEEZZNS1_33reduce_by_key_impl_wrapped_configILNS1_25lookback_scan_determinismE0ES3_S7_PKiNS0_17constant_iteratorIjlEEPiPlSF_S6_NS0_8equal_toIiEEEE10hipError_tPvRmT2_T3_mT4_T5_T6_T7_T8_P12ihipStream_tbENKUlT_T0_E_clISt17integral_constantIbLb0EESZ_EEDaSU_SV_EUlSU_E_NS1_11comp_targetILNS1_3genE5ELNS1_11target_archE942ELNS1_3gpuE9ELNS1_3repE0EEENS1_30default_config_static_selectorELNS0_4arch9wavefront6targetE1EEEvT1_,"axG",@progbits,_ZN7rocprim17ROCPRIM_400000_NS6detail17trampoline_kernelINS0_14default_configENS1_33run_length_encode_config_selectorIijNS0_4plusIjEEEEZZNS1_33reduce_by_key_impl_wrapped_configILNS1_25lookback_scan_determinismE0ES3_S7_PKiNS0_17constant_iteratorIjlEEPiPlSF_S6_NS0_8equal_toIiEEEE10hipError_tPvRmT2_T3_mT4_T5_T6_T7_T8_P12ihipStream_tbENKUlT_T0_E_clISt17integral_constantIbLb0EESZ_EEDaSU_SV_EUlSU_E_NS1_11comp_targetILNS1_3genE5ELNS1_11target_archE942ELNS1_3gpuE9ELNS1_3repE0EEENS1_30default_config_static_selectorELNS0_4arch9wavefront6targetE1EEEvT1_,comdat
.Lfunc_end443:
	.size	_ZN7rocprim17ROCPRIM_400000_NS6detail17trampoline_kernelINS0_14default_configENS1_33run_length_encode_config_selectorIijNS0_4plusIjEEEEZZNS1_33reduce_by_key_impl_wrapped_configILNS1_25lookback_scan_determinismE0ES3_S7_PKiNS0_17constant_iteratorIjlEEPiPlSF_S6_NS0_8equal_toIiEEEE10hipError_tPvRmT2_T3_mT4_T5_T6_T7_T8_P12ihipStream_tbENKUlT_T0_E_clISt17integral_constantIbLb0EESZ_EEDaSU_SV_EUlSU_E_NS1_11comp_targetILNS1_3genE5ELNS1_11target_archE942ELNS1_3gpuE9ELNS1_3repE0EEENS1_30default_config_static_selectorELNS0_4arch9wavefront6targetE1EEEvT1_, .Lfunc_end443-_ZN7rocprim17ROCPRIM_400000_NS6detail17trampoline_kernelINS0_14default_configENS1_33run_length_encode_config_selectorIijNS0_4plusIjEEEEZZNS1_33reduce_by_key_impl_wrapped_configILNS1_25lookback_scan_determinismE0ES3_S7_PKiNS0_17constant_iteratorIjlEEPiPlSF_S6_NS0_8equal_toIiEEEE10hipError_tPvRmT2_T3_mT4_T5_T6_T7_T8_P12ihipStream_tbENKUlT_T0_E_clISt17integral_constantIbLb0EESZ_EEDaSU_SV_EUlSU_E_NS1_11comp_targetILNS1_3genE5ELNS1_11target_archE942ELNS1_3gpuE9ELNS1_3repE0EEENS1_30default_config_static_selectorELNS0_4arch9wavefront6targetE1EEEvT1_
                                        ; -- End function
	.section	.AMDGPU.csdata,"",@progbits
; Kernel info:
; codeLenInByte = 0
; NumSgprs: 4
; NumVgprs: 0
; NumAgprs: 0
; TotalNumVgprs: 0
; ScratchSize: 0
; MemoryBound: 0
; FloatMode: 240
; IeeeMode: 1
; LDSByteSize: 0 bytes/workgroup (compile time only)
; SGPRBlocks: 0
; VGPRBlocks: 0
; NumSGPRsForWavesPerEU: 4
; NumVGPRsForWavesPerEU: 1
; AccumOffset: 4
; Occupancy: 8
; WaveLimiterHint : 0
; COMPUTE_PGM_RSRC2:SCRATCH_EN: 0
; COMPUTE_PGM_RSRC2:USER_SGPR: 6
; COMPUTE_PGM_RSRC2:TRAP_HANDLER: 0
; COMPUTE_PGM_RSRC2:TGID_X_EN: 1
; COMPUTE_PGM_RSRC2:TGID_Y_EN: 0
; COMPUTE_PGM_RSRC2:TGID_Z_EN: 0
; COMPUTE_PGM_RSRC2:TIDIG_COMP_CNT: 0
; COMPUTE_PGM_RSRC3_GFX90A:ACCUM_OFFSET: 0
; COMPUTE_PGM_RSRC3_GFX90A:TG_SPLIT: 0
	.section	.text._ZN7rocprim17ROCPRIM_400000_NS6detail17trampoline_kernelINS0_14default_configENS1_33run_length_encode_config_selectorIijNS0_4plusIjEEEEZZNS1_33reduce_by_key_impl_wrapped_configILNS1_25lookback_scan_determinismE0ES3_S7_PKiNS0_17constant_iteratorIjlEEPiPlSF_S6_NS0_8equal_toIiEEEE10hipError_tPvRmT2_T3_mT4_T5_T6_T7_T8_P12ihipStream_tbENKUlT_T0_E_clISt17integral_constantIbLb0EESZ_EEDaSU_SV_EUlSU_E_NS1_11comp_targetILNS1_3genE4ELNS1_11target_archE910ELNS1_3gpuE8ELNS1_3repE0EEENS1_30default_config_static_selectorELNS0_4arch9wavefront6targetE1EEEvT1_,"axG",@progbits,_ZN7rocprim17ROCPRIM_400000_NS6detail17trampoline_kernelINS0_14default_configENS1_33run_length_encode_config_selectorIijNS0_4plusIjEEEEZZNS1_33reduce_by_key_impl_wrapped_configILNS1_25lookback_scan_determinismE0ES3_S7_PKiNS0_17constant_iteratorIjlEEPiPlSF_S6_NS0_8equal_toIiEEEE10hipError_tPvRmT2_T3_mT4_T5_T6_T7_T8_P12ihipStream_tbENKUlT_T0_E_clISt17integral_constantIbLb0EESZ_EEDaSU_SV_EUlSU_E_NS1_11comp_targetILNS1_3genE4ELNS1_11target_archE910ELNS1_3gpuE8ELNS1_3repE0EEENS1_30default_config_static_selectorELNS0_4arch9wavefront6targetE1EEEvT1_,comdat
	.protected	_ZN7rocprim17ROCPRIM_400000_NS6detail17trampoline_kernelINS0_14default_configENS1_33run_length_encode_config_selectorIijNS0_4plusIjEEEEZZNS1_33reduce_by_key_impl_wrapped_configILNS1_25lookback_scan_determinismE0ES3_S7_PKiNS0_17constant_iteratorIjlEEPiPlSF_S6_NS0_8equal_toIiEEEE10hipError_tPvRmT2_T3_mT4_T5_T6_T7_T8_P12ihipStream_tbENKUlT_T0_E_clISt17integral_constantIbLb0EESZ_EEDaSU_SV_EUlSU_E_NS1_11comp_targetILNS1_3genE4ELNS1_11target_archE910ELNS1_3gpuE8ELNS1_3repE0EEENS1_30default_config_static_selectorELNS0_4arch9wavefront6targetE1EEEvT1_ ; -- Begin function _ZN7rocprim17ROCPRIM_400000_NS6detail17trampoline_kernelINS0_14default_configENS1_33run_length_encode_config_selectorIijNS0_4plusIjEEEEZZNS1_33reduce_by_key_impl_wrapped_configILNS1_25lookback_scan_determinismE0ES3_S7_PKiNS0_17constant_iteratorIjlEEPiPlSF_S6_NS0_8equal_toIiEEEE10hipError_tPvRmT2_T3_mT4_T5_T6_T7_T8_P12ihipStream_tbENKUlT_T0_E_clISt17integral_constantIbLb0EESZ_EEDaSU_SV_EUlSU_E_NS1_11comp_targetILNS1_3genE4ELNS1_11target_archE910ELNS1_3gpuE8ELNS1_3repE0EEENS1_30default_config_static_selectorELNS0_4arch9wavefront6targetE1EEEvT1_
	.globl	_ZN7rocprim17ROCPRIM_400000_NS6detail17trampoline_kernelINS0_14default_configENS1_33run_length_encode_config_selectorIijNS0_4plusIjEEEEZZNS1_33reduce_by_key_impl_wrapped_configILNS1_25lookback_scan_determinismE0ES3_S7_PKiNS0_17constant_iteratorIjlEEPiPlSF_S6_NS0_8equal_toIiEEEE10hipError_tPvRmT2_T3_mT4_T5_T6_T7_T8_P12ihipStream_tbENKUlT_T0_E_clISt17integral_constantIbLb0EESZ_EEDaSU_SV_EUlSU_E_NS1_11comp_targetILNS1_3genE4ELNS1_11target_archE910ELNS1_3gpuE8ELNS1_3repE0EEENS1_30default_config_static_selectorELNS0_4arch9wavefront6targetE1EEEvT1_
	.p2align	8
	.type	_ZN7rocprim17ROCPRIM_400000_NS6detail17trampoline_kernelINS0_14default_configENS1_33run_length_encode_config_selectorIijNS0_4plusIjEEEEZZNS1_33reduce_by_key_impl_wrapped_configILNS1_25lookback_scan_determinismE0ES3_S7_PKiNS0_17constant_iteratorIjlEEPiPlSF_S6_NS0_8equal_toIiEEEE10hipError_tPvRmT2_T3_mT4_T5_T6_T7_T8_P12ihipStream_tbENKUlT_T0_E_clISt17integral_constantIbLb0EESZ_EEDaSU_SV_EUlSU_E_NS1_11comp_targetILNS1_3genE4ELNS1_11target_archE910ELNS1_3gpuE8ELNS1_3repE0EEENS1_30default_config_static_selectorELNS0_4arch9wavefront6targetE1EEEvT1_,@function
_ZN7rocprim17ROCPRIM_400000_NS6detail17trampoline_kernelINS0_14default_configENS1_33run_length_encode_config_selectorIijNS0_4plusIjEEEEZZNS1_33reduce_by_key_impl_wrapped_configILNS1_25lookback_scan_determinismE0ES3_S7_PKiNS0_17constant_iteratorIjlEEPiPlSF_S6_NS0_8equal_toIiEEEE10hipError_tPvRmT2_T3_mT4_T5_T6_T7_T8_P12ihipStream_tbENKUlT_T0_E_clISt17integral_constantIbLb0EESZ_EEDaSU_SV_EUlSU_E_NS1_11comp_targetILNS1_3genE4ELNS1_11target_archE910ELNS1_3gpuE8ELNS1_3repE0EEENS1_30default_config_static_selectorELNS0_4arch9wavefront6targetE1EEEvT1_: ; @_ZN7rocprim17ROCPRIM_400000_NS6detail17trampoline_kernelINS0_14default_configENS1_33run_length_encode_config_selectorIijNS0_4plusIjEEEEZZNS1_33reduce_by_key_impl_wrapped_configILNS1_25lookback_scan_determinismE0ES3_S7_PKiNS0_17constant_iteratorIjlEEPiPlSF_S6_NS0_8equal_toIiEEEE10hipError_tPvRmT2_T3_mT4_T5_T6_T7_T8_P12ihipStream_tbENKUlT_T0_E_clISt17integral_constantIbLb0EESZ_EEDaSU_SV_EUlSU_E_NS1_11comp_targetILNS1_3genE4ELNS1_11target_archE910ELNS1_3gpuE8ELNS1_3repE0EEENS1_30default_config_static_selectorELNS0_4arch9wavefront6targetE1EEEvT1_
; %bb.0:
	s_load_dwordx8 s[36:43], s[4:5], 0x40
	s_load_dwordx4 s[0:3], s[4:5], 0x0
	s_load_dword s7, s[4:5], 0x10
	s_load_dwordx4 s[44:47], s[4:5], 0x60
	s_mov_b64 s[10:11], -1
	s_waitcnt lgkmcnt(0)
	s_mul_i32 s8, s40, s39
	s_mul_hi_u32 s9, s40, s38
	s_add_i32 s8, s9, s8
	s_mul_i32 s9, s41, s38
	s_add_i32 s8, s8, s9
	s_lshl_b64 s[2:3], s[2:3], 2
	s_add_u32 s2, s0, s2
	s_addc_u32 s3, s1, s3
	s_mul_i32 s0, s6, 0xf00
	s_mov_b32 s1, 0
	s_lshl_b64 s[0:1], s[0:1], 2
	s_mul_i32 s9, s40, s38
	s_add_u32 s40, s2, s0
	s_addc_u32 s41, s3, s1
	s_add_u32 s0, s9, s6
	s_addc_u32 s1, s8, 0
	s_add_u32 s8, s42, -1
	s_addc_u32 s9, s43, -1
	s_cmp_eq_u64 s[0:1], s[8:9]
	s_cselect_b64 s[48:49], -1, 0
	s_cmp_lg_u64 s[0:1], s[8:9]
	s_cselect_b64 s[2:3], -1, 0
	s_mul_i32 s33, s8, 0xfffff100
	s_and_b64 vcc, exec, s[48:49]
	s_cbranch_vccnz .LBB444_2
; %bb.1:
	v_lshlrev_b32_e32 v1, 2, v0
	v_mov_b32_e32 v2, s41
	v_add_co_u32_e32 v4, vcc, s40, v1
	v_addc_co_u32_e32 v5, vcc, 0, v2, vcc
	v_add_co_u32_e32 v2, vcc, 0x1000, v4
	v_addc_co_u32_e32 v3, vcc, 0, v5, vcc
	global_load_dword v6, v1, s[40:41]
	global_load_dword v7, v1, s[40:41] offset:1024
	global_load_dword v8, v1, s[40:41] offset:2048
	global_load_dword v9, v1, s[40:41] offset:3072
	global_load_dword v10, v[2:3], off
	global_load_dword v11, v[2:3], off offset:1024
	global_load_dword v12, v[2:3], off offset:2048
	;; [unrolled: 1-line block ×3, first 2 shown]
	v_add_co_u32_e32 v2, vcc, 0x2000, v4
	v_addc_co_u32_e32 v3, vcc, 0, v5, vcc
	v_add_co_u32_e32 v4, vcc, 0x3000, v4
	v_addc_co_u32_e32 v5, vcc, 0, v5, vcc
	global_load_dword v14, v[2:3], off
	global_load_dword v15, v[2:3], off offset:1024
	global_load_dword v16, v[2:3], off offset:2048
	;; [unrolled: 1-line block ×3, first 2 shown]
	global_load_dword v18, v[4:5], off
	global_load_dword v19, v[4:5], off offset:1024
	global_load_dword v20, v[4:5], off offset:2048
	v_mad_u32_u24 v2, v0, 56, v1
	s_mov_b64 s[8:9], -1
	s_waitcnt vmcnt(13)
	ds_write2st64_b32 v1, v6, v7 offset1:4
	s_waitcnt vmcnt(11)
	ds_write2st64_b32 v1, v8, v9 offset0:8 offset1:12
	s_waitcnt vmcnt(9)
	ds_write2st64_b32 v1, v10, v11 offset0:16 offset1:20
	;; [unrolled: 2-line block ×6, first 2 shown]
	s_waitcnt vmcnt(0)
	ds_write_b32 v1, v20 offset:14336
	s_waitcnt lgkmcnt(0)
	s_barrier
	ds_read2_b32 v[20:21], v2 offset1:1
	ds_read2_b32 v[18:19], v2 offset0:2 offset1:3
	ds_read2_b32 v[16:17], v2 offset0:4 offset1:5
	;; [unrolled: 1-line block ×6, first 2 shown]
	ds_read_b32 v1, v2 offset:56
	s_waitcnt lgkmcnt(7)
	v_mov_b32_e32 v22, v20
	s_waitcnt lgkmcnt(6)
	v_mov_b32_e32 v23, v18
	;; [unrolled: 2-line block ×7, first 2 shown]
	s_add_i32 s33, s33, s44
	s_cbranch_execz .LBB444_3
	s_branch .LBB444_34
.LBB444_2:
	s_mov_b64 s[8:9], 0
                                        ; implicit-def: $vgpr1
                                        ; implicit-def: $vgpr8
                                        ; implicit-def: $vgpr10
                                        ; implicit-def: $vgpr12
                                        ; implicit-def: $vgpr14
                                        ; implicit-def: $vgpr16
                                        ; implicit-def: $vgpr18
                                        ; implicit-def: $vgpr20
                                        ; implicit-def: $vgpr2_vgpr3
                                        ; implicit-def: $vgpr4_vgpr5
                                        ; implicit-def: $vgpr22_vgpr23
                                        ; implicit-def: $vgpr6_vgpr7
	s_add_i32 s33, s33, s44
	s_andn2_b64 vcc, exec, s[10:11]
	s_cbranch_vccnz .LBB444_34
.LBB444_3:
	v_cmp_gt_u32_e32 vcc, s33, v0
                                        ; implicit-def: $vgpr1
	s_and_saveexec_b64 s[8:9], vcc
	s_cbranch_execz .LBB444_5
; %bb.4:
	s_waitcnt lgkmcnt(0)
	v_lshlrev_b32_e32 v1, 2, v0
	global_load_dword v1, v1, s[40:41]
.LBB444_5:
	s_or_b64 exec, exec, s[8:9]
	v_or_b32_e32 v2, 0x100, v0
	v_cmp_gt_u32_e32 vcc, s33, v2
                                        ; implicit-def: $vgpr2
	s_and_saveexec_b64 s[8:9], vcc
	s_cbranch_execz .LBB444_7
; %bb.6:
	v_lshlrev_b32_e32 v2, 2, v0
	global_load_dword v2, v2, s[40:41] offset:1024
.LBB444_7:
	s_or_b64 exec, exec, s[8:9]
	v_or_b32_e32 v3, 0x200, v0
	v_cmp_gt_u32_e32 vcc, s33, v3
                                        ; implicit-def: $vgpr3
	s_and_saveexec_b64 s[8:9], vcc
	s_cbranch_execz .LBB444_9
; %bb.8:
	v_lshlrev_b32_e32 v3, 2, v0
	global_load_dword v3, v3, s[40:41] offset:2048
.LBB444_9:
	s_or_b64 exec, exec, s[8:9]
	v_or_b32_e32 v4, 0x300, v0
	v_cmp_gt_u32_e32 vcc, s33, v4
                                        ; implicit-def: $vgpr4
	s_and_saveexec_b64 s[8:9], vcc
	s_cbranch_execz .LBB444_11
; %bb.10:
	v_lshlrev_b32_e32 v4, 2, v0
	global_load_dword v4, v4, s[40:41] offset:3072
.LBB444_11:
	s_or_b64 exec, exec, s[8:9]
	v_or_b32_e32 v6, 0x400, v0
	v_cmp_gt_u32_e32 vcc, s33, v6
                                        ; implicit-def: $vgpr5
	s_and_saveexec_b64 s[8:9], vcc
	s_cbranch_execz .LBB444_13
; %bb.12:
	v_lshlrev_b32_e32 v5, 2, v6
	global_load_dword v5, v5, s[40:41]
.LBB444_13:
	s_or_b64 exec, exec, s[8:9]
	v_or_b32_e32 v7, 0x500, v0
	v_cmp_gt_u32_e32 vcc, s33, v7
                                        ; implicit-def: $vgpr6
	s_and_saveexec_b64 s[8:9], vcc
	s_cbranch_execz .LBB444_15
; %bb.14:
	v_lshlrev_b32_e32 v6, 2, v7
	global_load_dword v6, v6, s[40:41]
.LBB444_15:
	s_or_b64 exec, exec, s[8:9]
	v_or_b32_e32 v8, 0x600, v0
	v_cmp_gt_u32_e32 vcc, s33, v8
                                        ; implicit-def: $vgpr7
	s_and_saveexec_b64 s[8:9], vcc
	s_cbranch_execz .LBB444_17
; %bb.16:
	v_lshlrev_b32_e32 v7, 2, v8
	global_load_dword v7, v7, s[40:41]
.LBB444_17:
	s_or_b64 exec, exec, s[8:9]
	v_or_b32_e32 v9, 0x700, v0
	v_cmp_gt_u32_e32 vcc, s33, v9
                                        ; implicit-def: $vgpr8
	s_and_saveexec_b64 s[8:9], vcc
	s_cbranch_execz .LBB444_19
; %bb.18:
	v_lshlrev_b32_e32 v8, 2, v9
	global_load_dword v8, v8, s[40:41]
.LBB444_19:
	s_or_b64 exec, exec, s[8:9]
	v_or_b32_e32 v10, 0x800, v0
	v_cmp_gt_u32_e32 vcc, s33, v10
                                        ; implicit-def: $vgpr9
	s_and_saveexec_b64 s[8:9], vcc
	s_cbranch_execz .LBB444_21
; %bb.20:
	v_lshlrev_b32_e32 v9, 2, v10
	global_load_dword v9, v9, s[40:41]
.LBB444_21:
	s_or_b64 exec, exec, s[8:9]
	v_or_b32_e32 v11, 0x900, v0
	v_cmp_gt_u32_e32 vcc, s33, v11
                                        ; implicit-def: $vgpr10
	s_and_saveexec_b64 s[8:9], vcc
	s_cbranch_execz .LBB444_23
; %bb.22:
	v_lshlrev_b32_e32 v10, 2, v11
	global_load_dword v10, v10, s[40:41]
.LBB444_23:
	s_or_b64 exec, exec, s[8:9]
	v_or_b32_e32 v12, 0xa00, v0
	v_cmp_gt_u32_e32 vcc, s33, v12
                                        ; implicit-def: $vgpr11
	s_and_saveexec_b64 s[8:9], vcc
	s_cbranch_execz .LBB444_25
; %bb.24:
	v_lshlrev_b32_e32 v11, 2, v12
	global_load_dword v11, v11, s[40:41]
.LBB444_25:
	s_or_b64 exec, exec, s[8:9]
	v_or_b32_e32 v13, 0xb00, v0
	v_cmp_gt_u32_e32 vcc, s33, v13
                                        ; implicit-def: $vgpr12
	s_and_saveexec_b64 s[8:9], vcc
	s_cbranch_execz .LBB444_27
; %bb.26:
	v_lshlrev_b32_e32 v12, 2, v13
	global_load_dword v12, v12, s[40:41]
.LBB444_27:
	s_or_b64 exec, exec, s[8:9]
	v_or_b32_e32 v14, 0xc00, v0
	v_cmp_gt_u32_e32 vcc, s33, v14
                                        ; implicit-def: $vgpr13
	s_and_saveexec_b64 s[8:9], vcc
	s_cbranch_execz .LBB444_29
; %bb.28:
	v_lshlrev_b32_e32 v13, 2, v14
	global_load_dword v13, v13, s[40:41]
.LBB444_29:
	s_or_b64 exec, exec, s[8:9]
	v_or_b32_e32 v15, 0xd00, v0
	v_cmp_gt_u32_e32 vcc, s33, v15
                                        ; implicit-def: $vgpr14
	s_and_saveexec_b64 s[8:9], vcc
	s_cbranch_execz .LBB444_31
; %bb.30:
	v_lshlrev_b32_e32 v14, 2, v15
	global_load_dword v14, v14, s[40:41]
.LBB444_31:
	s_or_b64 exec, exec, s[8:9]
	v_or_b32_e32 v16, 0xe00, v0
	v_cmp_gt_u32_e32 vcc, s33, v16
                                        ; implicit-def: $vgpr15
	s_and_saveexec_b64 s[8:9], vcc
	s_cbranch_execz .LBB444_33
; %bb.32:
	v_lshlrev_b32_e32 v15, 2, v16
	global_load_dword v15, v15, s[40:41]
.LBB444_33:
	s_or_b64 exec, exec, s[8:9]
	v_lshlrev_b32_e32 v16, 2, v0
	s_waitcnt vmcnt(0) lgkmcnt(0)
	ds_write2st64_b32 v16, v1, v2 offset1:4
	ds_write2st64_b32 v16, v3, v4 offset0:8 offset1:12
	ds_write2st64_b32 v16, v5, v6 offset0:16 offset1:20
	;; [unrolled: 1-line block ×6, first 2 shown]
	ds_write_b32 v16, v15 offset:14336
	v_mad_u32_u24 v1, v0, 56, v16
	s_waitcnt lgkmcnt(0)
	s_barrier
	ds_read2_b32 v[20:21], v1 offset1:1
	ds_read2_b32 v[18:19], v1 offset0:2 offset1:3
	ds_read2_b32 v[16:17], v1 offset0:4 offset1:5
	;; [unrolled: 1-line block ×6, first 2 shown]
	ds_read_b32 v1, v1 offset:56
	v_mad_u32_u24 v2, v0, 15, 14
	v_cmp_gt_u32_e64 s[8:9], s33, v2
	s_waitcnt lgkmcnt(7)
	v_mov_b32_e32 v22, v20
	s_waitcnt lgkmcnt(6)
	v_mov_b32_e32 v23, v18
	s_waitcnt lgkmcnt(5)
	v_mov_b32_e32 v4, v16
	s_waitcnt lgkmcnt(4)
	v_mov_b32_e32 v5, v14
	s_waitcnt lgkmcnt(3)
	v_mov_b32_e32 v2, v12
	s_waitcnt lgkmcnt(2)
	v_mov_b32_e32 v3, v10
	s_waitcnt lgkmcnt(1)
	v_mov_b32_e32 v6, v8
.LBB444_34:
	v_mov_b32_e32 v52, s7
                                        ; implicit-def: $vgpr53
	s_and_saveexec_b64 s[10:11], s[8:9]
; %bb.35:
	v_mov_b32_e32 v53, s7
; %bb.36:
	s_or_b64 exec, exec, s[10:11]
	s_load_dwordx2 s[52:53], s[4:5], 0x70
	s_cmp_eq_u64 s[0:1], 0
	s_cselect_b64 s[50:51], -1, 0
	s_cmp_lg_u64 s[0:1], 0
	s_mov_b64 s[42:43], 0
	s_cselect_b64 s[8:9], -1, 0
	s_and_b64 vcc, exec, s[2:3]
	s_waitcnt lgkmcnt(0)
	s_barrier
	s_cbranch_vccz .LBB444_42
; %bb.37:
	s_and_b64 vcc, exec, s[8:9]
	s_cbranch_vccz .LBB444_43
; %bb.38:
	s_add_u32 s2, s40, -4
	s_addc_u32 s3, s41, -1
	s_load_dword s2, s[2:3], 0x0
	v_lshlrev_b32_e32 v24, 2, v0
	v_cmp_ne_u32_e32 vcc, 0, v0
	ds_write_b32 v24, v1
	s_waitcnt lgkmcnt(0)
	v_mov_b32_e32 v7, s2
	s_barrier
	s_and_saveexec_b64 s[2:3], vcc
	s_cbranch_execz .LBB444_40
; %bb.39:
	v_add_u32_e32 v7, -4, v24
	ds_read_b32 v7, v7
.LBB444_40:
	s_or_b64 exec, exec, s[2:3]
	v_cmp_ne_u32_e32 vcc, v22, v21
	v_cndmask_b32_e64 v67, 0, 1, vcc
	v_cmp_ne_u32_e32 vcc, v23, v21
	v_cndmask_b32_e64 v66, 0, 1, vcc
	v_cmp_ne_u32_e32 vcc, v23, v19
	v_cndmask_b32_e64 v65, 0, 1, vcc
	v_cmp_ne_u32_e32 vcc, v4, v19
	v_cndmask_b32_e64 v64, 0, 1, vcc
	v_cmp_ne_u32_e32 vcc, v4, v17
	v_cndmask_b32_e64 v63, 0, 1, vcc
	v_cmp_ne_u32_e32 vcc, v5, v17
	v_cndmask_b32_e64 v62, 0, 1, vcc
	v_cmp_ne_u32_e32 vcc, v5, v15
	v_cndmask_b32_e64 v61, 0, 1, vcc
	v_cmp_ne_u32_e32 vcc, v2, v15
	v_cndmask_b32_e64 v60, 0, 1, vcc
	v_cmp_ne_u32_e32 vcc, v2, v13
	v_cndmask_b32_e64 v59, 0, 1, vcc
	v_cmp_ne_u32_e32 vcc, v3, v13
	v_cndmask_b32_e64 v58, 0, 1, vcc
	v_cmp_ne_u32_e32 vcc, v3, v11
	v_cndmask_b32_e64 v57, 0, 1, vcc
	v_cmp_ne_u32_e32 vcc, v6, v11
	v_cndmask_b32_e64 v56, 0, 1, vcc
	v_cmp_ne_u32_e32 vcc, v6, v9
	v_cndmask_b32_e64 v55, 0, 1, vcc
	v_cmp_ne_u32_e32 vcc, v1, v9
	v_cndmask_b32_e64 v54, 0, 1, vcc
	s_waitcnt lgkmcnt(0)
	v_cmp_ne_u32_e64 s[2:3], v7, v20
	s_mov_b64 s[42:43], -1
.LBB444_41:
                                        ; implicit-def: $sgpr7
	s_branch .LBB444_55
.LBB444_42:
                                        ; implicit-def: $sgpr2_sgpr3
                                        ; implicit-def: $vgpr54
                                        ; implicit-def: $vgpr55
                                        ; implicit-def: $vgpr56
                                        ; implicit-def: $vgpr57
                                        ; implicit-def: $vgpr58
                                        ; implicit-def: $vgpr59
                                        ; implicit-def: $vgpr60
                                        ; implicit-def: $vgpr61
                                        ; implicit-def: $vgpr62
                                        ; implicit-def: $vgpr63
                                        ; implicit-def: $vgpr64
                                        ; implicit-def: $vgpr65
                                        ; implicit-def: $vgpr66
                                        ; implicit-def: $vgpr67
                                        ; implicit-def: $sgpr7
	s_cbranch_execnz .LBB444_47
	s_branch .LBB444_55
.LBB444_43:
                                        ; implicit-def: $sgpr2_sgpr3
                                        ; implicit-def: $vgpr54
                                        ; implicit-def: $vgpr55
                                        ; implicit-def: $vgpr56
                                        ; implicit-def: $vgpr57
                                        ; implicit-def: $vgpr58
                                        ; implicit-def: $vgpr59
                                        ; implicit-def: $vgpr60
                                        ; implicit-def: $vgpr61
                                        ; implicit-def: $vgpr62
                                        ; implicit-def: $vgpr63
                                        ; implicit-def: $vgpr64
                                        ; implicit-def: $vgpr65
                                        ; implicit-def: $vgpr66
                                        ; implicit-def: $vgpr67
	s_cbranch_execz .LBB444_41
; %bb.44:
	v_cmp_ne_u32_e32 vcc, v21, v22
	v_cndmask_b32_e64 v67, 0, 1, vcc
	v_cmp_ne_u32_e32 vcc, v21, v23
	v_cndmask_b32_e64 v66, 0, 1, vcc
	;; [unrolled: 2-line block ×13, first 2 shown]
	v_cmp_ne_u32_e32 vcc, v9, v1
	v_lshlrev_b32_e32 v7, 2, v0
	v_cndmask_b32_e64 v54, 0, 1, vcc
	v_cmp_ne_u32_e32 vcc, 0, v0
	ds_write_b32 v7, v1
	s_waitcnt lgkmcnt(0)
	s_barrier
	s_waitcnt lgkmcnt(0)
                                        ; implicit-def: $sgpr2_sgpr3
	s_and_saveexec_b64 s[10:11], vcc
	s_xor_b64 s[10:11], exec, s[10:11]
	s_cbranch_execz .LBB444_46
; %bb.45:
	v_add_u32_e32 v2, -4, v7
	ds_read_b32 v2, v2
	s_or_b64 s[42:43], s[42:43], exec
	s_waitcnt lgkmcnt(0)
	v_cmp_ne_u32_e32 vcc, v2, v20
	s_and_b64 s[2:3], vcc, exec
.LBB444_46:
	s_or_b64 exec, exec, s[10:11]
	s_mov_b32 s7, 1
	s_branch .LBB444_55
.LBB444_47:
	s_mul_hi_u32 s2, s0, 0xfffff100
	s_mulk_i32 s1, 0xf100
	s_sub_i32 s2, s2, s0
	s_add_i32 s2, s2, s1
	s_mulk_i32 s0, 0xf100
	s_add_u32 s44, s0, s44
	s_addc_u32 s45, s2, s45
	s_and_b64 vcc, exec, s[8:9]
	v_cmp_ne_u32_e64 s[30:31], v9, v1
	v_cmp_ne_u32_e64 s[28:29], v8, v9
	;; [unrolled: 1-line block ×14, first 2 shown]
	v_mad_u32_u24 v2, v0, 15, 14
	v_mad_u32_u24 v42, v0, 15, 13
	;; [unrolled: 1-line block ×14, first 2 shown]
	v_cmp_ne_u32_e64 s[8:9], 0, v0
	s_cbranch_vccz .LBB444_52
; %bb.48:
	v_mov_b32_e32 v3, 0
	s_add_u32 s40, s40, -4
	v_cmp_gt_u64_e32 vcc, s[44:45], v[2:3]
	v_mov_b32_e32 v43, v3
	s_addc_u32 s41, s41, -1
	s_and_b64 s[30:31], vcc, s[30:31]
	v_cmp_gt_u64_e32 vcc, s[44:45], v[42:43]
	v_mov_b32_e32 v41, v3
	s_and_b64 s[28:29], vcc, s[28:29]
	v_cmp_gt_u64_e32 vcc, s[44:45], v[40:41]
	v_mov_b32_e32 v39, v3
	;; [unrolled: 3-line block ×8, first 2 shown]
	s_load_dword s7, s[40:41], 0x0
	s_and_b64 s[14:15], vcc, s[14:15]
	v_cmp_gt_u64_e32 vcc, s[44:45], v[26:27]
	v_mov_b32_e32 v25, v3
	s_and_b64 s[12:13], vcc, s[12:13]
	v_cmp_gt_u64_e32 vcc, s[44:45], v[24:25]
	v_mov_b32_e32 v23, v3
	;; [unrolled: 3-line block ×4, first 2 shown]
	s_and_b64 s[2:3], vcc, s[2:3]
	v_cmp_gt_u64_e32 vcc, s[44:45], v[4:5]
	v_lshlrev_b32_e32 v45, 2, v0
	v_mul_u32_u24_e32 v44, 15, v0
	s_and_b64 s[0:1], vcc, s[0:1]
	s_waitcnt lgkmcnt(0)
	v_mov_b32_e32 v5, s7
	ds_write_b32 v45, v1
	s_waitcnt lgkmcnt(0)
	s_barrier
	s_and_saveexec_b64 s[40:41], s[8:9]
	s_cbranch_execz .LBB444_50
; %bb.49:
	v_add_u32_e32 v5, -4, v45
	ds_read_b32 v5, v5
.LBB444_50:
	s_or_b64 exec, exec, s[40:41]
	v_mov_b32_e32 v45, v3
	v_cndmask_b32_e64 v67, 0, 1, s[0:1]
	v_cmp_gt_u64_e32 vcc, s[44:45], v[44:45]
	s_waitcnt lgkmcnt(0)
	v_cmp_ne_u32_e64 s[0:1], v5, v20
	v_cndmask_b32_e64 v54, 0, 1, s[30:31]
	v_cndmask_b32_e64 v55, 0, 1, s[28:29]
	;; [unrolled: 1-line block ×13, first 2 shown]
	s_and_b64 s[2:3], vcc, s[0:1]
	s_mov_b64 s[42:43], -1
.LBB444_51:
                                        ; implicit-def: $sgpr7
	v_mov_b32_e32 v68, s7
	s_and_saveexec_b64 s[0:1], s[42:43]
	s_cbranch_execnz .LBB444_56
	s_branch .LBB444_57
.LBB444_52:
                                        ; implicit-def: $sgpr2_sgpr3
                                        ; implicit-def: $vgpr54
                                        ; implicit-def: $vgpr55
                                        ; implicit-def: $vgpr56
                                        ; implicit-def: $vgpr57
                                        ; implicit-def: $vgpr58
                                        ; implicit-def: $vgpr59
                                        ; implicit-def: $vgpr60
                                        ; implicit-def: $vgpr61
                                        ; implicit-def: $vgpr62
                                        ; implicit-def: $vgpr63
                                        ; implicit-def: $vgpr64
                                        ; implicit-def: $vgpr65
                                        ; implicit-def: $vgpr66
                                        ; implicit-def: $vgpr67
	s_cbranch_execz .LBB444_51
; %bb.53:
	v_mov_b32_e32 v3, 0
	v_cmp_gt_u64_e32 vcc, s[44:45], v[2:3]
	v_cmp_ne_u32_e64 s[0:1], v9, v1
	s_and_b64 s[0:1], vcc, s[0:1]
	v_mov_b32_e32 v43, v3
	v_cndmask_b32_e64 v54, 0, 1, s[0:1]
	v_cmp_gt_u64_e32 vcc, s[44:45], v[42:43]
	v_cmp_ne_u32_e64 s[0:1], v8, v9
	s_and_b64 s[0:1], vcc, s[0:1]
	v_mov_b32_e32 v41, v3
	v_cndmask_b32_e64 v55, 0, 1, s[0:1]
	;; [unrolled: 5-line block ×13, first 2 shown]
	v_cmp_gt_u64_e32 vcc, s[44:45], v[4:5]
	v_cmp_ne_u32_e64 s[0:1], v20, v21
	s_and_b64 s[0:1], vcc, s[0:1]
	v_lshlrev_b32_e32 v44, 2, v0
	s_mov_b32 s7, 1
	v_cndmask_b32_e64 v67, 0, 1, s[0:1]
	v_cmp_ne_u32_e32 vcc, 0, v0
	ds_write_b32 v44, v1
	s_waitcnt lgkmcnt(0)
	s_barrier
	s_waitcnt lgkmcnt(0)
                                        ; implicit-def: $sgpr2_sgpr3
	s_and_saveexec_b64 s[8:9], vcc
	s_cbranch_execz .LBB444_148
; %bb.54:
	v_add_u32_e32 v2, -4, v44
	ds_read_b32 v4, v2
	v_mul_u32_u24_e32 v2, 15, v0
	v_cmp_gt_u64_e32 vcc, s[44:45], v[2:3]
	s_or_b64 s[42:43], s[42:43], exec
	s_waitcnt lgkmcnt(0)
	v_cmp_ne_u32_e64 s[0:1], v4, v20
	s_and_b64 s[0:1], vcc, s[0:1]
	s_and_b64 s[2:3], s[0:1], exec
	s_or_b64 exec, exec, s[8:9]
.LBB444_55:
	v_mov_b32_e32 v68, s7
	s_and_saveexec_b64 s[0:1], s[42:43]
.LBB444_56:
	v_cndmask_b32_e64 v68, 0, 1, s[2:3]
.LBB444_57:
	s_or_b64 exec, exec, s[0:1]
	s_load_dwordx4 s[40:43], s[4:5], 0x20
	s_load_dwordx2 s[34:35], s[4:5], 0x30
	s_cmp_eq_u64 s[38:39], 0
	v_add3_u32 v2, v67, v68, v66
	s_cselect_b64 s[38:39], -1, 0
	s_cmp_lg_u32 s6, 0
	v_cmp_eq_u32_e64 s[24:25], 0, v67
	v_cmp_eq_u32_e64 s[22:23], 0, v66
	;; [unrolled: 1-line block ×3, first 2 shown]
	v_add3_u32 v72, v2, v65, v64
	v_cmp_eq_u32_e64 s[18:19], 0, v64
	v_cmp_eq_u32_e64 s[16:17], 0, v63
	;; [unrolled: 1-line block ×10, first 2 shown]
	v_cmp_eq_u32_e32 vcc, 0, v54
	v_mbcnt_lo_u32_b32 v71, -1, 0
	v_lshrrev_b32_e32 v69, 6, v0
	v_or_b32_e32 v70, 63, v0
	s_cbranch_scc0 .LBB444_84
; %bb.58:
	v_cndmask_b32_e64 v2, 0, v52, s[24:25]
	v_add_u32_e32 v2, v2, v52
	v_cndmask_b32_e64 v2, 0, v2, s[22:23]
	v_add_u32_e32 v2, v2, v52
	;; [unrolled: 2-line block ×11, first 2 shown]
	v_cndmask_b32_e64 v2, 0, v2, s[2:3]
	v_add3_u32 v3, v72, v63, v62
	v_add_u32_e32 v2, v2, v52
	v_add3_u32 v3, v3, v61, v60
	v_cndmask_b32_e64 v2, 0, v2, s[0:1]
	v_add3_u32 v3, v3, v59, v58
	v_add_u32_e32 v2, v2, v52
	v_add3_u32 v3, v3, v57, v56
	v_cndmask_b32_e32 v2, 0, v2, vcc
	v_add3_u32 v3, v3, v55, v54
	v_add_u32_e32 v2, v2, v53
	v_mbcnt_hi_u32_b32 v25, -1, v71
	v_and_b32_e32 v4, 15, v25
	v_mov_b32_dpp v6, v2 row_shr:1 row_mask:0xf bank_mask:0xf
	v_cmp_eq_u32_e32 vcc, 0, v3
	v_mov_b32_dpp v5, v3 row_shr:1 row_mask:0xf bank_mask:0xf
	v_cndmask_b32_e32 v6, 0, v6, vcc
	v_cmp_eq_u32_e32 vcc, 0, v4
	v_cndmask_b32_e64 v5, v5, 0, vcc
	v_add_u32_e32 v3, v5, v3
	v_cndmask_b32_e64 v5, v6, 0, vcc
	v_add_u32_e32 v2, v5, v2
	v_cmp_eq_u32_e32 vcc, 0, v3
	v_mov_b32_dpp v5, v3 row_shr:2 row_mask:0xf bank_mask:0xf
	v_cmp_lt_u32_e64 s[26:27], 1, v4
	v_mov_b32_dpp v6, v2 row_shr:2 row_mask:0xf bank_mask:0xf
	v_cndmask_b32_e64 v5, 0, v5, s[26:27]
	s_and_b64 vcc, s[26:27], vcc
	v_cndmask_b32_e32 v6, 0, v6, vcc
	v_add_u32_e32 v3, v3, v5
	v_add_u32_e32 v2, v6, v2
	v_cmp_eq_u32_e32 vcc, 0, v3
	v_mov_b32_dpp v5, v3 row_shr:4 row_mask:0xf bank_mask:0xf
	v_cmp_lt_u32_e64 s[26:27], 3, v4
	v_mov_b32_dpp v6, v2 row_shr:4 row_mask:0xf bank_mask:0xf
	v_cndmask_b32_e64 v5, 0, v5, s[26:27]
	s_and_b64 vcc, s[26:27], vcc
	v_cndmask_b32_e32 v6, 0, v6, vcc
	v_add_u32_e32 v3, v5, v3
	v_add_u32_e32 v2, v2, v6
	v_cmp_eq_u32_e32 vcc, 0, v3
	v_cmp_lt_u32_e64 s[26:27], 7, v4
	v_mov_b32_dpp v5, v3 row_shr:8 row_mask:0xf bank_mask:0xf
	v_mov_b32_dpp v6, v2 row_shr:8 row_mask:0xf bank_mask:0xf
	s_and_b64 vcc, s[26:27], vcc
	v_cndmask_b32_e64 v4, 0, v5, s[26:27]
	v_cndmask_b32_e32 v5, 0, v6, vcc
	v_add_u32_e32 v2, v5, v2
	v_add_u32_e32 v3, v4, v3
	v_bfe_i32 v6, v25, 4, 1
	v_mov_b32_dpp v5, v2 row_bcast:15 row_mask:0xf bank_mask:0xf
	v_mov_b32_dpp v4, v3 row_bcast:15 row_mask:0xf bank_mask:0xf
	v_cmp_eq_u32_e32 vcc, 0, v3
	v_cndmask_b32_e32 v5, 0, v5, vcc
	v_and_b32_e32 v4, v6, v4
	v_add_u32_e32 v3, v4, v3
	v_and_b32_e32 v4, v6, v5
	v_add_u32_e32 v4, v4, v2
	v_mov_b32_dpp v2, v3 row_bcast:31 row_mask:0xf bank_mask:0xf
	v_cmp_eq_u32_e32 vcc, 0, v3
	v_cmp_lt_u32_e64 s[26:27], 31, v25
	v_mov_b32_dpp v5, v4 row_bcast:31 row_mask:0xf bank_mask:0xf
	v_cndmask_b32_e64 v2, 0, v2, s[26:27]
	s_and_b64 vcc, s[26:27], vcc
	v_add_u32_e32 v2, v2, v3
	v_cndmask_b32_e32 v3, 0, v5, vcc
	v_add_u32_e32 v3, v3, v4
	v_cmp_eq_u32_e32 vcc, v70, v0
	v_lshlrev_b32_e32 v4, 3, v69
	s_and_saveexec_b64 s[26:27], vcc
	s_cbranch_execz .LBB444_60
; %bb.59:
	ds_write_b64 v4, v[2:3] offset:2064
.LBB444_60:
	s_or_b64 exec, exec, s[26:27]
	v_cmp_gt_u32_e32 vcc, 4, v0
	s_waitcnt lgkmcnt(0)
	s_barrier
	s_and_saveexec_b64 s[30:31], vcc
	s_cbranch_execz .LBB444_62
; %bb.61:
	v_lshlrev_b32_e32 v5, 3, v0
	ds_read_b64 v[6:7], v5 offset:2064
	v_and_b32_e32 v22, 3, v25
	v_cmp_lt_u32_e64 s[26:27], 1, v22
	s_waitcnt lgkmcnt(0)
	v_mov_b32_dpp v24, v7 row_shr:1 row_mask:0xf bank_mask:0xf
	v_cmp_eq_u32_e32 vcc, 0, v6
	v_mov_b32_dpp v23, v6 row_shr:1 row_mask:0xf bank_mask:0xf
	v_cndmask_b32_e32 v24, 0, v24, vcc
	v_cmp_eq_u32_e32 vcc, 0, v22
	v_cndmask_b32_e64 v23, v23, 0, vcc
	v_add_u32_e32 v6, v23, v6
	v_cndmask_b32_e64 v23, v24, 0, vcc
	v_add_u32_e32 v7, v23, v7
	v_cmp_eq_u32_e32 vcc, 0, v6
	v_mov_b32_dpp v23, v6 row_shr:2 row_mask:0xf bank_mask:0xf
	v_mov_b32_dpp v24, v7 row_shr:2 row_mask:0xf bank_mask:0xf
	v_cndmask_b32_e64 v22, 0, v23, s[26:27]
	s_and_b64 vcc, s[26:27], vcc
	v_add_u32_e32 v6, v22, v6
	v_cndmask_b32_e32 v22, 0, v24, vcc
	v_add_u32_e32 v7, v22, v7
	ds_write_b64 v5, v[6:7] offset:2064
.LBB444_62:
	s_or_b64 exec, exec, s[30:31]
	v_cmp_gt_u32_e32 vcc, 64, v0
	v_cmp_lt_u32_e64 s[26:27], 63, v0
	v_mov_b32_e32 v22, 0
	v_mov_b32_e32 v23, 0
	s_waitcnt lgkmcnt(0)
	s_barrier
	s_and_saveexec_b64 s[30:31], s[26:27]
	s_cbranch_execz .LBB444_64
; %bb.63:
	ds_read_b64 v[22:23], v4 offset:2056
	v_cmp_eq_u32_e64 s[26:27], 0, v2
	s_waitcnt lgkmcnt(0)
	v_add_u32_e32 v4, v22, v2
	v_cndmask_b32_e64 v2, 0, v23, s[26:27]
	v_add_u32_e32 v3, v2, v3
	v_mov_b32_e32 v2, v4
.LBB444_64:
	s_or_b64 exec, exec, s[30:31]
	v_add_u32_e32 v4, -1, v25
	v_and_b32_e32 v5, 64, v25
	v_cmp_lt_i32_e64 s[26:27], v4, v5
	v_cndmask_b32_e64 v4, v4, v25, s[26:27]
	v_lshlrev_b32_e32 v4, 2, v4
	ds_bpermute_b32 v30, v4, v2
	ds_bpermute_b32 v31, v4, v3
	v_cmp_eq_u32_e64 s[26:27], 0, v25
	s_and_saveexec_b64 s[44:45], vcc
	s_cbranch_execz .LBB444_83
; %bb.65:
	v_mov_b32_e32 v7, 0
	ds_read_b64 v[2:3], v7 offset:2088
	s_waitcnt lgkmcnt(0)
	v_readfirstlane_b32 s7, v2
	v_readfirstlane_b32 s56, v3
	s_and_saveexec_b64 s[30:31], s[26:27]
	s_cbranch_execz .LBB444_67
; %bb.66:
	s_add_i32 s54, s6, 64
	s_mov_b32 s55, 0
	s_lshl_b64 s[58:59], s[54:55], 4
	s_add_u32 s58, s36, s58
	s_addc_u32 s59, s37, s59
	s_and_b32 s61, s56, 0xff000000
	s_mov_b32 s60, s55
	s_and_b32 s63, s56, 0xff0000
	s_mov_b32 s62, s55
	s_or_b64 s[60:61], s[62:63], s[60:61]
	s_and_b32 s63, s56, 0xff00
	s_or_b64 s[60:61], s[60:61], s[62:63]
	s_and_b32 s63, s56, 0xff
	s_or_b64 s[54:55], s[60:61], s[62:63]
	v_mov_b32_e32 v4, s7
	v_mov_b32_e32 v5, s55
	;; [unrolled: 1-line block ×3, first 2 shown]
	v_pk_mov_b32 v[2:3], s[58:59], s[58:59] op_sel:[0,1]
	;;#ASMSTART
	global_store_dwordx4 v[2:3], v[4:7] off	
s_waitcnt vmcnt(0)
	;;#ASMEND
.LBB444_67:
	s_or_b64 exec, exec, s[30:31]
	v_xad_u32 v24, v25, -1, s6
	v_add_u32_e32 v6, 64, v24
	v_lshlrev_b64 v[2:3], 4, v[6:7]
	v_mov_b32_e32 v4, s37
	v_add_co_u32_e32 v26, vcc, s36, v2
	v_addc_co_u32_e32 v27, vcc, v4, v3, vcc
	;;#ASMSTART
	global_load_dwordx4 v[2:5], v[26:27] off glc	
s_waitcnt vmcnt(0)
	;;#ASMEND
	v_and_b32_e32 v5, 0xff, v3
	v_and_b32_e32 v6, 0xff00, v3
	v_or3_b32 v5, 0, v5, v6
	v_or3_b32 v2, v2, 0, 0
	v_and_b32_e32 v6, 0xff000000, v3
	v_and_b32_e32 v3, 0xff0000, v3
	v_or3_b32 v3, v5, v3, v6
	v_or3_b32 v2, v2, 0, 0
	v_cmp_eq_u16_sdwa s[54:55], v4, v7 src0_sel:BYTE_0 src1_sel:DWORD
	s_and_saveexec_b64 s[30:31], s[54:55]
	s_cbranch_execz .LBB444_71
; %bb.68:
	s_mov_b64 s[54:55], 0
	v_mov_b32_e32 v6, 0
.LBB444_69:                             ; =>This Inner Loop Header: Depth=1
	;;#ASMSTART
	global_load_dwordx4 v[2:5], v[26:27] off glc	
s_waitcnt vmcnt(0)
	;;#ASMEND
	v_cmp_ne_u16_sdwa s[58:59], v4, v6 src0_sel:BYTE_0 src1_sel:DWORD
	s_or_b64 s[54:55], s[58:59], s[54:55]
	s_andn2_b64 exec, exec, s[54:55]
	s_cbranch_execnz .LBB444_69
; %bb.70:
	s_or_b64 exec, exec, s[54:55]
.LBB444_71:
	s_or_b64 exec, exec, s[30:31]
	v_mov_b32_e32 v32, 2
	v_cmp_eq_u16_sdwa s[30:31], v4, v32 src0_sel:BYTE_0 src1_sel:DWORD
	v_lshlrev_b64 v[26:27], v25, -1
	v_and_b32_e32 v5, s31, v27
	v_and_b32_e32 v33, 63, v25
	v_or_b32_e32 v5, 0x80000000, v5
	v_cmp_ne_u32_e32 vcc, 63, v33
	v_and_b32_e32 v6, s30, v26
	v_ffbl_b32_e32 v5, v5
	v_addc_co_u32_e32 v7, vcc, 0, v25, vcc
	v_add_u32_e32 v5, 32, v5
	v_ffbl_b32_e32 v6, v6
	v_lshlrev_b32_e32 v34, 2, v7
	v_min_u32_e32 v5, v6, v5
	ds_bpermute_b32 v6, v34, v3
	v_cmp_eq_u32_e32 vcc, 0, v2
	v_cmp_lt_u32_e64 s[30:31], v33, v5
	ds_bpermute_b32 v7, v34, v2
	s_and_b64 vcc, s[30:31], vcc
	s_waitcnt lgkmcnt(1)
	v_cndmask_b32_e32 v6, 0, v6, vcc
	v_cmp_gt_u32_e32 vcc, 62, v33
	v_add_u32_e32 v3, v6, v3
	v_cndmask_b32_e64 v6, 0, 1, vcc
	v_lshlrev_b32_e32 v6, 1, v6
	v_add_lshl_u32 v35, v6, v25, 2
	s_waitcnt lgkmcnt(0)
	v_cndmask_b32_e64 v7, 0, v7, s[30:31]
	ds_bpermute_b32 v6, v35, v3
	v_add_u32_e32 v2, v7, v2
	ds_bpermute_b32 v7, v35, v2
	v_add_u32_e32 v36, 2, v33
	v_cmp_eq_u32_e32 vcc, 0, v2
	s_waitcnt lgkmcnt(1)
	v_cndmask_b32_e32 v6, 0, v6, vcc
	v_cmp_gt_u32_e32 vcc, v36, v5
	v_cndmask_b32_e64 v6, v6, 0, vcc
	v_add_u32_e32 v3, v6, v3
	s_waitcnt lgkmcnt(0)
	v_cndmask_b32_e64 v6, v7, 0, vcc
	v_cmp_gt_u32_e32 vcc, 60, v33
	v_cndmask_b32_e64 v7, 0, 1, vcc
	v_lshlrev_b32_e32 v7, 2, v7
	v_add_lshl_u32 v37, v7, v25, 2
	ds_bpermute_b32 v7, v37, v3
	v_add_u32_e32 v2, v2, v6
	ds_bpermute_b32 v6, v37, v2
	v_add_u32_e32 v38, 4, v33
	v_cmp_eq_u32_e32 vcc, 0, v2
	s_waitcnt lgkmcnt(1)
	v_cndmask_b32_e32 v7, 0, v7, vcc
	v_cmp_gt_u32_e32 vcc, v38, v5
	v_cndmask_b32_e64 v7, v7, 0, vcc
	s_waitcnt lgkmcnt(0)
	v_cndmask_b32_e64 v6, v6, 0, vcc
	v_cmp_gt_u32_e32 vcc, 56, v33
	v_add_u32_e32 v3, v3, v7
	v_cndmask_b32_e64 v7, 0, 1, vcc
	v_lshlrev_b32_e32 v7, 3, v7
	v_add_lshl_u32 v39, v7, v25, 2
	ds_bpermute_b32 v7, v39, v3
	v_add_u32_e32 v2, v2, v6
	ds_bpermute_b32 v6, v39, v2
	v_add_u32_e32 v40, 8, v33
	v_cmp_eq_u32_e32 vcc, 0, v2
	s_waitcnt lgkmcnt(1)
	v_cndmask_b32_e32 v7, 0, v7, vcc
	v_cmp_gt_u32_e32 vcc, v40, v5
	v_cndmask_b32_e64 v7, v7, 0, vcc
	s_waitcnt lgkmcnt(0)
	v_cndmask_b32_e64 v6, v6, 0, vcc
	v_cmp_gt_u32_e32 vcc, 48, v33
	v_add_u32_e32 v3, v3, v7
	;; [unrolled: 16-line block ×3, first 2 shown]
	v_cndmask_b32_e64 v7, 0, 1, vcc
	v_lshlrev_b32_e32 v7, 5, v7
	v_add_lshl_u32 v43, v7, v25, 2
	ds_bpermute_b32 v7, v43, v3
	v_add_u32_e32 v2, v2, v6
	ds_bpermute_b32 v6, v43, v2
	v_add_u32_e32 v44, 32, v33
	v_cmp_eq_u32_e32 vcc, 0, v2
	s_waitcnt lgkmcnt(1)
	v_cndmask_b32_e32 v7, 0, v7, vcc
	v_cmp_gt_u32_e32 vcc, v44, v5
	v_cndmask_b32_e64 v5, v7, 0, vcc
	v_add_u32_e32 v3, v5, v3
	s_waitcnt lgkmcnt(0)
	v_cndmask_b32_e64 v5, v6, 0, vcc
	v_add_u32_e32 v2, v5, v2
	v_mov_b32_e32 v25, 0
	s_branch .LBB444_73
.LBB444_72:                             ;   in Loop: Header=BB444_73 Depth=1
	s_or_b64 exec, exec, s[30:31]
	v_cmp_eq_u16_sdwa s[30:31], v4, v32 src0_sel:BYTE_0 src1_sel:DWORD
	v_and_b32_e32 v5, s31, v27
	v_or_b32_e32 v5, 0x80000000, v5
	v_and_b32_e32 v28, s30, v26
	v_ffbl_b32_e32 v5, v5
	v_add_u32_e32 v5, 32, v5
	v_ffbl_b32_e32 v28, v28
	v_min_u32_e32 v5, v28, v5
	ds_bpermute_b32 v28, v34, v3
	v_cmp_eq_u32_e32 vcc, 0, v2
	v_cmp_lt_u32_e64 s[30:31], v33, v5
	ds_bpermute_b32 v29, v34, v2
	s_and_b64 vcc, s[30:31], vcc
	s_waitcnt lgkmcnt(1)
	v_cndmask_b32_e32 v28, 0, v28, vcc
	v_add_u32_e32 v3, v28, v3
	ds_bpermute_b32 v28, v35, v3
	s_waitcnt lgkmcnt(1)
	v_cndmask_b32_e64 v29, 0, v29, s[30:31]
	v_add_u32_e32 v2, v29, v2
	v_cmp_eq_u32_e32 vcc, 0, v2
	ds_bpermute_b32 v29, v35, v2
	s_waitcnt lgkmcnt(1)
	v_cndmask_b32_e32 v28, 0, v28, vcc
	v_cmp_gt_u32_e32 vcc, v36, v5
	v_cndmask_b32_e64 v28, v28, 0, vcc
	v_add_u32_e32 v3, v28, v3
	ds_bpermute_b32 v28, v37, v3
	s_waitcnt lgkmcnt(1)
	v_cndmask_b32_e64 v29, v29, 0, vcc
	v_add_u32_e32 v2, v2, v29
	v_cmp_eq_u32_e32 vcc, 0, v2
	ds_bpermute_b32 v29, v37, v2
	s_waitcnt lgkmcnt(1)
	v_cndmask_b32_e32 v28, 0, v28, vcc
	v_cmp_gt_u32_e32 vcc, v38, v5
	v_cndmask_b32_e64 v28, v28, 0, vcc
	v_add_u32_e32 v3, v3, v28
	ds_bpermute_b32 v28, v39, v3
	s_waitcnt lgkmcnt(1)
	v_cndmask_b32_e64 v29, v29, 0, vcc
	v_add_u32_e32 v2, v2, v29
	ds_bpermute_b32 v29, v39, v2
	v_cmp_eq_u32_e32 vcc, 0, v2
	s_waitcnt lgkmcnt(1)
	v_cndmask_b32_e32 v28, 0, v28, vcc
	v_cmp_gt_u32_e32 vcc, v40, v5
	v_cndmask_b32_e64 v28, v28, 0, vcc
	v_add_u32_e32 v3, v3, v28
	ds_bpermute_b32 v28, v41, v3
	s_waitcnt lgkmcnt(1)
	v_cndmask_b32_e64 v29, v29, 0, vcc
	v_add_u32_e32 v2, v2, v29
	ds_bpermute_b32 v29, v41, v2
	v_cmp_eq_u32_e32 vcc, 0, v2
	;; [unrolled: 11-line block ×3, first 2 shown]
	s_waitcnt lgkmcnt(1)
	v_cndmask_b32_e32 v28, 0, v28, vcc
	v_cmp_gt_u32_e32 vcc, v44, v5
	v_cndmask_b32_e64 v5, v28, 0, vcc
	v_add_u32_e32 v3, v5, v3
	s_waitcnt lgkmcnt(0)
	v_cndmask_b32_e64 v5, v29, 0, vcc
	v_cmp_eq_u32_e32 vcc, 0, v6
	v_cndmask_b32_e32 v3, 0, v3, vcc
	v_subrev_u32_e32 v24, 64, v24
	v_add3_u32 v2, v2, v6, v5
	v_add_u32_e32 v3, v3, v7
.LBB444_73:                             ; =>This Loop Header: Depth=1
                                        ;     Child Loop BB444_76 Depth 2
	v_cmp_ne_u16_sdwa s[30:31], v4, v32 src0_sel:BYTE_0 src1_sel:DWORD
	v_mov_b32_e32 v7, v3
	v_cndmask_b32_e64 v3, 0, 1, s[30:31]
	;;#ASMSTART
	;;#ASMEND
	v_cmp_ne_u32_e32 vcc, 0, v3
	s_cmp_lg_u64 vcc, exec
	v_mov_b32_e32 v6, v2
	s_cbranch_scc1 .LBB444_78
; %bb.74:                               ;   in Loop: Header=BB444_73 Depth=1
	v_lshlrev_b64 v[2:3], 4, v[24:25]
	v_mov_b32_e32 v4, s37
	v_add_co_u32_e32 v28, vcc, s36, v2
	v_addc_co_u32_e32 v29, vcc, v4, v3, vcc
	;;#ASMSTART
	global_load_dwordx4 v[2:5], v[28:29] off glc	
s_waitcnt vmcnt(0)
	;;#ASMEND
	v_and_b32_e32 v5, 0xff, v3
	v_and_b32_e32 v45, 0xff00, v3
	v_or3_b32 v5, 0, v5, v45
	v_or3_b32 v2, v2, 0, 0
	v_and_b32_e32 v45, 0xff000000, v3
	v_and_b32_e32 v3, 0xff0000, v3
	v_or3_b32 v3, v5, v3, v45
	v_or3_b32 v2, v2, 0, 0
	v_cmp_eq_u16_sdwa s[54:55], v4, v25 src0_sel:BYTE_0 src1_sel:DWORD
	s_and_saveexec_b64 s[30:31], s[54:55]
	s_cbranch_execz .LBB444_72
; %bb.75:                               ;   in Loop: Header=BB444_73 Depth=1
	s_mov_b64 s[54:55], 0
.LBB444_76:                             ;   Parent Loop BB444_73 Depth=1
                                        ; =>  This Inner Loop Header: Depth=2
	;;#ASMSTART
	global_load_dwordx4 v[2:5], v[28:29] off glc	
s_waitcnt vmcnt(0)
	;;#ASMEND
	v_cmp_ne_u16_sdwa s[58:59], v4, v25 src0_sel:BYTE_0 src1_sel:DWORD
	s_or_b64 s[54:55], s[58:59], s[54:55]
	s_andn2_b64 exec, exec, s[54:55]
	s_cbranch_execnz .LBB444_76
; %bb.77:                               ;   in Loop: Header=BB444_73 Depth=1
	s_or_b64 exec, exec, s[54:55]
	s_branch .LBB444_72
.LBB444_78:                             ;   in Loop: Header=BB444_73 Depth=1
                                        ; implicit-def: $vgpr3
                                        ; implicit-def: $vgpr2
                                        ; implicit-def: $vgpr4
	s_cbranch_execz .LBB444_73
; %bb.79:
	s_and_saveexec_b64 s[30:31], s[26:27]
	s_cbranch_execz .LBB444_81
; %bb.80:
	s_cmp_eq_u32 s7, 0
	s_cselect_b64 vcc, -1, 0
	s_mov_b32 s55, 0
	v_cndmask_b32_e32 v2, 0, v7, vcc
	s_add_i32 s54, s6, 64
	v_add_u32_e32 v2, s56, v2
	s_lshl_b64 s[54:55], s[54:55], 4
	s_add_u32 s54, s36, s54
	v_and_b32_e32 v3, 0xff000000, v2
	v_and_b32_e32 v4, 0xff0000, v2
	s_addc_u32 s55, s37, s55
	v_or_b32_e32 v3, v4, v3
	v_and_b32_e32 v4, 0xff00, v2
	v_and_b32_e32 v2, 0xff, v2
	v_add_u32_e32 v24, s7, v6
	v_mov_b32_e32 v27, 0
	v_or3_b32 v25, v3, v4, v2
	v_mov_b32_e32 v26, 2
	v_pk_mov_b32 v[2:3], s[54:55], s[54:55] op_sel:[0,1]
	;;#ASMSTART
	global_store_dwordx4 v[2:3], v[24:27] off	
s_waitcnt vmcnt(0)
	;;#ASMEND
	v_mov_b32_e32 v4, s7
	v_mov_b32_e32 v5, s56
	ds_write_b128 v27, v[4:7] offset:2048
.LBB444_81:
	s_or_b64 exec, exec, s[30:31]
	v_cmp_eq_u32_e32 vcc, 0, v0
	s_and_b64 exec, exec, vcc
	s_cbranch_execz .LBB444_83
; %bb.82:
	v_mov_b32_e32 v2, 0
	ds_write_b64 v2, v[6:7] offset:2088
.LBB444_83:
	s_or_b64 exec, exec, s[44:45]
	v_mov_b32_e32 v4, 0
	s_waitcnt lgkmcnt(0)
	s_barrier
	ds_read_b64 v[2:3], v4 offset:2088
	v_cndmask_b32_e64 v6, v30, v22, s[26:27]
	v_cmp_eq_u32_e32 vcc, 0, v6
	v_cndmask_b32_e64 v5, v31, v23, s[26:27]
	s_waitcnt lgkmcnt(0)
	v_cndmask_b32_e32 v7, 0, v3, vcc
	v_add_u32_e32 v5, v7, v5
	v_cmp_eq_u32_e32 vcc, 0, v0
	v_cndmask_b32_e32 v51, v5, v3, vcc
	v_cndmask_b32_e64 v3, v6, 0, vcc
	v_cmp_eq_u32_e32 vcc, 0, v68
	v_add_u32_e32 v50, v2, v3
	v_cndmask_b32_e32 v2, 0, v51, vcc
	v_add_u32_e32 v49, v2, v52
	v_cndmask_b32_e64 v2, 0, v49, s[24:25]
	v_add_u32_e32 v47, v2, v52
	v_cndmask_b32_e64 v2, 0, v47, s[22:23]
	;; [unrolled: 2-line block ×8, first 2 shown]
	v_add_u32_e32 v48, v50, v68
	v_add_u32_e32 v33, v2, v52
	v_add_u32_e32 v46, v48, v67
	v_cndmask_b32_e64 v2, 0, v33, s[8:9]
	v_add_u32_e32 v44, v46, v66
	v_add_u32_e32 v31, v2, v52
	v_add_u32_e32 v42, v44, v65
	v_cndmask_b32_e64 v2, 0, v31, s[28:29]
	;; [unrolled: 4-line block ×3, first 2 shown]
	v_add_u32_e32 v36, v38, v62
	v_add_u32_e32 v27, v2, v52
	s_barrier
	ds_read_b128 v[2:5], v4 offset:2048
	v_add_u32_e32 v34, v36, v61
	v_add_u32_e32 v32, v34, v60
	v_add_u32_e32 v30, v32, v59
	v_add_u32_e32 v28, v30, v58
	v_cndmask_b32_e64 v6, 0, v27, s[2:3]
	v_add_u32_e32 v26, v28, v57
	v_add_u32_e32 v23, v6, v52
	s_waitcnt lgkmcnt(0)
	v_cmp_eq_u32_e32 vcc, 0, v2
	v_add_u32_e32 v22, v26, v56
	v_cndmask_b32_e64 v6, 0, v23, s[0:1]
	v_cndmask_b32_e32 v5, 0, v5, vcc
	v_add_u32_e32 v24, v22, v55
	v_add_u32_e32 v25, v6, v52
	;; [unrolled: 1-line block ×3, first 2 shown]
	s_branch .LBB444_96
.LBB444_84:
                                        ; implicit-def: $vgpr2
                                        ; implicit-def: $vgpr6
                                        ; implicit-def: $vgpr24_vgpr25
                                        ; implicit-def: $vgpr22_vgpr23
                                        ; implicit-def: $vgpr26_vgpr27
                                        ; implicit-def: $vgpr28_vgpr29
                                        ; implicit-def: $vgpr50_vgpr51
                                        ; implicit-def: $vgpr48_vgpr49
                                        ; implicit-def: $vgpr46_vgpr47
                                        ; implicit-def: $vgpr44_vgpr45
                                        ; implicit-def: $vgpr42_vgpr43
                                        ; implicit-def: $vgpr40_vgpr41
                                        ; implicit-def: $vgpr38_vgpr39
                                        ; implicit-def: $vgpr36_vgpr37
                                        ; implicit-def: $vgpr34_vgpr35
                                        ; implicit-def: $vgpr32_vgpr33
                                        ; implicit-def: $vgpr30_vgpr31
	s_cbranch_execz .LBB444_96
; %bb.85:
	s_and_b64 s[0:1], s[38:39], exec
	s_cselect_b32 s1, 0, s53
	s_cselect_b32 s0, 0, s52
	s_cmp_eq_u64 s[0:1], 0
	v_mov_b32_e32 v6, v52
	s_cbranch_scc1 .LBB444_87
; %bb.86:
	v_mov_b32_e32 v2, 0
	global_load_dword v6, v2, s[0:1]
.LBB444_87:
	v_cmp_eq_u32_e64 s[0:1], 0, v67
	v_cndmask_b32_e64 v2, 0, v52, s[0:1]
	v_add_u32_e32 v2, v2, v52
	v_cmp_eq_u32_e64 s[2:3], 0, v66
	v_cndmask_b32_e64 v2, 0, v2, s[2:3]
	v_add_u32_e32 v2, v2, v52
	;; [unrolled: 3-line block ×11, first 2 shown]
	v_cmp_eq_u32_e64 s[22:23], 0, v56
	v_cndmask_b32_e64 v2, 0, v2, s[22:23]
	v_add3_u32 v3, v72, v63, v62
	v_add_u32_e32 v2, v2, v52
	v_cmp_eq_u32_e32 vcc, 0, v55
	v_add3_u32 v3, v3, v61, v60
	v_cndmask_b32_e32 v2, 0, v2, vcc
	v_add3_u32 v3, v3, v59, v58
	v_add_u32_e32 v2, v2, v52
	v_cmp_eq_u32_e64 s[24:25], 0, v54
	v_add3_u32 v3, v3, v57, v56
	v_cndmask_b32_e64 v2, 0, v2, s[24:25]
	v_add3_u32 v3, v3, v55, v54
	v_add_u32_e32 v2, v2, v53
	v_mbcnt_hi_u32_b32 v7, -1, v71
	v_and_b32_e32 v4, 15, v7
	v_mov_b32_dpp v22, v2 row_shr:1 row_mask:0xf bank_mask:0xf
	v_cmp_eq_u32_e64 s[24:25], 0, v3
	v_mov_b32_dpp v5, v3 row_shr:1 row_mask:0xf bank_mask:0xf
	v_cndmask_b32_e64 v22, 0, v22, s[24:25]
	v_cmp_eq_u32_e64 s[24:25], 0, v4
	v_cndmask_b32_e64 v5, v5, 0, s[24:25]
	v_add_u32_e32 v3, v5, v3
	v_cndmask_b32_e64 v5, v22, 0, s[24:25]
	v_add_u32_e32 v2, v5, v2
	v_cmp_eq_u32_e64 s[24:25], 0, v3
	v_mov_b32_dpp v5, v3 row_shr:2 row_mask:0xf bank_mask:0xf
	v_cmp_lt_u32_e64 s[26:27], 1, v4
	v_mov_b32_dpp v22, v2 row_shr:2 row_mask:0xf bank_mask:0xf
	v_cndmask_b32_e64 v5, 0, v5, s[26:27]
	s_and_b64 s[24:25], s[26:27], s[24:25]
	v_cndmask_b32_e64 v22, 0, v22, s[24:25]
	v_add_u32_e32 v3, v3, v5
	v_add_u32_e32 v2, v22, v2
	v_cmp_eq_u32_e64 s[24:25], 0, v3
	v_mov_b32_dpp v5, v3 row_shr:4 row_mask:0xf bank_mask:0xf
	v_cmp_lt_u32_e64 s[26:27], 3, v4
	v_mov_b32_dpp v22, v2 row_shr:4 row_mask:0xf bank_mask:0xf
	v_cndmask_b32_e64 v5, 0, v5, s[26:27]
	s_and_b64 s[24:25], s[26:27], s[24:25]
	v_cndmask_b32_e64 v22, 0, v22, s[24:25]
	v_add_u32_e32 v3, v5, v3
	v_add_u32_e32 v2, v2, v22
	v_cmp_eq_u32_e64 s[24:25], 0, v3
	v_cmp_lt_u32_e64 s[26:27], 7, v4
	v_mov_b32_dpp v5, v3 row_shr:8 row_mask:0xf bank_mask:0xf
	v_mov_b32_dpp v22, v2 row_shr:8 row_mask:0xf bank_mask:0xf
	s_and_b64 s[24:25], s[26:27], s[24:25]
	v_cndmask_b32_e64 v4, 0, v5, s[26:27]
	v_cndmask_b32_e64 v5, 0, v22, s[24:25]
	v_add_u32_e32 v2, v5, v2
	v_add_u32_e32 v3, v4, v3
	v_bfe_i32 v22, v7, 4, 1
	v_mov_b32_dpp v5, v2 row_bcast:15 row_mask:0xf bank_mask:0xf
	v_mov_b32_dpp v4, v3 row_bcast:15 row_mask:0xf bank_mask:0xf
	v_cmp_eq_u32_e64 s[24:25], 0, v3
	v_cndmask_b32_e64 v5, 0, v5, s[24:25]
	v_and_b32_e32 v4, v22, v4
	v_add_u32_e32 v3, v4, v3
	v_and_b32_e32 v4, v22, v5
	v_add_u32_e32 v4, v4, v2
	v_mov_b32_dpp v2, v3 row_bcast:31 row_mask:0xf bank_mask:0xf
	v_cmp_eq_u32_e64 s[24:25], 0, v3
	v_cmp_lt_u32_e64 s[26:27], 31, v7
	v_mov_b32_dpp v5, v4 row_bcast:31 row_mask:0xf bank_mask:0xf
	v_cndmask_b32_e64 v2, 0, v2, s[26:27]
	s_and_b64 s[24:25], s[26:27], s[24:25]
	v_add_u32_e32 v2, v2, v3
	v_cndmask_b32_e64 v3, 0, v5, s[24:25]
	v_add_u32_e32 v3, v3, v4
	v_cmp_eq_u32_e64 s[24:25], v70, v0
	v_lshlrev_b32_e32 v5, 3, v69
	s_and_saveexec_b64 s[26:27], s[24:25]
	s_cbranch_execz .LBB444_89
; %bb.88:
	ds_write_b64 v5, v[2:3] offset:2064
.LBB444_89:
	s_or_b64 exec, exec, s[26:27]
	v_cmp_gt_u32_e64 s[24:25], 4, v0
	s_waitcnt lgkmcnt(0)
	s_barrier
	s_and_saveexec_b64 s[28:29], s[24:25]
	s_cbranch_execz .LBB444_91
; %bb.90:
	v_lshlrev_b32_e32 v4, 3, v0
	ds_read_b64 v[22:23], v4 offset:2064
	v_and_b32_e32 v24, 3, v7
	v_cmp_lt_u32_e64 s[26:27], 1, v24
	s_waitcnt lgkmcnt(0)
	v_mov_b32_dpp v26, v23 row_shr:1 row_mask:0xf bank_mask:0xf
	v_cmp_eq_u32_e64 s[24:25], 0, v22
	v_mov_b32_dpp v25, v22 row_shr:1 row_mask:0xf bank_mask:0xf
	v_cndmask_b32_e64 v26, 0, v26, s[24:25]
	v_cmp_eq_u32_e64 s[24:25], 0, v24
	v_cndmask_b32_e64 v25, v25, 0, s[24:25]
	v_add_u32_e32 v22, v25, v22
	v_cndmask_b32_e64 v25, v26, 0, s[24:25]
	v_add_u32_e32 v23, v25, v23
	v_cmp_eq_u32_e64 s[24:25], 0, v22
	v_mov_b32_dpp v25, v22 row_shr:2 row_mask:0xf bank_mask:0xf
	v_mov_b32_dpp v26, v23 row_shr:2 row_mask:0xf bank_mask:0xf
	v_cndmask_b32_e64 v24, 0, v25, s[26:27]
	s_and_b64 s[24:25], s[26:27], s[24:25]
	v_add_u32_e32 v22, v24, v22
	v_cndmask_b32_e64 v24, 0, v26, s[24:25]
	v_add_u32_e32 v23, v24, v23
	ds_write_b64 v4, v[22:23] offset:2064
.LBB444_91:
	s_or_b64 exec, exec, s[28:29]
	v_cmp_lt_u32_e64 s[24:25], 63, v0
	v_mov_b32_e32 v23, 0
	v_mov_b32_e32 v4, 0
	s_waitcnt vmcnt(0)
	v_mov_b32_e32 v22, v6
	s_waitcnt lgkmcnt(0)
	s_barrier
	s_and_saveexec_b64 s[26:27], s[24:25]
	s_cbranch_execz .LBB444_93
; %bb.92:
	ds_read_b64 v[4:5], v5 offset:2056
	s_waitcnt lgkmcnt(0)
	v_cmp_eq_u32_e64 s[24:25], 0, v4
	v_cndmask_b32_e64 v22, 0, v6, s[24:25]
	v_add_u32_e32 v22, v22, v5
.LBB444_93:
	s_or_b64 exec, exec, s[26:27]
	v_cmp_eq_u32_e64 s[24:25], 0, v2
	v_add_u32_e32 v5, v4, v2
	v_cndmask_b32_e64 v2, 0, v22, s[24:25]
	v_add_u32_e32 v2, v2, v3
	v_add_u32_e32 v3, -1, v7
	v_and_b32_e32 v24, 64, v7
	v_cmp_lt_i32_e64 s[24:25], v3, v24
	v_cndmask_b32_e64 v3, v3, v7, s[24:25]
	v_lshlrev_b32_e32 v3, 2, v3
	ds_bpermute_b32 v5, v3, v5
	ds_bpermute_b32 v2, v3, v2
	v_cmp_eq_u32_e64 s[24:25], 0, v7
	v_cmp_eq_u32_e64 s[26:27], 0, v68
	s_waitcnt lgkmcnt(1)
	v_cndmask_b32_e64 v3, v5, v4, s[24:25]
	s_waitcnt lgkmcnt(0)
	v_cndmask_b32_e64 v2, v2, v22, s[24:25]
	v_cmp_eq_u32_e64 s[24:25], 0, v0
	v_cndmask_b32_e64 v51, v2, v6, s[24:25]
	v_cndmask_b32_e64 v2, 0, v51, s[26:27]
	v_add_u32_e32 v49, v2, v52
	v_cndmask_b32_e64 v2, 0, v49, s[0:1]
	v_add_u32_e32 v47, v2, v52
	;; [unrolled: 2-line block ×8, first 2 shown]
	v_cndmask_b32_e64 v50, v3, 0, s[24:25]
	v_cndmask_b32_e64 v2, 0, v35, s[14:15]
	v_add_u32_e32 v48, v50, v68
	v_add_u32_e32 v33, v2, v52
	v_add_u32_e32 v46, v48, v67
	v_cndmask_b32_e64 v2, 0, v33, s[16:17]
	v_add_u32_e32 v44, v46, v66
	v_add_u32_e32 v31, v2, v52
	v_add_u32_e32 v42, v44, v65
	;; [unrolled: 4-line block ×3, first 2 shown]
	v_cndmask_b32_e64 v2, 0, v29, s[20:21]
	v_add_u32_e32 v36, v38, v62
	v_add_u32_e32 v27, v2, v52
	ds_read_b64 v[2:3], v23 offset:2088
	v_add_u32_e32 v34, v36, v61
	v_add_u32_e32 v32, v34, v60
	;; [unrolled: 1-line block ×3, first 2 shown]
	v_cndmask_b32_e64 v4, 0, v27, s[22:23]
	v_add_u32_e32 v28, v30, v58
	v_add_u32_e32 v23, v4, v52
	;; [unrolled: 1-line block ×3, first 2 shown]
	v_cndmask_b32_e32 v4, 0, v23, vcc
	s_waitcnt lgkmcnt(0)
	v_cmp_eq_u32_e32 vcc, 0, v2
	v_add_u32_e32 v22, v26, v56
	v_add_u32_e32 v25, v4, v52
	v_cndmask_b32_e32 v4, 0, v6, vcc
	v_add_u32_e32 v24, v22, v55
	v_add_u32_e32 v6, v4, v3
	s_and_saveexec_b64 s[0:1], s[24:25]
	s_cbranch_execz .LBB444_95
; %bb.94:
	s_add_u32 s2, s36, 0x400
	v_and_b32_e32 v3, 0xff000000, v6
	v_and_b32_e32 v4, 0xff0000, v6
	s_addc_u32 s3, s37, 0
	v_or_b32_e32 v3, v4, v3
	v_and_b32_e32 v4, 0xff00, v6
	v_and_b32_e32 v7, 0xff, v6
	v_mov_b32_e32 v5, 0
	v_or3_b32 v3, v3, v4, v7
	v_mov_b32_e32 v4, 2
	v_pk_mov_b32 v[52:53], s[2:3], s[2:3] op_sel:[0,1]
	;;#ASMSTART
	global_store_dwordx4 v[52:53], v[2:5] off	
s_waitcnt vmcnt(0)
	;;#ASMEND
.LBB444_95:
	s_or_b64 exec, exec, s[0:1]
	v_mov_b32_e32 v4, 0
.LBB444_96:
	s_and_b64 s[0:1], s[38:39], exec
	s_cselect_b32 s1, 0, s47
	s_cselect_b32 s0, 0, s46
	s_cmp_eq_u64 s[0:1], 0
	v_pk_mov_b32 v[52:53], 0, 0
	s_waitcnt lgkmcnt(0)
	s_barrier
	s_cbranch_scc1 .LBB444_98
; %bb.97:
	v_mov_b32_e32 v3, 0
	global_load_dwordx2 v[52:53], v3, s[0:1]
.LBB444_98:
	s_waitcnt vmcnt(0)
	v_lshlrev_b64 v[70:71], 2, v[52:53]
	v_mov_b32_e32 v3, s41
	v_add_co_u32_e32 v7, vcc, s40, v70
	v_mov_b32_e32 v5, 0
	v_addc_co_u32_e32 v69, vcc, v3, v71, vcc
	v_lshlrev_b64 v[70:71], 2, v[4:5]
	v_add_co_u32_e32 v3, vcc, v7, v70
	v_addc_co_u32_e32 v7, vcc, v69, v71, vcc
	v_cmp_eq_u32_e32 vcc, 0, v68
	v_cndmask_b32_e64 v69, 1, 2, vcc
	v_cmp_eq_u32_e32 vcc, 0, v67
	v_cndmask_b32_e64 v70, 1, 2, vcc
	v_cmp_eq_u32_e32 vcc, 0, v66
	v_and_b32_e32 v69, v70, v69
	v_cndmask_b32_e64 v70, 1, 2, vcc
	v_cmp_eq_u32_e32 vcc, 0, v65
	v_and_b32_e32 v69, v69, v70
	;; [unrolled: 3-line block ×13, first 2 shown]
	v_cndmask_b32_e64 v70, 1, 2, vcc
	s_movk_i32 s30, 0x100
	v_and_b32_e32 v69, v69, v70
	v_cmp_gt_u32_e32 vcc, s30, v2
	v_cmp_ne_u32_e64 s[28:29], 0, v68
	v_cmp_ne_u32_e64 s[26:27], 0, v67
	v_cmp_ne_u32_e64 s[24:25], 0, v66
	v_cmp_ne_u32_e64 s[22:23], 0, v65
	v_cmp_ne_u32_e64 s[20:21], 0, v64
	v_cmp_ne_u32_e64 s[18:19], 0, v63
	v_cmp_ne_u32_e64 s[16:17], 0, v62
	v_cmp_ne_u32_e64 s[14:15], 0, v61
	v_cmp_ne_u32_e64 s[12:13], 0, v60
	v_cmp_ne_u32_e64 s[10:11], 0, v59
	v_cmp_ne_u32_e64 s[8:9], 0, v58
	v_cmp_ne_u32_e64 s[6:7], 0, v57
	v_cmp_ne_u32_e64 s[4:5], 0, v56
	v_cmp_ne_u32_e64 s[2:3], 0, v55
	v_cmp_ne_u32_e64 s[0:1], 0, v54
	s_mov_b64 s[36:37], -1
	v_cmp_gt_i16_e64 s[30:31], 2, v69
	s_cbranch_vccz .LBB444_105
; %bb.99:
	s_and_saveexec_b64 s[36:37], s[30:31]
	s_cbranch_execz .LBB444_104
; %bb.100:
	v_cmp_ne_u16_e32 vcc, 1, v69
	s_mov_b64 s[38:39], 0
	s_and_saveexec_b64 s[30:31], vcc
	s_xor_b64 s[30:31], exec, s[30:31]
	s_cbranch_execnz .LBB444_149
; %bb.101:
	s_andn2_saveexec_b64 s[30:31], s[30:31]
	s_cbranch_execnz .LBB444_165
.LBB444_102:
	s_or_b64 exec, exec, s[30:31]
	s_and_b64 exec, exec, s[38:39]
	s_cbranch_execz .LBB444_104
.LBB444_103:
	v_sub_u32_e32 v70, v24, v4
	v_mov_b32_e32 v71, 0
	v_lshlrev_b64 v[70:71], 2, v[70:71]
	v_add_co_u32_e32 v70, vcc, v3, v70
	v_addc_co_u32_e32 v71, vcc, v7, v71, vcc
	global_store_dword v[70:71], v1, off
.LBB444_104:
	s_or_b64 exec, exec, s[36:37]
	s_mov_b64 s[36:37], 0
.LBB444_105:
	s_and_b64 vcc, exec, s[36:37]
	s_cbranch_vccz .LBB444_127
; %bb.106:
	v_cmp_gt_i16_e32 vcc, 2, v69
	s_and_saveexec_b64 s[30:31], vcc
	s_cbranch_execz .LBB444_111
; %bb.107:
	v_cmp_ne_u16_e32 vcc, 1, v69
	s_mov_b64 s[38:39], 0
	s_and_saveexec_b64 s[36:37], vcc
	s_xor_b64 s[36:37], exec, s[36:37]
	s_cbranch_execnz .LBB444_166
; %bb.108:
	s_andn2_saveexec_b64 s[0:1], s[36:37]
	s_cbranch_execnz .LBB444_182
.LBB444_109:
	s_or_b64 exec, exec, s[0:1]
	s_and_b64 exec, exec, s[38:39]
	s_cbranch_execz .LBB444_111
.LBB444_110:
	v_sub_u32_e32 v8, v24, v4
	v_lshlrev_b32_e32 v8, 2, v8
	ds_write_b32 v8, v1
.LBB444_111:
	s_or_b64 exec, exec, s[30:31]
	v_cmp_lt_u32_e32 vcc, v0, v2
	s_waitcnt lgkmcnt(0)
	s_barrier
	s_and_saveexec_b64 s[2:3], vcc
	s_cbranch_execz .LBB444_126
; %bb.112:
	v_xad_u32 v1, v0, -1, v2
	s_movk_i32 s0, 0x1700
	v_cmp_gt_u32_e64 s[4:5], s0, v1
	s_movk_i32 s0, 0x16ff
	v_cmp_lt_u32_e32 vcc, s0, v1
	v_mov_b32_e32 v8, v0
	s_and_saveexec_b64 s[6:7], vcc
	s_cbranch_execz .LBB444_123
; %bb.113:
	v_sub_u32_e32 v8, v0, v2
	v_or_b32_e32 v8, 0xff, v8
	v_cmp_ge_u32_e32 vcc, v8, v0
	s_mov_b64 s[0:1], -1
	v_mov_b32_e32 v8, v0
	s_and_saveexec_b64 s[8:9], vcc
	s_cbranch_execz .LBB444_122
; %bb.114:
	v_lshrrev_b32_e32 v12, 8, v1
	v_add_u32_e32 v8, -1, v12
	v_or_b32_e32 v1, 0x100, v0
	v_lshrrev_b32_e32 v9, 1, v8
	v_add_u32_e32 v13, 1, v9
	v_cmp_lt_u32_e32 vcc, 13, v8
	v_mov_b32_e32 v16, 0
	v_pk_mov_b32 v[8:9], v[0:1], v[0:1] op_sel:[0,1]
	s_and_saveexec_b64 s[10:11], vcc
	s_cbranch_execz .LBB444_118
; %bb.115:
	v_and_b32_e32 v14, -8, v13
	v_lshlrev_b32_e32 v15, 2, v0
	s_mov_b32 s14, 0
	s_mov_b64 s[12:13], 0
	v_mov_b32_e32 v11, 0
	v_pk_mov_b32 v[8:9], v[0:1], v[0:1] op_sel:[0,1]
.LBB444_116:                            ; =>This Inner Loop Header: Depth=1
	v_mov_b32_e32 v10, v8
	v_add_u32_e32 v14, -8, v14
	v_lshlrev_b64 v[94:95], 2, v[10:11]
	v_mov_b32_e32 v10, v9
	ds_read2st64_b32 v[18:19], v15 offset1:4
	s_add_i32 s14, s14, 16
	v_cmp_eq_u32_e32 vcc, 0, v14
	v_lshlrev_b64 v[98:99], 2, v[10:11]
	v_add_u32_e32 v10, 0x200, v8
	s_or_b64 s[12:13], vcc, s[12:13]
	v_add_co_u32_e32 v98, vcc, v3, v98
	v_add_u32_e32 v16, 0x200, v9
	ds_read2st64_b32 v[20:21], v15 offset0:8 offset1:12
	v_mov_b32_e32 v17, v11
	ds_read2st64_b32 v[72:73], v15 offset0:16 offset1:20
	v_add_co_u32_e64 v94, s[0:1], v3, v94
	v_addc_co_u32_e32 v99, vcc, v7, v99, vcc
	v_lshlrev_b64 v[100:101], 2, v[10:11]
	v_lshlrev_b64 v[96:97], 2, v[16:17]
	v_addc_co_u32_e64 v95, s[0:1], v7, v95, s[0:1]
	v_add_u32_e32 v10, 0x400, v8
	v_add_co_u32_e32 v100, vcc, v3, v100
	v_add_u32_e32 v70, 0x400, v9
	v_mov_b32_e32 v71, v11
	ds_read2st64_b32 v[76:77], v15 offset0:24 offset1:28
	v_add_co_u32_e64 v96, s[0:1], v3, v96
	v_addc_co_u32_e32 v101, vcc, v7, v101, vcc
	v_lshlrev_b64 v[102:103], 2, v[10:11]
	ds_read2st64_b32 v[80:81], v15 offset0:32 offset1:36
	ds_read2st64_b32 v[84:85], v15 offset0:40 offset1:44
	ds_read2st64_b32 v[88:89], v15 offset0:48 offset1:52
	ds_read2st64_b32 v[92:93], v15 offset0:56 offset1:60
	v_lshlrev_b64 v[70:71], 2, v[70:71]
	v_addc_co_u32_e64 v97, s[0:1], v7, v97, s[0:1]
	v_add_u32_e32 v10, 0x600, v8
	s_waitcnt lgkmcnt(7)
	global_store_dword v[94:95], v18, off
	global_store_dword v[98:99], v19, off
	s_waitcnt lgkmcnt(6)
	global_store_dword v[100:101], v20, off
	global_store_dword v[96:97], v21, off
	v_add_co_u32_e32 v18, vcc, v3, v102
	v_add_u32_e32 v74, 0x600, v9
	v_mov_b32_e32 v75, v11
	v_add_co_u32_e64 v70, s[0:1], v3, v70
	v_addc_co_u32_e32 v19, vcc, v7, v103, vcc
	v_lshlrev_b64 v[20:21], 2, v[10:11]
	v_lshlrev_b64 v[74:75], 2, v[74:75]
	v_addc_co_u32_e64 v71, s[0:1], v7, v71, s[0:1]
	v_add_u32_e32 v10, 0x800, v8
	s_waitcnt lgkmcnt(5)
	global_store_dword v[18:19], v72, off
	global_store_dword v[70:71], v73, off
	v_add_co_u32_e32 v18, vcc, v3, v20
	v_add_u32_e32 v78, 0x800, v9
	v_mov_b32_e32 v79, v11
	v_add_co_u32_e64 v74, s[0:1], v3, v74
	v_addc_co_u32_e32 v19, vcc, v7, v21, vcc
	v_lshlrev_b64 v[20:21], 2, v[10:11]
	v_lshlrev_b64 v[78:79], 2, v[78:79]
	v_addc_co_u32_e64 v75, s[0:1], v7, v75, s[0:1]
	v_add_u32_e32 v10, 0xa00, v8
	;; [unrolled: 12-line block ×4, first 2 shown]
	s_waitcnt lgkmcnt(2)
	global_store_dword v[18:19], v84, off
	global_store_dword v[82:83], v85, off
	v_add_co_u32_e32 v18, vcc, v3, v20
	v_add_u32_e32 v90, 0xe00, v9
	v_mov_b32_e32 v91, v11
	v_add_co_u32_e64 v86, s[0:1], v3, v86
	v_addc_co_u32_e32 v19, vcc, v7, v21, vcc
	v_lshlrev_b64 v[20:21], 2, v[10:11]
	v_lshlrev_b64 v[90:91], 2, v[90:91]
	v_addc_co_u32_e64 v87, s[0:1], v7, v87, s[0:1]
	s_waitcnt lgkmcnt(1)
	global_store_dword v[18:19], v88, off
	global_store_dword v[86:87], v89, off
	v_add_co_u32_e32 v18, vcc, v3, v20
	v_add_u32_e32 v15, 0x4000, v15
	v_add_u32_e32 v9, 0x1000, v9
	v_mov_b32_e32 v16, s14
	v_add_co_u32_e64 v90, s[0:1], v3, v90
	v_add_u32_e32 v8, 0x1000, v8
	v_addc_co_u32_e32 v19, vcc, v7, v21, vcc
	v_addc_co_u32_e64 v91, s[0:1], v7, v91, s[0:1]
	s_waitcnt lgkmcnt(0)
	global_store_dword v[18:19], v92, off
	global_store_dword v[90:91], v93, off
	s_andn2_b64 exec, exec, s[12:13]
	s_cbranch_execnz .LBB444_116
; %bb.117:
	s_or_b64 exec, exec, s[12:13]
.LBB444_118:
	s_or_b64 exec, exec, s[10:11]
	v_and_b32_e32 v1, 7, v13
	v_cmp_ne_u32_e32 vcc, 0, v1
	s_and_saveexec_b64 s[10:11], vcc
	s_cbranch_execz .LBB444_121
; %bb.119:
	v_lshlrev_b32_e32 v10, 2, v0
	v_lshl_or_b32 v13, v16, 10, v10
	s_mov_b64 s[12:13], 0
	v_mov_b32_e32 v11, 0
.LBB444_120:                            ; =>This Inner Loop Header: Depth=1
	ds_read2st64_b32 v[14:15], v13 offset1:4
	v_mov_b32_e32 v10, v8
	v_add_u32_e32 v1, -1, v1
	v_lshlrev_b64 v[16:17], 2, v[10:11]
	v_mov_b32_e32 v10, v9
	v_cmp_eq_u32_e32 vcc, 0, v1
	v_add_co_u32_e64 v16, s[0:1], v3, v16
	v_lshlrev_b64 v[18:19], 2, v[10:11]
	v_add_u32_e32 v8, 0x200, v8
	v_add_u32_e32 v13, 0x800, v13
	;; [unrolled: 1-line block ×3, first 2 shown]
	v_addc_co_u32_e64 v17, s[0:1], v7, v17, s[0:1]
	s_or_b64 s[12:13], vcc, s[12:13]
	v_add_co_u32_e32 v18, vcc, v3, v18
	v_addc_co_u32_e32 v19, vcc, v7, v19, vcc
	s_waitcnt lgkmcnt(0)
	global_store_dword v[16:17], v14, off
	global_store_dword v[18:19], v15, off
	s_andn2_b64 exec, exec, s[12:13]
	s_cbranch_execnz .LBB444_120
.LBB444_121:
	s_or_b64 exec, exec, s[10:11]
	v_add_u32_e32 v1, 1, v12
	v_and_b32_e32 v9, 0x1fffffe, v1
	v_cmp_ne_u32_e32 vcc, v1, v9
	v_lshl_or_b32 v8, v9, 8, v0
	s_orn2_b64 s[0:1], vcc, exec
.LBB444_122:
	s_or_b64 exec, exec, s[8:9]
	s_andn2_b64 s[4:5], s[4:5], exec
	s_and_b64 s[0:1], s[0:1], exec
	s_or_b64 s[4:5], s[4:5], s[0:1]
.LBB444_123:
	s_or_b64 exec, exec, s[6:7]
	s_and_b64 exec, exec, s[4:5]
	s_cbranch_execz .LBB444_126
; %bb.124:
	v_lshlrev_b32_e32 v1, 2, v8
	s_mov_b64 s[0:1], 0
	v_mov_b32_e32 v9, 0
.LBB444_125:                            ; =>This Inner Loop Header: Depth=1
	ds_read_b32 v12, v1
	v_lshlrev_b64 v[10:11], 2, v[8:9]
	v_add_co_u32_e32 v10, vcc, v3, v10
	v_add_u32_e32 v8, 0x100, v8
	v_addc_co_u32_e32 v11, vcc, v7, v11, vcc
	v_cmp_ge_u32_e32 vcc, v8, v2
	v_add_u32_e32 v1, 0x400, v1
	s_or_b64 s[0:1], vcc, s[0:1]
	s_waitcnt lgkmcnt(0)
	global_store_dword v[10:11], v12, off
	s_andn2_b64 exec, exec, s[0:1]
	s_cbranch_execnz .LBB444_125
.LBB444_126:
	s_or_b64 exec, exec, s[2:3]
.LBB444_127:
	s_cmpk_lg_i32 s33, 0xf00
	s_cselect_b64 s[0:1], -1, 0
	v_cndmask_b32_e64 v11, 0, 1, s[50:51]
	s_and_b64 s[0:1], s[48:49], s[0:1]
	v_cmp_eq_u32_e32 vcc, 0, v0
	v_sub_u32_e32 v1, v2, v11
	v_cndmask_b32_e64 v3, 0, 1, s[0:1]
	s_and_b64 s[0:1], vcc, s[50:51]
	v_add_u32_e32 v1, v1, v3
	v_cndmask_b32_e64 v3, v68, 0, s[0:1]
	s_mul_hi_u32 s0, s33, 0x88888889
	s_lshr_b32 s0, s0, 3
	v_mad_i32_i24 v7, v0, -15, s33
	v_cmp_eq_u32_e32 vcc, s0, v0
	v_cmp_ne_u32_e64 s[0:1], 0, v7
	v_cndmask_b32_e64 v8, 1, v3, s[0:1]
	v_cmp_ne_u32_e64 s[0:1], 1, v7
	v_cndmask_b32_e64 v9, 1, v67, s[0:1]
	;; [unrolled: 2-line block ×14, first 2 shown]
	v_cmp_ne_u32_e64 s[0:1], 14, v7
	s_and_b64 vcc, s[48:49], vcc
	v_cndmask_b32_e64 v7, 1, v54, s[0:1]
	v_cndmask_b32_e32 v20, v57, v20, vcc
	v_cndmask_b32_e32 v19, v58, v19, vcc
	;; [unrolled: 1-line block ×4, first 2 shown]
	v_lshlrev_b64 v[8:9], 3, v[52:53]
	v_cndmask_b32_e32 v54, v54, v7, vcc
	v_cndmask_b32_e32 v55, v55, v68, vcc
	;; [unrolled: 1-line block ×11, first 2 shown]
	v_mov_b32_e32 v3, s43
	v_add_co_u32_e32 v7, vcc, s42, v8
	v_addc_co_u32_e32 v3, vcc, v3, v9, vcc
	v_lshlrev_b64 v[8:9], 3, v[4:5]
	v_add_co_u32_e32 v5, vcc, v7, v8
	v_addc_co_u32_e32 v10, vcc, v3, v9, vcc
	v_lshlrev_b32_e32 v3, 3, v11
	v_add_co_u32_e32 v3, vcc, v3, v5
	v_addc_co_u32_e32 v7, vcc, 0, v10, vcc
	v_add_co_u32_e32 v3, vcc, -8, v3
	v_addc_co_u32_e32 v7, vcc, -1, v7, vcc
	v_cmp_eq_u32_e32 vcc, 0, v58
	v_cndmask_b32_e64 v9, 1, 2, vcc
	v_cmp_eq_u32_e32 vcc, 0, v57
	v_add_u32_e32 v8, v4, v11
	v_cndmask_b32_e64 v11, 1, 2, vcc
	v_cmp_eq_u32_e32 vcc, 0, v56
	v_and_b32_e32 v9, v11, v9
	v_cndmask_b32_e64 v11, 1, 2, vcc
	v_cmp_eq_u32_e32 vcc, 0, v12
	v_and_b32_e32 v9, v9, v11
	;; [unrolled: 3-line block ×13, first 2 shown]
	v_cndmask_b32_e64 v11, 1, 2, vcc
	s_movk_i32 s30, 0x100
	v_and_b32_e32 v9, v9, v11
	v_cmp_gt_u32_e32 vcc, s30, v1
	v_cmp_ne_u32_e64 s[28:29], 0, v58
	v_cmp_ne_u32_e64 s[26:27], 0, v57
	;; [unrolled: 1-line block ×15, first 2 shown]
	s_mov_b64 s[36:37], -1
	v_cmp_gt_i16_e64 s[30:31], 2, v9
	s_barrier
	s_cbranch_vccz .LBB444_134
; %bb.128:
	s_and_saveexec_b64 s[36:37], s[30:31]
	s_cbranch_execz .LBB444_133
; %bb.129:
	v_cmp_ne_u16_e32 vcc, 1, v9
	s_mov_b64 s[38:39], 0
	s_and_saveexec_b64 s[30:31], vcc
	s_xor_b64 s[30:31], exec, s[30:31]
	s_cbranch_execnz .LBB444_183
; %bb.130:
	s_andn2_saveexec_b64 s[30:31], s[30:31]
	s_cbranch_execnz .LBB444_199
.LBB444_131:
	s_or_b64 exec, exec, s[30:31]
	s_and_b64 exec, exec, s[38:39]
	s_cbranch_execz .LBB444_133
.LBB444_132:
	v_mov_b32_e32 v13, 0
	v_sub_u32_e32 v14, v24, v8
	v_mov_b32_e32 v15, v13
	v_lshlrev_b64 v[14:15], 3, v[14:15]
	v_add_co_u32_e32 v14, vcc, v3, v14
	v_mov_b32_e32 v12, v25
	v_addc_co_u32_e32 v15, vcc, v7, v15, vcc
	global_store_dwordx2 v[14:15], v[12:13], off
.LBB444_133:
	s_or_b64 exec, exec, s[36:37]
	s_mov_b64 s[36:37], 0
.LBB444_134:
	s_and_b64 vcc, exec, s[36:37]
	s_cbranch_vccz .LBB444_144
; %bb.135:
	v_cmp_gt_i16_e32 vcc, 2, v9
	s_and_saveexec_b64 s[30:31], vcc
	s_cbranch_execz .LBB444_140
; %bb.136:
	v_cmp_ne_u16_e32 vcc, 1, v9
	s_mov_b64 s[38:39], 0
	s_and_saveexec_b64 s[36:37], vcc
	s_xor_b64 s[36:37], exec, s[36:37]
	s_cbranch_execnz .LBB444_200
; %bb.137:
	s_andn2_saveexec_b64 s[0:1], s[36:37]
	s_cbranch_execnz .LBB444_216
.LBB444_138:
	s_or_b64 exec, exec, s[0:1]
	s_and_b64 exec, exec, s[38:39]
	s_cbranch_execz .LBB444_140
.LBB444_139:
	v_sub_u32_e32 v8, v24, v8
	v_lshlrev_b32_e32 v8, 2, v8
	ds_write_b32 v8, v25
.LBB444_140:
	s_or_b64 exec, exec, s[30:31]
	v_cmp_lt_u32_e32 vcc, v0, v1
	s_waitcnt lgkmcnt(0)
	s_barrier
	s_and_saveexec_b64 s[0:1], vcc
	s_cbranch_execz .LBB444_143
; %bb.141:
	v_lshlrev_b32_e32 v11, 2, v0
	s_mov_b64 s[2:3], 0
	v_mov_b32_e32 v9, 0
	v_mov_b32_e32 v8, v0
.LBB444_142:                            ; =>This Inner Loop Header: Depth=1
	ds_read_b32 v12, v11
	v_lshlrev_b64 v[14:15], 3, v[8:9]
	v_add_co_u32_e32 v14, vcc, v3, v14
	v_add_u32_e32 v8, 0x100, v8
	v_addc_co_u32_e32 v15, vcc, v7, v15, vcc
	v_cmp_ge_u32_e32 vcc, v8, v1
	v_mov_b32_e32 v13, v9
	v_add_u32_e32 v11, 0x400, v11
	s_or_b64 s[2:3], vcc, s[2:3]
	s_waitcnt lgkmcnt(0)
	global_store_dwordx2 v[14:15], v[12:13], off
	s_andn2_b64 exec, exec, s[2:3]
	s_cbranch_execnz .LBB444_142
.LBB444_143:
	s_or_b64 exec, exec, s[0:1]
.LBB444_144:
	s_movk_i32 s0, 0xff
	v_cmp_eq_u32_e32 vcc, s0, v0
	s_and_b64 s[0:1], vcc, s[48:49]
	s_and_saveexec_b64 s[2:3], s[0:1]
	s_cbranch_execz .LBB444_147
; %bb.145:
	v_add_co_u32_e32 v0, vcc, v2, v4
	v_addc_co_u32_e64 v1, s[0:1], 0, 0, vcc
	v_add_co_u32_e32 v0, vcc, v0, v52
	v_mov_b32_e32 v3, 0
	v_addc_co_u32_e32 v1, vcc, v1, v53, vcc
	s_cmpk_lg_i32 s33, 0xf00
	global_store_dwordx2 v3, v[0:1], s[34:35]
	s_cbranch_scc1 .LBB444_147
; %bb.146:
	v_lshlrev_b64 v[0:1], 3, v[2:3]
	v_add_co_u32_e32 v0, vcc, v5, v0
	v_mov_b32_e32 v7, v3
	v_addc_co_u32_e32 v1, vcc, v10, v1, vcc
	global_store_dwordx2 v[0:1], v[6:7], off offset:-8
.LBB444_147:
	s_endpgm
.LBB444_148:
	s_or_b64 exec, exec, s[8:9]
	v_mov_b32_e32 v68, s7
	s_and_saveexec_b64 s[0:1], s[42:43]
	s_cbranch_execnz .LBB444_56
	s_branch .LBB444_57
.LBB444_149:
	s_and_saveexec_b64 s[38:39], s[28:29]
	s_cbranch_execnz .LBB444_217
; %bb.150:
	s_or_b64 exec, exec, s[38:39]
	s_and_saveexec_b64 s[38:39], s[26:27]
	s_cbranch_execnz .LBB444_218
.LBB444_151:
	s_or_b64 exec, exec, s[38:39]
	s_and_saveexec_b64 s[38:39], s[24:25]
	s_cbranch_execnz .LBB444_219
.LBB444_152:
	s_or_b64 exec, exec, s[38:39]
	s_and_saveexec_b64 s[38:39], s[22:23]
	s_cbranch_execnz .LBB444_220
.LBB444_153:
	s_or_b64 exec, exec, s[38:39]
	s_and_saveexec_b64 s[38:39], s[20:21]
	s_cbranch_execnz .LBB444_221
.LBB444_154:
	s_or_b64 exec, exec, s[38:39]
	s_and_saveexec_b64 s[38:39], s[18:19]
	s_cbranch_execnz .LBB444_222
.LBB444_155:
	s_or_b64 exec, exec, s[38:39]
	s_and_saveexec_b64 s[38:39], s[16:17]
	s_cbranch_execnz .LBB444_223
.LBB444_156:
	s_or_b64 exec, exec, s[38:39]
	s_and_saveexec_b64 s[38:39], s[14:15]
	s_cbranch_execnz .LBB444_224
.LBB444_157:
	s_or_b64 exec, exec, s[38:39]
	s_and_saveexec_b64 s[38:39], s[12:13]
	s_cbranch_execnz .LBB444_225
.LBB444_158:
	s_or_b64 exec, exec, s[38:39]
	s_and_saveexec_b64 s[38:39], s[10:11]
	s_cbranch_execnz .LBB444_226
.LBB444_159:
	s_or_b64 exec, exec, s[38:39]
	s_and_saveexec_b64 s[38:39], s[8:9]
	s_cbranch_execnz .LBB444_227
.LBB444_160:
	s_or_b64 exec, exec, s[38:39]
	s_and_saveexec_b64 s[38:39], s[6:7]
	s_cbranch_execnz .LBB444_228
.LBB444_161:
	s_or_b64 exec, exec, s[38:39]
	s_and_saveexec_b64 s[38:39], s[4:5]
	s_cbranch_execnz .LBB444_229
.LBB444_162:
	s_or_b64 exec, exec, s[38:39]
	s_and_saveexec_b64 s[38:39], s[2:3]
	s_cbranch_execz .LBB444_164
.LBB444_163:
	v_sub_u32_e32 v70, v22, v4
	v_mov_b32_e32 v71, 0
	v_lshlrev_b64 v[70:71], 2, v[70:71]
	v_add_co_u32_e32 v70, vcc, v3, v70
	v_addc_co_u32_e32 v71, vcc, v7, v71, vcc
	global_store_dword v[70:71], v9, off
.LBB444_164:
	s_or_b64 exec, exec, s[38:39]
	s_and_b64 s[38:39], s[0:1], exec
	s_andn2_saveexec_b64 s[30:31], s[30:31]
	s_cbranch_execz .LBB444_102
.LBB444_165:
	v_sub_u32_e32 v70, v50, v4
	v_mov_b32_e32 v71, 0
	v_lshlrev_b64 v[72:73], 2, v[70:71]
	v_add_co_u32_e32 v72, vcc, v3, v72
	v_addc_co_u32_e32 v73, vcc, v7, v73, vcc
	v_sub_u32_e32 v70, v48, v4
	global_store_dword v[72:73], v20, off
	v_lshlrev_b64 v[72:73], 2, v[70:71]
	v_add_co_u32_e32 v72, vcc, v3, v72
	v_addc_co_u32_e32 v73, vcc, v7, v73, vcc
	v_sub_u32_e32 v70, v46, v4
	global_store_dword v[72:73], v21, off
	;; [unrolled: 5-line block ×12, first 2 shown]
	v_lshlrev_b64 v[72:73], 2, v[70:71]
	v_add_co_u32_e32 v72, vcc, v3, v72
	v_sub_u32_e32 v70, v22, v4
	v_addc_co_u32_e32 v73, vcc, v7, v73, vcc
	v_lshlrev_b64 v[70:71], 2, v[70:71]
	v_add_co_u32_e32 v70, vcc, v3, v70
	v_addc_co_u32_e32 v71, vcc, v7, v71, vcc
	s_or_b64 s[38:39], s[38:39], exec
	global_store_dword v[72:73], v8, off
	global_store_dword v[70:71], v9, off
	s_or_b64 exec, exec, s[30:31]
	s_and_b64 exec, exec, s[38:39]
	s_cbranch_execnz .LBB444_103
	s_branch .LBB444_104
.LBB444_166:
	s_and_saveexec_b64 s[38:39], s[28:29]
	s_cbranch_execnz .LBB444_230
; %bb.167:
	s_or_b64 exec, exec, s[38:39]
	s_and_saveexec_b64 s[28:29], s[26:27]
	s_cbranch_execnz .LBB444_231
.LBB444_168:
	s_or_b64 exec, exec, s[28:29]
	s_and_saveexec_b64 s[26:27], s[24:25]
	s_cbranch_execnz .LBB444_232
.LBB444_169:
	s_or_b64 exec, exec, s[26:27]
	s_and_saveexec_b64 s[24:25], s[22:23]
	s_cbranch_execnz .LBB444_233
.LBB444_170:
	s_or_b64 exec, exec, s[24:25]
	s_and_saveexec_b64 s[22:23], s[20:21]
	s_cbranch_execnz .LBB444_234
.LBB444_171:
	s_or_b64 exec, exec, s[22:23]
	s_and_saveexec_b64 s[20:21], s[18:19]
	s_cbranch_execnz .LBB444_235
.LBB444_172:
	s_or_b64 exec, exec, s[20:21]
	s_and_saveexec_b64 s[18:19], s[16:17]
	s_cbranch_execnz .LBB444_236
.LBB444_173:
	s_or_b64 exec, exec, s[18:19]
	s_and_saveexec_b64 s[16:17], s[14:15]
	s_cbranch_execnz .LBB444_237
.LBB444_174:
	s_or_b64 exec, exec, s[16:17]
	s_and_saveexec_b64 s[14:15], s[12:13]
	s_cbranch_execnz .LBB444_238
.LBB444_175:
	s_or_b64 exec, exec, s[14:15]
	s_and_saveexec_b64 s[12:13], s[10:11]
	s_cbranch_execnz .LBB444_239
.LBB444_176:
	s_or_b64 exec, exec, s[12:13]
	s_and_saveexec_b64 s[10:11], s[8:9]
	s_cbranch_execnz .LBB444_240
.LBB444_177:
	s_or_b64 exec, exec, s[10:11]
	s_and_saveexec_b64 s[8:9], s[6:7]
	s_cbranch_execnz .LBB444_241
.LBB444_178:
	s_or_b64 exec, exec, s[8:9]
	s_and_saveexec_b64 s[6:7], s[4:5]
	s_cbranch_execnz .LBB444_242
.LBB444_179:
	s_or_b64 exec, exec, s[6:7]
	s_and_saveexec_b64 s[4:5], s[2:3]
	s_cbranch_execz .LBB444_181
.LBB444_180:
	v_sub_u32_e32 v8, v22, v4
	v_lshlrev_b32_e32 v8, 2, v8
	ds_write_b32 v8, v9
.LBB444_181:
	s_or_b64 exec, exec, s[4:5]
	s_and_b64 s[38:39], s[0:1], exec
                                        ; implicit-def: $vgpr9
                                        ; implicit-def: $vgpr11
                                        ; implicit-def: $vgpr13
                                        ; implicit-def: $vgpr15
                                        ; implicit-def: $vgpr17
                                        ; implicit-def: $vgpr19
                                        ; implicit-def: $vgpr21
	s_andn2_saveexec_b64 s[0:1], s[36:37]
	s_cbranch_execz .LBB444_109
.LBB444_182:
	v_sub_u32_e32 v69, v50, v4
	v_lshlrev_b32_e32 v69, 2, v69
	ds_write_b32 v69, v20
	v_sub_u32_e32 v20, v48, v4
	v_lshlrev_b32_e32 v20, 2, v20
	ds_write_b32 v20, v21
	;; [unrolled: 3-line block ×13, first 2 shown]
	v_sub_u32_e32 v8, v22, v4
	v_lshlrev_b32_e32 v8, 2, v8
	s_or_b64 s[38:39], s[38:39], exec
	ds_write_b32 v8, v9
	s_or_b64 exec, exec, s[0:1]
	s_and_b64 exec, exec, s[38:39]
	s_cbranch_execnz .LBB444_110
	s_branch .LBB444_111
.LBB444_183:
	s_and_saveexec_b64 s[38:39], s[28:29]
	s_cbranch_execnz .LBB444_243
; %bb.184:
	s_or_b64 exec, exec, s[38:39]
	s_and_saveexec_b64 s[38:39], s[26:27]
	s_cbranch_execnz .LBB444_244
.LBB444_185:
	s_or_b64 exec, exec, s[38:39]
	s_and_saveexec_b64 s[38:39], s[24:25]
	s_cbranch_execnz .LBB444_245
.LBB444_186:
	s_or_b64 exec, exec, s[38:39]
	s_and_saveexec_b64 s[38:39], s[22:23]
	s_cbranch_execnz .LBB444_246
.LBB444_187:
	s_or_b64 exec, exec, s[38:39]
	s_and_saveexec_b64 s[38:39], s[20:21]
	s_cbranch_execnz .LBB444_247
.LBB444_188:
	s_or_b64 exec, exec, s[38:39]
	s_and_saveexec_b64 s[38:39], s[18:19]
	s_cbranch_execnz .LBB444_248
.LBB444_189:
	s_or_b64 exec, exec, s[38:39]
	s_and_saveexec_b64 s[38:39], s[16:17]
	s_cbranch_execnz .LBB444_249
.LBB444_190:
	s_or_b64 exec, exec, s[38:39]
	s_and_saveexec_b64 s[38:39], s[14:15]
	s_cbranch_execnz .LBB444_250
.LBB444_191:
	s_or_b64 exec, exec, s[38:39]
	s_and_saveexec_b64 s[38:39], s[12:13]
	s_cbranch_execnz .LBB444_251
.LBB444_192:
	s_or_b64 exec, exec, s[38:39]
	s_and_saveexec_b64 s[38:39], s[10:11]
	s_cbranch_execnz .LBB444_252
.LBB444_193:
	s_or_b64 exec, exec, s[38:39]
	s_and_saveexec_b64 s[38:39], s[8:9]
	s_cbranch_execnz .LBB444_253
.LBB444_194:
	s_or_b64 exec, exec, s[38:39]
	s_and_saveexec_b64 s[38:39], s[6:7]
	s_cbranch_execnz .LBB444_254
.LBB444_195:
	s_or_b64 exec, exec, s[38:39]
	s_and_saveexec_b64 s[38:39], s[4:5]
	s_cbranch_execnz .LBB444_255
.LBB444_196:
	s_or_b64 exec, exec, s[38:39]
	s_and_saveexec_b64 s[38:39], s[2:3]
	s_cbranch_execz .LBB444_198
.LBB444_197:
	v_sub_u32_e32 v12, v22, v8
	v_mov_b32_e32 v13, 0
	v_lshlrev_b64 v[14:15], 3, v[12:13]
	v_add_co_u32_e32 v14, vcc, v3, v14
	v_addc_co_u32_e32 v15, vcc, v7, v15, vcc
	v_mov_b32_e32 v12, v23
	global_store_dwordx2 v[14:15], v[12:13], off
.LBB444_198:
	s_or_b64 exec, exec, s[38:39]
	s_and_b64 s[38:39], s[0:1], exec
	s_andn2_saveexec_b64 s[30:31], s[30:31]
	s_cbranch_execz .LBB444_131
.LBB444_199:
	v_mov_b32_e32 v13, 0
	v_sub_u32_e32 v14, v50, v8
	v_mov_b32_e32 v15, v13
	v_lshlrev_b64 v[14:15], 3, v[14:15]
	v_add_co_u32_e32 v14, vcc, v3, v14
	v_mov_b32_e32 v12, v51
	v_addc_co_u32_e32 v15, vcc, v7, v15, vcc
	global_store_dwordx2 v[14:15], v[12:13], off
	v_sub_u32_e32 v14, v48, v8
	v_mov_b32_e32 v15, v13
	v_lshlrev_b64 v[14:15], 3, v[14:15]
	v_add_co_u32_e32 v14, vcc, v3, v14
	v_mov_b32_e32 v12, v49
	v_addc_co_u32_e32 v15, vcc, v7, v15, vcc
	global_store_dwordx2 v[14:15], v[12:13], off
	;; [unrolled: 7-line block ×13, first 2 shown]
	v_sub_u32_e32 v14, v22, v8
	v_mov_b32_e32 v15, v13
	v_lshlrev_b64 v[14:15], 3, v[14:15]
	v_add_co_u32_e32 v14, vcc, v3, v14
	v_mov_b32_e32 v12, v23
	v_addc_co_u32_e32 v15, vcc, v7, v15, vcc
	s_or_b64 s[38:39], s[38:39], exec
	global_store_dwordx2 v[14:15], v[12:13], off
	s_or_b64 exec, exec, s[30:31]
	s_and_b64 exec, exec, s[38:39]
	s_cbranch_execnz .LBB444_132
	s_branch .LBB444_133
.LBB444_200:
	s_and_saveexec_b64 s[38:39], s[28:29]
	s_cbranch_execnz .LBB444_256
; %bb.201:
	s_or_b64 exec, exec, s[38:39]
	s_and_saveexec_b64 s[28:29], s[26:27]
	s_cbranch_execnz .LBB444_257
.LBB444_202:
	s_or_b64 exec, exec, s[28:29]
	s_and_saveexec_b64 s[26:27], s[24:25]
	s_cbranch_execnz .LBB444_258
.LBB444_203:
	s_or_b64 exec, exec, s[26:27]
	s_and_saveexec_b64 s[24:25], s[22:23]
	s_cbranch_execnz .LBB444_259
.LBB444_204:
	s_or_b64 exec, exec, s[24:25]
	s_and_saveexec_b64 s[22:23], s[20:21]
	s_cbranch_execnz .LBB444_260
.LBB444_205:
	s_or_b64 exec, exec, s[22:23]
	s_and_saveexec_b64 s[20:21], s[18:19]
	s_cbranch_execnz .LBB444_261
.LBB444_206:
	s_or_b64 exec, exec, s[20:21]
	s_and_saveexec_b64 s[18:19], s[16:17]
	s_cbranch_execnz .LBB444_262
.LBB444_207:
	s_or_b64 exec, exec, s[18:19]
	s_and_saveexec_b64 s[16:17], s[14:15]
	s_cbranch_execnz .LBB444_263
.LBB444_208:
	s_or_b64 exec, exec, s[16:17]
	s_and_saveexec_b64 s[14:15], s[12:13]
	s_cbranch_execnz .LBB444_264
.LBB444_209:
	s_or_b64 exec, exec, s[14:15]
	s_and_saveexec_b64 s[12:13], s[10:11]
	s_cbranch_execnz .LBB444_265
.LBB444_210:
	s_or_b64 exec, exec, s[12:13]
	s_and_saveexec_b64 s[10:11], s[8:9]
	s_cbranch_execnz .LBB444_266
.LBB444_211:
	s_or_b64 exec, exec, s[10:11]
	s_and_saveexec_b64 s[8:9], s[6:7]
	s_cbranch_execnz .LBB444_267
.LBB444_212:
	s_or_b64 exec, exec, s[8:9]
	s_and_saveexec_b64 s[6:7], s[4:5]
	s_cbranch_execnz .LBB444_268
.LBB444_213:
	s_or_b64 exec, exec, s[6:7]
	s_and_saveexec_b64 s[4:5], s[2:3]
	s_cbranch_execz .LBB444_215
.LBB444_214:
	v_sub_u32_e32 v9, v22, v8
	v_lshlrev_b32_e32 v9, 2, v9
	ds_write_b32 v9, v23
.LBB444_215:
	s_or_b64 exec, exec, s[4:5]
	s_and_b64 s[38:39], s[0:1], exec
                                        ; implicit-def: $vgpr22_vgpr23
                                        ; implicit-def: $vgpr26_vgpr27
                                        ; implicit-def: $vgpr28_vgpr29
                                        ; implicit-def: $vgpr50_vgpr51
                                        ; implicit-def: $vgpr48_vgpr49
                                        ; implicit-def: $vgpr46_vgpr47
                                        ; implicit-def: $vgpr44_vgpr45
                                        ; implicit-def: $vgpr42_vgpr43
                                        ; implicit-def: $vgpr40_vgpr41
                                        ; implicit-def: $vgpr38_vgpr39
                                        ; implicit-def: $vgpr36_vgpr37
                                        ; implicit-def: $vgpr34_vgpr35
                                        ; implicit-def: $vgpr32_vgpr33
                                        ; implicit-def: $vgpr30_vgpr31
	s_andn2_saveexec_b64 s[0:1], s[36:37]
	s_cbranch_execz .LBB444_138
.LBB444_216:
	v_sub_u32_e32 v9, v50, v8
	v_lshlrev_b32_e32 v9, 2, v9
	ds_write_b32 v9, v51
	v_sub_u32_e32 v9, v48, v8
	v_lshlrev_b32_e32 v9, 2, v9
	ds_write_b32 v9, v49
	;; [unrolled: 3-line block ×13, first 2 shown]
	v_sub_u32_e32 v9, v22, v8
	v_lshlrev_b32_e32 v9, 2, v9
	s_or_b64 s[38:39], s[38:39], exec
	ds_write_b32 v9, v23
	s_or_b64 exec, exec, s[0:1]
	s_and_b64 exec, exec, s[38:39]
	s_cbranch_execnz .LBB444_139
	s_branch .LBB444_140
.LBB444_217:
	v_sub_u32_e32 v70, v50, v4
	v_mov_b32_e32 v71, 0
	v_lshlrev_b64 v[70:71], 2, v[70:71]
	v_add_co_u32_e32 v70, vcc, v3, v70
	v_addc_co_u32_e32 v71, vcc, v7, v71, vcc
	global_store_dword v[70:71], v20, off
	s_or_b64 exec, exec, s[38:39]
	s_and_saveexec_b64 s[38:39], s[26:27]
	s_cbranch_execz .LBB444_151
.LBB444_218:
	v_sub_u32_e32 v70, v48, v4
	v_mov_b32_e32 v71, 0
	v_lshlrev_b64 v[70:71], 2, v[70:71]
	v_add_co_u32_e32 v70, vcc, v3, v70
	v_addc_co_u32_e32 v71, vcc, v7, v71, vcc
	global_store_dword v[70:71], v21, off
	s_or_b64 exec, exec, s[38:39]
	s_and_saveexec_b64 s[38:39], s[24:25]
	s_cbranch_execz .LBB444_152
.LBB444_219:
	v_sub_u32_e32 v70, v46, v4
	v_mov_b32_e32 v71, 0
	v_lshlrev_b64 v[70:71], 2, v[70:71]
	v_add_co_u32_e32 v70, vcc, v3, v70
	v_addc_co_u32_e32 v71, vcc, v7, v71, vcc
	global_store_dword v[70:71], v18, off
	s_or_b64 exec, exec, s[38:39]
	s_and_saveexec_b64 s[38:39], s[22:23]
	s_cbranch_execz .LBB444_153
.LBB444_220:
	v_sub_u32_e32 v70, v44, v4
	v_mov_b32_e32 v71, 0
	v_lshlrev_b64 v[70:71], 2, v[70:71]
	v_add_co_u32_e32 v70, vcc, v3, v70
	v_addc_co_u32_e32 v71, vcc, v7, v71, vcc
	global_store_dword v[70:71], v19, off
	s_or_b64 exec, exec, s[38:39]
	s_and_saveexec_b64 s[38:39], s[20:21]
	s_cbranch_execz .LBB444_154
.LBB444_221:
	v_sub_u32_e32 v70, v42, v4
	v_mov_b32_e32 v71, 0
	v_lshlrev_b64 v[70:71], 2, v[70:71]
	v_add_co_u32_e32 v70, vcc, v3, v70
	v_addc_co_u32_e32 v71, vcc, v7, v71, vcc
	global_store_dword v[70:71], v16, off
	s_or_b64 exec, exec, s[38:39]
	s_and_saveexec_b64 s[38:39], s[18:19]
	s_cbranch_execz .LBB444_155
.LBB444_222:
	v_sub_u32_e32 v70, v40, v4
	v_mov_b32_e32 v71, 0
	v_lshlrev_b64 v[70:71], 2, v[70:71]
	v_add_co_u32_e32 v70, vcc, v3, v70
	v_addc_co_u32_e32 v71, vcc, v7, v71, vcc
	global_store_dword v[70:71], v17, off
	s_or_b64 exec, exec, s[38:39]
	s_and_saveexec_b64 s[38:39], s[16:17]
	s_cbranch_execz .LBB444_156
.LBB444_223:
	v_sub_u32_e32 v70, v38, v4
	v_mov_b32_e32 v71, 0
	v_lshlrev_b64 v[70:71], 2, v[70:71]
	v_add_co_u32_e32 v70, vcc, v3, v70
	v_addc_co_u32_e32 v71, vcc, v7, v71, vcc
	global_store_dword v[70:71], v14, off
	s_or_b64 exec, exec, s[38:39]
	s_and_saveexec_b64 s[38:39], s[14:15]
	s_cbranch_execz .LBB444_157
.LBB444_224:
	v_sub_u32_e32 v70, v36, v4
	v_mov_b32_e32 v71, 0
	v_lshlrev_b64 v[70:71], 2, v[70:71]
	v_add_co_u32_e32 v70, vcc, v3, v70
	v_addc_co_u32_e32 v71, vcc, v7, v71, vcc
	global_store_dword v[70:71], v15, off
	s_or_b64 exec, exec, s[38:39]
	s_and_saveexec_b64 s[38:39], s[12:13]
	s_cbranch_execz .LBB444_158
.LBB444_225:
	v_sub_u32_e32 v70, v34, v4
	v_mov_b32_e32 v71, 0
	v_lshlrev_b64 v[70:71], 2, v[70:71]
	v_add_co_u32_e32 v70, vcc, v3, v70
	v_addc_co_u32_e32 v71, vcc, v7, v71, vcc
	global_store_dword v[70:71], v12, off
	s_or_b64 exec, exec, s[38:39]
	s_and_saveexec_b64 s[38:39], s[10:11]
	s_cbranch_execz .LBB444_159
.LBB444_226:
	v_sub_u32_e32 v70, v32, v4
	v_mov_b32_e32 v71, 0
	v_lshlrev_b64 v[70:71], 2, v[70:71]
	v_add_co_u32_e32 v70, vcc, v3, v70
	v_addc_co_u32_e32 v71, vcc, v7, v71, vcc
	global_store_dword v[70:71], v13, off
	s_or_b64 exec, exec, s[38:39]
	s_and_saveexec_b64 s[38:39], s[8:9]
	s_cbranch_execz .LBB444_160
.LBB444_227:
	v_sub_u32_e32 v70, v30, v4
	v_mov_b32_e32 v71, 0
	v_lshlrev_b64 v[70:71], 2, v[70:71]
	v_add_co_u32_e32 v70, vcc, v3, v70
	v_addc_co_u32_e32 v71, vcc, v7, v71, vcc
	global_store_dword v[70:71], v10, off
	s_or_b64 exec, exec, s[38:39]
	s_and_saveexec_b64 s[38:39], s[6:7]
	s_cbranch_execz .LBB444_161
.LBB444_228:
	v_sub_u32_e32 v70, v28, v4
	v_mov_b32_e32 v71, 0
	v_lshlrev_b64 v[70:71], 2, v[70:71]
	v_add_co_u32_e32 v70, vcc, v3, v70
	v_addc_co_u32_e32 v71, vcc, v7, v71, vcc
	global_store_dword v[70:71], v11, off
	s_or_b64 exec, exec, s[38:39]
	s_and_saveexec_b64 s[38:39], s[4:5]
	s_cbranch_execz .LBB444_162
.LBB444_229:
	v_sub_u32_e32 v70, v26, v4
	v_mov_b32_e32 v71, 0
	v_lshlrev_b64 v[70:71], 2, v[70:71]
	v_add_co_u32_e32 v70, vcc, v3, v70
	v_addc_co_u32_e32 v71, vcc, v7, v71, vcc
	global_store_dword v[70:71], v8, off
	s_or_b64 exec, exec, s[38:39]
	s_and_saveexec_b64 s[38:39], s[2:3]
	s_cbranch_execnz .LBB444_163
	s_branch .LBB444_164
.LBB444_230:
	v_sub_u32_e32 v69, v50, v4
	v_lshlrev_b32_e32 v69, 2, v69
	ds_write_b32 v69, v20
	s_or_b64 exec, exec, s[38:39]
	s_and_saveexec_b64 s[28:29], s[26:27]
	s_cbranch_execz .LBB444_168
.LBB444_231:
	v_sub_u32_e32 v20, v48, v4
	v_lshlrev_b32_e32 v20, 2, v20
	ds_write_b32 v20, v21
	s_or_b64 exec, exec, s[28:29]
	s_and_saveexec_b64 s[26:27], s[24:25]
	s_cbranch_execz .LBB444_169
.LBB444_232:
	v_sub_u32_e32 v20, v46, v4
	v_lshlrev_b32_e32 v20, 2, v20
	ds_write_b32 v20, v18
	s_or_b64 exec, exec, s[26:27]
	s_and_saveexec_b64 s[24:25], s[22:23]
	s_cbranch_execz .LBB444_170
.LBB444_233:
	v_sub_u32_e32 v18, v44, v4
	v_lshlrev_b32_e32 v18, 2, v18
	ds_write_b32 v18, v19
	s_or_b64 exec, exec, s[24:25]
	s_and_saveexec_b64 s[22:23], s[20:21]
	s_cbranch_execz .LBB444_171
.LBB444_234:
	v_sub_u32_e32 v18, v42, v4
	v_lshlrev_b32_e32 v18, 2, v18
	ds_write_b32 v18, v16
	s_or_b64 exec, exec, s[22:23]
	s_and_saveexec_b64 s[20:21], s[18:19]
	s_cbranch_execz .LBB444_172
.LBB444_235:
	v_sub_u32_e32 v16, v40, v4
	v_lshlrev_b32_e32 v16, 2, v16
	ds_write_b32 v16, v17
	s_or_b64 exec, exec, s[20:21]
	s_and_saveexec_b64 s[18:19], s[16:17]
	s_cbranch_execz .LBB444_173
.LBB444_236:
	v_sub_u32_e32 v16, v38, v4
	v_lshlrev_b32_e32 v16, 2, v16
	ds_write_b32 v16, v14
	s_or_b64 exec, exec, s[18:19]
	s_and_saveexec_b64 s[16:17], s[14:15]
	s_cbranch_execz .LBB444_174
.LBB444_237:
	v_sub_u32_e32 v14, v36, v4
	v_lshlrev_b32_e32 v14, 2, v14
	ds_write_b32 v14, v15
	s_or_b64 exec, exec, s[16:17]
	s_and_saveexec_b64 s[14:15], s[12:13]
	s_cbranch_execz .LBB444_175
.LBB444_238:
	v_sub_u32_e32 v14, v34, v4
	v_lshlrev_b32_e32 v14, 2, v14
	ds_write_b32 v14, v12
	s_or_b64 exec, exec, s[14:15]
	s_and_saveexec_b64 s[12:13], s[10:11]
	s_cbranch_execz .LBB444_176
.LBB444_239:
	v_sub_u32_e32 v12, v32, v4
	v_lshlrev_b32_e32 v12, 2, v12
	ds_write_b32 v12, v13
	s_or_b64 exec, exec, s[12:13]
	s_and_saveexec_b64 s[10:11], s[8:9]
	s_cbranch_execz .LBB444_177
.LBB444_240:
	v_sub_u32_e32 v12, v30, v4
	v_lshlrev_b32_e32 v12, 2, v12
	ds_write_b32 v12, v10
	s_or_b64 exec, exec, s[10:11]
	s_and_saveexec_b64 s[8:9], s[6:7]
	s_cbranch_execz .LBB444_178
.LBB444_241:
	v_sub_u32_e32 v10, v28, v4
	v_lshlrev_b32_e32 v10, 2, v10
	ds_write_b32 v10, v11
	s_or_b64 exec, exec, s[8:9]
	s_and_saveexec_b64 s[6:7], s[4:5]
	s_cbranch_execz .LBB444_179
.LBB444_242:
	v_sub_u32_e32 v10, v26, v4
	v_lshlrev_b32_e32 v10, 2, v10
	ds_write_b32 v10, v8
	s_or_b64 exec, exec, s[6:7]
	s_and_saveexec_b64 s[4:5], s[2:3]
	s_cbranch_execnz .LBB444_180
	s_branch .LBB444_181
.LBB444_243:
	v_sub_u32_e32 v12, v50, v8
	v_mov_b32_e32 v13, 0
	v_lshlrev_b64 v[14:15], 3, v[12:13]
	v_add_co_u32_e32 v14, vcc, v3, v14
	v_addc_co_u32_e32 v15, vcc, v7, v15, vcc
	v_mov_b32_e32 v12, v51
	global_store_dwordx2 v[14:15], v[12:13], off
	s_or_b64 exec, exec, s[38:39]
	s_and_saveexec_b64 s[38:39], s[26:27]
	s_cbranch_execz .LBB444_185
.LBB444_244:
	v_sub_u32_e32 v12, v48, v8
	v_mov_b32_e32 v13, 0
	v_lshlrev_b64 v[14:15], 3, v[12:13]
	v_add_co_u32_e32 v14, vcc, v3, v14
	v_addc_co_u32_e32 v15, vcc, v7, v15, vcc
	v_mov_b32_e32 v12, v49
	global_store_dwordx2 v[14:15], v[12:13], off
	s_or_b64 exec, exec, s[38:39]
	s_and_saveexec_b64 s[38:39], s[24:25]
	s_cbranch_execz .LBB444_186
.LBB444_245:
	v_sub_u32_e32 v12, v46, v8
	v_mov_b32_e32 v13, 0
	v_lshlrev_b64 v[14:15], 3, v[12:13]
	v_add_co_u32_e32 v14, vcc, v3, v14
	v_addc_co_u32_e32 v15, vcc, v7, v15, vcc
	v_mov_b32_e32 v12, v47
	global_store_dwordx2 v[14:15], v[12:13], off
	s_or_b64 exec, exec, s[38:39]
	s_and_saveexec_b64 s[38:39], s[22:23]
	s_cbranch_execz .LBB444_187
.LBB444_246:
	v_sub_u32_e32 v12, v44, v8
	v_mov_b32_e32 v13, 0
	v_lshlrev_b64 v[14:15], 3, v[12:13]
	v_add_co_u32_e32 v14, vcc, v3, v14
	v_addc_co_u32_e32 v15, vcc, v7, v15, vcc
	v_mov_b32_e32 v12, v45
	global_store_dwordx2 v[14:15], v[12:13], off
	s_or_b64 exec, exec, s[38:39]
	s_and_saveexec_b64 s[38:39], s[20:21]
	s_cbranch_execz .LBB444_188
.LBB444_247:
	v_sub_u32_e32 v12, v42, v8
	v_mov_b32_e32 v13, 0
	v_lshlrev_b64 v[14:15], 3, v[12:13]
	v_add_co_u32_e32 v14, vcc, v3, v14
	v_addc_co_u32_e32 v15, vcc, v7, v15, vcc
	v_mov_b32_e32 v12, v43
	global_store_dwordx2 v[14:15], v[12:13], off
	s_or_b64 exec, exec, s[38:39]
	s_and_saveexec_b64 s[38:39], s[18:19]
	s_cbranch_execz .LBB444_189
.LBB444_248:
	v_sub_u32_e32 v12, v40, v8
	v_mov_b32_e32 v13, 0
	v_lshlrev_b64 v[14:15], 3, v[12:13]
	v_add_co_u32_e32 v14, vcc, v3, v14
	v_addc_co_u32_e32 v15, vcc, v7, v15, vcc
	v_mov_b32_e32 v12, v41
	global_store_dwordx2 v[14:15], v[12:13], off
	s_or_b64 exec, exec, s[38:39]
	s_and_saveexec_b64 s[38:39], s[16:17]
	s_cbranch_execz .LBB444_190
.LBB444_249:
	v_sub_u32_e32 v12, v38, v8
	v_mov_b32_e32 v13, 0
	v_lshlrev_b64 v[14:15], 3, v[12:13]
	v_add_co_u32_e32 v14, vcc, v3, v14
	v_addc_co_u32_e32 v15, vcc, v7, v15, vcc
	v_mov_b32_e32 v12, v39
	global_store_dwordx2 v[14:15], v[12:13], off
	s_or_b64 exec, exec, s[38:39]
	s_and_saveexec_b64 s[38:39], s[14:15]
	s_cbranch_execz .LBB444_191
.LBB444_250:
	v_sub_u32_e32 v12, v36, v8
	v_mov_b32_e32 v13, 0
	v_lshlrev_b64 v[14:15], 3, v[12:13]
	v_add_co_u32_e32 v14, vcc, v3, v14
	v_addc_co_u32_e32 v15, vcc, v7, v15, vcc
	v_mov_b32_e32 v12, v37
	global_store_dwordx2 v[14:15], v[12:13], off
	s_or_b64 exec, exec, s[38:39]
	s_and_saveexec_b64 s[38:39], s[12:13]
	s_cbranch_execz .LBB444_192
.LBB444_251:
	v_sub_u32_e32 v12, v34, v8
	v_mov_b32_e32 v13, 0
	v_lshlrev_b64 v[14:15], 3, v[12:13]
	v_add_co_u32_e32 v14, vcc, v3, v14
	v_addc_co_u32_e32 v15, vcc, v7, v15, vcc
	v_mov_b32_e32 v12, v35
	global_store_dwordx2 v[14:15], v[12:13], off
	s_or_b64 exec, exec, s[38:39]
	s_and_saveexec_b64 s[38:39], s[10:11]
	s_cbranch_execz .LBB444_193
.LBB444_252:
	v_sub_u32_e32 v12, v32, v8
	v_mov_b32_e32 v13, 0
	v_lshlrev_b64 v[14:15], 3, v[12:13]
	v_add_co_u32_e32 v14, vcc, v3, v14
	v_addc_co_u32_e32 v15, vcc, v7, v15, vcc
	v_mov_b32_e32 v12, v33
	global_store_dwordx2 v[14:15], v[12:13], off
	s_or_b64 exec, exec, s[38:39]
	s_and_saveexec_b64 s[38:39], s[8:9]
	s_cbranch_execz .LBB444_194
.LBB444_253:
	v_sub_u32_e32 v12, v30, v8
	v_mov_b32_e32 v13, 0
	v_lshlrev_b64 v[14:15], 3, v[12:13]
	v_add_co_u32_e32 v14, vcc, v3, v14
	v_addc_co_u32_e32 v15, vcc, v7, v15, vcc
	v_mov_b32_e32 v12, v31
	global_store_dwordx2 v[14:15], v[12:13], off
	s_or_b64 exec, exec, s[38:39]
	s_and_saveexec_b64 s[38:39], s[6:7]
	s_cbranch_execz .LBB444_195
.LBB444_254:
	v_sub_u32_e32 v12, v28, v8
	v_mov_b32_e32 v13, 0
	v_lshlrev_b64 v[14:15], 3, v[12:13]
	v_add_co_u32_e32 v14, vcc, v3, v14
	v_addc_co_u32_e32 v15, vcc, v7, v15, vcc
	v_mov_b32_e32 v12, v29
	global_store_dwordx2 v[14:15], v[12:13], off
	s_or_b64 exec, exec, s[38:39]
	s_and_saveexec_b64 s[38:39], s[4:5]
	s_cbranch_execz .LBB444_196
.LBB444_255:
	v_sub_u32_e32 v12, v26, v8
	v_mov_b32_e32 v13, 0
	v_lshlrev_b64 v[14:15], 3, v[12:13]
	v_add_co_u32_e32 v14, vcc, v3, v14
	v_addc_co_u32_e32 v15, vcc, v7, v15, vcc
	v_mov_b32_e32 v12, v27
	global_store_dwordx2 v[14:15], v[12:13], off
	s_or_b64 exec, exec, s[38:39]
	s_and_saveexec_b64 s[38:39], s[2:3]
	s_cbranch_execnz .LBB444_197
	s_branch .LBB444_198
.LBB444_256:
	v_sub_u32_e32 v9, v50, v8
	v_lshlrev_b32_e32 v9, 2, v9
	ds_write_b32 v9, v51
	s_or_b64 exec, exec, s[38:39]
	s_and_saveexec_b64 s[28:29], s[26:27]
	s_cbranch_execz .LBB444_202
.LBB444_257:
	v_sub_u32_e32 v9, v48, v8
	v_lshlrev_b32_e32 v9, 2, v9
	ds_write_b32 v9, v49
	s_or_b64 exec, exec, s[28:29]
	s_and_saveexec_b64 s[26:27], s[24:25]
	s_cbranch_execz .LBB444_203
.LBB444_258:
	v_sub_u32_e32 v9, v46, v8
	v_lshlrev_b32_e32 v9, 2, v9
	ds_write_b32 v9, v47
	s_or_b64 exec, exec, s[26:27]
	s_and_saveexec_b64 s[24:25], s[22:23]
	s_cbranch_execz .LBB444_204
.LBB444_259:
	v_sub_u32_e32 v9, v44, v8
	v_lshlrev_b32_e32 v9, 2, v9
	ds_write_b32 v9, v45
	s_or_b64 exec, exec, s[24:25]
	s_and_saveexec_b64 s[22:23], s[20:21]
	s_cbranch_execz .LBB444_205
.LBB444_260:
	v_sub_u32_e32 v9, v42, v8
	v_lshlrev_b32_e32 v9, 2, v9
	ds_write_b32 v9, v43
	s_or_b64 exec, exec, s[22:23]
	s_and_saveexec_b64 s[20:21], s[18:19]
	s_cbranch_execz .LBB444_206
.LBB444_261:
	v_sub_u32_e32 v9, v40, v8
	v_lshlrev_b32_e32 v9, 2, v9
	ds_write_b32 v9, v41
	s_or_b64 exec, exec, s[20:21]
	s_and_saveexec_b64 s[18:19], s[16:17]
	s_cbranch_execz .LBB444_207
.LBB444_262:
	v_sub_u32_e32 v9, v38, v8
	v_lshlrev_b32_e32 v9, 2, v9
	ds_write_b32 v9, v39
	s_or_b64 exec, exec, s[18:19]
	s_and_saveexec_b64 s[16:17], s[14:15]
	s_cbranch_execz .LBB444_208
.LBB444_263:
	v_sub_u32_e32 v9, v36, v8
	v_lshlrev_b32_e32 v9, 2, v9
	ds_write_b32 v9, v37
	s_or_b64 exec, exec, s[16:17]
	s_and_saveexec_b64 s[14:15], s[12:13]
	s_cbranch_execz .LBB444_209
.LBB444_264:
	v_sub_u32_e32 v9, v34, v8
	v_lshlrev_b32_e32 v9, 2, v9
	ds_write_b32 v9, v35
	s_or_b64 exec, exec, s[14:15]
	s_and_saveexec_b64 s[12:13], s[10:11]
	s_cbranch_execz .LBB444_210
.LBB444_265:
	v_sub_u32_e32 v9, v32, v8
	v_lshlrev_b32_e32 v9, 2, v9
	ds_write_b32 v9, v33
	s_or_b64 exec, exec, s[12:13]
	s_and_saveexec_b64 s[10:11], s[8:9]
	s_cbranch_execz .LBB444_211
.LBB444_266:
	v_sub_u32_e32 v9, v30, v8
	v_lshlrev_b32_e32 v9, 2, v9
	ds_write_b32 v9, v31
	s_or_b64 exec, exec, s[10:11]
	s_and_saveexec_b64 s[8:9], s[6:7]
	s_cbranch_execz .LBB444_212
.LBB444_267:
	v_sub_u32_e32 v9, v28, v8
	v_lshlrev_b32_e32 v9, 2, v9
	ds_write_b32 v9, v29
	s_or_b64 exec, exec, s[8:9]
	s_and_saveexec_b64 s[6:7], s[4:5]
	s_cbranch_execz .LBB444_213
.LBB444_268:
	v_sub_u32_e32 v9, v26, v8
	v_lshlrev_b32_e32 v9, 2, v9
	ds_write_b32 v9, v27
	s_or_b64 exec, exec, s[6:7]
	s_and_saveexec_b64 s[4:5], s[2:3]
	s_cbranch_execnz .LBB444_214
	s_branch .LBB444_215
	.section	.rodata,"a",@progbits
	.p2align	6, 0x0
	.amdhsa_kernel _ZN7rocprim17ROCPRIM_400000_NS6detail17trampoline_kernelINS0_14default_configENS1_33run_length_encode_config_selectorIijNS0_4plusIjEEEEZZNS1_33reduce_by_key_impl_wrapped_configILNS1_25lookback_scan_determinismE0ES3_S7_PKiNS0_17constant_iteratorIjlEEPiPlSF_S6_NS0_8equal_toIiEEEE10hipError_tPvRmT2_T3_mT4_T5_T6_T7_T8_P12ihipStream_tbENKUlT_T0_E_clISt17integral_constantIbLb0EESZ_EEDaSU_SV_EUlSU_E_NS1_11comp_targetILNS1_3genE4ELNS1_11target_archE910ELNS1_3gpuE8ELNS1_3repE0EEENS1_30default_config_static_selectorELNS0_4arch9wavefront6targetE1EEEvT1_
		.amdhsa_group_segment_fixed_size 15360
		.amdhsa_private_segment_fixed_size 0
		.amdhsa_kernarg_size 128
		.amdhsa_user_sgpr_count 6
		.amdhsa_user_sgpr_private_segment_buffer 1
		.amdhsa_user_sgpr_dispatch_ptr 0
		.amdhsa_user_sgpr_queue_ptr 0
		.amdhsa_user_sgpr_kernarg_segment_ptr 1
		.amdhsa_user_sgpr_dispatch_id 0
		.amdhsa_user_sgpr_flat_scratch_init 0
		.amdhsa_user_sgpr_kernarg_preload_length 0
		.amdhsa_user_sgpr_kernarg_preload_offset 0
		.amdhsa_user_sgpr_private_segment_size 0
		.amdhsa_uses_dynamic_stack 0
		.amdhsa_system_sgpr_private_segment_wavefront_offset 0
		.amdhsa_system_sgpr_workgroup_id_x 1
		.amdhsa_system_sgpr_workgroup_id_y 0
		.amdhsa_system_sgpr_workgroup_id_z 0
		.amdhsa_system_sgpr_workgroup_info 0
		.amdhsa_system_vgpr_workitem_id 0
		.amdhsa_next_free_vgpr 104
		.amdhsa_next_free_sgpr 64
		.amdhsa_accum_offset 104
		.amdhsa_reserve_vcc 1
		.amdhsa_reserve_flat_scratch 0
		.amdhsa_float_round_mode_32 0
		.amdhsa_float_round_mode_16_64 0
		.amdhsa_float_denorm_mode_32 3
		.amdhsa_float_denorm_mode_16_64 3
		.amdhsa_dx10_clamp 1
		.amdhsa_ieee_mode 1
		.amdhsa_fp16_overflow 0
		.amdhsa_tg_split 0
		.amdhsa_exception_fp_ieee_invalid_op 0
		.amdhsa_exception_fp_denorm_src 0
		.amdhsa_exception_fp_ieee_div_zero 0
		.amdhsa_exception_fp_ieee_overflow 0
		.amdhsa_exception_fp_ieee_underflow 0
		.amdhsa_exception_fp_ieee_inexact 0
		.amdhsa_exception_int_div_zero 0
	.end_amdhsa_kernel
	.section	.text._ZN7rocprim17ROCPRIM_400000_NS6detail17trampoline_kernelINS0_14default_configENS1_33run_length_encode_config_selectorIijNS0_4plusIjEEEEZZNS1_33reduce_by_key_impl_wrapped_configILNS1_25lookback_scan_determinismE0ES3_S7_PKiNS0_17constant_iteratorIjlEEPiPlSF_S6_NS0_8equal_toIiEEEE10hipError_tPvRmT2_T3_mT4_T5_T6_T7_T8_P12ihipStream_tbENKUlT_T0_E_clISt17integral_constantIbLb0EESZ_EEDaSU_SV_EUlSU_E_NS1_11comp_targetILNS1_3genE4ELNS1_11target_archE910ELNS1_3gpuE8ELNS1_3repE0EEENS1_30default_config_static_selectorELNS0_4arch9wavefront6targetE1EEEvT1_,"axG",@progbits,_ZN7rocprim17ROCPRIM_400000_NS6detail17trampoline_kernelINS0_14default_configENS1_33run_length_encode_config_selectorIijNS0_4plusIjEEEEZZNS1_33reduce_by_key_impl_wrapped_configILNS1_25lookback_scan_determinismE0ES3_S7_PKiNS0_17constant_iteratorIjlEEPiPlSF_S6_NS0_8equal_toIiEEEE10hipError_tPvRmT2_T3_mT4_T5_T6_T7_T8_P12ihipStream_tbENKUlT_T0_E_clISt17integral_constantIbLb0EESZ_EEDaSU_SV_EUlSU_E_NS1_11comp_targetILNS1_3genE4ELNS1_11target_archE910ELNS1_3gpuE8ELNS1_3repE0EEENS1_30default_config_static_selectorELNS0_4arch9wavefront6targetE1EEEvT1_,comdat
.Lfunc_end444:
	.size	_ZN7rocprim17ROCPRIM_400000_NS6detail17trampoline_kernelINS0_14default_configENS1_33run_length_encode_config_selectorIijNS0_4plusIjEEEEZZNS1_33reduce_by_key_impl_wrapped_configILNS1_25lookback_scan_determinismE0ES3_S7_PKiNS0_17constant_iteratorIjlEEPiPlSF_S6_NS0_8equal_toIiEEEE10hipError_tPvRmT2_T3_mT4_T5_T6_T7_T8_P12ihipStream_tbENKUlT_T0_E_clISt17integral_constantIbLb0EESZ_EEDaSU_SV_EUlSU_E_NS1_11comp_targetILNS1_3genE4ELNS1_11target_archE910ELNS1_3gpuE8ELNS1_3repE0EEENS1_30default_config_static_selectorELNS0_4arch9wavefront6targetE1EEEvT1_, .Lfunc_end444-_ZN7rocprim17ROCPRIM_400000_NS6detail17trampoline_kernelINS0_14default_configENS1_33run_length_encode_config_selectorIijNS0_4plusIjEEEEZZNS1_33reduce_by_key_impl_wrapped_configILNS1_25lookback_scan_determinismE0ES3_S7_PKiNS0_17constant_iteratorIjlEEPiPlSF_S6_NS0_8equal_toIiEEEE10hipError_tPvRmT2_T3_mT4_T5_T6_T7_T8_P12ihipStream_tbENKUlT_T0_E_clISt17integral_constantIbLb0EESZ_EEDaSU_SV_EUlSU_E_NS1_11comp_targetILNS1_3genE4ELNS1_11target_archE910ELNS1_3gpuE8ELNS1_3repE0EEENS1_30default_config_static_selectorELNS0_4arch9wavefront6targetE1EEEvT1_
                                        ; -- End function
	.section	.AMDGPU.csdata,"",@progbits
; Kernel info:
; codeLenInByte = 14916
; NumSgprs: 68
; NumVgprs: 104
; NumAgprs: 0
; TotalNumVgprs: 104
; ScratchSize: 0
; MemoryBound: 0
; FloatMode: 240
; IeeeMode: 1
; LDSByteSize: 15360 bytes/workgroup (compile time only)
; SGPRBlocks: 8
; VGPRBlocks: 12
; NumSGPRsForWavesPerEU: 68
; NumVGPRsForWavesPerEU: 104
; AccumOffset: 104
; Occupancy: 4
; WaveLimiterHint : 1
; COMPUTE_PGM_RSRC2:SCRATCH_EN: 0
; COMPUTE_PGM_RSRC2:USER_SGPR: 6
; COMPUTE_PGM_RSRC2:TRAP_HANDLER: 0
; COMPUTE_PGM_RSRC2:TGID_X_EN: 1
; COMPUTE_PGM_RSRC2:TGID_Y_EN: 0
; COMPUTE_PGM_RSRC2:TGID_Z_EN: 0
; COMPUTE_PGM_RSRC2:TIDIG_COMP_CNT: 0
; COMPUTE_PGM_RSRC3_GFX90A:ACCUM_OFFSET: 25
; COMPUTE_PGM_RSRC3_GFX90A:TG_SPLIT: 0
	.section	.text._ZN7rocprim17ROCPRIM_400000_NS6detail17trampoline_kernelINS0_14default_configENS1_33run_length_encode_config_selectorIijNS0_4plusIjEEEEZZNS1_33reduce_by_key_impl_wrapped_configILNS1_25lookback_scan_determinismE0ES3_S7_PKiNS0_17constant_iteratorIjlEEPiPlSF_S6_NS0_8equal_toIiEEEE10hipError_tPvRmT2_T3_mT4_T5_T6_T7_T8_P12ihipStream_tbENKUlT_T0_E_clISt17integral_constantIbLb0EESZ_EEDaSU_SV_EUlSU_E_NS1_11comp_targetILNS1_3genE3ELNS1_11target_archE908ELNS1_3gpuE7ELNS1_3repE0EEENS1_30default_config_static_selectorELNS0_4arch9wavefront6targetE1EEEvT1_,"axG",@progbits,_ZN7rocprim17ROCPRIM_400000_NS6detail17trampoline_kernelINS0_14default_configENS1_33run_length_encode_config_selectorIijNS0_4plusIjEEEEZZNS1_33reduce_by_key_impl_wrapped_configILNS1_25lookback_scan_determinismE0ES3_S7_PKiNS0_17constant_iteratorIjlEEPiPlSF_S6_NS0_8equal_toIiEEEE10hipError_tPvRmT2_T3_mT4_T5_T6_T7_T8_P12ihipStream_tbENKUlT_T0_E_clISt17integral_constantIbLb0EESZ_EEDaSU_SV_EUlSU_E_NS1_11comp_targetILNS1_3genE3ELNS1_11target_archE908ELNS1_3gpuE7ELNS1_3repE0EEENS1_30default_config_static_selectorELNS0_4arch9wavefront6targetE1EEEvT1_,comdat
	.protected	_ZN7rocprim17ROCPRIM_400000_NS6detail17trampoline_kernelINS0_14default_configENS1_33run_length_encode_config_selectorIijNS0_4plusIjEEEEZZNS1_33reduce_by_key_impl_wrapped_configILNS1_25lookback_scan_determinismE0ES3_S7_PKiNS0_17constant_iteratorIjlEEPiPlSF_S6_NS0_8equal_toIiEEEE10hipError_tPvRmT2_T3_mT4_T5_T6_T7_T8_P12ihipStream_tbENKUlT_T0_E_clISt17integral_constantIbLb0EESZ_EEDaSU_SV_EUlSU_E_NS1_11comp_targetILNS1_3genE3ELNS1_11target_archE908ELNS1_3gpuE7ELNS1_3repE0EEENS1_30default_config_static_selectorELNS0_4arch9wavefront6targetE1EEEvT1_ ; -- Begin function _ZN7rocprim17ROCPRIM_400000_NS6detail17trampoline_kernelINS0_14default_configENS1_33run_length_encode_config_selectorIijNS0_4plusIjEEEEZZNS1_33reduce_by_key_impl_wrapped_configILNS1_25lookback_scan_determinismE0ES3_S7_PKiNS0_17constant_iteratorIjlEEPiPlSF_S6_NS0_8equal_toIiEEEE10hipError_tPvRmT2_T3_mT4_T5_T6_T7_T8_P12ihipStream_tbENKUlT_T0_E_clISt17integral_constantIbLb0EESZ_EEDaSU_SV_EUlSU_E_NS1_11comp_targetILNS1_3genE3ELNS1_11target_archE908ELNS1_3gpuE7ELNS1_3repE0EEENS1_30default_config_static_selectorELNS0_4arch9wavefront6targetE1EEEvT1_
	.globl	_ZN7rocprim17ROCPRIM_400000_NS6detail17trampoline_kernelINS0_14default_configENS1_33run_length_encode_config_selectorIijNS0_4plusIjEEEEZZNS1_33reduce_by_key_impl_wrapped_configILNS1_25lookback_scan_determinismE0ES3_S7_PKiNS0_17constant_iteratorIjlEEPiPlSF_S6_NS0_8equal_toIiEEEE10hipError_tPvRmT2_T3_mT4_T5_T6_T7_T8_P12ihipStream_tbENKUlT_T0_E_clISt17integral_constantIbLb0EESZ_EEDaSU_SV_EUlSU_E_NS1_11comp_targetILNS1_3genE3ELNS1_11target_archE908ELNS1_3gpuE7ELNS1_3repE0EEENS1_30default_config_static_selectorELNS0_4arch9wavefront6targetE1EEEvT1_
	.p2align	8
	.type	_ZN7rocprim17ROCPRIM_400000_NS6detail17trampoline_kernelINS0_14default_configENS1_33run_length_encode_config_selectorIijNS0_4plusIjEEEEZZNS1_33reduce_by_key_impl_wrapped_configILNS1_25lookback_scan_determinismE0ES3_S7_PKiNS0_17constant_iteratorIjlEEPiPlSF_S6_NS0_8equal_toIiEEEE10hipError_tPvRmT2_T3_mT4_T5_T6_T7_T8_P12ihipStream_tbENKUlT_T0_E_clISt17integral_constantIbLb0EESZ_EEDaSU_SV_EUlSU_E_NS1_11comp_targetILNS1_3genE3ELNS1_11target_archE908ELNS1_3gpuE7ELNS1_3repE0EEENS1_30default_config_static_selectorELNS0_4arch9wavefront6targetE1EEEvT1_,@function
_ZN7rocprim17ROCPRIM_400000_NS6detail17trampoline_kernelINS0_14default_configENS1_33run_length_encode_config_selectorIijNS0_4plusIjEEEEZZNS1_33reduce_by_key_impl_wrapped_configILNS1_25lookback_scan_determinismE0ES3_S7_PKiNS0_17constant_iteratorIjlEEPiPlSF_S6_NS0_8equal_toIiEEEE10hipError_tPvRmT2_T3_mT4_T5_T6_T7_T8_P12ihipStream_tbENKUlT_T0_E_clISt17integral_constantIbLb0EESZ_EEDaSU_SV_EUlSU_E_NS1_11comp_targetILNS1_3genE3ELNS1_11target_archE908ELNS1_3gpuE7ELNS1_3repE0EEENS1_30default_config_static_selectorELNS0_4arch9wavefront6targetE1EEEvT1_: ; @_ZN7rocprim17ROCPRIM_400000_NS6detail17trampoline_kernelINS0_14default_configENS1_33run_length_encode_config_selectorIijNS0_4plusIjEEEEZZNS1_33reduce_by_key_impl_wrapped_configILNS1_25lookback_scan_determinismE0ES3_S7_PKiNS0_17constant_iteratorIjlEEPiPlSF_S6_NS0_8equal_toIiEEEE10hipError_tPvRmT2_T3_mT4_T5_T6_T7_T8_P12ihipStream_tbENKUlT_T0_E_clISt17integral_constantIbLb0EESZ_EEDaSU_SV_EUlSU_E_NS1_11comp_targetILNS1_3genE3ELNS1_11target_archE908ELNS1_3gpuE7ELNS1_3repE0EEENS1_30default_config_static_selectorELNS0_4arch9wavefront6targetE1EEEvT1_
; %bb.0:
	.section	.rodata,"a",@progbits
	.p2align	6, 0x0
	.amdhsa_kernel _ZN7rocprim17ROCPRIM_400000_NS6detail17trampoline_kernelINS0_14default_configENS1_33run_length_encode_config_selectorIijNS0_4plusIjEEEEZZNS1_33reduce_by_key_impl_wrapped_configILNS1_25lookback_scan_determinismE0ES3_S7_PKiNS0_17constant_iteratorIjlEEPiPlSF_S6_NS0_8equal_toIiEEEE10hipError_tPvRmT2_T3_mT4_T5_T6_T7_T8_P12ihipStream_tbENKUlT_T0_E_clISt17integral_constantIbLb0EESZ_EEDaSU_SV_EUlSU_E_NS1_11comp_targetILNS1_3genE3ELNS1_11target_archE908ELNS1_3gpuE7ELNS1_3repE0EEENS1_30default_config_static_selectorELNS0_4arch9wavefront6targetE1EEEvT1_
		.amdhsa_group_segment_fixed_size 0
		.amdhsa_private_segment_fixed_size 0
		.amdhsa_kernarg_size 128
		.amdhsa_user_sgpr_count 6
		.amdhsa_user_sgpr_private_segment_buffer 1
		.amdhsa_user_sgpr_dispatch_ptr 0
		.amdhsa_user_sgpr_queue_ptr 0
		.amdhsa_user_sgpr_kernarg_segment_ptr 1
		.amdhsa_user_sgpr_dispatch_id 0
		.amdhsa_user_sgpr_flat_scratch_init 0
		.amdhsa_user_sgpr_kernarg_preload_length 0
		.amdhsa_user_sgpr_kernarg_preload_offset 0
		.amdhsa_user_sgpr_private_segment_size 0
		.amdhsa_uses_dynamic_stack 0
		.amdhsa_system_sgpr_private_segment_wavefront_offset 0
		.amdhsa_system_sgpr_workgroup_id_x 1
		.amdhsa_system_sgpr_workgroup_id_y 0
		.amdhsa_system_sgpr_workgroup_id_z 0
		.amdhsa_system_sgpr_workgroup_info 0
		.amdhsa_system_vgpr_workitem_id 0
		.amdhsa_next_free_vgpr 1
		.amdhsa_next_free_sgpr 0
		.amdhsa_accum_offset 4
		.amdhsa_reserve_vcc 0
		.amdhsa_reserve_flat_scratch 0
		.amdhsa_float_round_mode_32 0
		.amdhsa_float_round_mode_16_64 0
		.amdhsa_float_denorm_mode_32 3
		.amdhsa_float_denorm_mode_16_64 3
		.amdhsa_dx10_clamp 1
		.amdhsa_ieee_mode 1
		.amdhsa_fp16_overflow 0
		.amdhsa_tg_split 0
		.amdhsa_exception_fp_ieee_invalid_op 0
		.amdhsa_exception_fp_denorm_src 0
		.amdhsa_exception_fp_ieee_div_zero 0
		.amdhsa_exception_fp_ieee_overflow 0
		.amdhsa_exception_fp_ieee_underflow 0
		.amdhsa_exception_fp_ieee_inexact 0
		.amdhsa_exception_int_div_zero 0
	.end_amdhsa_kernel
	.section	.text._ZN7rocprim17ROCPRIM_400000_NS6detail17trampoline_kernelINS0_14default_configENS1_33run_length_encode_config_selectorIijNS0_4plusIjEEEEZZNS1_33reduce_by_key_impl_wrapped_configILNS1_25lookback_scan_determinismE0ES3_S7_PKiNS0_17constant_iteratorIjlEEPiPlSF_S6_NS0_8equal_toIiEEEE10hipError_tPvRmT2_T3_mT4_T5_T6_T7_T8_P12ihipStream_tbENKUlT_T0_E_clISt17integral_constantIbLb0EESZ_EEDaSU_SV_EUlSU_E_NS1_11comp_targetILNS1_3genE3ELNS1_11target_archE908ELNS1_3gpuE7ELNS1_3repE0EEENS1_30default_config_static_selectorELNS0_4arch9wavefront6targetE1EEEvT1_,"axG",@progbits,_ZN7rocprim17ROCPRIM_400000_NS6detail17trampoline_kernelINS0_14default_configENS1_33run_length_encode_config_selectorIijNS0_4plusIjEEEEZZNS1_33reduce_by_key_impl_wrapped_configILNS1_25lookback_scan_determinismE0ES3_S7_PKiNS0_17constant_iteratorIjlEEPiPlSF_S6_NS0_8equal_toIiEEEE10hipError_tPvRmT2_T3_mT4_T5_T6_T7_T8_P12ihipStream_tbENKUlT_T0_E_clISt17integral_constantIbLb0EESZ_EEDaSU_SV_EUlSU_E_NS1_11comp_targetILNS1_3genE3ELNS1_11target_archE908ELNS1_3gpuE7ELNS1_3repE0EEENS1_30default_config_static_selectorELNS0_4arch9wavefront6targetE1EEEvT1_,comdat
.Lfunc_end445:
	.size	_ZN7rocprim17ROCPRIM_400000_NS6detail17trampoline_kernelINS0_14default_configENS1_33run_length_encode_config_selectorIijNS0_4plusIjEEEEZZNS1_33reduce_by_key_impl_wrapped_configILNS1_25lookback_scan_determinismE0ES3_S7_PKiNS0_17constant_iteratorIjlEEPiPlSF_S6_NS0_8equal_toIiEEEE10hipError_tPvRmT2_T3_mT4_T5_T6_T7_T8_P12ihipStream_tbENKUlT_T0_E_clISt17integral_constantIbLb0EESZ_EEDaSU_SV_EUlSU_E_NS1_11comp_targetILNS1_3genE3ELNS1_11target_archE908ELNS1_3gpuE7ELNS1_3repE0EEENS1_30default_config_static_selectorELNS0_4arch9wavefront6targetE1EEEvT1_, .Lfunc_end445-_ZN7rocprim17ROCPRIM_400000_NS6detail17trampoline_kernelINS0_14default_configENS1_33run_length_encode_config_selectorIijNS0_4plusIjEEEEZZNS1_33reduce_by_key_impl_wrapped_configILNS1_25lookback_scan_determinismE0ES3_S7_PKiNS0_17constant_iteratorIjlEEPiPlSF_S6_NS0_8equal_toIiEEEE10hipError_tPvRmT2_T3_mT4_T5_T6_T7_T8_P12ihipStream_tbENKUlT_T0_E_clISt17integral_constantIbLb0EESZ_EEDaSU_SV_EUlSU_E_NS1_11comp_targetILNS1_3genE3ELNS1_11target_archE908ELNS1_3gpuE7ELNS1_3repE0EEENS1_30default_config_static_selectorELNS0_4arch9wavefront6targetE1EEEvT1_
                                        ; -- End function
	.section	.AMDGPU.csdata,"",@progbits
; Kernel info:
; codeLenInByte = 0
; NumSgprs: 4
; NumVgprs: 0
; NumAgprs: 0
; TotalNumVgprs: 0
; ScratchSize: 0
; MemoryBound: 0
; FloatMode: 240
; IeeeMode: 1
; LDSByteSize: 0 bytes/workgroup (compile time only)
; SGPRBlocks: 0
; VGPRBlocks: 0
; NumSGPRsForWavesPerEU: 4
; NumVGPRsForWavesPerEU: 1
; AccumOffset: 4
; Occupancy: 8
; WaveLimiterHint : 0
; COMPUTE_PGM_RSRC2:SCRATCH_EN: 0
; COMPUTE_PGM_RSRC2:USER_SGPR: 6
; COMPUTE_PGM_RSRC2:TRAP_HANDLER: 0
; COMPUTE_PGM_RSRC2:TGID_X_EN: 1
; COMPUTE_PGM_RSRC2:TGID_Y_EN: 0
; COMPUTE_PGM_RSRC2:TGID_Z_EN: 0
; COMPUTE_PGM_RSRC2:TIDIG_COMP_CNT: 0
; COMPUTE_PGM_RSRC3_GFX90A:ACCUM_OFFSET: 0
; COMPUTE_PGM_RSRC3_GFX90A:TG_SPLIT: 0
	.section	.text._ZN7rocprim17ROCPRIM_400000_NS6detail17trampoline_kernelINS0_14default_configENS1_33run_length_encode_config_selectorIijNS0_4plusIjEEEEZZNS1_33reduce_by_key_impl_wrapped_configILNS1_25lookback_scan_determinismE0ES3_S7_PKiNS0_17constant_iteratorIjlEEPiPlSF_S6_NS0_8equal_toIiEEEE10hipError_tPvRmT2_T3_mT4_T5_T6_T7_T8_P12ihipStream_tbENKUlT_T0_E_clISt17integral_constantIbLb0EESZ_EEDaSU_SV_EUlSU_E_NS1_11comp_targetILNS1_3genE2ELNS1_11target_archE906ELNS1_3gpuE6ELNS1_3repE0EEENS1_30default_config_static_selectorELNS0_4arch9wavefront6targetE1EEEvT1_,"axG",@progbits,_ZN7rocprim17ROCPRIM_400000_NS6detail17trampoline_kernelINS0_14default_configENS1_33run_length_encode_config_selectorIijNS0_4plusIjEEEEZZNS1_33reduce_by_key_impl_wrapped_configILNS1_25lookback_scan_determinismE0ES3_S7_PKiNS0_17constant_iteratorIjlEEPiPlSF_S6_NS0_8equal_toIiEEEE10hipError_tPvRmT2_T3_mT4_T5_T6_T7_T8_P12ihipStream_tbENKUlT_T0_E_clISt17integral_constantIbLb0EESZ_EEDaSU_SV_EUlSU_E_NS1_11comp_targetILNS1_3genE2ELNS1_11target_archE906ELNS1_3gpuE6ELNS1_3repE0EEENS1_30default_config_static_selectorELNS0_4arch9wavefront6targetE1EEEvT1_,comdat
	.protected	_ZN7rocprim17ROCPRIM_400000_NS6detail17trampoline_kernelINS0_14default_configENS1_33run_length_encode_config_selectorIijNS0_4plusIjEEEEZZNS1_33reduce_by_key_impl_wrapped_configILNS1_25lookback_scan_determinismE0ES3_S7_PKiNS0_17constant_iteratorIjlEEPiPlSF_S6_NS0_8equal_toIiEEEE10hipError_tPvRmT2_T3_mT4_T5_T6_T7_T8_P12ihipStream_tbENKUlT_T0_E_clISt17integral_constantIbLb0EESZ_EEDaSU_SV_EUlSU_E_NS1_11comp_targetILNS1_3genE2ELNS1_11target_archE906ELNS1_3gpuE6ELNS1_3repE0EEENS1_30default_config_static_selectorELNS0_4arch9wavefront6targetE1EEEvT1_ ; -- Begin function _ZN7rocprim17ROCPRIM_400000_NS6detail17trampoline_kernelINS0_14default_configENS1_33run_length_encode_config_selectorIijNS0_4plusIjEEEEZZNS1_33reduce_by_key_impl_wrapped_configILNS1_25lookback_scan_determinismE0ES3_S7_PKiNS0_17constant_iteratorIjlEEPiPlSF_S6_NS0_8equal_toIiEEEE10hipError_tPvRmT2_T3_mT4_T5_T6_T7_T8_P12ihipStream_tbENKUlT_T0_E_clISt17integral_constantIbLb0EESZ_EEDaSU_SV_EUlSU_E_NS1_11comp_targetILNS1_3genE2ELNS1_11target_archE906ELNS1_3gpuE6ELNS1_3repE0EEENS1_30default_config_static_selectorELNS0_4arch9wavefront6targetE1EEEvT1_
	.globl	_ZN7rocprim17ROCPRIM_400000_NS6detail17trampoline_kernelINS0_14default_configENS1_33run_length_encode_config_selectorIijNS0_4plusIjEEEEZZNS1_33reduce_by_key_impl_wrapped_configILNS1_25lookback_scan_determinismE0ES3_S7_PKiNS0_17constant_iteratorIjlEEPiPlSF_S6_NS0_8equal_toIiEEEE10hipError_tPvRmT2_T3_mT4_T5_T6_T7_T8_P12ihipStream_tbENKUlT_T0_E_clISt17integral_constantIbLb0EESZ_EEDaSU_SV_EUlSU_E_NS1_11comp_targetILNS1_3genE2ELNS1_11target_archE906ELNS1_3gpuE6ELNS1_3repE0EEENS1_30default_config_static_selectorELNS0_4arch9wavefront6targetE1EEEvT1_
	.p2align	8
	.type	_ZN7rocprim17ROCPRIM_400000_NS6detail17trampoline_kernelINS0_14default_configENS1_33run_length_encode_config_selectorIijNS0_4plusIjEEEEZZNS1_33reduce_by_key_impl_wrapped_configILNS1_25lookback_scan_determinismE0ES3_S7_PKiNS0_17constant_iteratorIjlEEPiPlSF_S6_NS0_8equal_toIiEEEE10hipError_tPvRmT2_T3_mT4_T5_T6_T7_T8_P12ihipStream_tbENKUlT_T0_E_clISt17integral_constantIbLb0EESZ_EEDaSU_SV_EUlSU_E_NS1_11comp_targetILNS1_3genE2ELNS1_11target_archE906ELNS1_3gpuE6ELNS1_3repE0EEENS1_30default_config_static_selectorELNS0_4arch9wavefront6targetE1EEEvT1_,@function
_ZN7rocprim17ROCPRIM_400000_NS6detail17trampoline_kernelINS0_14default_configENS1_33run_length_encode_config_selectorIijNS0_4plusIjEEEEZZNS1_33reduce_by_key_impl_wrapped_configILNS1_25lookback_scan_determinismE0ES3_S7_PKiNS0_17constant_iteratorIjlEEPiPlSF_S6_NS0_8equal_toIiEEEE10hipError_tPvRmT2_T3_mT4_T5_T6_T7_T8_P12ihipStream_tbENKUlT_T0_E_clISt17integral_constantIbLb0EESZ_EEDaSU_SV_EUlSU_E_NS1_11comp_targetILNS1_3genE2ELNS1_11target_archE906ELNS1_3gpuE6ELNS1_3repE0EEENS1_30default_config_static_selectorELNS0_4arch9wavefront6targetE1EEEvT1_: ; @_ZN7rocprim17ROCPRIM_400000_NS6detail17trampoline_kernelINS0_14default_configENS1_33run_length_encode_config_selectorIijNS0_4plusIjEEEEZZNS1_33reduce_by_key_impl_wrapped_configILNS1_25lookback_scan_determinismE0ES3_S7_PKiNS0_17constant_iteratorIjlEEPiPlSF_S6_NS0_8equal_toIiEEEE10hipError_tPvRmT2_T3_mT4_T5_T6_T7_T8_P12ihipStream_tbENKUlT_T0_E_clISt17integral_constantIbLb0EESZ_EEDaSU_SV_EUlSU_E_NS1_11comp_targetILNS1_3genE2ELNS1_11target_archE906ELNS1_3gpuE6ELNS1_3repE0EEENS1_30default_config_static_selectorELNS0_4arch9wavefront6targetE1EEEvT1_
; %bb.0:
	.section	.rodata,"a",@progbits
	.p2align	6, 0x0
	.amdhsa_kernel _ZN7rocprim17ROCPRIM_400000_NS6detail17trampoline_kernelINS0_14default_configENS1_33run_length_encode_config_selectorIijNS0_4plusIjEEEEZZNS1_33reduce_by_key_impl_wrapped_configILNS1_25lookback_scan_determinismE0ES3_S7_PKiNS0_17constant_iteratorIjlEEPiPlSF_S6_NS0_8equal_toIiEEEE10hipError_tPvRmT2_T3_mT4_T5_T6_T7_T8_P12ihipStream_tbENKUlT_T0_E_clISt17integral_constantIbLb0EESZ_EEDaSU_SV_EUlSU_E_NS1_11comp_targetILNS1_3genE2ELNS1_11target_archE906ELNS1_3gpuE6ELNS1_3repE0EEENS1_30default_config_static_selectorELNS0_4arch9wavefront6targetE1EEEvT1_
		.amdhsa_group_segment_fixed_size 0
		.amdhsa_private_segment_fixed_size 0
		.amdhsa_kernarg_size 128
		.amdhsa_user_sgpr_count 6
		.amdhsa_user_sgpr_private_segment_buffer 1
		.amdhsa_user_sgpr_dispatch_ptr 0
		.amdhsa_user_sgpr_queue_ptr 0
		.amdhsa_user_sgpr_kernarg_segment_ptr 1
		.amdhsa_user_sgpr_dispatch_id 0
		.amdhsa_user_sgpr_flat_scratch_init 0
		.amdhsa_user_sgpr_kernarg_preload_length 0
		.amdhsa_user_sgpr_kernarg_preload_offset 0
		.amdhsa_user_sgpr_private_segment_size 0
		.amdhsa_uses_dynamic_stack 0
		.amdhsa_system_sgpr_private_segment_wavefront_offset 0
		.amdhsa_system_sgpr_workgroup_id_x 1
		.amdhsa_system_sgpr_workgroup_id_y 0
		.amdhsa_system_sgpr_workgroup_id_z 0
		.amdhsa_system_sgpr_workgroup_info 0
		.amdhsa_system_vgpr_workitem_id 0
		.amdhsa_next_free_vgpr 1
		.amdhsa_next_free_sgpr 0
		.amdhsa_accum_offset 4
		.amdhsa_reserve_vcc 0
		.amdhsa_reserve_flat_scratch 0
		.amdhsa_float_round_mode_32 0
		.amdhsa_float_round_mode_16_64 0
		.amdhsa_float_denorm_mode_32 3
		.amdhsa_float_denorm_mode_16_64 3
		.amdhsa_dx10_clamp 1
		.amdhsa_ieee_mode 1
		.amdhsa_fp16_overflow 0
		.amdhsa_tg_split 0
		.amdhsa_exception_fp_ieee_invalid_op 0
		.amdhsa_exception_fp_denorm_src 0
		.amdhsa_exception_fp_ieee_div_zero 0
		.amdhsa_exception_fp_ieee_overflow 0
		.amdhsa_exception_fp_ieee_underflow 0
		.amdhsa_exception_fp_ieee_inexact 0
		.amdhsa_exception_int_div_zero 0
	.end_amdhsa_kernel
	.section	.text._ZN7rocprim17ROCPRIM_400000_NS6detail17trampoline_kernelINS0_14default_configENS1_33run_length_encode_config_selectorIijNS0_4plusIjEEEEZZNS1_33reduce_by_key_impl_wrapped_configILNS1_25lookback_scan_determinismE0ES3_S7_PKiNS0_17constant_iteratorIjlEEPiPlSF_S6_NS0_8equal_toIiEEEE10hipError_tPvRmT2_T3_mT4_T5_T6_T7_T8_P12ihipStream_tbENKUlT_T0_E_clISt17integral_constantIbLb0EESZ_EEDaSU_SV_EUlSU_E_NS1_11comp_targetILNS1_3genE2ELNS1_11target_archE906ELNS1_3gpuE6ELNS1_3repE0EEENS1_30default_config_static_selectorELNS0_4arch9wavefront6targetE1EEEvT1_,"axG",@progbits,_ZN7rocprim17ROCPRIM_400000_NS6detail17trampoline_kernelINS0_14default_configENS1_33run_length_encode_config_selectorIijNS0_4plusIjEEEEZZNS1_33reduce_by_key_impl_wrapped_configILNS1_25lookback_scan_determinismE0ES3_S7_PKiNS0_17constant_iteratorIjlEEPiPlSF_S6_NS0_8equal_toIiEEEE10hipError_tPvRmT2_T3_mT4_T5_T6_T7_T8_P12ihipStream_tbENKUlT_T0_E_clISt17integral_constantIbLb0EESZ_EEDaSU_SV_EUlSU_E_NS1_11comp_targetILNS1_3genE2ELNS1_11target_archE906ELNS1_3gpuE6ELNS1_3repE0EEENS1_30default_config_static_selectorELNS0_4arch9wavefront6targetE1EEEvT1_,comdat
.Lfunc_end446:
	.size	_ZN7rocprim17ROCPRIM_400000_NS6detail17trampoline_kernelINS0_14default_configENS1_33run_length_encode_config_selectorIijNS0_4plusIjEEEEZZNS1_33reduce_by_key_impl_wrapped_configILNS1_25lookback_scan_determinismE0ES3_S7_PKiNS0_17constant_iteratorIjlEEPiPlSF_S6_NS0_8equal_toIiEEEE10hipError_tPvRmT2_T3_mT4_T5_T6_T7_T8_P12ihipStream_tbENKUlT_T0_E_clISt17integral_constantIbLb0EESZ_EEDaSU_SV_EUlSU_E_NS1_11comp_targetILNS1_3genE2ELNS1_11target_archE906ELNS1_3gpuE6ELNS1_3repE0EEENS1_30default_config_static_selectorELNS0_4arch9wavefront6targetE1EEEvT1_, .Lfunc_end446-_ZN7rocprim17ROCPRIM_400000_NS6detail17trampoline_kernelINS0_14default_configENS1_33run_length_encode_config_selectorIijNS0_4plusIjEEEEZZNS1_33reduce_by_key_impl_wrapped_configILNS1_25lookback_scan_determinismE0ES3_S7_PKiNS0_17constant_iteratorIjlEEPiPlSF_S6_NS0_8equal_toIiEEEE10hipError_tPvRmT2_T3_mT4_T5_T6_T7_T8_P12ihipStream_tbENKUlT_T0_E_clISt17integral_constantIbLb0EESZ_EEDaSU_SV_EUlSU_E_NS1_11comp_targetILNS1_3genE2ELNS1_11target_archE906ELNS1_3gpuE6ELNS1_3repE0EEENS1_30default_config_static_selectorELNS0_4arch9wavefront6targetE1EEEvT1_
                                        ; -- End function
	.section	.AMDGPU.csdata,"",@progbits
; Kernel info:
; codeLenInByte = 0
; NumSgprs: 4
; NumVgprs: 0
; NumAgprs: 0
; TotalNumVgprs: 0
; ScratchSize: 0
; MemoryBound: 0
; FloatMode: 240
; IeeeMode: 1
; LDSByteSize: 0 bytes/workgroup (compile time only)
; SGPRBlocks: 0
; VGPRBlocks: 0
; NumSGPRsForWavesPerEU: 4
; NumVGPRsForWavesPerEU: 1
; AccumOffset: 4
; Occupancy: 8
; WaveLimiterHint : 0
; COMPUTE_PGM_RSRC2:SCRATCH_EN: 0
; COMPUTE_PGM_RSRC2:USER_SGPR: 6
; COMPUTE_PGM_RSRC2:TRAP_HANDLER: 0
; COMPUTE_PGM_RSRC2:TGID_X_EN: 1
; COMPUTE_PGM_RSRC2:TGID_Y_EN: 0
; COMPUTE_PGM_RSRC2:TGID_Z_EN: 0
; COMPUTE_PGM_RSRC2:TIDIG_COMP_CNT: 0
; COMPUTE_PGM_RSRC3_GFX90A:ACCUM_OFFSET: 0
; COMPUTE_PGM_RSRC3_GFX90A:TG_SPLIT: 0
	.section	.text._ZN7rocprim17ROCPRIM_400000_NS6detail17trampoline_kernelINS0_14default_configENS1_33run_length_encode_config_selectorIijNS0_4plusIjEEEEZZNS1_33reduce_by_key_impl_wrapped_configILNS1_25lookback_scan_determinismE0ES3_S7_PKiNS0_17constant_iteratorIjlEEPiPlSF_S6_NS0_8equal_toIiEEEE10hipError_tPvRmT2_T3_mT4_T5_T6_T7_T8_P12ihipStream_tbENKUlT_T0_E_clISt17integral_constantIbLb0EESZ_EEDaSU_SV_EUlSU_E_NS1_11comp_targetILNS1_3genE10ELNS1_11target_archE1201ELNS1_3gpuE5ELNS1_3repE0EEENS1_30default_config_static_selectorELNS0_4arch9wavefront6targetE1EEEvT1_,"axG",@progbits,_ZN7rocprim17ROCPRIM_400000_NS6detail17trampoline_kernelINS0_14default_configENS1_33run_length_encode_config_selectorIijNS0_4plusIjEEEEZZNS1_33reduce_by_key_impl_wrapped_configILNS1_25lookback_scan_determinismE0ES3_S7_PKiNS0_17constant_iteratorIjlEEPiPlSF_S6_NS0_8equal_toIiEEEE10hipError_tPvRmT2_T3_mT4_T5_T6_T7_T8_P12ihipStream_tbENKUlT_T0_E_clISt17integral_constantIbLb0EESZ_EEDaSU_SV_EUlSU_E_NS1_11comp_targetILNS1_3genE10ELNS1_11target_archE1201ELNS1_3gpuE5ELNS1_3repE0EEENS1_30default_config_static_selectorELNS0_4arch9wavefront6targetE1EEEvT1_,comdat
	.protected	_ZN7rocprim17ROCPRIM_400000_NS6detail17trampoline_kernelINS0_14default_configENS1_33run_length_encode_config_selectorIijNS0_4plusIjEEEEZZNS1_33reduce_by_key_impl_wrapped_configILNS1_25lookback_scan_determinismE0ES3_S7_PKiNS0_17constant_iteratorIjlEEPiPlSF_S6_NS0_8equal_toIiEEEE10hipError_tPvRmT2_T3_mT4_T5_T6_T7_T8_P12ihipStream_tbENKUlT_T0_E_clISt17integral_constantIbLb0EESZ_EEDaSU_SV_EUlSU_E_NS1_11comp_targetILNS1_3genE10ELNS1_11target_archE1201ELNS1_3gpuE5ELNS1_3repE0EEENS1_30default_config_static_selectorELNS0_4arch9wavefront6targetE1EEEvT1_ ; -- Begin function _ZN7rocprim17ROCPRIM_400000_NS6detail17trampoline_kernelINS0_14default_configENS1_33run_length_encode_config_selectorIijNS0_4plusIjEEEEZZNS1_33reduce_by_key_impl_wrapped_configILNS1_25lookback_scan_determinismE0ES3_S7_PKiNS0_17constant_iteratorIjlEEPiPlSF_S6_NS0_8equal_toIiEEEE10hipError_tPvRmT2_T3_mT4_T5_T6_T7_T8_P12ihipStream_tbENKUlT_T0_E_clISt17integral_constantIbLb0EESZ_EEDaSU_SV_EUlSU_E_NS1_11comp_targetILNS1_3genE10ELNS1_11target_archE1201ELNS1_3gpuE5ELNS1_3repE0EEENS1_30default_config_static_selectorELNS0_4arch9wavefront6targetE1EEEvT1_
	.globl	_ZN7rocprim17ROCPRIM_400000_NS6detail17trampoline_kernelINS0_14default_configENS1_33run_length_encode_config_selectorIijNS0_4plusIjEEEEZZNS1_33reduce_by_key_impl_wrapped_configILNS1_25lookback_scan_determinismE0ES3_S7_PKiNS0_17constant_iteratorIjlEEPiPlSF_S6_NS0_8equal_toIiEEEE10hipError_tPvRmT2_T3_mT4_T5_T6_T7_T8_P12ihipStream_tbENKUlT_T0_E_clISt17integral_constantIbLb0EESZ_EEDaSU_SV_EUlSU_E_NS1_11comp_targetILNS1_3genE10ELNS1_11target_archE1201ELNS1_3gpuE5ELNS1_3repE0EEENS1_30default_config_static_selectorELNS0_4arch9wavefront6targetE1EEEvT1_
	.p2align	8
	.type	_ZN7rocprim17ROCPRIM_400000_NS6detail17trampoline_kernelINS0_14default_configENS1_33run_length_encode_config_selectorIijNS0_4plusIjEEEEZZNS1_33reduce_by_key_impl_wrapped_configILNS1_25lookback_scan_determinismE0ES3_S7_PKiNS0_17constant_iteratorIjlEEPiPlSF_S6_NS0_8equal_toIiEEEE10hipError_tPvRmT2_T3_mT4_T5_T6_T7_T8_P12ihipStream_tbENKUlT_T0_E_clISt17integral_constantIbLb0EESZ_EEDaSU_SV_EUlSU_E_NS1_11comp_targetILNS1_3genE10ELNS1_11target_archE1201ELNS1_3gpuE5ELNS1_3repE0EEENS1_30default_config_static_selectorELNS0_4arch9wavefront6targetE1EEEvT1_,@function
_ZN7rocprim17ROCPRIM_400000_NS6detail17trampoline_kernelINS0_14default_configENS1_33run_length_encode_config_selectorIijNS0_4plusIjEEEEZZNS1_33reduce_by_key_impl_wrapped_configILNS1_25lookback_scan_determinismE0ES3_S7_PKiNS0_17constant_iteratorIjlEEPiPlSF_S6_NS0_8equal_toIiEEEE10hipError_tPvRmT2_T3_mT4_T5_T6_T7_T8_P12ihipStream_tbENKUlT_T0_E_clISt17integral_constantIbLb0EESZ_EEDaSU_SV_EUlSU_E_NS1_11comp_targetILNS1_3genE10ELNS1_11target_archE1201ELNS1_3gpuE5ELNS1_3repE0EEENS1_30default_config_static_selectorELNS0_4arch9wavefront6targetE1EEEvT1_: ; @_ZN7rocprim17ROCPRIM_400000_NS6detail17trampoline_kernelINS0_14default_configENS1_33run_length_encode_config_selectorIijNS0_4plusIjEEEEZZNS1_33reduce_by_key_impl_wrapped_configILNS1_25lookback_scan_determinismE0ES3_S7_PKiNS0_17constant_iteratorIjlEEPiPlSF_S6_NS0_8equal_toIiEEEE10hipError_tPvRmT2_T3_mT4_T5_T6_T7_T8_P12ihipStream_tbENKUlT_T0_E_clISt17integral_constantIbLb0EESZ_EEDaSU_SV_EUlSU_E_NS1_11comp_targetILNS1_3genE10ELNS1_11target_archE1201ELNS1_3gpuE5ELNS1_3repE0EEENS1_30default_config_static_selectorELNS0_4arch9wavefront6targetE1EEEvT1_
; %bb.0:
	.section	.rodata,"a",@progbits
	.p2align	6, 0x0
	.amdhsa_kernel _ZN7rocprim17ROCPRIM_400000_NS6detail17trampoline_kernelINS0_14default_configENS1_33run_length_encode_config_selectorIijNS0_4plusIjEEEEZZNS1_33reduce_by_key_impl_wrapped_configILNS1_25lookback_scan_determinismE0ES3_S7_PKiNS0_17constant_iteratorIjlEEPiPlSF_S6_NS0_8equal_toIiEEEE10hipError_tPvRmT2_T3_mT4_T5_T6_T7_T8_P12ihipStream_tbENKUlT_T0_E_clISt17integral_constantIbLb0EESZ_EEDaSU_SV_EUlSU_E_NS1_11comp_targetILNS1_3genE10ELNS1_11target_archE1201ELNS1_3gpuE5ELNS1_3repE0EEENS1_30default_config_static_selectorELNS0_4arch9wavefront6targetE1EEEvT1_
		.amdhsa_group_segment_fixed_size 0
		.amdhsa_private_segment_fixed_size 0
		.amdhsa_kernarg_size 128
		.amdhsa_user_sgpr_count 6
		.amdhsa_user_sgpr_private_segment_buffer 1
		.amdhsa_user_sgpr_dispatch_ptr 0
		.amdhsa_user_sgpr_queue_ptr 0
		.amdhsa_user_sgpr_kernarg_segment_ptr 1
		.amdhsa_user_sgpr_dispatch_id 0
		.amdhsa_user_sgpr_flat_scratch_init 0
		.amdhsa_user_sgpr_kernarg_preload_length 0
		.amdhsa_user_sgpr_kernarg_preload_offset 0
		.amdhsa_user_sgpr_private_segment_size 0
		.amdhsa_uses_dynamic_stack 0
		.amdhsa_system_sgpr_private_segment_wavefront_offset 0
		.amdhsa_system_sgpr_workgroup_id_x 1
		.amdhsa_system_sgpr_workgroup_id_y 0
		.amdhsa_system_sgpr_workgroup_id_z 0
		.amdhsa_system_sgpr_workgroup_info 0
		.amdhsa_system_vgpr_workitem_id 0
		.amdhsa_next_free_vgpr 1
		.amdhsa_next_free_sgpr 0
		.amdhsa_accum_offset 4
		.amdhsa_reserve_vcc 0
		.amdhsa_reserve_flat_scratch 0
		.amdhsa_float_round_mode_32 0
		.amdhsa_float_round_mode_16_64 0
		.amdhsa_float_denorm_mode_32 3
		.amdhsa_float_denorm_mode_16_64 3
		.amdhsa_dx10_clamp 1
		.amdhsa_ieee_mode 1
		.amdhsa_fp16_overflow 0
		.amdhsa_tg_split 0
		.amdhsa_exception_fp_ieee_invalid_op 0
		.amdhsa_exception_fp_denorm_src 0
		.amdhsa_exception_fp_ieee_div_zero 0
		.amdhsa_exception_fp_ieee_overflow 0
		.amdhsa_exception_fp_ieee_underflow 0
		.amdhsa_exception_fp_ieee_inexact 0
		.amdhsa_exception_int_div_zero 0
	.end_amdhsa_kernel
	.section	.text._ZN7rocprim17ROCPRIM_400000_NS6detail17trampoline_kernelINS0_14default_configENS1_33run_length_encode_config_selectorIijNS0_4plusIjEEEEZZNS1_33reduce_by_key_impl_wrapped_configILNS1_25lookback_scan_determinismE0ES3_S7_PKiNS0_17constant_iteratorIjlEEPiPlSF_S6_NS0_8equal_toIiEEEE10hipError_tPvRmT2_T3_mT4_T5_T6_T7_T8_P12ihipStream_tbENKUlT_T0_E_clISt17integral_constantIbLb0EESZ_EEDaSU_SV_EUlSU_E_NS1_11comp_targetILNS1_3genE10ELNS1_11target_archE1201ELNS1_3gpuE5ELNS1_3repE0EEENS1_30default_config_static_selectorELNS0_4arch9wavefront6targetE1EEEvT1_,"axG",@progbits,_ZN7rocprim17ROCPRIM_400000_NS6detail17trampoline_kernelINS0_14default_configENS1_33run_length_encode_config_selectorIijNS0_4plusIjEEEEZZNS1_33reduce_by_key_impl_wrapped_configILNS1_25lookback_scan_determinismE0ES3_S7_PKiNS0_17constant_iteratorIjlEEPiPlSF_S6_NS0_8equal_toIiEEEE10hipError_tPvRmT2_T3_mT4_T5_T6_T7_T8_P12ihipStream_tbENKUlT_T0_E_clISt17integral_constantIbLb0EESZ_EEDaSU_SV_EUlSU_E_NS1_11comp_targetILNS1_3genE10ELNS1_11target_archE1201ELNS1_3gpuE5ELNS1_3repE0EEENS1_30default_config_static_selectorELNS0_4arch9wavefront6targetE1EEEvT1_,comdat
.Lfunc_end447:
	.size	_ZN7rocprim17ROCPRIM_400000_NS6detail17trampoline_kernelINS0_14default_configENS1_33run_length_encode_config_selectorIijNS0_4plusIjEEEEZZNS1_33reduce_by_key_impl_wrapped_configILNS1_25lookback_scan_determinismE0ES3_S7_PKiNS0_17constant_iteratorIjlEEPiPlSF_S6_NS0_8equal_toIiEEEE10hipError_tPvRmT2_T3_mT4_T5_T6_T7_T8_P12ihipStream_tbENKUlT_T0_E_clISt17integral_constantIbLb0EESZ_EEDaSU_SV_EUlSU_E_NS1_11comp_targetILNS1_3genE10ELNS1_11target_archE1201ELNS1_3gpuE5ELNS1_3repE0EEENS1_30default_config_static_selectorELNS0_4arch9wavefront6targetE1EEEvT1_, .Lfunc_end447-_ZN7rocprim17ROCPRIM_400000_NS6detail17trampoline_kernelINS0_14default_configENS1_33run_length_encode_config_selectorIijNS0_4plusIjEEEEZZNS1_33reduce_by_key_impl_wrapped_configILNS1_25lookback_scan_determinismE0ES3_S7_PKiNS0_17constant_iteratorIjlEEPiPlSF_S6_NS0_8equal_toIiEEEE10hipError_tPvRmT2_T3_mT4_T5_T6_T7_T8_P12ihipStream_tbENKUlT_T0_E_clISt17integral_constantIbLb0EESZ_EEDaSU_SV_EUlSU_E_NS1_11comp_targetILNS1_3genE10ELNS1_11target_archE1201ELNS1_3gpuE5ELNS1_3repE0EEENS1_30default_config_static_selectorELNS0_4arch9wavefront6targetE1EEEvT1_
                                        ; -- End function
	.section	.AMDGPU.csdata,"",@progbits
; Kernel info:
; codeLenInByte = 0
; NumSgprs: 4
; NumVgprs: 0
; NumAgprs: 0
; TotalNumVgprs: 0
; ScratchSize: 0
; MemoryBound: 0
; FloatMode: 240
; IeeeMode: 1
; LDSByteSize: 0 bytes/workgroup (compile time only)
; SGPRBlocks: 0
; VGPRBlocks: 0
; NumSGPRsForWavesPerEU: 4
; NumVGPRsForWavesPerEU: 1
; AccumOffset: 4
; Occupancy: 8
; WaveLimiterHint : 0
; COMPUTE_PGM_RSRC2:SCRATCH_EN: 0
; COMPUTE_PGM_RSRC2:USER_SGPR: 6
; COMPUTE_PGM_RSRC2:TRAP_HANDLER: 0
; COMPUTE_PGM_RSRC2:TGID_X_EN: 1
; COMPUTE_PGM_RSRC2:TGID_Y_EN: 0
; COMPUTE_PGM_RSRC2:TGID_Z_EN: 0
; COMPUTE_PGM_RSRC2:TIDIG_COMP_CNT: 0
; COMPUTE_PGM_RSRC3_GFX90A:ACCUM_OFFSET: 0
; COMPUTE_PGM_RSRC3_GFX90A:TG_SPLIT: 0
	.section	.text._ZN7rocprim17ROCPRIM_400000_NS6detail17trampoline_kernelINS0_14default_configENS1_33run_length_encode_config_selectorIijNS0_4plusIjEEEEZZNS1_33reduce_by_key_impl_wrapped_configILNS1_25lookback_scan_determinismE0ES3_S7_PKiNS0_17constant_iteratorIjlEEPiPlSF_S6_NS0_8equal_toIiEEEE10hipError_tPvRmT2_T3_mT4_T5_T6_T7_T8_P12ihipStream_tbENKUlT_T0_E_clISt17integral_constantIbLb0EESZ_EEDaSU_SV_EUlSU_E_NS1_11comp_targetILNS1_3genE10ELNS1_11target_archE1200ELNS1_3gpuE4ELNS1_3repE0EEENS1_30default_config_static_selectorELNS0_4arch9wavefront6targetE1EEEvT1_,"axG",@progbits,_ZN7rocprim17ROCPRIM_400000_NS6detail17trampoline_kernelINS0_14default_configENS1_33run_length_encode_config_selectorIijNS0_4plusIjEEEEZZNS1_33reduce_by_key_impl_wrapped_configILNS1_25lookback_scan_determinismE0ES3_S7_PKiNS0_17constant_iteratorIjlEEPiPlSF_S6_NS0_8equal_toIiEEEE10hipError_tPvRmT2_T3_mT4_T5_T6_T7_T8_P12ihipStream_tbENKUlT_T0_E_clISt17integral_constantIbLb0EESZ_EEDaSU_SV_EUlSU_E_NS1_11comp_targetILNS1_3genE10ELNS1_11target_archE1200ELNS1_3gpuE4ELNS1_3repE0EEENS1_30default_config_static_selectorELNS0_4arch9wavefront6targetE1EEEvT1_,comdat
	.protected	_ZN7rocprim17ROCPRIM_400000_NS6detail17trampoline_kernelINS0_14default_configENS1_33run_length_encode_config_selectorIijNS0_4plusIjEEEEZZNS1_33reduce_by_key_impl_wrapped_configILNS1_25lookback_scan_determinismE0ES3_S7_PKiNS0_17constant_iteratorIjlEEPiPlSF_S6_NS0_8equal_toIiEEEE10hipError_tPvRmT2_T3_mT4_T5_T6_T7_T8_P12ihipStream_tbENKUlT_T0_E_clISt17integral_constantIbLb0EESZ_EEDaSU_SV_EUlSU_E_NS1_11comp_targetILNS1_3genE10ELNS1_11target_archE1200ELNS1_3gpuE4ELNS1_3repE0EEENS1_30default_config_static_selectorELNS0_4arch9wavefront6targetE1EEEvT1_ ; -- Begin function _ZN7rocprim17ROCPRIM_400000_NS6detail17trampoline_kernelINS0_14default_configENS1_33run_length_encode_config_selectorIijNS0_4plusIjEEEEZZNS1_33reduce_by_key_impl_wrapped_configILNS1_25lookback_scan_determinismE0ES3_S7_PKiNS0_17constant_iteratorIjlEEPiPlSF_S6_NS0_8equal_toIiEEEE10hipError_tPvRmT2_T3_mT4_T5_T6_T7_T8_P12ihipStream_tbENKUlT_T0_E_clISt17integral_constantIbLb0EESZ_EEDaSU_SV_EUlSU_E_NS1_11comp_targetILNS1_3genE10ELNS1_11target_archE1200ELNS1_3gpuE4ELNS1_3repE0EEENS1_30default_config_static_selectorELNS0_4arch9wavefront6targetE1EEEvT1_
	.globl	_ZN7rocprim17ROCPRIM_400000_NS6detail17trampoline_kernelINS0_14default_configENS1_33run_length_encode_config_selectorIijNS0_4plusIjEEEEZZNS1_33reduce_by_key_impl_wrapped_configILNS1_25lookback_scan_determinismE0ES3_S7_PKiNS0_17constant_iteratorIjlEEPiPlSF_S6_NS0_8equal_toIiEEEE10hipError_tPvRmT2_T3_mT4_T5_T6_T7_T8_P12ihipStream_tbENKUlT_T0_E_clISt17integral_constantIbLb0EESZ_EEDaSU_SV_EUlSU_E_NS1_11comp_targetILNS1_3genE10ELNS1_11target_archE1200ELNS1_3gpuE4ELNS1_3repE0EEENS1_30default_config_static_selectorELNS0_4arch9wavefront6targetE1EEEvT1_
	.p2align	8
	.type	_ZN7rocprim17ROCPRIM_400000_NS6detail17trampoline_kernelINS0_14default_configENS1_33run_length_encode_config_selectorIijNS0_4plusIjEEEEZZNS1_33reduce_by_key_impl_wrapped_configILNS1_25lookback_scan_determinismE0ES3_S7_PKiNS0_17constant_iteratorIjlEEPiPlSF_S6_NS0_8equal_toIiEEEE10hipError_tPvRmT2_T3_mT4_T5_T6_T7_T8_P12ihipStream_tbENKUlT_T0_E_clISt17integral_constantIbLb0EESZ_EEDaSU_SV_EUlSU_E_NS1_11comp_targetILNS1_3genE10ELNS1_11target_archE1200ELNS1_3gpuE4ELNS1_3repE0EEENS1_30default_config_static_selectorELNS0_4arch9wavefront6targetE1EEEvT1_,@function
_ZN7rocprim17ROCPRIM_400000_NS6detail17trampoline_kernelINS0_14default_configENS1_33run_length_encode_config_selectorIijNS0_4plusIjEEEEZZNS1_33reduce_by_key_impl_wrapped_configILNS1_25lookback_scan_determinismE0ES3_S7_PKiNS0_17constant_iteratorIjlEEPiPlSF_S6_NS0_8equal_toIiEEEE10hipError_tPvRmT2_T3_mT4_T5_T6_T7_T8_P12ihipStream_tbENKUlT_T0_E_clISt17integral_constantIbLb0EESZ_EEDaSU_SV_EUlSU_E_NS1_11comp_targetILNS1_3genE10ELNS1_11target_archE1200ELNS1_3gpuE4ELNS1_3repE0EEENS1_30default_config_static_selectorELNS0_4arch9wavefront6targetE1EEEvT1_: ; @_ZN7rocprim17ROCPRIM_400000_NS6detail17trampoline_kernelINS0_14default_configENS1_33run_length_encode_config_selectorIijNS0_4plusIjEEEEZZNS1_33reduce_by_key_impl_wrapped_configILNS1_25lookback_scan_determinismE0ES3_S7_PKiNS0_17constant_iteratorIjlEEPiPlSF_S6_NS0_8equal_toIiEEEE10hipError_tPvRmT2_T3_mT4_T5_T6_T7_T8_P12ihipStream_tbENKUlT_T0_E_clISt17integral_constantIbLb0EESZ_EEDaSU_SV_EUlSU_E_NS1_11comp_targetILNS1_3genE10ELNS1_11target_archE1200ELNS1_3gpuE4ELNS1_3repE0EEENS1_30default_config_static_selectorELNS0_4arch9wavefront6targetE1EEEvT1_
; %bb.0:
	.section	.rodata,"a",@progbits
	.p2align	6, 0x0
	.amdhsa_kernel _ZN7rocprim17ROCPRIM_400000_NS6detail17trampoline_kernelINS0_14default_configENS1_33run_length_encode_config_selectorIijNS0_4plusIjEEEEZZNS1_33reduce_by_key_impl_wrapped_configILNS1_25lookback_scan_determinismE0ES3_S7_PKiNS0_17constant_iteratorIjlEEPiPlSF_S6_NS0_8equal_toIiEEEE10hipError_tPvRmT2_T3_mT4_T5_T6_T7_T8_P12ihipStream_tbENKUlT_T0_E_clISt17integral_constantIbLb0EESZ_EEDaSU_SV_EUlSU_E_NS1_11comp_targetILNS1_3genE10ELNS1_11target_archE1200ELNS1_3gpuE4ELNS1_3repE0EEENS1_30default_config_static_selectorELNS0_4arch9wavefront6targetE1EEEvT1_
		.amdhsa_group_segment_fixed_size 0
		.amdhsa_private_segment_fixed_size 0
		.amdhsa_kernarg_size 128
		.amdhsa_user_sgpr_count 6
		.amdhsa_user_sgpr_private_segment_buffer 1
		.amdhsa_user_sgpr_dispatch_ptr 0
		.amdhsa_user_sgpr_queue_ptr 0
		.amdhsa_user_sgpr_kernarg_segment_ptr 1
		.amdhsa_user_sgpr_dispatch_id 0
		.amdhsa_user_sgpr_flat_scratch_init 0
		.amdhsa_user_sgpr_kernarg_preload_length 0
		.amdhsa_user_sgpr_kernarg_preload_offset 0
		.amdhsa_user_sgpr_private_segment_size 0
		.amdhsa_uses_dynamic_stack 0
		.amdhsa_system_sgpr_private_segment_wavefront_offset 0
		.amdhsa_system_sgpr_workgroup_id_x 1
		.amdhsa_system_sgpr_workgroup_id_y 0
		.amdhsa_system_sgpr_workgroup_id_z 0
		.amdhsa_system_sgpr_workgroup_info 0
		.amdhsa_system_vgpr_workitem_id 0
		.amdhsa_next_free_vgpr 1
		.amdhsa_next_free_sgpr 0
		.amdhsa_accum_offset 4
		.amdhsa_reserve_vcc 0
		.amdhsa_reserve_flat_scratch 0
		.amdhsa_float_round_mode_32 0
		.amdhsa_float_round_mode_16_64 0
		.amdhsa_float_denorm_mode_32 3
		.amdhsa_float_denorm_mode_16_64 3
		.amdhsa_dx10_clamp 1
		.amdhsa_ieee_mode 1
		.amdhsa_fp16_overflow 0
		.amdhsa_tg_split 0
		.amdhsa_exception_fp_ieee_invalid_op 0
		.amdhsa_exception_fp_denorm_src 0
		.amdhsa_exception_fp_ieee_div_zero 0
		.amdhsa_exception_fp_ieee_overflow 0
		.amdhsa_exception_fp_ieee_underflow 0
		.amdhsa_exception_fp_ieee_inexact 0
		.amdhsa_exception_int_div_zero 0
	.end_amdhsa_kernel
	.section	.text._ZN7rocprim17ROCPRIM_400000_NS6detail17trampoline_kernelINS0_14default_configENS1_33run_length_encode_config_selectorIijNS0_4plusIjEEEEZZNS1_33reduce_by_key_impl_wrapped_configILNS1_25lookback_scan_determinismE0ES3_S7_PKiNS0_17constant_iteratorIjlEEPiPlSF_S6_NS0_8equal_toIiEEEE10hipError_tPvRmT2_T3_mT4_T5_T6_T7_T8_P12ihipStream_tbENKUlT_T0_E_clISt17integral_constantIbLb0EESZ_EEDaSU_SV_EUlSU_E_NS1_11comp_targetILNS1_3genE10ELNS1_11target_archE1200ELNS1_3gpuE4ELNS1_3repE0EEENS1_30default_config_static_selectorELNS0_4arch9wavefront6targetE1EEEvT1_,"axG",@progbits,_ZN7rocprim17ROCPRIM_400000_NS6detail17trampoline_kernelINS0_14default_configENS1_33run_length_encode_config_selectorIijNS0_4plusIjEEEEZZNS1_33reduce_by_key_impl_wrapped_configILNS1_25lookback_scan_determinismE0ES3_S7_PKiNS0_17constant_iteratorIjlEEPiPlSF_S6_NS0_8equal_toIiEEEE10hipError_tPvRmT2_T3_mT4_T5_T6_T7_T8_P12ihipStream_tbENKUlT_T0_E_clISt17integral_constantIbLb0EESZ_EEDaSU_SV_EUlSU_E_NS1_11comp_targetILNS1_3genE10ELNS1_11target_archE1200ELNS1_3gpuE4ELNS1_3repE0EEENS1_30default_config_static_selectorELNS0_4arch9wavefront6targetE1EEEvT1_,comdat
.Lfunc_end448:
	.size	_ZN7rocprim17ROCPRIM_400000_NS6detail17trampoline_kernelINS0_14default_configENS1_33run_length_encode_config_selectorIijNS0_4plusIjEEEEZZNS1_33reduce_by_key_impl_wrapped_configILNS1_25lookback_scan_determinismE0ES3_S7_PKiNS0_17constant_iteratorIjlEEPiPlSF_S6_NS0_8equal_toIiEEEE10hipError_tPvRmT2_T3_mT4_T5_T6_T7_T8_P12ihipStream_tbENKUlT_T0_E_clISt17integral_constantIbLb0EESZ_EEDaSU_SV_EUlSU_E_NS1_11comp_targetILNS1_3genE10ELNS1_11target_archE1200ELNS1_3gpuE4ELNS1_3repE0EEENS1_30default_config_static_selectorELNS0_4arch9wavefront6targetE1EEEvT1_, .Lfunc_end448-_ZN7rocprim17ROCPRIM_400000_NS6detail17trampoline_kernelINS0_14default_configENS1_33run_length_encode_config_selectorIijNS0_4plusIjEEEEZZNS1_33reduce_by_key_impl_wrapped_configILNS1_25lookback_scan_determinismE0ES3_S7_PKiNS0_17constant_iteratorIjlEEPiPlSF_S6_NS0_8equal_toIiEEEE10hipError_tPvRmT2_T3_mT4_T5_T6_T7_T8_P12ihipStream_tbENKUlT_T0_E_clISt17integral_constantIbLb0EESZ_EEDaSU_SV_EUlSU_E_NS1_11comp_targetILNS1_3genE10ELNS1_11target_archE1200ELNS1_3gpuE4ELNS1_3repE0EEENS1_30default_config_static_selectorELNS0_4arch9wavefront6targetE1EEEvT1_
                                        ; -- End function
	.section	.AMDGPU.csdata,"",@progbits
; Kernel info:
; codeLenInByte = 0
; NumSgprs: 4
; NumVgprs: 0
; NumAgprs: 0
; TotalNumVgprs: 0
; ScratchSize: 0
; MemoryBound: 0
; FloatMode: 240
; IeeeMode: 1
; LDSByteSize: 0 bytes/workgroup (compile time only)
; SGPRBlocks: 0
; VGPRBlocks: 0
; NumSGPRsForWavesPerEU: 4
; NumVGPRsForWavesPerEU: 1
; AccumOffset: 4
; Occupancy: 8
; WaveLimiterHint : 0
; COMPUTE_PGM_RSRC2:SCRATCH_EN: 0
; COMPUTE_PGM_RSRC2:USER_SGPR: 6
; COMPUTE_PGM_RSRC2:TRAP_HANDLER: 0
; COMPUTE_PGM_RSRC2:TGID_X_EN: 1
; COMPUTE_PGM_RSRC2:TGID_Y_EN: 0
; COMPUTE_PGM_RSRC2:TGID_Z_EN: 0
; COMPUTE_PGM_RSRC2:TIDIG_COMP_CNT: 0
; COMPUTE_PGM_RSRC3_GFX90A:ACCUM_OFFSET: 0
; COMPUTE_PGM_RSRC3_GFX90A:TG_SPLIT: 0
	.section	.text._ZN7rocprim17ROCPRIM_400000_NS6detail17trampoline_kernelINS0_14default_configENS1_33run_length_encode_config_selectorIijNS0_4plusIjEEEEZZNS1_33reduce_by_key_impl_wrapped_configILNS1_25lookback_scan_determinismE0ES3_S7_PKiNS0_17constant_iteratorIjlEEPiPlSF_S6_NS0_8equal_toIiEEEE10hipError_tPvRmT2_T3_mT4_T5_T6_T7_T8_P12ihipStream_tbENKUlT_T0_E_clISt17integral_constantIbLb0EESZ_EEDaSU_SV_EUlSU_E_NS1_11comp_targetILNS1_3genE9ELNS1_11target_archE1100ELNS1_3gpuE3ELNS1_3repE0EEENS1_30default_config_static_selectorELNS0_4arch9wavefront6targetE1EEEvT1_,"axG",@progbits,_ZN7rocprim17ROCPRIM_400000_NS6detail17trampoline_kernelINS0_14default_configENS1_33run_length_encode_config_selectorIijNS0_4plusIjEEEEZZNS1_33reduce_by_key_impl_wrapped_configILNS1_25lookback_scan_determinismE0ES3_S7_PKiNS0_17constant_iteratorIjlEEPiPlSF_S6_NS0_8equal_toIiEEEE10hipError_tPvRmT2_T3_mT4_T5_T6_T7_T8_P12ihipStream_tbENKUlT_T0_E_clISt17integral_constantIbLb0EESZ_EEDaSU_SV_EUlSU_E_NS1_11comp_targetILNS1_3genE9ELNS1_11target_archE1100ELNS1_3gpuE3ELNS1_3repE0EEENS1_30default_config_static_selectorELNS0_4arch9wavefront6targetE1EEEvT1_,comdat
	.protected	_ZN7rocprim17ROCPRIM_400000_NS6detail17trampoline_kernelINS0_14default_configENS1_33run_length_encode_config_selectorIijNS0_4plusIjEEEEZZNS1_33reduce_by_key_impl_wrapped_configILNS1_25lookback_scan_determinismE0ES3_S7_PKiNS0_17constant_iteratorIjlEEPiPlSF_S6_NS0_8equal_toIiEEEE10hipError_tPvRmT2_T3_mT4_T5_T6_T7_T8_P12ihipStream_tbENKUlT_T0_E_clISt17integral_constantIbLb0EESZ_EEDaSU_SV_EUlSU_E_NS1_11comp_targetILNS1_3genE9ELNS1_11target_archE1100ELNS1_3gpuE3ELNS1_3repE0EEENS1_30default_config_static_selectorELNS0_4arch9wavefront6targetE1EEEvT1_ ; -- Begin function _ZN7rocprim17ROCPRIM_400000_NS6detail17trampoline_kernelINS0_14default_configENS1_33run_length_encode_config_selectorIijNS0_4plusIjEEEEZZNS1_33reduce_by_key_impl_wrapped_configILNS1_25lookback_scan_determinismE0ES3_S7_PKiNS0_17constant_iteratorIjlEEPiPlSF_S6_NS0_8equal_toIiEEEE10hipError_tPvRmT2_T3_mT4_T5_T6_T7_T8_P12ihipStream_tbENKUlT_T0_E_clISt17integral_constantIbLb0EESZ_EEDaSU_SV_EUlSU_E_NS1_11comp_targetILNS1_3genE9ELNS1_11target_archE1100ELNS1_3gpuE3ELNS1_3repE0EEENS1_30default_config_static_selectorELNS0_4arch9wavefront6targetE1EEEvT1_
	.globl	_ZN7rocprim17ROCPRIM_400000_NS6detail17trampoline_kernelINS0_14default_configENS1_33run_length_encode_config_selectorIijNS0_4plusIjEEEEZZNS1_33reduce_by_key_impl_wrapped_configILNS1_25lookback_scan_determinismE0ES3_S7_PKiNS0_17constant_iteratorIjlEEPiPlSF_S6_NS0_8equal_toIiEEEE10hipError_tPvRmT2_T3_mT4_T5_T6_T7_T8_P12ihipStream_tbENKUlT_T0_E_clISt17integral_constantIbLb0EESZ_EEDaSU_SV_EUlSU_E_NS1_11comp_targetILNS1_3genE9ELNS1_11target_archE1100ELNS1_3gpuE3ELNS1_3repE0EEENS1_30default_config_static_selectorELNS0_4arch9wavefront6targetE1EEEvT1_
	.p2align	8
	.type	_ZN7rocprim17ROCPRIM_400000_NS6detail17trampoline_kernelINS0_14default_configENS1_33run_length_encode_config_selectorIijNS0_4plusIjEEEEZZNS1_33reduce_by_key_impl_wrapped_configILNS1_25lookback_scan_determinismE0ES3_S7_PKiNS0_17constant_iteratorIjlEEPiPlSF_S6_NS0_8equal_toIiEEEE10hipError_tPvRmT2_T3_mT4_T5_T6_T7_T8_P12ihipStream_tbENKUlT_T0_E_clISt17integral_constantIbLb0EESZ_EEDaSU_SV_EUlSU_E_NS1_11comp_targetILNS1_3genE9ELNS1_11target_archE1100ELNS1_3gpuE3ELNS1_3repE0EEENS1_30default_config_static_selectorELNS0_4arch9wavefront6targetE1EEEvT1_,@function
_ZN7rocprim17ROCPRIM_400000_NS6detail17trampoline_kernelINS0_14default_configENS1_33run_length_encode_config_selectorIijNS0_4plusIjEEEEZZNS1_33reduce_by_key_impl_wrapped_configILNS1_25lookback_scan_determinismE0ES3_S7_PKiNS0_17constant_iteratorIjlEEPiPlSF_S6_NS0_8equal_toIiEEEE10hipError_tPvRmT2_T3_mT4_T5_T6_T7_T8_P12ihipStream_tbENKUlT_T0_E_clISt17integral_constantIbLb0EESZ_EEDaSU_SV_EUlSU_E_NS1_11comp_targetILNS1_3genE9ELNS1_11target_archE1100ELNS1_3gpuE3ELNS1_3repE0EEENS1_30default_config_static_selectorELNS0_4arch9wavefront6targetE1EEEvT1_: ; @_ZN7rocprim17ROCPRIM_400000_NS6detail17trampoline_kernelINS0_14default_configENS1_33run_length_encode_config_selectorIijNS0_4plusIjEEEEZZNS1_33reduce_by_key_impl_wrapped_configILNS1_25lookback_scan_determinismE0ES3_S7_PKiNS0_17constant_iteratorIjlEEPiPlSF_S6_NS0_8equal_toIiEEEE10hipError_tPvRmT2_T3_mT4_T5_T6_T7_T8_P12ihipStream_tbENKUlT_T0_E_clISt17integral_constantIbLb0EESZ_EEDaSU_SV_EUlSU_E_NS1_11comp_targetILNS1_3genE9ELNS1_11target_archE1100ELNS1_3gpuE3ELNS1_3repE0EEENS1_30default_config_static_selectorELNS0_4arch9wavefront6targetE1EEEvT1_
; %bb.0:
	.section	.rodata,"a",@progbits
	.p2align	6, 0x0
	.amdhsa_kernel _ZN7rocprim17ROCPRIM_400000_NS6detail17trampoline_kernelINS0_14default_configENS1_33run_length_encode_config_selectorIijNS0_4plusIjEEEEZZNS1_33reduce_by_key_impl_wrapped_configILNS1_25lookback_scan_determinismE0ES3_S7_PKiNS0_17constant_iteratorIjlEEPiPlSF_S6_NS0_8equal_toIiEEEE10hipError_tPvRmT2_T3_mT4_T5_T6_T7_T8_P12ihipStream_tbENKUlT_T0_E_clISt17integral_constantIbLb0EESZ_EEDaSU_SV_EUlSU_E_NS1_11comp_targetILNS1_3genE9ELNS1_11target_archE1100ELNS1_3gpuE3ELNS1_3repE0EEENS1_30default_config_static_selectorELNS0_4arch9wavefront6targetE1EEEvT1_
		.amdhsa_group_segment_fixed_size 0
		.amdhsa_private_segment_fixed_size 0
		.amdhsa_kernarg_size 128
		.amdhsa_user_sgpr_count 6
		.amdhsa_user_sgpr_private_segment_buffer 1
		.amdhsa_user_sgpr_dispatch_ptr 0
		.amdhsa_user_sgpr_queue_ptr 0
		.amdhsa_user_sgpr_kernarg_segment_ptr 1
		.amdhsa_user_sgpr_dispatch_id 0
		.amdhsa_user_sgpr_flat_scratch_init 0
		.amdhsa_user_sgpr_kernarg_preload_length 0
		.amdhsa_user_sgpr_kernarg_preload_offset 0
		.amdhsa_user_sgpr_private_segment_size 0
		.amdhsa_uses_dynamic_stack 0
		.amdhsa_system_sgpr_private_segment_wavefront_offset 0
		.amdhsa_system_sgpr_workgroup_id_x 1
		.amdhsa_system_sgpr_workgroup_id_y 0
		.amdhsa_system_sgpr_workgroup_id_z 0
		.amdhsa_system_sgpr_workgroup_info 0
		.amdhsa_system_vgpr_workitem_id 0
		.amdhsa_next_free_vgpr 1
		.amdhsa_next_free_sgpr 0
		.amdhsa_accum_offset 4
		.amdhsa_reserve_vcc 0
		.amdhsa_reserve_flat_scratch 0
		.amdhsa_float_round_mode_32 0
		.amdhsa_float_round_mode_16_64 0
		.amdhsa_float_denorm_mode_32 3
		.amdhsa_float_denorm_mode_16_64 3
		.amdhsa_dx10_clamp 1
		.amdhsa_ieee_mode 1
		.amdhsa_fp16_overflow 0
		.amdhsa_tg_split 0
		.amdhsa_exception_fp_ieee_invalid_op 0
		.amdhsa_exception_fp_denorm_src 0
		.amdhsa_exception_fp_ieee_div_zero 0
		.amdhsa_exception_fp_ieee_overflow 0
		.amdhsa_exception_fp_ieee_underflow 0
		.amdhsa_exception_fp_ieee_inexact 0
		.amdhsa_exception_int_div_zero 0
	.end_amdhsa_kernel
	.section	.text._ZN7rocprim17ROCPRIM_400000_NS6detail17trampoline_kernelINS0_14default_configENS1_33run_length_encode_config_selectorIijNS0_4plusIjEEEEZZNS1_33reduce_by_key_impl_wrapped_configILNS1_25lookback_scan_determinismE0ES3_S7_PKiNS0_17constant_iteratorIjlEEPiPlSF_S6_NS0_8equal_toIiEEEE10hipError_tPvRmT2_T3_mT4_T5_T6_T7_T8_P12ihipStream_tbENKUlT_T0_E_clISt17integral_constantIbLb0EESZ_EEDaSU_SV_EUlSU_E_NS1_11comp_targetILNS1_3genE9ELNS1_11target_archE1100ELNS1_3gpuE3ELNS1_3repE0EEENS1_30default_config_static_selectorELNS0_4arch9wavefront6targetE1EEEvT1_,"axG",@progbits,_ZN7rocprim17ROCPRIM_400000_NS6detail17trampoline_kernelINS0_14default_configENS1_33run_length_encode_config_selectorIijNS0_4plusIjEEEEZZNS1_33reduce_by_key_impl_wrapped_configILNS1_25lookback_scan_determinismE0ES3_S7_PKiNS0_17constant_iteratorIjlEEPiPlSF_S6_NS0_8equal_toIiEEEE10hipError_tPvRmT2_T3_mT4_T5_T6_T7_T8_P12ihipStream_tbENKUlT_T0_E_clISt17integral_constantIbLb0EESZ_EEDaSU_SV_EUlSU_E_NS1_11comp_targetILNS1_3genE9ELNS1_11target_archE1100ELNS1_3gpuE3ELNS1_3repE0EEENS1_30default_config_static_selectorELNS0_4arch9wavefront6targetE1EEEvT1_,comdat
.Lfunc_end449:
	.size	_ZN7rocprim17ROCPRIM_400000_NS6detail17trampoline_kernelINS0_14default_configENS1_33run_length_encode_config_selectorIijNS0_4plusIjEEEEZZNS1_33reduce_by_key_impl_wrapped_configILNS1_25lookback_scan_determinismE0ES3_S7_PKiNS0_17constant_iteratorIjlEEPiPlSF_S6_NS0_8equal_toIiEEEE10hipError_tPvRmT2_T3_mT4_T5_T6_T7_T8_P12ihipStream_tbENKUlT_T0_E_clISt17integral_constantIbLb0EESZ_EEDaSU_SV_EUlSU_E_NS1_11comp_targetILNS1_3genE9ELNS1_11target_archE1100ELNS1_3gpuE3ELNS1_3repE0EEENS1_30default_config_static_selectorELNS0_4arch9wavefront6targetE1EEEvT1_, .Lfunc_end449-_ZN7rocprim17ROCPRIM_400000_NS6detail17trampoline_kernelINS0_14default_configENS1_33run_length_encode_config_selectorIijNS0_4plusIjEEEEZZNS1_33reduce_by_key_impl_wrapped_configILNS1_25lookback_scan_determinismE0ES3_S7_PKiNS0_17constant_iteratorIjlEEPiPlSF_S6_NS0_8equal_toIiEEEE10hipError_tPvRmT2_T3_mT4_T5_T6_T7_T8_P12ihipStream_tbENKUlT_T0_E_clISt17integral_constantIbLb0EESZ_EEDaSU_SV_EUlSU_E_NS1_11comp_targetILNS1_3genE9ELNS1_11target_archE1100ELNS1_3gpuE3ELNS1_3repE0EEENS1_30default_config_static_selectorELNS0_4arch9wavefront6targetE1EEEvT1_
                                        ; -- End function
	.section	.AMDGPU.csdata,"",@progbits
; Kernel info:
; codeLenInByte = 0
; NumSgprs: 4
; NumVgprs: 0
; NumAgprs: 0
; TotalNumVgprs: 0
; ScratchSize: 0
; MemoryBound: 0
; FloatMode: 240
; IeeeMode: 1
; LDSByteSize: 0 bytes/workgroup (compile time only)
; SGPRBlocks: 0
; VGPRBlocks: 0
; NumSGPRsForWavesPerEU: 4
; NumVGPRsForWavesPerEU: 1
; AccumOffset: 4
; Occupancy: 8
; WaveLimiterHint : 0
; COMPUTE_PGM_RSRC2:SCRATCH_EN: 0
; COMPUTE_PGM_RSRC2:USER_SGPR: 6
; COMPUTE_PGM_RSRC2:TRAP_HANDLER: 0
; COMPUTE_PGM_RSRC2:TGID_X_EN: 1
; COMPUTE_PGM_RSRC2:TGID_Y_EN: 0
; COMPUTE_PGM_RSRC2:TGID_Z_EN: 0
; COMPUTE_PGM_RSRC2:TIDIG_COMP_CNT: 0
; COMPUTE_PGM_RSRC3_GFX90A:ACCUM_OFFSET: 0
; COMPUTE_PGM_RSRC3_GFX90A:TG_SPLIT: 0
	.section	.text._ZN7rocprim17ROCPRIM_400000_NS6detail17trampoline_kernelINS0_14default_configENS1_33run_length_encode_config_selectorIijNS0_4plusIjEEEEZZNS1_33reduce_by_key_impl_wrapped_configILNS1_25lookback_scan_determinismE0ES3_S7_PKiNS0_17constant_iteratorIjlEEPiPlSF_S6_NS0_8equal_toIiEEEE10hipError_tPvRmT2_T3_mT4_T5_T6_T7_T8_P12ihipStream_tbENKUlT_T0_E_clISt17integral_constantIbLb0EESZ_EEDaSU_SV_EUlSU_E_NS1_11comp_targetILNS1_3genE8ELNS1_11target_archE1030ELNS1_3gpuE2ELNS1_3repE0EEENS1_30default_config_static_selectorELNS0_4arch9wavefront6targetE1EEEvT1_,"axG",@progbits,_ZN7rocprim17ROCPRIM_400000_NS6detail17trampoline_kernelINS0_14default_configENS1_33run_length_encode_config_selectorIijNS0_4plusIjEEEEZZNS1_33reduce_by_key_impl_wrapped_configILNS1_25lookback_scan_determinismE0ES3_S7_PKiNS0_17constant_iteratorIjlEEPiPlSF_S6_NS0_8equal_toIiEEEE10hipError_tPvRmT2_T3_mT4_T5_T6_T7_T8_P12ihipStream_tbENKUlT_T0_E_clISt17integral_constantIbLb0EESZ_EEDaSU_SV_EUlSU_E_NS1_11comp_targetILNS1_3genE8ELNS1_11target_archE1030ELNS1_3gpuE2ELNS1_3repE0EEENS1_30default_config_static_selectorELNS0_4arch9wavefront6targetE1EEEvT1_,comdat
	.protected	_ZN7rocprim17ROCPRIM_400000_NS6detail17trampoline_kernelINS0_14default_configENS1_33run_length_encode_config_selectorIijNS0_4plusIjEEEEZZNS1_33reduce_by_key_impl_wrapped_configILNS1_25lookback_scan_determinismE0ES3_S7_PKiNS0_17constant_iteratorIjlEEPiPlSF_S6_NS0_8equal_toIiEEEE10hipError_tPvRmT2_T3_mT4_T5_T6_T7_T8_P12ihipStream_tbENKUlT_T0_E_clISt17integral_constantIbLb0EESZ_EEDaSU_SV_EUlSU_E_NS1_11comp_targetILNS1_3genE8ELNS1_11target_archE1030ELNS1_3gpuE2ELNS1_3repE0EEENS1_30default_config_static_selectorELNS0_4arch9wavefront6targetE1EEEvT1_ ; -- Begin function _ZN7rocprim17ROCPRIM_400000_NS6detail17trampoline_kernelINS0_14default_configENS1_33run_length_encode_config_selectorIijNS0_4plusIjEEEEZZNS1_33reduce_by_key_impl_wrapped_configILNS1_25lookback_scan_determinismE0ES3_S7_PKiNS0_17constant_iteratorIjlEEPiPlSF_S6_NS0_8equal_toIiEEEE10hipError_tPvRmT2_T3_mT4_T5_T6_T7_T8_P12ihipStream_tbENKUlT_T0_E_clISt17integral_constantIbLb0EESZ_EEDaSU_SV_EUlSU_E_NS1_11comp_targetILNS1_3genE8ELNS1_11target_archE1030ELNS1_3gpuE2ELNS1_3repE0EEENS1_30default_config_static_selectorELNS0_4arch9wavefront6targetE1EEEvT1_
	.globl	_ZN7rocprim17ROCPRIM_400000_NS6detail17trampoline_kernelINS0_14default_configENS1_33run_length_encode_config_selectorIijNS0_4plusIjEEEEZZNS1_33reduce_by_key_impl_wrapped_configILNS1_25lookback_scan_determinismE0ES3_S7_PKiNS0_17constant_iteratorIjlEEPiPlSF_S6_NS0_8equal_toIiEEEE10hipError_tPvRmT2_T3_mT4_T5_T6_T7_T8_P12ihipStream_tbENKUlT_T0_E_clISt17integral_constantIbLb0EESZ_EEDaSU_SV_EUlSU_E_NS1_11comp_targetILNS1_3genE8ELNS1_11target_archE1030ELNS1_3gpuE2ELNS1_3repE0EEENS1_30default_config_static_selectorELNS0_4arch9wavefront6targetE1EEEvT1_
	.p2align	8
	.type	_ZN7rocprim17ROCPRIM_400000_NS6detail17trampoline_kernelINS0_14default_configENS1_33run_length_encode_config_selectorIijNS0_4plusIjEEEEZZNS1_33reduce_by_key_impl_wrapped_configILNS1_25lookback_scan_determinismE0ES3_S7_PKiNS0_17constant_iteratorIjlEEPiPlSF_S6_NS0_8equal_toIiEEEE10hipError_tPvRmT2_T3_mT4_T5_T6_T7_T8_P12ihipStream_tbENKUlT_T0_E_clISt17integral_constantIbLb0EESZ_EEDaSU_SV_EUlSU_E_NS1_11comp_targetILNS1_3genE8ELNS1_11target_archE1030ELNS1_3gpuE2ELNS1_3repE0EEENS1_30default_config_static_selectorELNS0_4arch9wavefront6targetE1EEEvT1_,@function
_ZN7rocprim17ROCPRIM_400000_NS6detail17trampoline_kernelINS0_14default_configENS1_33run_length_encode_config_selectorIijNS0_4plusIjEEEEZZNS1_33reduce_by_key_impl_wrapped_configILNS1_25lookback_scan_determinismE0ES3_S7_PKiNS0_17constant_iteratorIjlEEPiPlSF_S6_NS0_8equal_toIiEEEE10hipError_tPvRmT2_T3_mT4_T5_T6_T7_T8_P12ihipStream_tbENKUlT_T0_E_clISt17integral_constantIbLb0EESZ_EEDaSU_SV_EUlSU_E_NS1_11comp_targetILNS1_3genE8ELNS1_11target_archE1030ELNS1_3gpuE2ELNS1_3repE0EEENS1_30default_config_static_selectorELNS0_4arch9wavefront6targetE1EEEvT1_: ; @_ZN7rocprim17ROCPRIM_400000_NS6detail17trampoline_kernelINS0_14default_configENS1_33run_length_encode_config_selectorIijNS0_4plusIjEEEEZZNS1_33reduce_by_key_impl_wrapped_configILNS1_25lookback_scan_determinismE0ES3_S7_PKiNS0_17constant_iteratorIjlEEPiPlSF_S6_NS0_8equal_toIiEEEE10hipError_tPvRmT2_T3_mT4_T5_T6_T7_T8_P12ihipStream_tbENKUlT_T0_E_clISt17integral_constantIbLb0EESZ_EEDaSU_SV_EUlSU_E_NS1_11comp_targetILNS1_3genE8ELNS1_11target_archE1030ELNS1_3gpuE2ELNS1_3repE0EEENS1_30default_config_static_selectorELNS0_4arch9wavefront6targetE1EEEvT1_
; %bb.0:
	.section	.rodata,"a",@progbits
	.p2align	6, 0x0
	.amdhsa_kernel _ZN7rocprim17ROCPRIM_400000_NS6detail17trampoline_kernelINS0_14default_configENS1_33run_length_encode_config_selectorIijNS0_4plusIjEEEEZZNS1_33reduce_by_key_impl_wrapped_configILNS1_25lookback_scan_determinismE0ES3_S7_PKiNS0_17constant_iteratorIjlEEPiPlSF_S6_NS0_8equal_toIiEEEE10hipError_tPvRmT2_T3_mT4_T5_T6_T7_T8_P12ihipStream_tbENKUlT_T0_E_clISt17integral_constantIbLb0EESZ_EEDaSU_SV_EUlSU_E_NS1_11comp_targetILNS1_3genE8ELNS1_11target_archE1030ELNS1_3gpuE2ELNS1_3repE0EEENS1_30default_config_static_selectorELNS0_4arch9wavefront6targetE1EEEvT1_
		.amdhsa_group_segment_fixed_size 0
		.amdhsa_private_segment_fixed_size 0
		.amdhsa_kernarg_size 128
		.amdhsa_user_sgpr_count 6
		.amdhsa_user_sgpr_private_segment_buffer 1
		.amdhsa_user_sgpr_dispatch_ptr 0
		.amdhsa_user_sgpr_queue_ptr 0
		.amdhsa_user_sgpr_kernarg_segment_ptr 1
		.amdhsa_user_sgpr_dispatch_id 0
		.amdhsa_user_sgpr_flat_scratch_init 0
		.amdhsa_user_sgpr_kernarg_preload_length 0
		.amdhsa_user_sgpr_kernarg_preload_offset 0
		.amdhsa_user_sgpr_private_segment_size 0
		.amdhsa_uses_dynamic_stack 0
		.amdhsa_system_sgpr_private_segment_wavefront_offset 0
		.amdhsa_system_sgpr_workgroup_id_x 1
		.amdhsa_system_sgpr_workgroup_id_y 0
		.amdhsa_system_sgpr_workgroup_id_z 0
		.amdhsa_system_sgpr_workgroup_info 0
		.amdhsa_system_vgpr_workitem_id 0
		.amdhsa_next_free_vgpr 1
		.amdhsa_next_free_sgpr 0
		.amdhsa_accum_offset 4
		.amdhsa_reserve_vcc 0
		.amdhsa_reserve_flat_scratch 0
		.amdhsa_float_round_mode_32 0
		.amdhsa_float_round_mode_16_64 0
		.amdhsa_float_denorm_mode_32 3
		.amdhsa_float_denorm_mode_16_64 3
		.amdhsa_dx10_clamp 1
		.amdhsa_ieee_mode 1
		.amdhsa_fp16_overflow 0
		.amdhsa_tg_split 0
		.amdhsa_exception_fp_ieee_invalid_op 0
		.amdhsa_exception_fp_denorm_src 0
		.amdhsa_exception_fp_ieee_div_zero 0
		.amdhsa_exception_fp_ieee_overflow 0
		.amdhsa_exception_fp_ieee_underflow 0
		.amdhsa_exception_fp_ieee_inexact 0
		.amdhsa_exception_int_div_zero 0
	.end_amdhsa_kernel
	.section	.text._ZN7rocprim17ROCPRIM_400000_NS6detail17trampoline_kernelINS0_14default_configENS1_33run_length_encode_config_selectorIijNS0_4plusIjEEEEZZNS1_33reduce_by_key_impl_wrapped_configILNS1_25lookback_scan_determinismE0ES3_S7_PKiNS0_17constant_iteratorIjlEEPiPlSF_S6_NS0_8equal_toIiEEEE10hipError_tPvRmT2_T3_mT4_T5_T6_T7_T8_P12ihipStream_tbENKUlT_T0_E_clISt17integral_constantIbLb0EESZ_EEDaSU_SV_EUlSU_E_NS1_11comp_targetILNS1_3genE8ELNS1_11target_archE1030ELNS1_3gpuE2ELNS1_3repE0EEENS1_30default_config_static_selectorELNS0_4arch9wavefront6targetE1EEEvT1_,"axG",@progbits,_ZN7rocprim17ROCPRIM_400000_NS6detail17trampoline_kernelINS0_14default_configENS1_33run_length_encode_config_selectorIijNS0_4plusIjEEEEZZNS1_33reduce_by_key_impl_wrapped_configILNS1_25lookback_scan_determinismE0ES3_S7_PKiNS0_17constant_iteratorIjlEEPiPlSF_S6_NS0_8equal_toIiEEEE10hipError_tPvRmT2_T3_mT4_T5_T6_T7_T8_P12ihipStream_tbENKUlT_T0_E_clISt17integral_constantIbLb0EESZ_EEDaSU_SV_EUlSU_E_NS1_11comp_targetILNS1_3genE8ELNS1_11target_archE1030ELNS1_3gpuE2ELNS1_3repE0EEENS1_30default_config_static_selectorELNS0_4arch9wavefront6targetE1EEEvT1_,comdat
.Lfunc_end450:
	.size	_ZN7rocprim17ROCPRIM_400000_NS6detail17trampoline_kernelINS0_14default_configENS1_33run_length_encode_config_selectorIijNS0_4plusIjEEEEZZNS1_33reduce_by_key_impl_wrapped_configILNS1_25lookback_scan_determinismE0ES3_S7_PKiNS0_17constant_iteratorIjlEEPiPlSF_S6_NS0_8equal_toIiEEEE10hipError_tPvRmT2_T3_mT4_T5_T6_T7_T8_P12ihipStream_tbENKUlT_T0_E_clISt17integral_constantIbLb0EESZ_EEDaSU_SV_EUlSU_E_NS1_11comp_targetILNS1_3genE8ELNS1_11target_archE1030ELNS1_3gpuE2ELNS1_3repE0EEENS1_30default_config_static_selectorELNS0_4arch9wavefront6targetE1EEEvT1_, .Lfunc_end450-_ZN7rocprim17ROCPRIM_400000_NS6detail17trampoline_kernelINS0_14default_configENS1_33run_length_encode_config_selectorIijNS0_4plusIjEEEEZZNS1_33reduce_by_key_impl_wrapped_configILNS1_25lookback_scan_determinismE0ES3_S7_PKiNS0_17constant_iteratorIjlEEPiPlSF_S6_NS0_8equal_toIiEEEE10hipError_tPvRmT2_T3_mT4_T5_T6_T7_T8_P12ihipStream_tbENKUlT_T0_E_clISt17integral_constantIbLb0EESZ_EEDaSU_SV_EUlSU_E_NS1_11comp_targetILNS1_3genE8ELNS1_11target_archE1030ELNS1_3gpuE2ELNS1_3repE0EEENS1_30default_config_static_selectorELNS0_4arch9wavefront6targetE1EEEvT1_
                                        ; -- End function
	.section	.AMDGPU.csdata,"",@progbits
; Kernel info:
; codeLenInByte = 0
; NumSgprs: 4
; NumVgprs: 0
; NumAgprs: 0
; TotalNumVgprs: 0
; ScratchSize: 0
; MemoryBound: 0
; FloatMode: 240
; IeeeMode: 1
; LDSByteSize: 0 bytes/workgroup (compile time only)
; SGPRBlocks: 0
; VGPRBlocks: 0
; NumSGPRsForWavesPerEU: 4
; NumVGPRsForWavesPerEU: 1
; AccumOffset: 4
; Occupancy: 8
; WaveLimiterHint : 0
; COMPUTE_PGM_RSRC2:SCRATCH_EN: 0
; COMPUTE_PGM_RSRC2:USER_SGPR: 6
; COMPUTE_PGM_RSRC2:TRAP_HANDLER: 0
; COMPUTE_PGM_RSRC2:TGID_X_EN: 1
; COMPUTE_PGM_RSRC2:TGID_Y_EN: 0
; COMPUTE_PGM_RSRC2:TGID_Z_EN: 0
; COMPUTE_PGM_RSRC2:TIDIG_COMP_CNT: 0
; COMPUTE_PGM_RSRC3_GFX90A:ACCUM_OFFSET: 0
; COMPUTE_PGM_RSRC3_GFX90A:TG_SPLIT: 0
	.section	.text._ZN7rocprim17ROCPRIM_400000_NS6detail17trampoline_kernelINS0_14default_configENS1_33run_length_encode_config_selectorIijNS0_4plusIjEEEEZZNS1_33reduce_by_key_impl_wrapped_configILNS1_25lookback_scan_determinismE0ES3_S7_PKiNS0_17constant_iteratorIjlEEPiPlSF_S6_NS0_8equal_toIiEEEE10hipError_tPvRmT2_T3_mT4_T5_T6_T7_T8_P12ihipStream_tbENKUlT_T0_E_clISt17integral_constantIbLb1EESZ_EEDaSU_SV_EUlSU_E_NS1_11comp_targetILNS1_3genE0ELNS1_11target_archE4294967295ELNS1_3gpuE0ELNS1_3repE0EEENS1_30default_config_static_selectorELNS0_4arch9wavefront6targetE1EEEvT1_,"axG",@progbits,_ZN7rocprim17ROCPRIM_400000_NS6detail17trampoline_kernelINS0_14default_configENS1_33run_length_encode_config_selectorIijNS0_4plusIjEEEEZZNS1_33reduce_by_key_impl_wrapped_configILNS1_25lookback_scan_determinismE0ES3_S7_PKiNS0_17constant_iteratorIjlEEPiPlSF_S6_NS0_8equal_toIiEEEE10hipError_tPvRmT2_T3_mT4_T5_T6_T7_T8_P12ihipStream_tbENKUlT_T0_E_clISt17integral_constantIbLb1EESZ_EEDaSU_SV_EUlSU_E_NS1_11comp_targetILNS1_3genE0ELNS1_11target_archE4294967295ELNS1_3gpuE0ELNS1_3repE0EEENS1_30default_config_static_selectorELNS0_4arch9wavefront6targetE1EEEvT1_,comdat
	.protected	_ZN7rocprim17ROCPRIM_400000_NS6detail17trampoline_kernelINS0_14default_configENS1_33run_length_encode_config_selectorIijNS0_4plusIjEEEEZZNS1_33reduce_by_key_impl_wrapped_configILNS1_25lookback_scan_determinismE0ES3_S7_PKiNS0_17constant_iteratorIjlEEPiPlSF_S6_NS0_8equal_toIiEEEE10hipError_tPvRmT2_T3_mT4_T5_T6_T7_T8_P12ihipStream_tbENKUlT_T0_E_clISt17integral_constantIbLb1EESZ_EEDaSU_SV_EUlSU_E_NS1_11comp_targetILNS1_3genE0ELNS1_11target_archE4294967295ELNS1_3gpuE0ELNS1_3repE0EEENS1_30default_config_static_selectorELNS0_4arch9wavefront6targetE1EEEvT1_ ; -- Begin function _ZN7rocprim17ROCPRIM_400000_NS6detail17trampoline_kernelINS0_14default_configENS1_33run_length_encode_config_selectorIijNS0_4plusIjEEEEZZNS1_33reduce_by_key_impl_wrapped_configILNS1_25lookback_scan_determinismE0ES3_S7_PKiNS0_17constant_iteratorIjlEEPiPlSF_S6_NS0_8equal_toIiEEEE10hipError_tPvRmT2_T3_mT4_T5_T6_T7_T8_P12ihipStream_tbENKUlT_T0_E_clISt17integral_constantIbLb1EESZ_EEDaSU_SV_EUlSU_E_NS1_11comp_targetILNS1_3genE0ELNS1_11target_archE4294967295ELNS1_3gpuE0ELNS1_3repE0EEENS1_30default_config_static_selectorELNS0_4arch9wavefront6targetE1EEEvT1_
	.globl	_ZN7rocprim17ROCPRIM_400000_NS6detail17trampoline_kernelINS0_14default_configENS1_33run_length_encode_config_selectorIijNS0_4plusIjEEEEZZNS1_33reduce_by_key_impl_wrapped_configILNS1_25lookback_scan_determinismE0ES3_S7_PKiNS0_17constant_iteratorIjlEEPiPlSF_S6_NS0_8equal_toIiEEEE10hipError_tPvRmT2_T3_mT4_T5_T6_T7_T8_P12ihipStream_tbENKUlT_T0_E_clISt17integral_constantIbLb1EESZ_EEDaSU_SV_EUlSU_E_NS1_11comp_targetILNS1_3genE0ELNS1_11target_archE4294967295ELNS1_3gpuE0ELNS1_3repE0EEENS1_30default_config_static_selectorELNS0_4arch9wavefront6targetE1EEEvT1_
	.p2align	8
	.type	_ZN7rocprim17ROCPRIM_400000_NS6detail17trampoline_kernelINS0_14default_configENS1_33run_length_encode_config_selectorIijNS0_4plusIjEEEEZZNS1_33reduce_by_key_impl_wrapped_configILNS1_25lookback_scan_determinismE0ES3_S7_PKiNS0_17constant_iteratorIjlEEPiPlSF_S6_NS0_8equal_toIiEEEE10hipError_tPvRmT2_T3_mT4_T5_T6_T7_T8_P12ihipStream_tbENKUlT_T0_E_clISt17integral_constantIbLb1EESZ_EEDaSU_SV_EUlSU_E_NS1_11comp_targetILNS1_3genE0ELNS1_11target_archE4294967295ELNS1_3gpuE0ELNS1_3repE0EEENS1_30default_config_static_selectorELNS0_4arch9wavefront6targetE1EEEvT1_,@function
_ZN7rocprim17ROCPRIM_400000_NS6detail17trampoline_kernelINS0_14default_configENS1_33run_length_encode_config_selectorIijNS0_4plusIjEEEEZZNS1_33reduce_by_key_impl_wrapped_configILNS1_25lookback_scan_determinismE0ES3_S7_PKiNS0_17constant_iteratorIjlEEPiPlSF_S6_NS0_8equal_toIiEEEE10hipError_tPvRmT2_T3_mT4_T5_T6_T7_T8_P12ihipStream_tbENKUlT_T0_E_clISt17integral_constantIbLb1EESZ_EEDaSU_SV_EUlSU_E_NS1_11comp_targetILNS1_3genE0ELNS1_11target_archE4294967295ELNS1_3gpuE0ELNS1_3repE0EEENS1_30default_config_static_selectorELNS0_4arch9wavefront6targetE1EEEvT1_: ; @_ZN7rocprim17ROCPRIM_400000_NS6detail17trampoline_kernelINS0_14default_configENS1_33run_length_encode_config_selectorIijNS0_4plusIjEEEEZZNS1_33reduce_by_key_impl_wrapped_configILNS1_25lookback_scan_determinismE0ES3_S7_PKiNS0_17constant_iteratorIjlEEPiPlSF_S6_NS0_8equal_toIiEEEE10hipError_tPvRmT2_T3_mT4_T5_T6_T7_T8_P12ihipStream_tbENKUlT_T0_E_clISt17integral_constantIbLb1EESZ_EEDaSU_SV_EUlSU_E_NS1_11comp_targetILNS1_3genE0ELNS1_11target_archE4294967295ELNS1_3gpuE0ELNS1_3repE0EEENS1_30default_config_static_selectorELNS0_4arch9wavefront6targetE1EEEvT1_
; %bb.0:
	.section	.rodata,"a",@progbits
	.p2align	6, 0x0
	.amdhsa_kernel _ZN7rocprim17ROCPRIM_400000_NS6detail17trampoline_kernelINS0_14default_configENS1_33run_length_encode_config_selectorIijNS0_4plusIjEEEEZZNS1_33reduce_by_key_impl_wrapped_configILNS1_25lookback_scan_determinismE0ES3_S7_PKiNS0_17constant_iteratorIjlEEPiPlSF_S6_NS0_8equal_toIiEEEE10hipError_tPvRmT2_T3_mT4_T5_T6_T7_T8_P12ihipStream_tbENKUlT_T0_E_clISt17integral_constantIbLb1EESZ_EEDaSU_SV_EUlSU_E_NS1_11comp_targetILNS1_3genE0ELNS1_11target_archE4294967295ELNS1_3gpuE0ELNS1_3repE0EEENS1_30default_config_static_selectorELNS0_4arch9wavefront6targetE1EEEvT1_
		.amdhsa_group_segment_fixed_size 0
		.amdhsa_private_segment_fixed_size 0
		.amdhsa_kernarg_size 128
		.amdhsa_user_sgpr_count 6
		.amdhsa_user_sgpr_private_segment_buffer 1
		.amdhsa_user_sgpr_dispatch_ptr 0
		.amdhsa_user_sgpr_queue_ptr 0
		.amdhsa_user_sgpr_kernarg_segment_ptr 1
		.amdhsa_user_sgpr_dispatch_id 0
		.amdhsa_user_sgpr_flat_scratch_init 0
		.amdhsa_user_sgpr_kernarg_preload_length 0
		.amdhsa_user_sgpr_kernarg_preload_offset 0
		.amdhsa_user_sgpr_private_segment_size 0
		.amdhsa_uses_dynamic_stack 0
		.amdhsa_system_sgpr_private_segment_wavefront_offset 0
		.amdhsa_system_sgpr_workgroup_id_x 1
		.amdhsa_system_sgpr_workgroup_id_y 0
		.amdhsa_system_sgpr_workgroup_id_z 0
		.amdhsa_system_sgpr_workgroup_info 0
		.amdhsa_system_vgpr_workitem_id 0
		.amdhsa_next_free_vgpr 1
		.amdhsa_next_free_sgpr 0
		.amdhsa_accum_offset 4
		.amdhsa_reserve_vcc 0
		.amdhsa_reserve_flat_scratch 0
		.amdhsa_float_round_mode_32 0
		.amdhsa_float_round_mode_16_64 0
		.amdhsa_float_denorm_mode_32 3
		.amdhsa_float_denorm_mode_16_64 3
		.amdhsa_dx10_clamp 1
		.amdhsa_ieee_mode 1
		.amdhsa_fp16_overflow 0
		.amdhsa_tg_split 0
		.amdhsa_exception_fp_ieee_invalid_op 0
		.amdhsa_exception_fp_denorm_src 0
		.amdhsa_exception_fp_ieee_div_zero 0
		.amdhsa_exception_fp_ieee_overflow 0
		.amdhsa_exception_fp_ieee_underflow 0
		.amdhsa_exception_fp_ieee_inexact 0
		.amdhsa_exception_int_div_zero 0
	.end_amdhsa_kernel
	.section	.text._ZN7rocprim17ROCPRIM_400000_NS6detail17trampoline_kernelINS0_14default_configENS1_33run_length_encode_config_selectorIijNS0_4plusIjEEEEZZNS1_33reduce_by_key_impl_wrapped_configILNS1_25lookback_scan_determinismE0ES3_S7_PKiNS0_17constant_iteratorIjlEEPiPlSF_S6_NS0_8equal_toIiEEEE10hipError_tPvRmT2_T3_mT4_T5_T6_T7_T8_P12ihipStream_tbENKUlT_T0_E_clISt17integral_constantIbLb1EESZ_EEDaSU_SV_EUlSU_E_NS1_11comp_targetILNS1_3genE0ELNS1_11target_archE4294967295ELNS1_3gpuE0ELNS1_3repE0EEENS1_30default_config_static_selectorELNS0_4arch9wavefront6targetE1EEEvT1_,"axG",@progbits,_ZN7rocprim17ROCPRIM_400000_NS6detail17trampoline_kernelINS0_14default_configENS1_33run_length_encode_config_selectorIijNS0_4plusIjEEEEZZNS1_33reduce_by_key_impl_wrapped_configILNS1_25lookback_scan_determinismE0ES3_S7_PKiNS0_17constant_iteratorIjlEEPiPlSF_S6_NS0_8equal_toIiEEEE10hipError_tPvRmT2_T3_mT4_T5_T6_T7_T8_P12ihipStream_tbENKUlT_T0_E_clISt17integral_constantIbLb1EESZ_EEDaSU_SV_EUlSU_E_NS1_11comp_targetILNS1_3genE0ELNS1_11target_archE4294967295ELNS1_3gpuE0ELNS1_3repE0EEENS1_30default_config_static_selectorELNS0_4arch9wavefront6targetE1EEEvT1_,comdat
.Lfunc_end451:
	.size	_ZN7rocprim17ROCPRIM_400000_NS6detail17trampoline_kernelINS0_14default_configENS1_33run_length_encode_config_selectorIijNS0_4plusIjEEEEZZNS1_33reduce_by_key_impl_wrapped_configILNS1_25lookback_scan_determinismE0ES3_S7_PKiNS0_17constant_iteratorIjlEEPiPlSF_S6_NS0_8equal_toIiEEEE10hipError_tPvRmT2_T3_mT4_T5_T6_T7_T8_P12ihipStream_tbENKUlT_T0_E_clISt17integral_constantIbLb1EESZ_EEDaSU_SV_EUlSU_E_NS1_11comp_targetILNS1_3genE0ELNS1_11target_archE4294967295ELNS1_3gpuE0ELNS1_3repE0EEENS1_30default_config_static_selectorELNS0_4arch9wavefront6targetE1EEEvT1_, .Lfunc_end451-_ZN7rocprim17ROCPRIM_400000_NS6detail17trampoline_kernelINS0_14default_configENS1_33run_length_encode_config_selectorIijNS0_4plusIjEEEEZZNS1_33reduce_by_key_impl_wrapped_configILNS1_25lookback_scan_determinismE0ES3_S7_PKiNS0_17constant_iteratorIjlEEPiPlSF_S6_NS0_8equal_toIiEEEE10hipError_tPvRmT2_T3_mT4_T5_T6_T7_T8_P12ihipStream_tbENKUlT_T0_E_clISt17integral_constantIbLb1EESZ_EEDaSU_SV_EUlSU_E_NS1_11comp_targetILNS1_3genE0ELNS1_11target_archE4294967295ELNS1_3gpuE0ELNS1_3repE0EEENS1_30default_config_static_selectorELNS0_4arch9wavefront6targetE1EEEvT1_
                                        ; -- End function
	.section	.AMDGPU.csdata,"",@progbits
; Kernel info:
; codeLenInByte = 0
; NumSgprs: 4
; NumVgprs: 0
; NumAgprs: 0
; TotalNumVgprs: 0
; ScratchSize: 0
; MemoryBound: 0
; FloatMode: 240
; IeeeMode: 1
; LDSByteSize: 0 bytes/workgroup (compile time only)
; SGPRBlocks: 0
; VGPRBlocks: 0
; NumSGPRsForWavesPerEU: 4
; NumVGPRsForWavesPerEU: 1
; AccumOffset: 4
; Occupancy: 8
; WaveLimiterHint : 0
; COMPUTE_PGM_RSRC2:SCRATCH_EN: 0
; COMPUTE_PGM_RSRC2:USER_SGPR: 6
; COMPUTE_PGM_RSRC2:TRAP_HANDLER: 0
; COMPUTE_PGM_RSRC2:TGID_X_EN: 1
; COMPUTE_PGM_RSRC2:TGID_Y_EN: 0
; COMPUTE_PGM_RSRC2:TGID_Z_EN: 0
; COMPUTE_PGM_RSRC2:TIDIG_COMP_CNT: 0
; COMPUTE_PGM_RSRC3_GFX90A:ACCUM_OFFSET: 0
; COMPUTE_PGM_RSRC3_GFX90A:TG_SPLIT: 0
	.section	.text._ZN7rocprim17ROCPRIM_400000_NS6detail17trampoline_kernelINS0_14default_configENS1_33run_length_encode_config_selectorIijNS0_4plusIjEEEEZZNS1_33reduce_by_key_impl_wrapped_configILNS1_25lookback_scan_determinismE0ES3_S7_PKiNS0_17constant_iteratorIjlEEPiPlSF_S6_NS0_8equal_toIiEEEE10hipError_tPvRmT2_T3_mT4_T5_T6_T7_T8_P12ihipStream_tbENKUlT_T0_E_clISt17integral_constantIbLb1EESZ_EEDaSU_SV_EUlSU_E_NS1_11comp_targetILNS1_3genE5ELNS1_11target_archE942ELNS1_3gpuE9ELNS1_3repE0EEENS1_30default_config_static_selectorELNS0_4arch9wavefront6targetE1EEEvT1_,"axG",@progbits,_ZN7rocprim17ROCPRIM_400000_NS6detail17trampoline_kernelINS0_14default_configENS1_33run_length_encode_config_selectorIijNS0_4plusIjEEEEZZNS1_33reduce_by_key_impl_wrapped_configILNS1_25lookback_scan_determinismE0ES3_S7_PKiNS0_17constant_iteratorIjlEEPiPlSF_S6_NS0_8equal_toIiEEEE10hipError_tPvRmT2_T3_mT4_T5_T6_T7_T8_P12ihipStream_tbENKUlT_T0_E_clISt17integral_constantIbLb1EESZ_EEDaSU_SV_EUlSU_E_NS1_11comp_targetILNS1_3genE5ELNS1_11target_archE942ELNS1_3gpuE9ELNS1_3repE0EEENS1_30default_config_static_selectorELNS0_4arch9wavefront6targetE1EEEvT1_,comdat
	.protected	_ZN7rocprim17ROCPRIM_400000_NS6detail17trampoline_kernelINS0_14default_configENS1_33run_length_encode_config_selectorIijNS0_4plusIjEEEEZZNS1_33reduce_by_key_impl_wrapped_configILNS1_25lookback_scan_determinismE0ES3_S7_PKiNS0_17constant_iteratorIjlEEPiPlSF_S6_NS0_8equal_toIiEEEE10hipError_tPvRmT2_T3_mT4_T5_T6_T7_T8_P12ihipStream_tbENKUlT_T0_E_clISt17integral_constantIbLb1EESZ_EEDaSU_SV_EUlSU_E_NS1_11comp_targetILNS1_3genE5ELNS1_11target_archE942ELNS1_3gpuE9ELNS1_3repE0EEENS1_30default_config_static_selectorELNS0_4arch9wavefront6targetE1EEEvT1_ ; -- Begin function _ZN7rocprim17ROCPRIM_400000_NS6detail17trampoline_kernelINS0_14default_configENS1_33run_length_encode_config_selectorIijNS0_4plusIjEEEEZZNS1_33reduce_by_key_impl_wrapped_configILNS1_25lookback_scan_determinismE0ES3_S7_PKiNS0_17constant_iteratorIjlEEPiPlSF_S6_NS0_8equal_toIiEEEE10hipError_tPvRmT2_T3_mT4_T5_T6_T7_T8_P12ihipStream_tbENKUlT_T0_E_clISt17integral_constantIbLb1EESZ_EEDaSU_SV_EUlSU_E_NS1_11comp_targetILNS1_3genE5ELNS1_11target_archE942ELNS1_3gpuE9ELNS1_3repE0EEENS1_30default_config_static_selectorELNS0_4arch9wavefront6targetE1EEEvT1_
	.globl	_ZN7rocprim17ROCPRIM_400000_NS6detail17trampoline_kernelINS0_14default_configENS1_33run_length_encode_config_selectorIijNS0_4plusIjEEEEZZNS1_33reduce_by_key_impl_wrapped_configILNS1_25lookback_scan_determinismE0ES3_S7_PKiNS0_17constant_iteratorIjlEEPiPlSF_S6_NS0_8equal_toIiEEEE10hipError_tPvRmT2_T3_mT4_T5_T6_T7_T8_P12ihipStream_tbENKUlT_T0_E_clISt17integral_constantIbLb1EESZ_EEDaSU_SV_EUlSU_E_NS1_11comp_targetILNS1_3genE5ELNS1_11target_archE942ELNS1_3gpuE9ELNS1_3repE0EEENS1_30default_config_static_selectorELNS0_4arch9wavefront6targetE1EEEvT1_
	.p2align	8
	.type	_ZN7rocprim17ROCPRIM_400000_NS6detail17trampoline_kernelINS0_14default_configENS1_33run_length_encode_config_selectorIijNS0_4plusIjEEEEZZNS1_33reduce_by_key_impl_wrapped_configILNS1_25lookback_scan_determinismE0ES3_S7_PKiNS0_17constant_iteratorIjlEEPiPlSF_S6_NS0_8equal_toIiEEEE10hipError_tPvRmT2_T3_mT4_T5_T6_T7_T8_P12ihipStream_tbENKUlT_T0_E_clISt17integral_constantIbLb1EESZ_EEDaSU_SV_EUlSU_E_NS1_11comp_targetILNS1_3genE5ELNS1_11target_archE942ELNS1_3gpuE9ELNS1_3repE0EEENS1_30default_config_static_selectorELNS0_4arch9wavefront6targetE1EEEvT1_,@function
_ZN7rocprim17ROCPRIM_400000_NS6detail17trampoline_kernelINS0_14default_configENS1_33run_length_encode_config_selectorIijNS0_4plusIjEEEEZZNS1_33reduce_by_key_impl_wrapped_configILNS1_25lookback_scan_determinismE0ES3_S7_PKiNS0_17constant_iteratorIjlEEPiPlSF_S6_NS0_8equal_toIiEEEE10hipError_tPvRmT2_T3_mT4_T5_T6_T7_T8_P12ihipStream_tbENKUlT_T0_E_clISt17integral_constantIbLb1EESZ_EEDaSU_SV_EUlSU_E_NS1_11comp_targetILNS1_3genE5ELNS1_11target_archE942ELNS1_3gpuE9ELNS1_3repE0EEENS1_30default_config_static_selectorELNS0_4arch9wavefront6targetE1EEEvT1_: ; @_ZN7rocprim17ROCPRIM_400000_NS6detail17trampoline_kernelINS0_14default_configENS1_33run_length_encode_config_selectorIijNS0_4plusIjEEEEZZNS1_33reduce_by_key_impl_wrapped_configILNS1_25lookback_scan_determinismE0ES3_S7_PKiNS0_17constant_iteratorIjlEEPiPlSF_S6_NS0_8equal_toIiEEEE10hipError_tPvRmT2_T3_mT4_T5_T6_T7_T8_P12ihipStream_tbENKUlT_T0_E_clISt17integral_constantIbLb1EESZ_EEDaSU_SV_EUlSU_E_NS1_11comp_targetILNS1_3genE5ELNS1_11target_archE942ELNS1_3gpuE9ELNS1_3repE0EEENS1_30default_config_static_selectorELNS0_4arch9wavefront6targetE1EEEvT1_
; %bb.0:
	.section	.rodata,"a",@progbits
	.p2align	6, 0x0
	.amdhsa_kernel _ZN7rocprim17ROCPRIM_400000_NS6detail17trampoline_kernelINS0_14default_configENS1_33run_length_encode_config_selectorIijNS0_4plusIjEEEEZZNS1_33reduce_by_key_impl_wrapped_configILNS1_25lookback_scan_determinismE0ES3_S7_PKiNS0_17constant_iteratorIjlEEPiPlSF_S6_NS0_8equal_toIiEEEE10hipError_tPvRmT2_T3_mT4_T5_T6_T7_T8_P12ihipStream_tbENKUlT_T0_E_clISt17integral_constantIbLb1EESZ_EEDaSU_SV_EUlSU_E_NS1_11comp_targetILNS1_3genE5ELNS1_11target_archE942ELNS1_3gpuE9ELNS1_3repE0EEENS1_30default_config_static_selectorELNS0_4arch9wavefront6targetE1EEEvT1_
		.amdhsa_group_segment_fixed_size 0
		.amdhsa_private_segment_fixed_size 0
		.amdhsa_kernarg_size 128
		.amdhsa_user_sgpr_count 6
		.amdhsa_user_sgpr_private_segment_buffer 1
		.amdhsa_user_sgpr_dispatch_ptr 0
		.amdhsa_user_sgpr_queue_ptr 0
		.amdhsa_user_sgpr_kernarg_segment_ptr 1
		.amdhsa_user_sgpr_dispatch_id 0
		.amdhsa_user_sgpr_flat_scratch_init 0
		.amdhsa_user_sgpr_kernarg_preload_length 0
		.amdhsa_user_sgpr_kernarg_preload_offset 0
		.amdhsa_user_sgpr_private_segment_size 0
		.amdhsa_uses_dynamic_stack 0
		.amdhsa_system_sgpr_private_segment_wavefront_offset 0
		.amdhsa_system_sgpr_workgroup_id_x 1
		.amdhsa_system_sgpr_workgroup_id_y 0
		.amdhsa_system_sgpr_workgroup_id_z 0
		.amdhsa_system_sgpr_workgroup_info 0
		.amdhsa_system_vgpr_workitem_id 0
		.amdhsa_next_free_vgpr 1
		.amdhsa_next_free_sgpr 0
		.amdhsa_accum_offset 4
		.amdhsa_reserve_vcc 0
		.amdhsa_reserve_flat_scratch 0
		.amdhsa_float_round_mode_32 0
		.amdhsa_float_round_mode_16_64 0
		.amdhsa_float_denorm_mode_32 3
		.amdhsa_float_denorm_mode_16_64 3
		.amdhsa_dx10_clamp 1
		.amdhsa_ieee_mode 1
		.amdhsa_fp16_overflow 0
		.amdhsa_tg_split 0
		.amdhsa_exception_fp_ieee_invalid_op 0
		.amdhsa_exception_fp_denorm_src 0
		.amdhsa_exception_fp_ieee_div_zero 0
		.amdhsa_exception_fp_ieee_overflow 0
		.amdhsa_exception_fp_ieee_underflow 0
		.amdhsa_exception_fp_ieee_inexact 0
		.amdhsa_exception_int_div_zero 0
	.end_amdhsa_kernel
	.section	.text._ZN7rocprim17ROCPRIM_400000_NS6detail17trampoline_kernelINS0_14default_configENS1_33run_length_encode_config_selectorIijNS0_4plusIjEEEEZZNS1_33reduce_by_key_impl_wrapped_configILNS1_25lookback_scan_determinismE0ES3_S7_PKiNS0_17constant_iteratorIjlEEPiPlSF_S6_NS0_8equal_toIiEEEE10hipError_tPvRmT2_T3_mT4_T5_T6_T7_T8_P12ihipStream_tbENKUlT_T0_E_clISt17integral_constantIbLb1EESZ_EEDaSU_SV_EUlSU_E_NS1_11comp_targetILNS1_3genE5ELNS1_11target_archE942ELNS1_3gpuE9ELNS1_3repE0EEENS1_30default_config_static_selectorELNS0_4arch9wavefront6targetE1EEEvT1_,"axG",@progbits,_ZN7rocprim17ROCPRIM_400000_NS6detail17trampoline_kernelINS0_14default_configENS1_33run_length_encode_config_selectorIijNS0_4plusIjEEEEZZNS1_33reduce_by_key_impl_wrapped_configILNS1_25lookback_scan_determinismE0ES3_S7_PKiNS0_17constant_iteratorIjlEEPiPlSF_S6_NS0_8equal_toIiEEEE10hipError_tPvRmT2_T3_mT4_T5_T6_T7_T8_P12ihipStream_tbENKUlT_T0_E_clISt17integral_constantIbLb1EESZ_EEDaSU_SV_EUlSU_E_NS1_11comp_targetILNS1_3genE5ELNS1_11target_archE942ELNS1_3gpuE9ELNS1_3repE0EEENS1_30default_config_static_selectorELNS0_4arch9wavefront6targetE1EEEvT1_,comdat
.Lfunc_end452:
	.size	_ZN7rocprim17ROCPRIM_400000_NS6detail17trampoline_kernelINS0_14default_configENS1_33run_length_encode_config_selectorIijNS0_4plusIjEEEEZZNS1_33reduce_by_key_impl_wrapped_configILNS1_25lookback_scan_determinismE0ES3_S7_PKiNS0_17constant_iteratorIjlEEPiPlSF_S6_NS0_8equal_toIiEEEE10hipError_tPvRmT2_T3_mT4_T5_T6_T7_T8_P12ihipStream_tbENKUlT_T0_E_clISt17integral_constantIbLb1EESZ_EEDaSU_SV_EUlSU_E_NS1_11comp_targetILNS1_3genE5ELNS1_11target_archE942ELNS1_3gpuE9ELNS1_3repE0EEENS1_30default_config_static_selectorELNS0_4arch9wavefront6targetE1EEEvT1_, .Lfunc_end452-_ZN7rocprim17ROCPRIM_400000_NS6detail17trampoline_kernelINS0_14default_configENS1_33run_length_encode_config_selectorIijNS0_4plusIjEEEEZZNS1_33reduce_by_key_impl_wrapped_configILNS1_25lookback_scan_determinismE0ES3_S7_PKiNS0_17constant_iteratorIjlEEPiPlSF_S6_NS0_8equal_toIiEEEE10hipError_tPvRmT2_T3_mT4_T5_T6_T7_T8_P12ihipStream_tbENKUlT_T0_E_clISt17integral_constantIbLb1EESZ_EEDaSU_SV_EUlSU_E_NS1_11comp_targetILNS1_3genE5ELNS1_11target_archE942ELNS1_3gpuE9ELNS1_3repE0EEENS1_30default_config_static_selectorELNS0_4arch9wavefront6targetE1EEEvT1_
                                        ; -- End function
	.section	.AMDGPU.csdata,"",@progbits
; Kernel info:
; codeLenInByte = 0
; NumSgprs: 4
; NumVgprs: 0
; NumAgprs: 0
; TotalNumVgprs: 0
; ScratchSize: 0
; MemoryBound: 0
; FloatMode: 240
; IeeeMode: 1
; LDSByteSize: 0 bytes/workgroup (compile time only)
; SGPRBlocks: 0
; VGPRBlocks: 0
; NumSGPRsForWavesPerEU: 4
; NumVGPRsForWavesPerEU: 1
; AccumOffset: 4
; Occupancy: 8
; WaveLimiterHint : 0
; COMPUTE_PGM_RSRC2:SCRATCH_EN: 0
; COMPUTE_PGM_RSRC2:USER_SGPR: 6
; COMPUTE_PGM_RSRC2:TRAP_HANDLER: 0
; COMPUTE_PGM_RSRC2:TGID_X_EN: 1
; COMPUTE_PGM_RSRC2:TGID_Y_EN: 0
; COMPUTE_PGM_RSRC2:TGID_Z_EN: 0
; COMPUTE_PGM_RSRC2:TIDIG_COMP_CNT: 0
; COMPUTE_PGM_RSRC3_GFX90A:ACCUM_OFFSET: 0
; COMPUTE_PGM_RSRC3_GFX90A:TG_SPLIT: 0
	.section	.text._ZN7rocprim17ROCPRIM_400000_NS6detail17trampoline_kernelINS0_14default_configENS1_33run_length_encode_config_selectorIijNS0_4plusIjEEEEZZNS1_33reduce_by_key_impl_wrapped_configILNS1_25lookback_scan_determinismE0ES3_S7_PKiNS0_17constant_iteratorIjlEEPiPlSF_S6_NS0_8equal_toIiEEEE10hipError_tPvRmT2_T3_mT4_T5_T6_T7_T8_P12ihipStream_tbENKUlT_T0_E_clISt17integral_constantIbLb1EESZ_EEDaSU_SV_EUlSU_E_NS1_11comp_targetILNS1_3genE4ELNS1_11target_archE910ELNS1_3gpuE8ELNS1_3repE0EEENS1_30default_config_static_selectorELNS0_4arch9wavefront6targetE1EEEvT1_,"axG",@progbits,_ZN7rocprim17ROCPRIM_400000_NS6detail17trampoline_kernelINS0_14default_configENS1_33run_length_encode_config_selectorIijNS0_4plusIjEEEEZZNS1_33reduce_by_key_impl_wrapped_configILNS1_25lookback_scan_determinismE0ES3_S7_PKiNS0_17constant_iteratorIjlEEPiPlSF_S6_NS0_8equal_toIiEEEE10hipError_tPvRmT2_T3_mT4_T5_T6_T7_T8_P12ihipStream_tbENKUlT_T0_E_clISt17integral_constantIbLb1EESZ_EEDaSU_SV_EUlSU_E_NS1_11comp_targetILNS1_3genE4ELNS1_11target_archE910ELNS1_3gpuE8ELNS1_3repE0EEENS1_30default_config_static_selectorELNS0_4arch9wavefront6targetE1EEEvT1_,comdat
	.protected	_ZN7rocprim17ROCPRIM_400000_NS6detail17trampoline_kernelINS0_14default_configENS1_33run_length_encode_config_selectorIijNS0_4plusIjEEEEZZNS1_33reduce_by_key_impl_wrapped_configILNS1_25lookback_scan_determinismE0ES3_S7_PKiNS0_17constant_iteratorIjlEEPiPlSF_S6_NS0_8equal_toIiEEEE10hipError_tPvRmT2_T3_mT4_T5_T6_T7_T8_P12ihipStream_tbENKUlT_T0_E_clISt17integral_constantIbLb1EESZ_EEDaSU_SV_EUlSU_E_NS1_11comp_targetILNS1_3genE4ELNS1_11target_archE910ELNS1_3gpuE8ELNS1_3repE0EEENS1_30default_config_static_selectorELNS0_4arch9wavefront6targetE1EEEvT1_ ; -- Begin function _ZN7rocprim17ROCPRIM_400000_NS6detail17trampoline_kernelINS0_14default_configENS1_33run_length_encode_config_selectorIijNS0_4plusIjEEEEZZNS1_33reduce_by_key_impl_wrapped_configILNS1_25lookback_scan_determinismE0ES3_S7_PKiNS0_17constant_iteratorIjlEEPiPlSF_S6_NS0_8equal_toIiEEEE10hipError_tPvRmT2_T3_mT4_T5_T6_T7_T8_P12ihipStream_tbENKUlT_T0_E_clISt17integral_constantIbLb1EESZ_EEDaSU_SV_EUlSU_E_NS1_11comp_targetILNS1_3genE4ELNS1_11target_archE910ELNS1_3gpuE8ELNS1_3repE0EEENS1_30default_config_static_selectorELNS0_4arch9wavefront6targetE1EEEvT1_
	.globl	_ZN7rocprim17ROCPRIM_400000_NS6detail17trampoline_kernelINS0_14default_configENS1_33run_length_encode_config_selectorIijNS0_4plusIjEEEEZZNS1_33reduce_by_key_impl_wrapped_configILNS1_25lookback_scan_determinismE0ES3_S7_PKiNS0_17constant_iteratorIjlEEPiPlSF_S6_NS0_8equal_toIiEEEE10hipError_tPvRmT2_T3_mT4_T5_T6_T7_T8_P12ihipStream_tbENKUlT_T0_E_clISt17integral_constantIbLb1EESZ_EEDaSU_SV_EUlSU_E_NS1_11comp_targetILNS1_3genE4ELNS1_11target_archE910ELNS1_3gpuE8ELNS1_3repE0EEENS1_30default_config_static_selectorELNS0_4arch9wavefront6targetE1EEEvT1_
	.p2align	8
	.type	_ZN7rocprim17ROCPRIM_400000_NS6detail17trampoline_kernelINS0_14default_configENS1_33run_length_encode_config_selectorIijNS0_4plusIjEEEEZZNS1_33reduce_by_key_impl_wrapped_configILNS1_25lookback_scan_determinismE0ES3_S7_PKiNS0_17constant_iteratorIjlEEPiPlSF_S6_NS0_8equal_toIiEEEE10hipError_tPvRmT2_T3_mT4_T5_T6_T7_T8_P12ihipStream_tbENKUlT_T0_E_clISt17integral_constantIbLb1EESZ_EEDaSU_SV_EUlSU_E_NS1_11comp_targetILNS1_3genE4ELNS1_11target_archE910ELNS1_3gpuE8ELNS1_3repE0EEENS1_30default_config_static_selectorELNS0_4arch9wavefront6targetE1EEEvT1_,@function
_ZN7rocprim17ROCPRIM_400000_NS6detail17trampoline_kernelINS0_14default_configENS1_33run_length_encode_config_selectorIijNS0_4plusIjEEEEZZNS1_33reduce_by_key_impl_wrapped_configILNS1_25lookback_scan_determinismE0ES3_S7_PKiNS0_17constant_iteratorIjlEEPiPlSF_S6_NS0_8equal_toIiEEEE10hipError_tPvRmT2_T3_mT4_T5_T6_T7_T8_P12ihipStream_tbENKUlT_T0_E_clISt17integral_constantIbLb1EESZ_EEDaSU_SV_EUlSU_E_NS1_11comp_targetILNS1_3genE4ELNS1_11target_archE910ELNS1_3gpuE8ELNS1_3repE0EEENS1_30default_config_static_selectorELNS0_4arch9wavefront6targetE1EEEvT1_: ; @_ZN7rocprim17ROCPRIM_400000_NS6detail17trampoline_kernelINS0_14default_configENS1_33run_length_encode_config_selectorIijNS0_4plusIjEEEEZZNS1_33reduce_by_key_impl_wrapped_configILNS1_25lookback_scan_determinismE0ES3_S7_PKiNS0_17constant_iteratorIjlEEPiPlSF_S6_NS0_8equal_toIiEEEE10hipError_tPvRmT2_T3_mT4_T5_T6_T7_T8_P12ihipStream_tbENKUlT_T0_E_clISt17integral_constantIbLb1EESZ_EEDaSU_SV_EUlSU_E_NS1_11comp_targetILNS1_3genE4ELNS1_11target_archE910ELNS1_3gpuE8ELNS1_3repE0EEENS1_30default_config_static_selectorELNS0_4arch9wavefront6targetE1EEEvT1_
; %bb.0:
	s_load_dword s12, s[4:5], 0x10
	s_load_dwordx4 s[44:47], s[4:5], 0x20
	s_load_dwordx2 s[52:53], s[4:5], 0x30
	s_load_dwordx2 s[34:35], s[4:5], 0x70
	s_load_dwordx4 s[48:51], s[4:5], 0x60
	s_load_dwordx8 s[36:43], s[4:5], 0x40
	v_cmp_ne_u32_e64 s[2:3], 0, v0
	v_cmp_eq_u32_e64 s[0:1], 0, v0
	s_and_saveexec_b64 s[6:7], s[0:1]
	s_cbranch_execz .LBB453_4
; %bb.1:
	s_mov_b64 s[10:11], exec
	v_mbcnt_lo_u32_b32 v1, s10, 0
	v_mbcnt_hi_u32_b32 v1, s11, v1
	v_cmp_eq_u32_e32 vcc, 0, v1
                                        ; implicit-def: $vgpr2
	s_and_saveexec_b64 s[8:9], vcc
	s_cbranch_execz .LBB453_3
; %bb.2:
	s_load_dwordx2 s[14:15], s[4:5], 0x78
	s_bcnt1_i32_b64 s10, s[10:11]
	v_mov_b32_e32 v2, 0
	v_mov_b32_e32 v3, s10
	s_waitcnt lgkmcnt(0)
	global_atomic_add v2, v2, v3, s[14:15] glc
.LBB453_3:
	s_or_b64 exec, exec, s[8:9]
	s_waitcnt vmcnt(0)
	v_readfirstlane_b32 s8, v2
	v_add_u32_e32 v1, s8, v1
	v_mov_b32_e32 v2, 0
	ds_write_b32 v2, v1
.LBB453_4:
	s_or_b64 exec, exec, s[6:7]
	s_load_dwordx4 s[4:7], s[4:5], 0x0
	v_mov_b32_e32 v3, 0
	s_waitcnt lgkmcnt(0)
	s_barrier
	ds_read_b32 v1, v3
	s_mul_i32 s8, s40, s39
	s_mul_hi_u32 s9, s40, s38
	s_add_i32 s8, s9, s8
	s_mul_i32 s9, s41, s38
	s_add_i32 s8, s8, s9
	s_lshl_b64 s[6:7], s[6:7], 2
	s_add_u32 s4, s4, s6
	s_movk_i32 s6, 0xf00
	s_waitcnt lgkmcnt(0)
	v_mul_lo_u32 v2, v1, s6
	s_mul_i32 s9, s40, s38
	s_addc_u32 s5, s5, s7
	v_readfirstlane_b32 s56, v1
	v_lshlrev_b64 v[2:3], 2, v[2:3]
	v_add_co_u32_e32 v2, vcc, s4, v2
	s_add_u32 s4, s9, s56
	v_mov_b32_e32 v1, s5
	s_addc_u32 s5, s8, 0
	s_add_u32 s6, s42, -1
	s_addc_u32 s7, s43, -1
	s_cmp_eq_u64 s[4:5], s[6:7]
	v_addc_co_u32_e32 v3, vcc, v1, v3, vcc
	s_cselect_b64 s[40:41], -1, 0
	s_cmp_lg_u64 s[4:5], s[6:7]
	s_mov_b64 s[10:11], -1
	s_cselect_b64 s[8:9], -1, 0
	s_mul_i32 s33, s6, 0xfffff100
	s_and_b64 vcc, exec, s[40:41]
	s_barrier
	s_cbranch_vccnz .LBB453_6
; %bb.5:
	v_lshlrev_b32_e32 v1, 2, v0
	v_add_co_u32_e32 v6, vcc, v2, v1
	v_addc_co_u32_e32 v7, vcc, 0, v3, vcc
	v_add_co_u32_e32 v4, vcc, 0x1000, v6
	v_readfirstlane_b32 s6, v2
	v_readfirstlane_b32 s7, v3
	v_addc_co_u32_e32 v5, vcc, 0, v7, vcc
	s_nop 3
	global_load_dword v8, v1, s[6:7]
	global_load_dword v9, v1, s[6:7] offset:1024
	global_load_dword v10, v1, s[6:7] offset:2048
	;; [unrolled: 1-line block ×3, first 2 shown]
	global_load_dword v12, v[4:5], off
	global_load_dword v13, v[4:5], off offset:1024
	global_load_dword v14, v[4:5], off offset:2048
	;; [unrolled: 1-line block ×3, first 2 shown]
	v_add_co_u32_e32 v4, vcc, 0x2000, v6
	v_addc_co_u32_e32 v5, vcc, 0, v7, vcc
	v_add_co_u32_e32 v6, vcc, 0x3000, v6
	v_addc_co_u32_e32 v7, vcc, 0, v7, vcc
	global_load_dword v16, v[4:5], off
	global_load_dword v17, v[4:5], off offset:1024
	global_load_dword v18, v[4:5], off offset:2048
	global_load_dword v19, v[4:5], off offset:3072
	global_load_dword v20, v[6:7], off
	global_load_dword v21, v[6:7], off offset:1024
	global_load_dword v22, v[6:7], off offset:2048
	v_mad_u32_u24 v4, v0, 56, v1
	s_mov_b64 s[6:7], -1
	s_waitcnt vmcnt(13)
	ds_write2st64_b32 v1, v8, v9 offset1:4
	s_waitcnt vmcnt(11)
	ds_write2st64_b32 v1, v10, v11 offset0:8 offset1:12
	s_waitcnt vmcnt(9)
	ds_write2st64_b32 v1, v12, v13 offset0:16 offset1:20
	;; [unrolled: 2-line block ×6, first 2 shown]
	s_waitcnt vmcnt(0)
	ds_write_b32 v1, v22 offset:14336
	s_waitcnt lgkmcnt(0)
	s_barrier
	ds_read2_b32 v[20:21], v4 offset1:1
	ds_read2_b32 v[18:19], v4 offset0:2 offset1:3
	ds_read2_b32 v[16:17], v4 offset0:4 offset1:5
	;; [unrolled: 1-line block ×6, first 2 shown]
	ds_read_b32 v1, v4 offset:56
	s_waitcnt lgkmcnt(7)
	v_mov_b32_e32 v24, v20
	s_waitcnt lgkmcnt(6)
	v_mov_b32_e32 v25, v18
	;; [unrolled: 2-line block ×7, first 2 shown]
	s_add_i32 s33, s33, s48
	s_cbranch_execz .LBB453_7
	s_branch .LBB453_38
.LBB453_6:
	s_mov_b64 s[6:7], 0
                                        ; implicit-def: $vgpr1
                                        ; implicit-def: $vgpr8
                                        ; implicit-def: $vgpr10
                                        ; implicit-def: $vgpr12
                                        ; implicit-def: $vgpr14
                                        ; implicit-def: $vgpr16
                                        ; implicit-def: $vgpr18
                                        ; implicit-def: $vgpr20
                                        ; implicit-def: $vgpr4_vgpr5
                                        ; implicit-def: $vgpr6_vgpr7
                                        ; implicit-def: $vgpr24_vgpr25
                                        ; implicit-def: $vgpr22_vgpr23
	s_add_i32 s33, s33, s48
	s_andn2_b64 vcc, exec, s[10:11]
	s_cbranch_vccnz .LBB453_38
.LBB453_7:
	v_cmp_gt_u32_e32 vcc, s33, v0
                                        ; implicit-def: $vgpr1
	s_and_saveexec_b64 s[6:7], vcc
	s_cbranch_execz .LBB453_9
; %bb.8:
	s_waitcnt lgkmcnt(0)
	v_lshlrev_b32_e32 v1, 2, v0
	v_readfirstlane_b32 s10, v2
	v_readfirstlane_b32 s11, v3
	s_nop 4
	global_load_dword v1, v1, s[10:11]
.LBB453_9:
	s_or_b64 exec, exec, s[6:7]
	v_or_b32_e32 v4, 0x100, v0
	v_cmp_gt_u32_e32 vcc, s33, v4
                                        ; implicit-def: $vgpr4
	s_and_saveexec_b64 s[6:7], vcc
	s_cbranch_execz .LBB453_11
; %bb.10:
	v_lshlrev_b32_e32 v4, 2, v0
	v_readfirstlane_b32 s10, v2
	v_readfirstlane_b32 s11, v3
	s_nop 4
	global_load_dword v4, v4, s[10:11] offset:1024
.LBB453_11:
	s_or_b64 exec, exec, s[6:7]
	v_or_b32_e32 v5, 0x200, v0
	v_cmp_gt_u32_e32 vcc, s33, v5
                                        ; implicit-def: $vgpr5
	s_and_saveexec_b64 s[6:7], vcc
	s_cbranch_execz .LBB453_13
; %bb.12:
	v_lshlrev_b32_e32 v5, 2, v0
	v_readfirstlane_b32 s10, v2
	v_readfirstlane_b32 s11, v3
	s_nop 4
	global_load_dword v5, v5, s[10:11] offset:2048
.LBB453_13:
	s_or_b64 exec, exec, s[6:7]
	v_or_b32_e32 v6, 0x300, v0
	v_cmp_gt_u32_e32 vcc, s33, v6
                                        ; implicit-def: $vgpr6
	s_and_saveexec_b64 s[6:7], vcc
	s_cbranch_execz .LBB453_15
; %bb.14:
	v_lshlrev_b32_e32 v6, 2, v0
	v_readfirstlane_b32 s10, v2
	v_readfirstlane_b32 s11, v3
	s_nop 4
	global_load_dword v6, v6, s[10:11] offset:3072
.LBB453_15:
	s_or_b64 exec, exec, s[6:7]
	v_or_b32_e32 v8, 0x400, v0
	v_cmp_gt_u32_e32 vcc, s33, v8
                                        ; implicit-def: $vgpr7
	s_and_saveexec_b64 s[6:7], vcc
	s_cbranch_execz .LBB453_17
; %bb.16:
	v_lshlrev_b32_e32 v7, 2, v8
	v_readfirstlane_b32 s10, v2
	v_readfirstlane_b32 s11, v3
	s_nop 4
	global_load_dword v7, v7, s[10:11]
.LBB453_17:
	s_or_b64 exec, exec, s[6:7]
	v_or_b32_e32 v9, 0x500, v0
	v_cmp_gt_u32_e32 vcc, s33, v9
                                        ; implicit-def: $vgpr8
	s_and_saveexec_b64 s[6:7], vcc
	s_cbranch_execz .LBB453_19
; %bb.18:
	v_lshlrev_b32_e32 v8, 2, v9
	v_readfirstlane_b32 s10, v2
	v_readfirstlane_b32 s11, v3
	s_nop 4
	global_load_dword v8, v8, s[10:11]
.LBB453_19:
	s_or_b64 exec, exec, s[6:7]
	v_or_b32_e32 v10, 0x600, v0
	v_cmp_gt_u32_e32 vcc, s33, v10
                                        ; implicit-def: $vgpr9
	s_and_saveexec_b64 s[6:7], vcc
	s_cbranch_execz .LBB453_21
; %bb.20:
	v_lshlrev_b32_e32 v9, 2, v10
	v_readfirstlane_b32 s10, v2
	v_readfirstlane_b32 s11, v3
	s_nop 4
	global_load_dword v9, v9, s[10:11]
.LBB453_21:
	s_or_b64 exec, exec, s[6:7]
	v_or_b32_e32 v11, 0x700, v0
	v_cmp_gt_u32_e32 vcc, s33, v11
                                        ; implicit-def: $vgpr10
	s_and_saveexec_b64 s[6:7], vcc
	s_cbranch_execz .LBB453_23
; %bb.22:
	v_lshlrev_b32_e32 v10, 2, v11
	v_readfirstlane_b32 s10, v2
	v_readfirstlane_b32 s11, v3
	s_nop 4
	global_load_dword v10, v10, s[10:11]
.LBB453_23:
	s_or_b64 exec, exec, s[6:7]
	v_or_b32_e32 v12, 0x800, v0
	v_cmp_gt_u32_e32 vcc, s33, v12
                                        ; implicit-def: $vgpr11
	s_and_saveexec_b64 s[6:7], vcc
	s_cbranch_execz .LBB453_25
; %bb.24:
	v_lshlrev_b32_e32 v11, 2, v12
	v_readfirstlane_b32 s10, v2
	v_readfirstlane_b32 s11, v3
	s_nop 4
	global_load_dword v11, v11, s[10:11]
.LBB453_25:
	s_or_b64 exec, exec, s[6:7]
	v_or_b32_e32 v13, 0x900, v0
	v_cmp_gt_u32_e32 vcc, s33, v13
                                        ; implicit-def: $vgpr12
	s_and_saveexec_b64 s[6:7], vcc
	s_cbranch_execz .LBB453_27
; %bb.26:
	v_lshlrev_b32_e32 v12, 2, v13
	v_readfirstlane_b32 s10, v2
	v_readfirstlane_b32 s11, v3
	s_nop 4
	global_load_dword v12, v12, s[10:11]
.LBB453_27:
	s_or_b64 exec, exec, s[6:7]
	v_or_b32_e32 v14, 0xa00, v0
	v_cmp_gt_u32_e32 vcc, s33, v14
                                        ; implicit-def: $vgpr13
	s_and_saveexec_b64 s[6:7], vcc
	s_cbranch_execz .LBB453_29
; %bb.28:
	v_lshlrev_b32_e32 v13, 2, v14
	v_readfirstlane_b32 s10, v2
	v_readfirstlane_b32 s11, v3
	s_nop 4
	global_load_dword v13, v13, s[10:11]
.LBB453_29:
	s_or_b64 exec, exec, s[6:7]
	v_or_b32_e32 v15, 0xb00, v0
	v_cmp_gt_u32_e32 vcc, s33, v15
                                        ; implicit-def: $vgpr14
	s_and_saveexec_b64 s[6:7], vcc
	s_cbranch_execz .LBB453_31
; %bb.30:
	v_lshlrev_b32_e32 v14, 2, v15
	v_readfirstlane_b32 s10, v2
	v_readfirstlane_b32 s11, v3
	s_nop 4
	global_load_dword v14, v14, s[10:11]
.LBB453_31:
	s_or_b64 exec, exec, s[6:7]
	v_or_b32_e32 v16, 0xc00, v0
	v_cmp_gt_u32_e32 vcc, s33, v16
                                        ; implicit-def: $vgpr15
	s_and_saveexec_b64 s[6:7], vcc
	s_cbranch_execz .LBB453_33
; %bb.32:
	v_lshlrev_b32_e32 v15, 2, v16
	v_readfirstlane_b32 s10, v2
	v_readfirstlane_b32 s11, v3
	s_nop 4
	global_load_dword v15, v15, s[10:11]
.LBB453_33:
	s_or_b64 exec, exec, s[6:7]
	v_or_b32_e32 v17, 0xd00, v0
	v_cmp_gt_u32_e32 vcc, s33, v17
                                        ; implicit-def: $vgpr16
	s_and_saveexec_b64 s[6:7], vcc
	s_cbranch_execz .LBB453_35
; %bb.34:
	v_lshlrev_b32_e32 v16, 2, v17
	v_readfirstlane_b32 s10, v2
	v_readfirstlane_b32 s11, v3
	s_nop 4
	global_load_dword v16, v16, s[10:11]
.LBB453_35:
	s_or_b64 exec, exec, s[6:7]
	v_or_b32_e32 v18, 0xe00, v0
	v_cmp_gt_u32_e32 vcc, s33, v18
                                        ; implicit-def: $vgpr17
	s_and_saveexec_b64 s[6:7], vcc
	s_cbranch_execz .LBB453_37
; %bb.36:
	v_lshlrev_b32_e32 v17, 2, v18
	v_readfirstlane_b32 s10, v2
	v_readfirstlane_b32 s11, v3
	s_nop 4
	global_load_dword v17, v17, s[10:11]
.LBB453_37:
	s_or_b64 exec, exec, s[6:7]
	v_lshlrev_b32_e32 v18, 2, v0
	s_waitcnt vmcnt(0) lgkmcnt(0)
	ds_write2st64_b32 v18, v1, v4 offset1:4
	ds_write2st64_b32 v18, v5, v6 offset0:8 offset1:12
	ds_write2st64_b32 v18, v7, v8 offset0:16 offset1:20
	;; [unrolled: 1-line block ×6, first 2 shown]
	ds_write_b32 v18, v17 offset:14336
	v_mad_u32_u24 v1, v0, 56, v18
	s_waitcnt lgkmcnt(0)
	s_barrier
	ds_read2_b32 v[20:21], v1 offset1:1
	ds_read2_b32 v[18:19], v1 offset0:2 offset1:3
	ds_read2_b32 v[16:17], v1 offset0:4 offset1:5
	;; [unrolled: 1-line block ×6, first 2 shown]
	ds_read_b32 v1, v1 offset:56
	v_mad_u32_u24 v4, v0, 15, 14
	v_cmp_gt_u32_e64 s[6:7], s33, v4
	s_waitcnt lgkmcnt(7)
	v_mov_b32_e32 v24, v20
	s_waitcnt lgkmcnt(6)
	v_mov_b32_e32 v25, v18
	;; [unrolled: 2-line block ×7, first 2 shown]
.LBB453_38:
	v_mov_b32_e32 v52, s12
                                        ; implicit-def: $vgpr53
	s_and_saveexec_b64 s[10:11], s[6:7]
; %bb.39:
	v_mov_b32_e32 v53, s12
; %bb.40:
	s_or_b64 exec, exec, s[10:11]
	s_cmp_eq_u64 s[4:5], 0
	s_cselect_b64 s[42:43], -1, 0
	s_cmp_lg_u64 s[4:5], 0
	s_mov_b64 s[6:7], 0
	s_cselect_b64 s[10:11], -1, 0
	s_and_b64 vcc, exec, s[8:9]
	s_waitcnt lgkmcnt(0)
	s_barrier
	s_cbranch_vccz .LBB453_46
; %bb.41:
	s_and_b64 vcc, exec, s[10:11]
	s_cbranch_vccz .LBB453_47
; %bb.42:
	global_load_dword v23, v[2:3], off offset:-4
	v_lshlrev_b32_e32 v26, 2, v0
	ds_write_b32 v26, v1
	s_waitcnt lgkmcnt(0)
	s_barrier
	s_and_saveexec_b64 s[6:7], s[2:3]
	s_cbranch_execz .LBB453_44
; %bb.43:
	s_waitcnt vmcnt(0)
	v_add_u32_e32 v23, -4, v26
	ds_read_b32 v23, v23
.LBB453_44:
	s_or_b64 exec, exec, s[6:7]
	v_cmp_ne_u32_e32 vcc, v24, v21
	v_cndmask_b32_e64 v67, 0, 1, vcc
	v_cmp_ne_u32_e32 vcc, v25, v21
	v_cndmask_b32_e64 v66, 0, 1, vcc
	;; [unrolled: 2-line block ×14, first 2 shown]
	s_waitcnt vmcnt(0) lgkmcnt(0)
	v_cmp_ne_u32_e64 s[8:9], v23, v20
	s_mov_b64 s[6:7], -1
.LBB453_45:
                                        ; implicit-def: $sgpr14
	s_branch .LBB453_59
.LBB453_46:
                                        ; implicit-def: $sgpr8_sgpr9
                                        ; implicit-def: $vgpr54
                                        ; implicit-def: $vgpr55
                                        ; implicit-def: $vgpr56
                                        ; implicit-def: $vgpr57
                                        ; implicit-def: $vgpr58
                                        ; implicit-def: $vgpr59
                                        ; implicit-def: $vgpr60
                                        ; implicit-def: $vgpr61
                                        ; implicit-def: $vgpr62
                                        ; implicit-def: $vgpr63
                                        ; implicit-def: $vgpr64
                                        ; implicit-def: $vgpr65
                                        ; implicit-def: $vgpr66
                                        ; implicit-def: $vgpr67
                                        ; implicit-def: $sgpr14
	s_cbranch_execnz .LBB453_51
	s_branch .LBB453_59
.LBB453_47:
                                        ; implicit-def: $sgpr8_sgpr9
                                        ; implicit-def: $vgpr54
                                        ; implicit-def: $vgpr55
                                        ; implicit-def: $vgpr56
                                        ; implicit-def: $vgpr57
                                        ; implicit-def: $vgpr58
                                        ; implicit-def: $vgpr59
                                        ; implicit-def: $vgpr60
                                        ; implicit-def: $vgpr61
                                        ; implicit-def: $vgpr62
                                        ; implicit-def: $vgpr63
                                        ; implicit-def: $vgpr64
                                        ; implicit-def: $vgpr65
                                        ; implicit-def: $vgpr66
                                        ; implicit-def: $vgpr67
	s_cbranch_execz .LBB453_45
; %bb.48:
	v_cmp_ne_u32_e32 vcc, v21, v24
	v_cndmask_b32_e64 v67, 0, 1, vcc
	v_cmp_ne_u32_e32 vcc, v21, v25
	v_cndmask_b32_e64 v66, 0, 1, vcc
	;; [unrolled: 2-line block ×13, first 2 shown]
	v_cmp_ne_u32_e32 vcc, v9, v1
	v_lshlrev_b32_e32 v23, 2, v0
	v_cndmask_b32_e64 v54, 0, 1, vcc
	ds_write_b32 v23, v1
	s_waitcnt lgkmcnt(0)
	s_barrier
	s_waitcnt lgkmcnt(0)
                                        ; implicit-def: $sgpr8_sgpr9
	s_and_saveexec_b64 s[12:13], s[2:3]
	s_xor_b64 s[12:13], exec, s[12:13]
	s_cbranch_execz .LBB453_50
; %bb.49:
	v_add_u32_e32 v4, -4, v23
	ds_read_b32 v4, v4
	s_or_b64 s[6:7], s[6:7], exec
	s_waitcnt lgkmcnt(0)
	v_cmp_ne_u32_e32 vcc, v4, v20
	s_and_b64 s[8:9], vcc, exec
.LBB453_50:
	s_or_b64 exec, exec, s[12:13]
	s_mov_b32 s14, 1
	s_branch .LBB453_59
.LBB453_51:
	s_mul_hi_u32 s8, s4, 0xfffff100
	s_mulk_i32 s5, 0xf100
	s_sub_i32 s8, s8, s4
	s_add_i32 s8, s8, s5
	s_mulk_i32 s4, 0xf100
	s_add_u32 s12, s4, s48
	s_addc_u32 s13, s8, s49
	s_and_b64 vcc, exec, s[10:11]
	s_cbranch_vccz .LBB453_56
; %bb.52:
	global_load_dword v6, v[2:3], off offset:-4
	v_mad_u32_u24 v4, v0, 15, 14
	v_mov_b32_e32 v5, 0
	v_cmp_gt_u64_e32 vcc, s[12:13], v[4:5]
	v_cmp_ne_u32_e64 s[4:5], v9, v1
	v_mad_u32_u24 v4, v0, 15, 13
	s_and_b64 s[6:7], vcc, s[4:5]
	v_cmp_gt_u64_e32 vcc, s[12:13], v[4:5]
	v_cmp_ne_u32_e64 s[4:5], v8, v9
	v_mad_u32_u24 v4, v0, 15, 12
	s_and_b64 s[8:9], vcc, s[4:5]
	;; [unrolled: 4-line block ×13, first 2 shown]
	v_cmp_gt_u64_e32 vcc, s[12:13], v[4:5]
	v_cmp_ne_u32_e64 s[4:5], v20, v21
	v_lshlrev_b32_e32 v3, 2, v0
	v_mul_u32_u24_e32 v2, 15, v0
	s_and_b64 s[4:5], vcc, s[4:5]
	ds_write_b32 v3, v1
	s_waitcnt lgkmcnt(0)
	s_barrier
	s_and_saveexec_b64 s[54:55], s[2:3]
	s_cbranch_execz .LBB453_54
; %bb.53:
	v_add_u32_e32 v3, -4, v3
	s_waitcnt vmcnt(0)
	ds_read_b32 v6, v3
.LBB453_54:
	s_or_b64 exec, exec, s[54:55]
	v_mov_b32_e32 v3, v5
	v_cndmask_b32_e64 v67, 0, 1, s[4:5]
	v_cmp_gt_u64_e32 vcc, s[12:13], v[2:3]
	s_waitcnt vmcnt(0) lgkmcnt(0)
	v_cmp_ne_u32_e64 s[4:5], v6, v20
	v_cndmask_b32_e64 v54, 0, 1, s[6:7]
	v_cndmask_b32_e64 v55, 0, 1, s[8:9]
	v_cndmask_b32_e64 v56, 0, 1, s[10:11]
	v_cndmask_b32_e64 v57, 0, 1, s[14:15]
	v_cndmask_b32_e64 v58, 0, 1, s[16:17]
	v_cndmask_b32_e64 v59, 0, 1, s[18:19]
	v_cndmask_b32_e64 v60, 0, 1, s[20:21]
	v_cndmask_b32_e64 v61, 0, 1, s[22:23]
	v_cndmask_b32_e64 v62, 0, 1, s[24:25]
	v_cndmask_b32_e64 v63, 0, 1, s[26:27]
	v_cndmask_b32_e64 v64, 0, 1, s[28:29]
	v_cndmask_b32_e64 v65, 0, 1, s[30:31]
	v_cndmask_b32_e64 v66, 0, 1, s[48:49]
	s_and_b64 s[8:9], vcc, s[4:5]
	s_mov_b64 s[6:7], -1
.LBB453_55:
                                        ; implicit-def: $sgpr14
	v_mov_b32_e32 v68, s14
	s_and_saveexec_b64 s[2:3], s[6:7]
	s_cbranch_execnz .LBB453_60
	s_branch .LBB453_61
.LBB453_56:
                                        ; implicit-def: $sgpr8_sgpr9
                                        ; implicit-def: $vgpr54
                                        ; implicit-def: $vgpr55
                                        ; implicit-def: $vgpr56
                                        ; implicit-def: $vgpr57
                                        ; implicit-def: $vgpr58
                                        ; implicit-def: $vgpr59
                                        ; implicit-def: $vgpr60
                                        ; implicit-def: $vgpr61
                                        ; implicit-def: $vgpr62
                                        ; implicit-def: $vgpr63
                                        ; implicit-def: $vgpr64
                                        ; implicit-def: $vgpr65
                                        ; implicit-def: $vgpr66
                                        ; implicit-def: $vgpr67
	s_cbranch_execz .LBB453_55
; %bb.57:
	v_mad_u32_u24 v2, v0, 15, 14
	v_mov_b32_e32 v3, 0
	v_cmp_gt_u64_e32 vcc, s[12:13], v[2:3]
	v_cmp_ne_u32_e64 s[4:5], v9, v1
	s_and_b64 s[4:5], vcc, s[4:5]
	v_mad_u32_u24 v2, v0, 15, 13
	v_cndmask_b32_e64 v54, 0, 1, s[4:5]
	v_cmp_gt_u64_e32 vcc, s[12:13], v[2:3]
	v_cmp_ne_u32_e64 s[4:5], v8, v9
	s_and_b64 s[4:5], vcc, s[4:5]
	v_mad_u32_u24 v2, v0, 15, 12
	v_cndmask_b32_e64 v55, 0, 1, s[4:5]
	;; [unrolled: 5-line block ×13, first 2 shown]
	v_cmp_gt_u64_e32 vcc, s[12:13], v[2:3]
	v_cmp_ne_u32_e64 s[4:5], v20, v21
	s_and_b64 s[4:5], vcc, s[4:5]
	v_lshlrev_b32_e32 v4, 2, v0
	s_mov_b32 s14, 1
	v_cndmask_b32_e64 v67, 0, 1, s[4:5]
	ds_write_b32 v4, v1
	s_waitcnt lgkmcnt(0)
	s_barrier
	s_waitcnt lgkmcnt(0)
                                        ; implicit-def: $sgpr8_sgpr9
	s_and_saveexec_b64 s[4:5], s[2:3]
	s_cbranch_execz .LBB453_156
; %bb.58:
	v_add_u32_e32 v2, -4, v4
	ds_read_b32 v4, v2
	v_mul_u32_u24_e32 v2, 15, v0
	v_cmp_gt_u64_e32 vcc, s[12:13], v[2:3]
	s_or_b64 s[6:7], s[6:7], exec
	s_waitcnt lgkmcnt(0)
	v_cmp_ne_u32_e64 s[2:3], v4, v20
	s_and_b64 s[2:3], vcc, s[2:3]
	s_and_b64 s[8:9], s[2:3], exec
	s_or_b64 exec, exec, s[4:5]
.LBB453_59:
	v_mov_b32_e32 v68, s14
	s_and_saveexec_b64 s[2:3], s[6:7]
.LBB453_60:
	v_cndmask_b32_e64 v68, 0, 1, s[8:9]
.LBB453_61:
	s_or_b64 exec, exec, s[2:3]
	s_cmp_eq_u64 s[38:39], 0
	v_add3_u32 v2, v67, v68, v66
	s_cselect_b64 s[38:39], -1, 0
	s_cmp_lg_u32 s56, 0
	v_cmp_eq_u32_e64 s[26:27], 0, v67
	v_cmp_eq_u32_e64 s[24:25], 0, v66
	v_cmp_eq_u32_e64 s[22:23], 0, v65
	v_add3_u32 v72, v2, v65, v64
	v_cmp_eq_u32_e64 s[20:21], 0, v64
	v_cmp_eq_u32_e64 s[18:19], 0, v63
	;; [unrolled: 1-line block ×10, first 2 shown]
	v_cmp_eq_u32_e32 vcc, 0, v54
	v_mbcnt_lo_u32_b32 v71, -1, 0
	v_lshrrev_b32_e32 v69, 6, v0
	v_or_b32_e32 v70, 63, v0
	s_cbranch_scc0 .LBB453_92
; %bb.62:
	v_cndmask_b32_e64 v2, 0, v52, s[26:27]
	v_add_u32_e32 v2, v2, v52
	v_cndmask_b32_e64 v2, 0, v2, s[24:25]
	v_add_u32_e32 v2, v2, v52
	;; [unrolled: 2-line block ×11, first 2 shown]
	v_cndmask_b32_e64 v2, 0, v2, s[4:5]
	v_add3_u32 v3, v72, v63, v62
	v_add_u32_e32 v2, v2, v52
	v_add3_u32 v3, v3, v61, v60
	v_cndmask_b32_e64 v2, 0, v2, s[2:3]
	v_add3_u32 v3, v3, v59, v58
	v_add_u32_e32 v2, v2, v52
	v_add3_u32 v3, v3, v57, v56
	v_cndmask_b32_e32 v2, 0, v2, vcc
	v_add3_u32 v3, v3, v55, v54
	v_add_u32_e32 v2, v2, v53
	v_mbcnt_hi_u32_b32 v25, -1, v71
	v_and_b32_e32 v4, 15, v25
	v_mov_b32_dpp v6, v2 row_shr:1 row_mask:0xf bank_mask:0xf
	v_cmp_eq_u32_e32 vcc, 0, v3
	v_mov_b32_dpp v5, v3 row_shr:1 row_mask:0xf bank_mask:0xf
	v_cndmask_b32_e32 v6, 0, v6, vcc
	v_cmp_eq_u32_e32 vcc, 0, v4
	v_cndmask_b32_e64 v5, v5, 0, vcc
	v_add_u32_e32 v3, v5, v3
	v_cndmask_b32_e64 v5, v6, 0, vcc
	v_add_u32_e32 v2, v5, v2
	v_cmp_eq_u32_e32 vcc, 0, v3
	v_mov_b32_dpp v5, v3 row_shr:2 row_mask:0xf bank_mask:0xf
	v_cmp_lt_u32_e64 s[28:29], 1, v4
	v_mov_b32_dpp v6, v2 row_shr:2 row_mask:0xf bank_mask:0xf
	v_cndmask_b32_e64 v5, 0, v5, s[28:29]
	s_and_b64 vcc, s[28:29], vcc
	v_cndmask_b32_e32 v6, 0, v6, vcc
	v_add_u32_e32 v3, v3, v5
	v_add_u32_e32 v2, v6, v2
	v_cmp_eq_u32_e32 vcc, 0, v3
	v_mov_b32_dpp v5, v3 row_shr:4 row_mask:0xf bank_mask:0xf
	v_cmp_lt_u32_e64 s[28:29], 3, v4
	v_mov_b32_dpp v6, v2 row_shr:4 row_mask:0xf bank_mask:0xf
	v_cndmask_b32_e64 v5, 0, v5, s[28:29]
	s_and_b64 vcc, s[28:29], vcc
	v_cndmask_b32_e32 v6, 0, v6, vcc
	v_add_u32_e32 v3, v5, v3
	v_add_u32_e32 v2, v2, v6
	v_cmp_eq_u32_e32 vcc, 0, v3
	v_cmp_lt_u32_e64 s[28:29], 7, v4
	v_mov_b32_dpp v5, v3 row_shr:8 row_mask:0xf bank_mask:0xf
	v_mov_b32_dpp v6, v2 row_shr:8 row_mask:0xf bank_mask:0xf
	s_and_b64 vcc, s[28:29], vcc
	v_cndmask_b32_e64 v4, 0, v5, s[28:29]
	v_cndmask_b32_e32 v5, 0, v6, vcc
	v_add_u32_e32 v2, v5, v2
	v_add_u32_e32 v3, v4, v3
	v_bfe_i32 v6, v25, 4, 1
	v_mov_b32_dpp v5, v2 row_bcast:15 row_mask:0xf bank_mask:0xf
	v_mov_b32_dpp v4, v3 row_bcast:15 row_mask:0xf bank_mask:0xf
	v_cmp_eq_u32_e32 vcc, 0, v3
	v_cndmask_b32_e32 v5, 0, v5, vcc
	v_and_b32_e32 v4, v6, v4
	v_add_u32_e32 v3, v4, v3
	v_and_b32_e32 v4, v6, v5
	v_add_u32_e32 v4, v4, v2
	v_mov_b32_dpp v2, v3 row_bcast:31 row_mask:0xf bank_mask:0xf
	v_cmp_eq_u32_e32 vcc, 0, v3
	v_cmp_lt_u32_e64 s[28:29], 31, v25
	v_mov_b32_dpp v5, v4 row_bcast:31 row_mask:0xf bank_mask:0xf
	v_cndmask_b32_e64 v2, 0, v2, s[28:29]
	s_and_b64 vcc, s[28:29], vcc
	v_add_u32_e32 v2, v2, v3
	v_cndmask_b32_e32 v3, 0, v5, vcc
	v_add_u32_e32 v3, v3, v4
	v_cmp_eq_u32_e32 vcc, v70, v0
	v_lshlrev_b32_e32 v4, 3, v69
	s_and_saveexec_b64 s[28:29], vcc
	s_cbranch_execz .LBB453_64
; %bb.63:
	ds_write_b64 v4, v[2:3] offset:2064
.LBB453_64:
	s_or_b64 exec, exec, s[28:29]
	v_cmp_gt_u32_e32 vcc, 4, v0
	s_waitcnt lgkmcnt(0)
	s_barrier
	s_and_saveexec_b64 s[30:31], vcc
	s_cbranch_execz .LBB453_66
; %bb.65:
	v_lshlrev_b32_e32 v5, 3, v0
	ds_read_b64 v[6:7], v5 offset:2064
	v_and_b32_e32 v22, 3, v25
	v_cmp_lt_u32_e64 s[28:29], 1, v22
	s_waitcnt lgkmcnt(0)
	v_mov_b32_dpp v24, v7 row_shr:1 row_mask:0xf bank_mask:0xf
	v_cmp_eq_u32_e32 vcc, 0, v6
	v_mov_b32_dpp v23, v6 row_shr:1 row_mask:0xf bank_mask:0xf
	v_cndmask_b32_e32 v24, 0, v24, vcc
	v_cmp_eq_u32_e32 vcc, 0, v22
	v_cndmask_b32_e64 v23, v23, 0, vcc
	v_add_u32_e32 v6, v23, v6
	v_cndmask_b32_e64 v23, v24, 0, vcc
	v_add_u32_e32 v7, v23, v7
	v_cmp_eq_u32_e32 vcc, 0, v6
	v_mov_b32_dpp v23, v6 row_shr:2 row_mask:0xf bank_mask:0xf
	v_mov_b32_dpp v24, v7 row_shr:2 row_mask:0xf bank_mask:0xf
	v_cndmask_b32_e64 v22, 0, v23, s[28:29]
	s_and_b64 vcc, s[28:29], vcc
	v_add_u32_e32 v6, v22, v6
	v_cndmask_b32_e32 v22, 0, v24, vcc
	v_add_u32_e32 v7, v22, v7
	ds_write_b64 v5, v[6:7] offset:2064
.LBB453_66:
	s_or_b64 exec, exec, s[30:31]
	v_cmp_gt_u32_e32 vcc, 64, v0
	v_cmp_lt_u32_e64 s[28:29], 63, v0
	v_mov_b32_e32 v22, 0
	v_mov_b32_e32 v23, 0
	s_waitcnt lgkmcnt(0)
	s_barrier
	s_and_saveexec_b64 s[30:31], s[28:29]
	s_cbranch_execz .LBB453_68
; %bb.67:
	ds_read_b64 v[22:23], v4 offset:2056
	v_cmp_eq_u32_e64 s[28:29], 0, v2
	s_waitcnt lgkmcnt(0)
	v_add_u32_e32 v4, v22, v2
	v_cndmask_b32_e64 v2, 0, v23, s[28:29]
	v_add_u32_e32 v3, v2, v3
	v_mov_b32_e32 v2, v4
.LBB453_68:
	s_or_b64 exec, exec, s[30:31]
	v_add_u32_e32 v4, -1, v25
	v_and_b32_e32 v5, 64, v25
	v_cmp_lt_i32_e64 s[28:29], v4, v5
	v_cndmask_b32_e64 v4, v4, v25, s[28:29]
	v_lshlrev_b32_e32 v4, 2, v4
	ds_bpermute_b32 v30, v4, v2
	ds_bpermute_b32 v31, v4, v3
	v_cmp_eq_u32_e64 s[28:29], 0, v25
	s_and_saveexec_b64 s[48:49], vcc
	s_cbranch_execz .LBB453_91
; %bb.69:
	v_mov_b32_e32 v7, 0
	ds_read_b64 v[2:3], v7 offset:2088
	s_waitcnt lgkmcnt(0)
	v_readfirstlane_b32 s57, v2
	v_readfirstlane_b32 s58, v3
	s_and_saveexec_b64 s[30:31], s[28:29]
	s_cbranch_execz .LBB453_71
; %bb.70:
	s_add_i32 s54, s56, 64
	s_mov_b32 s55, 0
	s_lshl_b64 s[60:61], s[54:55], 4
	s_add_u32 s60, s36, s60
	s_addc_u32 s61, s37, s61
	s_and_b32 s63, s58, 0xff000000
	s_mov_b32 s62, s55
	s_and_b32 s65, s58, 0xff0000
	s_mov_b32 s64, s55
	s_or_b64 s[62:63], s[64:65], s[62:63]
	s_and_b32 s65, s58, 0xff00
	s_or_b64 s[62:63], s[62:63], s[64:65]
	s_and_b32 s65, s58, 0xff
	s_or_b64 s[54:55], s[62:63], s[64:65]
	v_mov_b32_e32 v4, s57
	v_mov_b32_e32 v5, s55
	;; [unrolled: 1-line block ×3, first 2 shown]
	v_pk_mov_b32 v[2:3], s[60:61], s[60:61] op_sel:[0,1]
	;;#ASMSTART
	global_store_dwordx4 v[2:3], v[4:7] off	
s_waitcnt vmcnt(0)
	;;#ASMEND
.LBB453_71:
	s_or_b64 exec, exec, s[30:31]
	v_xad_u32 v24, v25, -1, s56
	v_add_u32_e32 v6, 64, v24
	v_lshlrev_b64 v[2:3], 4, v[6:7]
	v_mov_b32_e32 v4, s37
	v_add_co_u32_e32 v26, vcc, s36, v2
	v_addc_co_u32_e32 v27, vcc, v4, v3, vcc
	;;#ASMSTART
	global_load_dwordx4 v[2:5], v[26:27] off glc	
s_waitcnt vmcnt(0)
	;;#ASMEND
	v_and_b32_e32 v5, 0xff, v3
	v_and_b32_e32 v6, 0xff00, v3
	v_or3_b32 v5, 0, v5, v6
	v_or3_b32 v2, v2, 0, 0
	v_and_b32_e32 v6, 0xff000000, v3
	v_and_b32_e32 v3, 0xff0000, v3
	v_or3_b32 v3, v5, v3, v6
	v_or3_b32 v2, v2, 0, 0
	v_cmp_eq_u16_sdwa s[54:55], v4, v7 src0_sel:BYTE_0 src1_sel:DWORD
	s_and_saveexec_b64 s[30:31], s[54:55]
	s_cbranch_execz .LBB453_77
; %bb.72:
	s_mov_b32 s59, 1
	s_mov_b64 s[54:55], 0
	v_mov_b32_e32 v6, 0
.LBB453_73:                             ; =>This Loop Header: Depth=1
                                        ;     Child Loop BB453_74 Depth 2
	s_max_u32 s60, s59, 1
.LBB453_74:                             ;   Parent Loop BB453_73 Depth=1
                                        ; =>  This Inner Loop Header: Depth=2
	s_add_i32 s60, s60, -1
	s_cmp_eq_u32 s60, 0
	s_sleep 1
	s_cbranch_scc0 .LBB453_74
; %bb.75:                               ;   in Loop: Header=BB453_73 Depth=1
	s_cmp_lt_u32 s59, 32
	s_cselect_b64 s[60:61], -1, 0
	s_cmp_lg_u64 s[60:61], 0
	s_addc_u32 s59, s59, 0
	;;#ASMSTART
	global_load_dwordx4 v[2:5], v[26:27] off glc	
s_waitcnt vmcnt(0)
	;;#ASMEND
	v_cmp_ne_u16_sdwa s[60:61], v4, v6 src0_sel:BYTE_0 src1_sel:DWORD
	s_or_b64 s[54:55], s[60:61], s[54:55]
	s_andn2_b64 exec, exec, s[54:55]
	s_cbranch_execnz .LBB453_73
; %bb.76:
	s_or_b64 exec, exec, s[54:55]
.LBB453_77:
	s_or_b64 exec, exec, s[30:31]
	v_mov_b32_e32 v32, 2
	v_cmp_eq_u16_sdwa s[30:31], v4, v32 src0_sel:BYTE_0 src1_sel:DWORD
	v_lshlrev_b64 v[26:27], v25, -1
	v_and_b32_e32 v5, s31, v27
	v_and_b32_e32 v33, 63, v25
	v_or_b32_e32 v5, 0x80000000, v5
	v_cmp_ne_u32_e32 vcc, 63, v33
	v_and_b32_e32 v6, s30, v26
	v_ffbl_b32_e32 v5, v5
	v_addc_co_u32_e32 v7, vcc, 0, v25, vcc
	v_add_u32_e32 v5, 32, v5
	v_ffbl_b32_e32 v6, v6
	v_lshlrev_b32_e32 v34, 2, v7
	v_min_u32_e32 v5, v6, v5
	ds_bpermute_b32 v6, v34, v3
	v_cmp_eq_u32_e32 vcc, 0, v2
	v_cmp_lt_u32_e64 s[30:31], v33, v5
	ds_bpermute_b32 v7, v34, v2
	s_and_b64 vcc, s[30:31], vcc
	s_waitcnt lgkmcnt(1)
	v_cndmask_b32_e32 v6, 0, v6, vcc
	v_cmp_gt_u32_e32 vcc, 62, v33
	v_add_u32_e32 v3, v6, v3
	v_cndmask_b32_e64 v6, 0, 1, vcc
	v_lshlrev_b32_e32 v6, 1, v6
	v_add_lshl_u32 v35, v6, v25, 2
	s_waitcnt lgkmcnt(0)
	v_cndmask_b32_e64 v7, 0, v7, s[30:31]
	ds_bpermute_b32 v6, v35, v3
	v_add_u32_e32 v2, v7, v2
	ds_bpermute_b32 v7, v35, v2
	v_add_u32_e32 v36, 2, v33
	v_cmp_eq_u32_e32 vcc, 0, v2
	s_waitcnt lgkmcnt(1)
	v_cndmask_b32_e32 v6, 0, v6, vcc
	v_cmp_gt_u32_e32 vcc, v36, v5
	v_cndmask_b32_e64 v6, v6, 0, vcc
	v_add_u32_e32 v3, v6, v3
	s_waitcnt lgkmcnt(0)
	v_cndmask_b32_e64 v6, v7, 0, vcc
	v_cmp_gt_u32_e32 vcc, 60, v33
	v_cndmask_b32_e64 v7, 0, 1, vcc
	v_lshlrev_b32_e32 v7, 2, v7
	v_add_lshl_u32 v37, v7, v25, 2
	ds_bpermute_b32 v7, v37, v3
	v_add_u32_e32 v2, v2, v6
	ds_bpermute_b32 v6, v37, v2
	v_add_u32_e32 v38, 4, v33
	v_cmp_eq_u32_e32 vcc, 0, v2
	s_waitcnt lgkmcnt(1)
	v_cndmask_b32_e32 v7, 0, v7, vcc
	v_cmp_gt_u32_e32 vcc, v38, v5
	v_cndmask_b32_e64 v7, v7, 0, vcc
	s_waitcnt lgkmcnt(0)
	v_cndmask_b32_e64 v6, v6, 0, vcc
	v_cmp_gt_u32_e32 vcc, 56, v33
	v_add_u32_e32 v3, v3, v7
	v_cndmask_b32_e64 v7, 0, 1, vcc
	v_lshlrev_b32_e32 v7, 3, v7
	v_add_lshl_u32 v39, v7, v25, 2
	ds_bpermute_b32 v7, v39, v3
	v_add_u32_e32 v2, v2, v6
	ds_bpermute_b32 v6, v39, v2
	v_add_u32_e32 v40, 8, v33
	v_cmp_eq_u32_e32 vcc, 0, v2
	s_waitcnt lgkmcnt(1)
	v_cndmask_b32_e32 v7, 0, v7, vcc
	v_cmp_gt_u32_e32 vcc, v40, v5
	v_cndmask_b32_e64 v7, v7, 0, vcc
	s_waitcnt lgkmcnt(0)
	v_cndmask_b32_e64 v6, v6, 0, vcc
	v_cmp_gt_u32_e32 vcc, 48, v33
	v_add_u32_e32 v3, v3, v7
	;; [unrolled: 16-line block ×3, first 2 shown]
	v_cndmask_b32_e64 v7, 0, 1, vcc
	v_lshlrev_b32_e32 v7, 5, v7
	v_add_lshl_u32 v43, v7, v25, 2
	ds_bpermute_b32 v7, v43, v3
	v_add_u32_e32 v2, v2, v6
	ds_bpermute_b32 v6, v43, v2
	v_add_u32_e32 v44, 32, v33
	v_cmp_eq_u32_e32 vcc, 0, v2
	s_waitcnt lgkmcnt(1)
	v_cndmask_b32_e32 v7, 0, v7, vcc
	v_cmp_gt_u32_e32 vcc, v44, v5
	v_cndmask_b32_e64 v5, v7, 0, vcc
	v_add_u32_e32 v3, v5, v3
	s_waitcnt lgkmcnt(0)
	v_cndmask_b32_e64 v5, v6, 0, vcc
	v_add_u32_e32 v2, v5, v2
	v_mov_b32_e32 v25, 0
	s_branch .LBB453_79
.LBB453_78:                             ;   in Loop: Header=BB453_79 Depth=1
	s_or_b64 exec, exec, s[30:31]
	v_cmp_eq_u16_sdwa s[30:31], v4, v32 src0_sel:BYTE_0 src1_sel:DWORD
	v_and_b32_e32 v5, s31, v27
	v_or_b32_e32 v5, 0x80000000, v5
	v_and_b32_e32 v28, s30, v26
	v_ffbl_b32_e32 v5, v5
	v_add_u32_e32 v5, 32, v5
	v_ffbl_b32_e32 v28, v28
	v_min_u32_e32 v5, v28, v5
	ds_bpermute_b32 v28, v34, v3
	v_cmp_eq_u32_e32 vcc, 0, v2
	v_cmp_lt_u32_e64 s[30:31], v33, v5
	ds_bpermute_b32 v29, v34, v2
	s_and_b64 vcc, s[30:31], vcc
	s_waitcnt lgkmcnt(1)
	v_cndmask_b32_e32 v28, 0, v28, vcc
	v_add_u32_e32 v3, v28, v3
	ds_bpermute_b32 v28, v35, v3
	s_waitcnt lgkmcnt(1)
	v_cndmask_b32_e64 v29, 0, v29, s[30:31]
	v_add_u32_e32 v2, v29, v2
	v_cmp_eq_u32_e32 vcc, 0, v2
	ds_bpermute_b32 v29, v35, v2
	s_waitcnt lgkmcnt(1)
	v_cndmask_b32_e32 v28, 0, v28, vcc
	v_cmp_gt_u32_e32 vcc, v36, v5
	v_cndmask_b32_e64 v28, v28, 0, vcc
	v_add_u32_e32 v3, v28, v3
	ds_bpermute_b32 v28, v37, v3
	s_waitcnt lgkmcnt(1)
	v_cndmask_b32_e64 v29, v29, 0, vcc
	v_add_u32_e32 v2, v2, v29
	v_cmp_eq_u32_e32 vcc, 0, v2
	ds_bpermute_b32 v29, v37, v2
	s_waitcnt lgkmcnt(1)
	v_cndmask_b32_e32 v28, 0, v28, vcc
	v_cmp_gt_u32_e32 vcc, v38, v5
	v_cndmask_b32_e64 v28, v28, 0, vcc
	v_add_u32_e32 v3, v3, v28
	ds_bpermute_b32 v28, v39, v3
	s_waitcnt lgkmcnt(1)
	v_cndmask_b32_e64 v29, v29, 0, vcc
	v_add_u32_e32 v2, v2, v29
	ds_bpermute_b32 v29, v39, v2
	v_cmp_eq_u32_e32 vcc, 0, v2
	s_waitcnt lgkmcnt(1)
	v_cndmask_b32_e32 v28, 0, v28, vcc
	v_cmp_gt_u32_e32 vcc, v40, v5
	v_cndmask_b32_e64 v28, v28, 0, vcc
	v_add_u32_e32 v3, v3, v28
	ds_bpermute_b32 v28, v41, v3
	s_waitcnt lgkmcnt(1)
	v_cndmask_b32_e64 v29, v29, 0, vcc
	v_add_u32_e32 v2, v2, v29
	ds_bpermute_b32 v29, v41, v2
	v_cmp_eq_u32_e32 vcc, 0, v2
	s_waitcnt lgkmcnt(1)
	v_cndmask_b32_e32 v28, 0, v28, vcc
	v_cmp_gt_u32_e32 vcc, v42, v5
	v_cndmask_b32_e64 v28, v28, 0, vcc
	v_add_u32_e32 v3, v3, v28
	ds_bpermute_b32 v28, v43, v3
	s_waitcnt lgkmcnt(1)
	v_cndmask_b32_e64 v29, v29, 0, vcc
	v_add_u32_e32 v2, v2, v29
	ds_bpermute_b32 v29, v43, v2
	v_cmp_eq_u32_e32 vcc, 0, v2
	s_waitcnt lgkmcnt(1)
	v_cndmask_b32_e32 v28, 0, v28, vcc
	v_cmp_gt_u32_e32 vcc, v44, v5
	v_cndmask_b32_e64 v5, v28, 0, vcc
	v_add_u32_e32 v3, v5, v3
	s_waitcnt lgkmcnt(0)
	v_cndmask_b32_e64 v5, v29, 0, vcc
	v_cmp_eq_u32_e32 vcc, 0, v6
	v_cndmask_b32_e32 v3, 0, v3, vcc
	v_subrev_u32_e32 v24, 64, v24
	v_add3_u32 v2, v2, v6, v5
	v_add_u32_e32 v3, v3, v7
.LBB453_79:                             ; =>This Loop Header: Depth=1
                                        ;     Child Loop BB453_82 Depth 2
                                        ;       Child Loop BB453_83 Depth 3
	v_cmp_ne_u16_sdwa s[30:31], v4, v32 src0_sel:BYTE_0 src1_sel:DWORD
	v_mov_b32_e32 v7, v3
	v_cndmask_b32_e64 v3, 0, 1, s[30:31]
	;;#ASMSTART
	;;#ASMEND
	v_cmp_ne_u32_e32 vcc, 0, v3
	s_cmp_lg_u64 vcc, exec
	v_mov_b32_e32 v6, v2
	s_cbranch_scc1 .LBB453_86
; %bb.80:                               ;   in Loop: Header=BB453_79 Depth=1
	v_lshlrev_b64 v[2:3], 4, v[24:25]
	v_mov_b32_e32 v4, s37
	v_add_co_u32_e32 v28, vcc, s36, v2
	v_addc_co_u32_e32 v29, vcc, v4, v3, vcc
	;;#ASMSTART
	global_load_dwordx4 v[2:5], v[28:29] off glc	
s_waitcnt vmcnt(0)
	;;#ASMEND
	v_and_b32_e32 v5, 0xff, v3
	v_and_b32_e32 v45, 0xff00, v3
	v_or3_b32 v5, 0, v5, v45
	v_or3_b32 v2, v2, 0, 0
	v_and_b32_e32 v45, 0xff000000, v3
	v_and_b32_e32 v3, 0xff0000, v3
	v_or3_b32 v3, v5, v3, v45
	v_or3_b32 v2, v2, 0, 0
	v_cmp_eq_u16_sdwa s[54:55], v4, v25 src0_sel:BYTE_0 src1_sel:DWORD
	s_and_saveexec_b64 s[30:31], s[54:55]
	s_cbranch_execz .LBB453_78
; %bb.81:                               ;   in Loop: Header=BB453_79 Depth=1
	s_mov_b32 s59, 1
	s_mov_b64 s[54:55], 0
.LBB453_82:                             ;   Parent Loop BB453_79 Depth=1
                                        ; =>  This Loop Header: Depth=2
                                        ;       Child Loop BB453_83 Depth 3
	s_max_u32 s60, s59, 1
.LBB453_83:                             ;   Parent Loop BB453_79 Depth=1
                                        ;     Parent Loop BB453_82 Depth=2
                                        ; =>    This Inner Loop Header: Depth=3
	s_add_i32 s60, s60, -1
	s_cmp_eq_u32 s60, 0
	s_sleep 1
	s_cbranch_scc0 .LBB453_83
; %bb.84:                               ;   in Loop: Header=BB453_82 Depth=2
	s_cmp_lt_u32 s59, 32
	s_cselect_b64 s[60:61], -1, 0
	s_cmp_lg_u64 s[60:61], 0
	s_addc_u32 s59, s59, 0
	;;#ASMSTART
	global_load_dwordx4 v[2:5], v[28:29] off glc	
s_waitcnt vmcnt(0)
	;;#ASMEND
	v_cmp_ne_u16_sdwa s[60:61], v4, v25 src0_sel:BYTE_0 src1_sel:DWORD
	s_or_b64 s[54:55], s[60:61], s[54:55]
	s_andn2_b64 exec, exec, s[54:55]
	s_cbranch_execnz .LBB453_82
; %bb.85:                               ;   in Loop: Header=BB453_79 Depth=1
	s_or_b64 exec, exec, s[54:55]
	s_branch .LBB453_78
.LBB453_86:                             ;   in Loop: Header=BB453_79 Depth=1
                                        ; implicit-def: $vgpr3
                                        ; implicit-def: $vgpr2
                                        ; implicit-def: $vgpr4
	s_cbranch_execz .LBB453_79
; %bb.87:
	s_and_saveexec_b64 s[30:31], s[28:29]
	s_cbranch_execz .LBB453_89
; %bb.88:
	s_cmp_eq_u32 s57, 0
	s_cselect_b64 vcc, -1, 0
	s_mov_b32 s55, 0
	v_cndmask_b32_e32 v2, 0, v7, vcc
	s_add_i32 s54, s56, 64
	v_add_u32_e32 v2, s58, v2
	s_lshl_b64 s[54:55], s[54:55], 4
	s_add_u32 s54, s36, s54
	v_and_b32_e32 v3, 0xff000000, v2
	v_and_b32_e32 v4, 0xff0000, v2
	s_addc_u32 s55, s37, s55
	v_or_b32_e32 v3, v4, v3
	v_and_b32_e32 v4, 0xff00, v2
	v_and_b32_e32 v2, 0xff, v2
	v_add_u32_e32 v24, s57, v6
	v_mov_b32_e32 v27, 0
	v_or3_b32 v25, v3, v4, v2
	v_mov_b32_e32 v26, 2
	v_pk_mov_b32 v[2:3], s[54:55], s[54:55] op_sel:[0,1]
	;;#ASMSTART
	global_store_dwordx4 v[2:3], v[24:27] off	
s_waitcnt vmcnt(0)
	;;#ASMEND
	v_mov_b32_e32 v4, s57
	v_mov_b32_e32 v5, s58
	ds_write_b128 v27, v[4:7] offset:2048
.LBB453_89:
	s_or_b64 exec, exec, s[30:31]
	s_and_b64 exec, exec, s[0:1]
	s_cbranch_execz .LBB453_91
; %bb.90:
	v_mov_b32_e32 v2, 0
	ds_write_b64 v2, v[6:7] offset:2088
.LBB453_91:
	s_or_b64 exec, exec, s[48:49]
	v_mov_b32_e32 v4, 0
	s_waitcnt lgkmcnt(0)
	s_barrier
	ds_read_b64 v[2:3], v4 offset:2088
	v_cndmask_b32_e64 v6, v30, v22, s[28:29]
	v_cmp_eq_u32_e32 vcc, 0, v6
	v_cndmask_b32_e64 v5, v31, v23, s[28:29]
	s_waitcnt lgkmcnt(0)
	v_cndmask_b32_e32 v7, 0, v3, vcc
	v_add_u32_e32 v5, v7, v5
	v_cndmask_b32_e64 v51, v5, v3, s[0:1]
	v_cndmask_b32_e64 v3, v6, 0, s[0:1]
	v_cmp_eq_u32_e32 vcc, 0, v68
	v_add_u32_e32 v50, v2, v3
	v_cndmask_b32_e32 v2, 0, v51, vcc
	v_add_u32_e32 v49, v2, v52
	v_cndmask_b32_e64 v2, 0, v49, s[26:27]
	v_add_u32_e32 v47, v2, v52
	v_cndmask_b32_e64 v2, 0, v47, s[24:25]
	;; [unrolled: 2-line block ×8, first 2 shown]
	v_add_u32_e32 v48, v50, v68
	v_add_u32_e32 v33, v2, v52
	v_add_u32_e32 v46, v48, v67
	v_cndmask_b32_e64 v2, 0, v33, s[10:11]
	v_add_u32_e32 v44, v46, v66
	v_add_u32_e32 v31, v2, v52
	v_add_u32_e32 v42, v44, v65
	v_cndmask_b32_e64 v2, 0, v31, s[8:9]
	;; [unrolled: 4-line block ×3, first 2 shown]
	v_add_u32_e32 v36, v38, v62
	v_add_u32_e32 v27, v2, v52
	s_barrier
	ds_read_b128 v[2:5], v4 offset:2048
	v_add_u32_e32 v34, v36, v61
	v_add_u32_e32 v32, v34, v60
	;; [unrolled: 1-line block ×4, first 2 shown]
	v_cndmask_b32_e64 v6, 0, v27, s[4:5]
	v_add_u32_e32 v26, v28, v57
	v_add_u32_e32 v23, v6, v52
	s_waitcnt lgkmcnt(0)
	v_cmp_eq_u32_e32 vcc, 0, v2
	v_add_u32_e32 v22, v26, v56
	v_cndmask_b32_e64 v6, 0, v23, s[2:3]
	v_cndmask_b32_e32 v5, 0, v5, vcc
	v_add_u32_e32 v24, v22, v55
	v_add_u32_e32 v25, v6, v52
	;; [unrolled: 1-line block ×3, first 2 shown]
	s_branch .LBB453_104
.LBB453_92:
                                        ; implicit-def: $vgpr2
                                        ; implicit-def: $vgpr6
                                        ; implicit-def: $vgpr24_vgpr25
                                        ; implicit-def: $vgpr22_vgpr23
                                        ; implicit-def: $vgpr26_vgpr27
                                        ; implicit-def: $vgpr28_vgpr29
                                        ; implicit-def: $vgpr50_vgpr51
                                        ; implicit-def: $vgpr48_vgpr49
                                        ; implicit-def: $vgpr46_vgpr47
                                        ; implicit-def: $vgpr44_vgpr45
                                        ; implicit-def: $vgpr42_vgpr43
                                        ; implicit-def: $vgpr40_vgpr41
                                        ; implicit-def: $vgpr38_vgpr39
                                        ; implicit-def: $vgpr36_vgpr37
                                        ; implicit-def: $vgpr34_vgpr35
                                        ; implicit-def: $vgpr32_vgpr33
                                        ; implicit-def: $vgpr30_vgpr31
	s_cbranch_execz .LBB453_104
; %bb.93:
	s_and_b64 s[2:3], s[38:39], exec
	s_cselect_b32 s3, 0, s35
	s_cselect_b32 s2, 0, s34
	s_cmp_eq_u64 s[2:3], 0
	v_mov_b32_e32 v6, v52
	s_cbranch_scc1 .LBB453_95
; %bb.94:
	v_mov_b32_e32 v2, 0
	global_load_dword v6, v2, s[2:3]
.LBB453_95:
	v_cmp_eq_u32_e64 s[2:3], 0, v67
	v_cndmask_b32_e64 v2, 0, v52, s[2:3]
	v_add_u32_e32 v2, v2, v52
	v_cmp_eq_u32_e64 s[4:5], 0, v66
	v_cndmask_b32_e64 v2, 0, v2, s[4:5]
	v_add_u32_e32 v2, v2, v52
	;; [unrolled: 3-line block ×11, first 2 shown]
	v_cmp_eq_u32_e64 s[24:25], 0, v56
	v_cndmask_b32_e64 v2, 0, v2, s[24:25]
	v_add3_u32 v3, v72, v63, v62
	v_add_u32_e32 v2, v2, v52
	v_cmp_eq_u32_e32 vcc, 0, v55
	v_add3_u32 v3, v3, v61, v60
	v_cndmask_b32_e32 v2, 0, v2, vcc
	v_add3_u32 v3, v3, v59, v58
	v_add_u32_e32 v2, v2, v52
	v_cmp_eq_u32_e64 s[26:27], 0, v54
	v_add3_u32 v3, v3, v57, v56
	v_cndmask_b32_e64 v2, 0, v2, s[26:27]
	v_add3_u32 v3, v3, v55, v54
	v_add_u32_e32 v2, v2, v53
	v_mbcnt_hi_u32_b32 v7, -1, v71
	v_and_b32_e32 v4, 15, v7
	v_mov_b32_dpp v22, v2 row_shr:1 row_mask:0xf bank_mask:0xf
	v_cmp_eq_u32_e64 s[26:27], 0, v3
	v_mov_b32_dpp v5, v3 row_shr:1 row_mask:0xf bank_mask:0xf
	v_cndmask_b32_e64 v22, 0, v22, s[26:27]
	v_cmp_eq_u32_e64 s[26:27], 0, v4
	v_cndmask_b32_e64 v5, v5, 0, s[26:27]
	v_add_u32_e32 v3, v5, v3
	v_cndmask_b32_e64 v5, v22, 0, s[26:27]
	v_add_u32_e32 v2, v5, v2
	v_cmp_eq_u32_e64 s[26:27], 0, v3
	v_mov_b32_dpp v5, v3 row_shr:2 row_mask:0xf bank_mask:0xf
	v_cmp_lt_u32_e64 s[28:29], 1, v4
	v_mov_b32_dpp v22, v2 row_shr:2 row_mask:0xf bank_mask:0xf
	v_cndmask_b32_e64 v5, 0, v5, s[28:29]
	s_and_b64 s[26:27], s[28:29], s[26:27]
	v_cndmask_b32_e64 v22, 0, v22, s[26:27]
	v_add_u32_e32 v3, v3, v5
	v_add_u32_e32 v2, v22, v2
	v_cmp_eq_u32_e64 s[26:27], 0, v3
	v_mov_b32_dpp v5, v3 row_shr:4 row_mask:0xf bank_mask:0xf
	v_cmp_lt_u32_e64 s[28:29], 3, v4
	v_mov_b32_dpp v22, v2 row_shr:4 row_mask:0xf bank_mask:0xf
	v_cndmask_b32_e64 v5, 0, v5, s[28:29]
	s_and_b64 s[26:27], s[28:29], s[26:27]
	v_cndmask_b32_e64 v22, 0, v22, s[26:27]
	v_add_u32_e32 v3, v5, v3
	v_add_u32_e32 v2, v2, v22
	v_cmp_eq_u32_e64 s[26:27], 0, v3
	v_cmp_lt_u32_e64 s[28:29], 7, v4
	v_mov_b32_dpp v5, v3 row_shr:8 row_mask:0xf bank_mask:0xf
	v_mov_b32_dpp v22, v2 row_shr:8 row_mask:0xf bank_mask:0xf
	s_and_b64 s[26:27], s[28:29], s[26:27]
	v_cndmask_b32_e64 v4, 0, v5, s[28:29]
	v_cndmask_b32_e64 v5, 0, v22, s[26:27]
	v_add_u32_e32 v2, v5, v2
	v_add_u32_e32 v3, v4, v3
	v_bfe_i32 v22, v7, 4, 1
	v_mov_b32_dpp v5, v2 row_bcast:15 row_mask:0xf bank_mask:0xf
	v_mov_b32_dpp v4, v3 row_bcast:15 row_mask:0xf bank_mask:0xf
	v_cmp_eq_u32_e64 s[26:27], 0, v3
	v_cndmask_b32_e64 v5, 0, v5, s[26:27]
	v_and_b32_e32 v4, v22, v4
	v_add_u32_e32 v3, v4, v3
	v_and_b32_e32 v4, v22, v5
	v_add_u32_e32 v4, v4, v2
	v_mov_b32_dpp v2, v3 row_bcast:31 row_mask:0xf bank_mask:0xf
	v_cmp_eq_u32_e64 s[26:27], 0, v3
	v_cmp_lt_u32_e64 s[28:29], 31, v7
	v_mov_b32_dpp v5, v4 row_bcast:31 row_mask:0xf bank_mask:0xf
	v_cndmask_b32_e64 v2, 0, v2, s[28:29]
	s_and_b64 s[26:27], s[28:29], s[26:27]
	v_add_u32_e32 v2, v2, v3
	v_cndmask_b32_e64 v3, 0, v5, s[26:27]
	v_add_u32_e32 v3, v3, v4
	v_cmp_eq_u32_e64 s[26:27], v70, v0
	s_and_saveexec_b64 s[28:29], s[26:27]
	s_cbranch_execz .LBB453_97
; %bb.96:
	v_lshlrev_b32_e32 v4, 3, v69
	ds_write_b64 v4, v[2:3] offset:2064
.LBB453_97:
	s_or_b64 exec, exec, s[28:29]
	v_cmp_gt_u32_e64 s[26:27], 4, v0
	s_waitcnt lgkmcnt(0)
	s_barrier
	s_and_saveexec_b64 s[30:31], s[26:27]
	s_cbranch_execz .LBB453_99
; %bb.98:
	v_lshlrev_b32_e32 v22, 3, v0
	ds_read_b64 v[4:5], v22 offset:2064
	v_and_b32_e32 v23, 3, v7
	v_cmp_lt_u32_e64 s[28:29], 1, v23
	s_waitcnt lgkmcnt(0)
	v_mov_b32_dpp v25, v5 row_shr:1 row_mask:0xf bank_mask:0xf
	v_cmp_eq_u32_e64 s[26:27], 0, v4
	v_mov_b32_dpp v24, v4 row_shr:1 row_mask:0xf bank_mask:0xf
	v_cndmask_b32_e64 v25, 0, v25, s[26:27]
	v_cmp_eq_u32_e64 s[26:27], 0, v23
	v_cndmask_b32_e64 v24, v24, 0, s[26:27]
	v_add_u32_e32 v4, v24, v4
	v_cndmask_b32_e64 v24, v25, 0, s[26:27]
	v_add_u32_e32 v5, v24, v5
	v_cmp_eq_u32_e64 s[26:27], 0, v4
	v_mov_b32_dpp v24, v4 row_shr:2 row_mask:0xf bank_mask:0xf
	v_mov_b32_dpp v25, v5 row_shr:2 row_mask:0xf bank_mask:0xf
	v_cndmask_b32_e64 v23, 0, v24, s[28:29]
	s_and_b64 s[26:27], s[28:29], s[26:27]
	v_add_u32_e32 v4, v23, v4
	v_cndmask_b32_e64 v23, 0, v25, s[26:27]
	v_add_u32_e32 v5, v23, v5
	ds_write_b64 v22, v[4:5] offset:2064
.LBB453_99:
	s_or_b64 exec, exec, s[30:31]
	v_cmp_lt_u32_e64 s[26:27], 63, v0
	v_mov_b32_e32 v23, 0
	v_mov_b32_e32 v4, 0
	s_waitcnt vmcnt(0)
	v_mov_b32_e32 v5, v6
	s_waitcnt lgkmcnt(0)
	s_barrier
	s_and_saveexec_b64 s[28:29], s[26:27]
	s_cbranch_execz .LBB453_101
; %bb.100:
	v_lshlrev_b32_e32 v4, 3, v69
	ds_read_b64 v[4:5], v4 offset:2056
	s_waitcnt lgkmcnt(0)
	v_cmp_eq_u32_e64 s[26:27], 0, v4
	v_cndmask_b32_e64 v22, 0, v6, s[26:27]
	v_add_u32_e32 v5, v22, v5
.LBB453_101:
	s_or_b64 exec, exec, s[28:29]
	v_cmp_eq_u32_e64 s[26:27], 0, v2
	v_add_u32_e32 v22, v4, v2
	v_cndmask_b32_e64 v2, 0, v5, s[26:27]
	v_add_u32_e32 v2, v2, v3
	v_add_u32_e32 v3, -1, v7
	v_and_b32_e32 v24, 64, v7
	v_cmp_lt_i32_e64 s[26:27], v3, v24
	v_cndmask_b32_e64 v3, v3, v7, s[26:27]
	v_lshlrev_b32_e32 v3, 2, v3
	ds_bpermute_b32 v2, v3, v2
	ds_bpermute_b32 v22, v3, v22
	v_cmp_eq_u32_e64 s[26:27], 0, v7
	s_waitcnt lgkmcnt(1)
	v_cndmask_b32_e64 v2, v2, v5, s[26:27]
	s_waitcnt lgkmcnt(0)
	v_cndmask_b32_e64 v3, v22, v4, s[26:27]
	v_cndmask_b32_e64 v51, v2, v6, s[0:1]
	v_cmp_eq_u32_e64 s[26:27], 0, v68
	v_cndmask_b32_e64 v2, 0, v51, s[26:27]
	v_add_u32_e32 v49, v2, v52
	v_cndmask_b32_e64 v2, 0, v49, s[2:3]
	v_add_u32_e32 v47, v2, v52
	;; [unrolled: 2-line block ×8, first 2 shown]
	v_cndmask_b32_e64 v50, v3, 0, s[0:1]
	v_cndmask_b32_e64 v2, 0, v35, s[16:17]
	v_add_u32_e32 v48, v50, v68
	v_add_u32_e32 v33, v2, v52
	v_add_u32_e32 v46, v48, v67
	v_cndmask_b32_e64 v2, 0, v33, s[18:19]
	v_add_u32_e32 v44, v46, v66
	v_add_u32_e32 v31, v2, v52
	v_add_u32_e32 v42, v44, v65
	;; [unrolled: 4-line block ×3, first 2 shown]
	v_cndmask_b32_e64 v2, 0, v29, s[22:23]
	v_add_u32_e32 v36, v38, v62
	v_add_u32_e32 v27, v2, v52
	ds_read_b64 v[2:3], v23 offset:2088
	v_add_u32_e32 v34, v36, v61
	v_add_u32_e32 v32, v34, v60
	v_add_u32_e32 v30, v32, v59
	v_cndmask_b32_e64 v4, 0, v27, s[24:25]
	v_add_u32_e32 v28, v30, v58
	v_add_u32_e32 v23, v4, v52
	;; [unrolled: 1-line block ×3, first 2 shown]
	v_cndmask_b32_e32 v4, 0, v23, vcc
	s_waitcnt lgkmcnt(0)
	v_cmp_eq_u32_e32 vcc, 0, v2
	v_add_u32_e32 v22, v26, v56
	v_add_u32_e32 v25, v4, v52
	v_cndmask_b32_e32 v4, 0, v6, vcc
	v_add_u32_e32 v24, v22, v55
	v_add_u32_e32 v6, v4, v3
	s_and_saveexec_b64 s[2:3], s[0:1]
	s_cbranch_execz .LBB453_103
; %bb.102:
	s_add_u32 s4, s36, 0x400
	v_and_b32_e32 v3, 0xff000000, v6
	v_and_b32_e32 v4, 0xff0000, v6
	s_addc_u32 s5, s37, 0
	v_or_b32_e32 v3, v4, v3
	v_and_b32_e32 v4, 0xff00, v6
	v_and_b32_e32 v7, 0xff, v6
	v_mov_b32_e32 v5, 0
	v_or3_b32 v3, v3, v4, v7
	v_mov_b32_e32 v4, 2
	v_pk_mov_b32 v[52:53], s[4:5], s[4:5] op_sel:[0,1]
	;;#ASMSTART
	global_store_dwordx4 v[52:53], v[2:5] off	
s_waitcnt vmcnt(0)
	;;#ASMEND
.LBB453_103:
	s_or_b64 exec, exec, s[2:3]
	v_mov_b32_e32 v4, 0
.LBB453_104:
	s_and_b64 s[2:3], s[38:39], exec
	s_cselect_b32 s3, 0, s51
	s_cselect_b32 s2, 0, s50
	s_cmp_eq_u64 s[2:3], 0
	v_pk_mov_b32 v[52:53], 0, 0
	s_barrier
	s_cbranch_scc1 .LBB453_106
; %bb.105:
	v_mov_b32_e32 v3, 0
	global_load_dwordx2 v[52:53], v3, s[2:3]
.LBB453_106:
	s_waitcnt vmcnt(0)
	v_lshlrev_b64 v[70:71], 2, v[52:53]
	v_mov_b32_e32 v3, s45
	v_add_co_u32_e32 v7, vcc, s44, v70
	v_mov_b32_e32 v5, 0
	v_addc_co_u32_e32 v69, vcc, v3, v71, vcc
	v_lshlrev_b64 v[70:71], 2, v[4:5]
	v_add_co_u32_e32 v3, vcc, v7, v70
	v_addc_co_u32_e32 v7, vcc, v69, v71, vcc
	v_cmp_eq_u32_e32 vcc, 0, v68
	v_cndmask_b32_e64 v69, 1, 2, vcc
	v_cmp_eq_u32_e32 vcc, 0, v67
	v_cndmask_b32_e64 v70, 1, 2, vcc
	v_cmp_eq_u32_e32 vcc, 0, v66
	v_and_b32_e32 v69, v70, v69
	v_cndmask_b32_e64 v70, 1, 2, vcc
	v_cmp_eq_u32_e32 vcc, 0, v65
	v_and_b32_e32 v69, v69, v70
	v_cndmask_b32_e64 v70, 1, 2, vcc
	v_cmp_eq_u32_e32 vcc, 0, v64
	v_and_b32_e32 v69, v69, v70
	v_cndmask_b32_e64 v70, 1, 2, vcc
	v_cmp_eq_u32_e32 vcc, 0, v63
	v_and_b32_e32 v69, v69, v70
	v_cndmask_b32_e64 v70, 1, 2, vcc
	v_cmp_eq_u32_e32 vcc, 0, v62
	v_and_b32_e32 v69, v69, v70
	v_cndmask_b32_e64 v70, 1, 2, vcc
	v_cmp_eq_u32_e32 vcc, 0, v61
	v_and_b32_e32 v69, v69, v70
	v_cndmask_b32_e64 v70, 1, 2, vcc
	v_cmp_eq_u32_e32 vcc, 0, v60
	v_and_b32_e32 v69, v69, v70
	v_cndmask_b32_e64 v70, 1, 2, vcc
	v_cmp_eq_u32_e32 vcc, 0, v59
	v_and_b32_e32 v69, v69, v70
	v_cndmask_b32_e64 v70, 1, 2, vcc
	v_cmp_eq_u32_e32 vcc, 0, v58
	v_and_b32_e32 v69, v69, v70
	v_cndmask_b32_e64 v70, 1, 2, vcc
	v_cmp_eq_u32_e32 vcc, 0, v57
	v_and_b32_e32 v69, v69, v70
	v_cndmask_b32_e64 v70, 1, 2, vcc
	v_cmp_eq_u32_e32 vcc, 0, v56
	v_and_b32_e32 v69, v69, v70
	v_cndmask_b32_e64 v70, 1, 2, vcc
	v_cmp_eq_u32_e32 vcc, 0, v55
	v_and_b32_e32 v69, v69, v70
	v_cndmask_b32_e64 v70, 1, 2, vcc
	v_cmp_eq_u32_e32 vcc, 0, v54
	v_and_b32_e32 v69, v69, v70
	v_cndmask_b32_e64 v70, 1, 2, vcc
	s_movk_i32 s34, 0x100
	v_and_b32_e32 v69, v69, v70
	v_cmp_gt_u32_e32 vcc, s34, v2
	v_cmp_ne_u32_e64 s[30:31], 0, v68
	v_cmp_ne_u32_e64 s[28:29], 0, v67
	;; [unrolled: 1-line block ×15, first 2 shown]
	s_mov_b64 s[36:37], -1
	v_cmp_gt_i16_e64 s[34:35], 2, v69
	s_cbranch_vccz .LBB453_113
; %bb.107:
	s_and_saveexec_b64 s[36:37], s[34:35]
	s_cbranch_execz .LBB453_112
; %bb.108:
	v_cmp_ne_u16_e32 vcc, 1, v69
	s_mov_b64 s[38:39], 0
	s_and_saveexec_b64 s[34:35], vcc
	s_xor_b64 s[34:35], exec, s[34:35]
	s_cbranch_execnz .LBB453_157
; %bb.109:
	s_andn2_saveexec_b64 s[34:35], s[34:35]
	s_cbranch_execnz .LBB453_173
.LBB453_110:
	s_or_b64 exec, exec, s[34:35]
	s_and_b64 exec, exec, s[38:39]
	s_cbranch_execz .LBB453_112
.LBB453_111:
	v_sub_u32_e32 v70, v24, v4
	v_mov_b32_e32 v71, 0
	v_lshlrev_b64 v[70:71], 2, v[70:71]
	v_add_co_u32_e32 v70, vcc, v3, v70
	v_addc_co_u32_e32 v71, vcc, v7, v71, vcc
	global_store_dword v[70:71], v1, off
.LBB453_112:
	s_or_b64 exec, exec, s[36:37]
	s_mov_b64 s[36:37], 0
.LBB453_113:
	s_and_b64 vcc, exec, s[36:37]
	s_cbranch_vccz .LBB453_135
; %bb.114:
	v_cmp_gt_i16_e32 vcc, 2, v69
	s_and_saveexec_b64 s[34:35], vcc
	s_cbranch_execz .LBB453_119
; %bb.115:
	v_cmp_ne_u16_e32 vcc, 1, v69
	s_mov_b64 s[38:39], 0
	s_and_saveexec_b64 s[36:37], vcc
	s_xor_b64 s[36:37], exec, s[36:37]
	s_cbranch_execnz .LBB453_174
; %bb.116:
	s_andn2_saveexec_b64 s[2:3], s[36:37]
	s_cbranch_execnz .LBB453_190
.LBB453_117:
	s_or_b64 exec, exec, s[2:3]
	s_and_b64 exec, exec, s[38:39]
	s_cbranch_execz .LBB453_119
.LBB453_118:
	v_sub_u32_e32 v8, v24, v4
	v_lshlrev_b32_e32 v8, 2, v8
	ds_write_b32 v8, v1
.LBB453_119:
	s_or_b64 exec, exec, s[34:35]
	v_cmp_lt_u32_e32 vcc, v0, v2
	s_waitcnt lgkmcnt(0)
	s_barrier
	s_and_saveexec_b64 s[4:5], vcc
	s_cbranch_execz .LBB453_134
; %bb.120:
	v_xad_u32 v1, v0, -1, v2
	s_movk_i32 s2, 0x1700
	v_cmp_gt_u32_e64 s[6:7], s2, v1
	s_movk_i32 s2, 0x16ff
	v_cmp_lt_u32_e32 vcc, s2, v1
	v_mov_b32_e32 v8, v0
	s_and_saveexec_b64 s[8:9], vcc
	s_cbranch_execz .LBB453_131
; %bb.121:
	v_sub_u32_e32 v8, v0, v2
	v_or_b32_e32 v8, 0xff, v8
	v_cmp_ge_u32_e32 vcc, v8, v0
	s_mov_b64 s[2:3], -1
	v_mov_b32_e32 v8, v0
	s_and_saveexec_b64 s[10:11], vcc
	s_cbranch_execz .LBB453_130
; %bb.122:
	v_lshrrev_b32_e32 v12, 8, v1
	v_add_u32_e32 v8, -1, v12
	v_or_b32_e32 v1, 0x100, v0
	v_lshrrev_b32_e32 v9, 1, v8
	v_add_u32_e32 v13, 1, v9
	v_cmp_lt_u32_e32 vcc, 13, v8
	v_mov_b32_e32 v16, 0
	v_pk_mov_b32 v[8:9], v[0:1], v[0:1] op_sel:[0,1]
	s_and_saveexec_b64 s[12:13], vcc
	s_cbranch_execz .LBB453_126
; %bb.123:
	v_and_b32_e32 v14, -8, v13
	v_lshlrev_b32_e32 v15, 2, v0
	s_mov_b32 s16, 0
	s_mov_b64 s[14:15], 0
	v_mov_b32_e32 v11, 0
	v_pk_mov_b32 v[8:9], v[0:1], v[0:1] op_sel:[0,1]
.LBB453_124:                            ; =>This Inner Loop Header: Depth=1
	v_mov_b32_e32 v10, v8
	v_add_u32_e32 v14, -8, v14
	v_lshlrev_b64 v[94:95], 2, v[10:11]
	v_mov_b32_e32 v10, v9
	ds_read2st64_b32 v[18:19], v15 offset1:4
	s_add_i32 s16, s16, 16
	v_cmp_eq_u32_e32 vcc, 0, v14
	v_lshlrev_b64 v[98:99], 2, v[10:11]
	v_add_u32_e32 v10, 0x200, v8
	s_or_b64 s[14:15], vcc, s[14:15]
	v_add_co_u32_e32 v98, vcc, v3, v98
	v_add_u32_e32 v16, 0x200, v9
	ds_read2st64_b32 v[20:21], v15 offset0:8 offset1:12
	v_mov_b32_e32 v17, v11
	ds_read2st64_b32 v[72:73], v15 offset0:16 offset1:20
	v_add_co_u32_e64 v94, s[2:3], v3, v94
	v_addc_co_u32_e32 v99, vcc, v7, v99, vcc
	v_lshlrev_b64 v[100:101], 2, v[10:11]
	v_lshlrev_b64 v[96:97], 2, v[16:17]
	v_addc_co_u32_e64 v95, s[2:3], v7, v95, s[2:3]
	v_add_u32_e32 v10, 0x400, v8
	v_add_co_u32_e32 v100, vcc, v3, v100
	v_add_u32_e32 v70, 0x400, v9
	v_mov_b32_e32 v71, v11
	ds_read2st64_b32 v[76:77], v15 offset0:24 offset1:28
	v_add_co_u32_e64 v96, s[2:3], v3, v96
	v_addc_co_u32_e32 v101, vcc, v7, v101, vcc
	v_lshlrev_b64 v[102:103], 2, v[10:11]
	ds_read2st64_b32 v[80:81], v15 offset0:32 offset1:36
	ds_read2st64_b32 v[84:85], v15 offset0:40 offset1:44
	;; [unrolled: 1-line block ×4, first 2 shown]
	v_lshlrev_b64 v[70:71], 2, v[70:71]
	v_addc_co_u32_e64 v97, s[2:3], v7, v97, s[2:3]
	v_add_u32_e32 v10, 0x600, v8
	s_waitcnt lgkmcnt(7)
	global_store_dword v[94:95], v18, off
	global_store_dword v[98:99], v19, off
	s_waitcnt lgkmcnt(6)
	global_store_dword v[100:101], v20, off
	global_store_dword v[96:97], v21, off
	v_add_co_u32_e32 v18, vcc, v3, v102
	v_add_u32_e32 v74, 0x600, v9
	v_mov_b32_e32 v75, v11
	v_add_co_u32_e64 v70, s[2:3], v3, v70
	v_addc_co_u32_e32 v19, vcc, v7, v103, vcc
	v_lshlrev_b64 v[20:21], 2, v[10:11]
	v_lshlrev_b64 v[74:75], 2, v[74:75]
	v_addc_co_u32_e64 v71, s[2:3], v7, v71, s[2:3]
	v_add_u32_e32 v10, 0x800, v8
	s_waitcnt lgkmcnt(5)
	global_store_dword v[18:19], v72, off
	global_store_dword v[70:71], v73, off
	v_add_co_u32_e32 v18, vcc, v3, v20
	v_add_u32_e32 v78, 0x800, v9
	v_mov_b32_e32 v79, v11
	v_add_co_u32_e64 v74, s[2:3], v3, v74
	v_addc_co_u32_e32 v19, vcc, v7, v21, vcc
	v_lshlrev_b64 v[20:21], 2, v[10:11]
	v_lshlrev_b64 v[78:79], 2, v[78:79]
	v_addc_co_u32_e64 v75, s[2:3], v7, v75, s[2:3]
	v_add_u32_e32 v10, 0xa00, v8
	;; [unrolled: 12-line block ×4, first 2 shown]
	s_waitcnt lgkmcnt(2)
	global_store_dword v[18:19], v84, off
	global_store_dword v[82:83], v85, off
	v_add_co_u32_e32 v18, vcc, v3, v20
	v_add_u32_e32 v90, 0xe00, v9
	v_mov_b32_e32 v91, v11
	v_add_co_u32_e64 v86, s[2:3], v3, v86
	v_addc_co_u32_e32 v19, vcc, v7, v21, vcc
	v_lshlrev_b64 v[20:21], 2, v[10:11]
	v_lshlrev_b64 v[90:91], 2, v[90:91]
	v_addc_co_u32_e64 v87, s[2:3], v7, v87, s[2:3]
	s_waitcnt lgkmcnt(1)
	global_store_dword v[18:19], v88, off
	global_store_dword v[86:87], v89, off
	v_add_co_u32_e32 v18, vcc, v3, v20
	v_add_u32_e32 v15, 0x4000, v15
	v_add_u32_e32 v9, 0x1000, v9
	v_mov_b32_e32 v16, s16
	v_add_co_u32_e64 v90, s[2:3], v3, v90
	v_add_u32_e32 v8, 0x1000, v8
	v_addc_co_u32_e32 v19, vcc, v7, v21, vcc
	v_addc_co_u32_e64 v91, s[2:3], v7, v91, s[2:3]
	s_waitcnt lgkmcnt(0)
	global_store_dword v[18:19], v92, off
	global_store_dword v[90:91], v93, off
	s_andn2_b64 exec, exec, s[14:15]
	s_cbranch_execnz .LBB453_124
; %bb.125:
	s_or_b64 exec, exec, s[14:15]
.LBB453_126:
	s_or_b64 exec, exec, s[12:13]
	v_and_b32_e32 v1, 7, v13
	v_cmp_ne_u32_e32 vcc, 0, v1
	s_and_saveexec_b64 s[12:13], vcc
	s_cbranch_execz .LBB453_129
; %bb.127:
	v_lshlrev_b32_e32 v10, 2, v0
	v_lshl_or_b32 v13, v16, 10, v10
	s_mov_b64 s[14:15], 0
	v_mov_b32_e32 v11, 0
.LBB453_128:                            ; =>This Inner Loop Header: Depth=1
	ds_read2st64_b32 v[14:15], v13 offset1:4
	v_mov_b32_e32 v10, v8
	v_add_u32_e32 v1, -1, v1
	v_lshlrev_b64 v[16:17], 2, v[10:11]
	v_mov_b32_e32 v10, v9
	v_cmp_eq_u32_e32 vcc, 0, v1
	v_add_co_u32_e64 v16, s[2:3], v3, v16
	v_lshlrev_b64 v[18:19], 2, v[10:11]
	v_add_u32_e32 v8, 0x200, v8
	v_add_u32_e32 v13, 0x800, v13
	;; [unrolled: 1-line block ×3, first 2 shown]
	v_addc_co_u32_e64 v17, s[2:3], v7, v17, s[2:3]
	s_or_b64 s[14:15], vcc, s[14:15]
	v_add_co_u32_e32 v18, vcc, v3, v18
	v_addc_co_u32_e32 v19, vcc, v7, v19, vcc
	s_waitcnt lgkmcnt(0)
	global_store_dword v[16:17], v14, off
	global_store_dword v[18:19], v15, off
	s_andn2_b64 exec, exec, s[14:15]
	s_cbranch_execnz .LBB453_128
.LBB453_129:
	s_or_b64 exec, exec, s[12:13]
	v_add_u32_e32 v1, 1, v12
	v_and_b32_e32 v9, 0x1fffffe, v1
	v_cmp_ne_u32_e32 vcc, v1, v9
	v_lshl_or_b32 v8, v9, 8, v0
	s_orn2_b64 s[2:3], vcc, exec
.LBB453_130:
	s_or_b64 exec, exec, s[10:11]
	s_andn2_b64 s[6:7], s[6:7], exec
	s_and_b64 s[2:3], s[2:3], exec
	s_or_b64 s[6:7], s[6:7], s[2:3]
.LBB453_131:
	s_or_b64 exec, exec, s[8:9]
	s_and_b64 exec, exec, s[6:7]
	s_cbranch_execz .LBB453_134
; %bb.132:
	v_lshlrev_b32_e32 v1, 2, v8
	s_mov_b64 s[2:3], 0
	v_mov_b32_e32 v9, 0
.LBB453_133:                            ; =>This Inner Loop Header: Depth=1
	ds_read_b32 v12, v1
	v_lshlrev_b64 v[10:11], 2, v[8:9]
	v_add_co_u32_e32 v10, vcc, v3, v10
	v_add_u32_e32 v8, 0x100, v8
	v_addc_co_u32_e32 v11, vcc, v7, v11, vcc
	v_cmp_ge_u32_e32 vcc, v8, v2
	v_add_u32_e32 v1, 0x400, v1
	s_or_b64 s[2:3], vcc, s[2:3]
	s_waitcnt lgkmcnt(0)
	global_store_dword v[10:11], v12, off
	s_andn2_b64 exec, exec, s[2:3]
	s_cbranch_execnz .LBB453_133
.LBB453_134:
	s_or_b64 exec, exec, s[4:5]
.LBB453_135:
	s_cmpk_lg_i32 s33, 0xf00
	s_cselect_b64 s[2:3], -1, 0
	v_cndmask_b32_e64 v11, 0, 1, s[42:43]
	s_and_b64 s[2:3], s[2:3], s[40:41]
	v_sub_u32_e32 v1, v2, v11
	v_cndmask_b32_e64 v3, 0, 1, s[2:3]
	s_and_b64 s[0:1], s[0:1], s[42:43]
	v_add_u32_e32 v1, v1, v3
	v_cndmask_b32_e64 v3, v68, 0, s[0:1]
	s_mul_hi_u32 s0, s33, 0x88888889
	s_lshr_b32 s0, s0, 3
	v_mad_i32_i24 v7, v0, -15, s33
	v_cmp_eq_u32_e32 vcc, s0, v0
	v_cmp_ne_u32_e64 s[0:1], 0, v7
	v_cndmask_b32_e64 v8, 1, v3, s[0:1]
	v_cmp_ne_u32_e64 s[0:1], 1, v7
	v_cndmask_b32_e64 v9, 1, v67, s[0:1]
	;; [unrolled: 2-line block ×14, first 2 shown]
	v_cmp_ne_u32_e64 s[0:1], 14, v7
	s_and_b64 vcc, vcc, s[40:41]
	v_cndmask_b32_e64 v7, 1, v54, s[0:1]
	v_cndmask_b32_e32 v20, v57, v20, vcc
	v_cndmask_b32_e32 v19, v58, v19, vcc
	;; [unrolled: 1-line block ×4, first 2 shown]
	v_lshlrev_b64 v[8:9], 3, v[52:53]
	v_cndmask_b32_e32 v54, v54, v7, vcc
	v_cndmask_b32_e32 v55, v55, v68, vcc
	;; [unrolled: 1-line block ×11, first 2 shown]
	v_mov_b32_e32 v3, s47
	v_add_co_u32_e32 v7, vcc, s46, v8
	v_addc_co_u32_e32 v3, vcc, v3, v9, vcc
	v_lshlrev_b64 v[8:9], 3, v[4:5]
	v_add_co_u32_e32 v5, vcc, v7, v8
	v_addc_co_u32_e32 v10, vcc, v3, v9, vcc
	v_lshlrev_b32_e32 v3, 3, v11
	v_add_co_u32_e32 v3, vcc, v3, v5
	v_addc_co_u32_e32 v7, vcc, 0, v10, vcc
	v_add_co_u32_e32 v3, vcc, -8, v3
	v_addc_co_u32_e32 v7, vcc, -1, v7, vcc
	v_cmp_eq_u32_e32 vcc, 0, v58
	v_cndmask_b32_e64 v9, 1, 2, vcc
	v_cmp_eq_u32_e32 vcc, 0, v57
	v_add_u32_e32 v8, v4, v11
	v_cndmask_b32_e64 v11, 1, 2, vcc
	v_cmp_eq_u32_e32 vcc, 0, v56
	v_and_b32_e32 v9, v11, v9
	v_cndmask_b32_e64 v11, 1, 2, vcc
	v_cmp_eq_u32_e32 vcc, 0, v12
	v_and_b32_e32 v9, v9, v11
	;; [unrolled: 3-line block ×13, first 2 shown]
	v_cndmask_b32_e64 v11, 1, 2, vcc
	s_movk_i32 s30, 0x100
	v_and_b32_e32 v9, v9, v11
	v_cmp_gt_u32_e32 vcc, s30, v1
	v_cmp_ne_u32_e64 s[28:29], 0, v58
	v_cmp_ne_u32_e64 s[26:27], 0, v57
	;; [unrolled: 1-line block ×15, first 2 shown]
	s_mov_b64 s[34:35], -1
	v_cmp_gt_i16_e64 s[30:31], 2, v9
	s_barrier
	s_cbranch_vccz .LBB453_142
; %bb.136:
	s_and_saveexec_b64 s[34:35], s[30:31]
	s_cbranch_execz .LBB453_141
; %bb.137:
	v_cmp_ne_u16_e32 vcc, 1, v9
	s_mov_b64 s[36:37], 0
	s_and_saveexec_b64 s[30:31], vcc
	s_xor_b64 s[30:31], exec, s[30:31]
	s_cbranch_execnz .LBB453_191
; %bb.138:
	s_andn2_saveexec_b64 s[30:31], s[30:31]
	s_cbranch_execnz .LBB453_207
.LBB453_139:
	s_or_b64 exec, exec, s[30:31]
	s_and_b64 exec, exec, s[36:37]
	s_cbranch_execz .LBB453_141
.LBB453_140:
	v_mov_b32_e32 v13, 0
	v_sub_u32_e32 v14, v24, v8
	v_mov_b32_e32 v15, v13
	v_lshlrev_b64 v[14:15], 3, v[14:15]
	v_add_co_u32_e32 v14, vcc, v3, v14
	v_mov_b32_e32 v12, v25
	v_addc_co_u32_e32 v15, vcc, v7, v15, vcc
	global_store_dwordx2 v[14:15], v[12:13], off
.LBB453_141:
	s_or_b64 exec, exec, s[34:35]
	s_mov_b64 s[34:35], 0
.LBB453_142:
	s_and_b64 vcc, exec, s[34:35]
	s_cbranch_vccz .LBB453_152
; %bb.143:
	v_cmp_gt_i16_e32 vcc, 2, v9
	s_and_saveexec_b64 s[30:31], vcc
	s_cbranch_execz .LBB453_148
; %bb.144:
	v_cmp_ne_u16_e32 vcc, 1, v9
	s_mov_b64 s[36:37], 0
	s_and_saveexec_b64 s[34:35], vcc
	s_xor_b64 s[34:35], exec, s[34:35]
	s_cbranch_execnz .LBB453_208
; %bb.145:
	s_andn2_saveexec_b64 s[0:1], s[34:35]
	s_cbranch_execnz .LBB453_224
.LBB453_146:
	s_or_b64 exec, exec, s[0:1]
	s_and_b64 exec, exec, s[36:37]
	s_cbranch_execz .LBB453_148
.LBB453_147:
	v_sub_u32_e32 v8, v24, v8
	v_lshlrev_b32_e32 v8, 2, v8
	ds_write_b32 v8, v25
.LBB453_148:
	s_or_b64 exec, exec, s[30:31]
	v_cmp_lt_u32_e32 vcc, v0, v1
	s_waitcnt lgkmcnt(0)
	s_barrier
	s_and_saveexec_b64 s[0:1], vcc
	s_cbranch_execz .LBB453_151
; %bb.149:
	v_lshlrev_b32_e32 v11, 2, v0
	s_mov_b64 s[2:3], 0
	v_mov_b32_e32 v9, 0
	v_mov_b32_e32 v8, v0
.LBB453_150:                            ; =>This Inner Loop Header: Depth=1
	ds_read_b32 v12, v11
	v_lshlrev_b64 v[14:15], 3, v[8:9]
	v_add_co_u32_e32 v14, vcc, v3, v14
	v_add_u32_e32 v8, 0x100, v8
	v_addc_co_u32_e32 v15, vcc, v7, v15, vcc
	v_cmp_ge_u32_e32 vcc, v8, v1
	v_mov_b32_e32 v13, v9
	v_add_u32_e32 v11, 0x400, v11
	s_or_b64 s[2:3], vcc, s[2:3]
	s_waitcnt lgkmcnt(0)
	global_store_dwordx2 v[14:15], v[12:13], off
	s_andn2_b64 exec, exec, s[2:3]
	s_cbranch_execnz .LBB453_150
.LBB453_151:
	s_or_b64 exec, exec, s[0:1]
.LBB453_152:
	s_movk_i32 s0, 0xff
	v_cmp_eq_u32_e32 vcc, s0, v0
	s_and_b64 s[0:1], vcc, s[40:41]
	s_and_saveexec_b64 s[2:3], s[0:1]
	s_cbranch_execz .LBB453_155
; %bb.153:
	v_add_co_u32_e32 v0, vcc, v2, v4
	v_addc_co_u32_e64 v1, s[0:1], 0, 0, vcc
	v_add_co_u32_e32 v0, vcc, v0, v52
	v_mov_b32_e32 v3, 0
	v_addc_co_u32_e32 v1, vcc, v1, v53, vcc
	s_cmpk_lg_i32 s33, 0xf00
	global_store_dwordx2 v3, v[0:1], s[52:53]
	s_cbranch_scc1 .LBB453_155
; %bb.154:
	v_lshlrev_b64 v[0:1], 3, v[2:3]
	v_add_co_u32_e32 v0, vcc, v5, v0
	v_mov_b32_e32 v7, v3
	v_addc_co_u32_e32 v1, vcc, v10, v1, vcc
	global_store_dwordx2 v[0:1], v[6:7], off offset:-8
.LBB453_155:
	s_endpgm
.LBB453_156:
	s_or_b64 exec, exec, s[4:5]
	v_mov_b32_e32 v68, s14
	s_and_saveexec_b64 s[2:3], s[6:7]
	s_cbranch_execnz .LBB453_60
	s_branch .LBB453_61
.LBB453_157:
	s_and_saveexec_b64 s[38:39], s[30:31]
	s_cbranch_execnz .LBB453_225
; %bb.158:
	s_or_b64 exec, exec, s[38:39]
	s_and_saveexec_b64 s[38:39], s[28:29]
	s_cbranch_execnz .LBB453_226
.LBB453_159:
	s_or_b64 exec, exec, s[38:39]
	s_and_saveexec_b64 s[38:39], s[26:27]
	s_cbranch_execnz .LBB453_227
.LBB453_160:
	s_or_b64 exec, exec, s[38:39]
	s_and_saveexec_b64 s[38:39], s[24:25]
	s_cbranch_execnz .LBB453_228
.LBB453_161:
	s_or_b64 exec, exec, s[38:39]
	s_and_saveexec_b64 s[38:39], s[22:23]
	s_cbranch_execnz .LBB453_229
.LBB453_162:
	s_or_b64 exec, exec, s[38:39]
	s_and_saveexec_b64 s[38:39], s[20:21]
	s_cbranch_execnz .LBB453_230
.LBB453_163:
	s_or_b64 exec, exec, s[38:39]
	s_and_saveexec_b64 s[38:39], s[18:19]
	s_cbranch_execnz .LBB453_231
.LBB453_164:
	s_or_b64 exec, exec, s[38:39]
	s_and_saveexec_b64 s[38:39], s[16:17]
	s_cbranch_execnz .LBB453_232
.LBB453_165:
	s_or_b64 exec, exec, s[38:39]
	s_and_saveexec_b64 s[38:39], s[14:15]
	s_cbranch_execnz .LBB453_233
.LBB453_166:
	s_or_b64 exec, exec, s[38:39]
	s_and_saveexec_b64 s[38:39], s[12:13]
	s_cbranch_execnz .LBB453_234
.LBB453_167:
	s_or_b64 exec, exec, s[38:39]
	s_and_saveexec_b64 s[38:39], s[10:11]
	s_cbranch_execnz .LBB453_235
.LBB453_168:
	s_or_b64 exec, exec, s[38:39]
	s_and_saveexec_b64 s[38:39], s[8:9]
	s_cbranch_execnz .LBB453_236
.LBB453_169:
	s_or_b64 exec, exec, s[38:39]
	s_and_saveexec_b64 s[38:39], s[6:7]
	s_cbranch_execnz .LBB453_237
.LBB453_170:
	s_or_b64 exec, exec, s[38:39]
	s_and_saveexec_b64 s[38:39], s[4:5]
	s_cbranch_execz .LBB453_172
.LBB453_171:
	v_sub_u32_e32 v70, v22, v4
	v_mov_b32_e32 v71, 0
	v_lshlrev_b64 v[70:71], 2, v[70:71]
	v_add_co_u32_e32 v70, vcc, v3, v70
	v_addc_co_u32_e32 v71, vcc, v7, v71, vcc
	global_store_dword v[70:71], v9, off
.LBB453_172:
	s_or_b64 exec, exec, s[38:39]
	s_and_b64 s[38:39], s[2:3], exec
	s_andn2_saveexec_b64 s[34:35], s[34:35]
	s_cbranch_execz .LBB453_110
.LBB453_173:
	v_sub_u32_e32 v70, v50, v4
	v_mov_b32_e32 v71, 0
	v_lshlrev_b64 v[72:73], 2, v[70:71]
	v_add_co_u32_e32 v72, vcc, v3, v72
	v_addc_co_u32_e32 v73, vcc, v7, v73, vcc
	v_sub_u32_e32 v70, v48, v4
	global_store_dword v[72:73], v20, off
	v_lshlrev_b64 v[72:73], 2, v[70:71]
	v_add_co_u32_e32 v72, vcc, v3, v72
	v_addc_co_u32_e32 v73, vcc, v7, v73, vcc
	v_sub_u32_e32 v70, v46, v4
	global_store_dword v[72:73], v21, off
	;; [unrolled: 5-line block ×12, first 2 shown]
	v_lshlrev_b64 v[72:73], 2, v[70:71]
	v_add_co_u32_e32 v72, vcc, v3, v72
	v_sub_u32_e32 v70, v22, v4
	v_addc_co_u32_e32 v73, vcc, v7, v73, vcc
	v_lshlrev_b64 v[70:71], 2, v[70:71]
	v_add_co_u32_e32 v70, vcc, v3, v70
	v_addc_co_u32_e32 v71, vcc, v7, v71, vcc
	s_or_b64 s[38:39], s[38:39], exec
	global_store_dword v[72:73], v8, off
	global_store_dword v[70:71], v9, off
	s_or_b64 exec, exec, s[34:35]
	s_and_b64 exec, exec, s[38:39]
	s_cbranch_execnz .LBB453_111
	s_branch .LBB453_112
.LBB453_174:
	s_and_saveexec_b64 s[38:39], s[30:31]
	s_cbranch_execnz .LBB453_238
; %bb.175:
	s_or_b64 exec, exec, s[38:39]
	s_and_saveexec_b64 s[30:31], s[28:29]
	s_cbranch_execnz .LBB453_239
.LBB453_176:
	s_or_b64 exec, exec, s[30:31]
	s_and_saveexec_b64 s[28:29], s[26:27]
	s_cbranch_execnz .LBB453_240
.LBB453_177:
	s_or_b64 exec, exec, s[28:29]
	s_and_saveexec_b64 s[26:27], s[24:25]
	s_cbranch_execnz .LBB453_241
.LBB453_178:
	s_or_b64 exec, exec, s[26:27]
	s_and_saveexec_b64 s[24:25], s[22:23]
	s_cbranch_execnz .LBB453_242
.LBB453_179:
	s_or_b64 exec, exec, s[24:25]
	s_and_saveexec_b64 s[22:23], s[20:21]
	s_cbranch_execnz .LBB453_243
.LBB453_180:
	s_or_b64 exec, exec, s[22:23]
	s_and_saveexec_b64 s[20:21], s[18:19]
	s_cbranch_execnz .LBB453_244
.LBB453_181:
	s_or_b64 exec, exec, s[20:21]
	s_and_saveexec_b64 s[18:19], s[16:17]
	s_cbranch_execnz .LBB453_245
.LBB453_182:
	s_or_b64 exec, exec, s[18:19]
	s_and_saveexec_b64 s[16:17], s[14:15]
	s_cbranch_execnz .LBB453_246
.LBB453_183:
	s_or_b64 exec, exec, s[16:17]
	s_and_saveexec_b64 s[14:15], s[12:13]
	s_cbranch_execnz .LBB453_247
.LBB453_184:
	s_or_b64 exec, exec, s[14:15]
	s_and_saveexec_b64 s[12:13], s[10:11]
	s_cbranch_execnz .LBB453_248
.LBB453_185:
	s_or_b64 exec, exec, s[12:13]
	s_and_saveexec_b64 s[10:11], s[8:9]
	s_cbranch_execnz .LBB453_249
.LBB453_186:
	s_or_b64 exec, exec, s[10:11]
	s_and_saveexec_b64 s[8:9], s[6:7]
	s_cbranch_execnz .LBB453_250
.LBB453_187:
	s_or_b64 exec, exec, s[8:9]
	s_and_saveexec_b64 s[6:7], s[4:5]
	s_cbranch_execz .LBB453_189
.LBB453_188:
	v_sub_u32_e32 v8, v22, v4
	v_lshlrev_b32_e32 v8, 2, v8
	ds_write_b32 v8, v9
.LBB453_189:
	s_or_b64 exec, exec, s[6:7]
	s_and_b64 s[38:39], s[2:3], exec
                                        ; implicit-def: $vgpr9
                                        ; implicit-def: $vgpr11
                                        ; implicit-def: $vgpr13
                                        ; implicit-def: $vgpr15
                                        ; implicit-def: $vgpr17
                                        ; implicit-def: $vgpr19
                                        ; implicit-def: $vgpr21
	s_andn2_saveexec_b64 s[2:3], s[36:37]
	s_cbranch_execz .LBB453_117
.LBB453_190:
	v_sub_u32_e32 v69, v50, v4
	v_lshlrev_b32_e32 v69, 2, v69
	ds_write_b32 v69, v20
	v_sub_u32_e32 v20, v48, v4
	v_lshlrev_b32_e32 v20, 2, v20
	ds_write_b32 v20, v21
	;; [unrolled: 3-line block ×13, first 2 shown]
	v_sub_u32_e32 v8, v22, v4
	v_lshlrev_b32_e32 v8, 2, v8
	s_or_b64 s[38:39], s[38:39], exec
	ds_write_b32 v8, v9
	s_or_b64 exec, exec, s[2:3]
	s_and_b64 exec, exec, s[38:39]
	s_cbranch_execnz .LBB453_118
	s_branch .LBB453_119
.LBB453_191:
	s_and_saveexec_b64 s[36:37], s[28:29]
	s_cbranch_execnz .LBB453_251
; %bb.192:
	s_or_b64 exec, exec, s[36:37]
	s_and_saveexec_b64 s[36:37], s[26:27]
	s_cbranch_execnz .LBB453_252
.LBB453_193:
	s_or_b64 exec, exec, s[36:37]
	s_and_saveexec_b64 s[36:37], s[24:25]
	s_cbranch_execnz .LBB453_253
.LBB453_194:
	s_or_b64 exec, exec, s[36:37]
	s_and_saveexec_b64 s[36:37], s[22:23]
	s_cbranch_execnz .LBB453_254
.LBB453_195:
	s_or_b64 exec, exec, s[36:37]
	s_and_saveexec_b64 s[36:37], s[20:21]
	s_cbranch_execnz .LBB453_255
.LBB453_196:
	s_or_b64 exec, exec, s[36:37]
	s_and_saveexec_b64 s[36:37], s[18:19]
	s_cbranch_execnz .LBB453_256
.LBB453_197:
	s_or_b64 exec, exec, s[36:37]
	s_and_saveexec_b64 s[36:37], s[16:17]
	s_cbranch_execnz .LBB453_257
.LBB453_198:
	s_or_b64 exec, exec, s[36:37]
	s_and_saveexec_b64 s[36:37], s[14:15]
	s_cbranch_execnz .LBB453_258
.LBB453_199:
	s_or_b64 exec, exec, s[36:37]
	s_and_saveexec_b64 s[36:37], s[12:13]
	s_cbranch_execnz .LBB453_259
.LBB453_200:
	s_or_b64 exec, exec, s[36:37]
	s_and_saveexec_b64 s[36:37], s[10:11]
	s_cbranch_execnz .LBB453_260
.LBB453_201:
	s_or_b64 exec, exec, s[36:37]
	s_and_saveexec_b64 s[36:37], s[8:9]
	s_cbranch_execnz .LBB453_261
.LBB453_202:
	s_or_b64 exec, exec, s[36:37]
	s_and_saveexec_b64 s[36:37], s[6:7]
	s_cbranch_execnz .LBB453_262
.LBB453_203:
	s_or_b64 exec, exec, s[36:37]
	s_and_saveexec_b64 s[36:37], s[4:5]
	s_cbranch_execnz .LBB453_263
.LBB453_204:
	s_or_b64 exec, exec, s[36:37]
	s_and_saveexec_b64 s[36:37], s[2:3]
	s_cbranch_execz .LBB453_206
.LBB453_205:
	v_sub_u32_e32 v12, v22, v8
	v_mov_b32_e32 v13, 0
	v_lshlrev_b64 v[14:15], 3, v[12:13]
	v_add_co_u32_e32 v14, vcc, v3, v14
	v_addc_co_u32_e32 v15, vcc, v7, v15, vcc
	v_mov_b32_e32 v12, v23
	global_store_dwordx2 v[14:15], v[12:13], off
.LBB453_206:
	s_or_b64 exec, exec, s[36:37]
	s_and_b64 s[36:37], s[0:1], exec
	s_andn2_saveexec_b64 s[30:31], s[30:31]
	s_cbranch_execz .LBB453_139
.LBB453_207:
	v_mov_b32_e32 v13, 0
	v_sub_u32_e32 v14, v50, v8
	v_mov_b32_e32 v15, v13
	v_lshlrev_b64 v[14:15], 3, v[14:15]
	v_add_co_u32_e32 v14, vcc, v3, v14
	v_mov_b32_e32 v12, v51
	v_addc_co_u32_e32 v15, vcc, v7, v15, vcc
	global_store_dwordx2 v[14:15], v[12:13], off
	v_sub_u32_e32 v14, v48, v8
	v_mov_b32_e32 v15, v13
	v_lshlrev_b64 v[14:15], 3, v[14:15]
	v_add_co_u32_e32 v14, vcc, v3, v14
	v_mov_b32_e32 v12, v49
	v_addc_co_u32_e32 v15, vcc, v7, v15, vcc
	global_store_dwordx2 v[14:15], v[12:13], off
	;; [unrolled: 7-line block ×13, first 2 shown]
	v_sub_u32_e32 v14, v22, v8
	v_mov_b32_e32 v15, v13
	v_lshlrev_b64 v[14:15], 3, v[14:15]
	v_add_co_u32_e32 v14, vcc, v3, v14
	v_mov_b32_e32 v12, v23
	v_addc_co_u32_e32 v15, vcc, v7, v15, vcc
	s_or_b64 s[36:37], s[36:37], exec
	global_store_dwordx2 v[14:15], v[12:13], off
	s_or_b64 exec, exec, s[30:31]
	s_and_b64 exec, exec, s[36:37]
	s_cbranch_execnz .LBB453_140
	s_branch .LBB453_141
.LBB453_208:
	s_and_saveexec_b64 s[36:37], s[28:29]
	s_cbranch_execnz .LBB453_264
; %bb.209:
	s_or_b64 exec, exec, s[36:37]
	s_and_saveexec_b64 s[28:29], s[26:27]
	s_cbranch_execnz .LBB453_265
.LBB453_210:
	s_or_b64 exec, exec, s[28:29]
	s_and_saveexec_b64 s[26:27], s[24:25]
	s_cbranch_execnz .LBB453_266
.LBB453_211:
	s_or_b64 exec, exec, s[26:27]
	s_and_saveexec_b64 s[24:25], s[22:23]
	s_cbranch_execnz .LBB453_267
.LBB453_212:
	s_or_b64 exec, exec, s[24:25]
	s_and_saveexec_b64 s[22:23], s[20:21]
	s_cbranch_execnz .LBB453_268
.LBB453_213:
	s_or_b64 exec, exec, s[22:23]
	s_and_saveexec_b64 s[20:21], s[18:19]
	s_cbranch_execnz .LBB453_269
.LBB453_214:
	s_or_b64 exec, exec, s[20:21]
	s_and_saveexec_b64 s[18:19], s[16:17]
	s_cbranch_execnz .LBB453_270
.LBB453_215:
	s_or_b64 exec, exec, s[18:19]
	s_and_saveexec_b64 s[16:17], s[14:15]
	s_cbranch_execnz .LBB453_271
.LBB453_216:
	s_or_b64 exec, exec, s[16:17]
	s_and_saveexec_b64 s[14:15], s[12:13]
	s_cbranch_execnz .LBB453_272
.LBB453_217:
	s_or_b64 exec, exec, s[14:15]
	s_and_saveexec_b64 s[12:13], s[10:11]
	s_cbranch_execnz .LBB453_273
.LBB453_218:
	s_or_b64 exec, exec, s[12:13]
	s_and_saveexec_b64 s[10:11], s[8:9]
	s_cbranch_execnz .LBB453_274
.LBB453_219:
	s_or_b64 exec, exec, s[10:11]
	s_and_saveexec_b64 s[8:9], s[6:7]
	s_cbranch_execnz .LBB453_275
.LBB453_220:
	s_or_b64 exec, exec, s[8:9]
	s_and_saveexec_b64 s[6:7], s[4:5]
	s_cbranch_execnz .LBB453_276
.LBB453_221:
	s_or_b64 exec, exec, s[6:7]
	s_and_saveexec_b64 s[4:5], s[2:3]
	s_cbranch_execz .LBB453_223
.LBB453_222:
	v_sub_u32_e32 v9, v22, v8
	v_lshlrev_b32_e32 v9, 2, v9
	ds_write_b32 v9, v23
.LBB453_223:
	s_or_b64 exec, exec, s[4:5]
	s_and_b64 s[36:37], s[0:1], exec
                                        ; implicit-def: $vgpr22_vgpr23
                                        ; implicit-def: $vgpr26_vgpr27
                                        ; implicit-def: $vgpr28_vgpr29
                                        ; implicit-def: $vgpr50_vgpr51
                                        ; implicit-def: $vgpr48_vgpr49
                                        ; implicit-def: $vgpr46_vgpr47
                                        ; implicit-def: $vgpr44_vgpr45
                                        ; implicit-def: $vgpr42_vgpr43
                                        ; implicit-def: $vgpr40_vgpr41
                                        ; implicit-def: $vgpr38_vgpr39
                                        ; implicit-def: $vgpr36_vgpr37
                                        ; implicit-def: $vgpr34_vgpr35
                                        ; implicit-def: $vgpr32_vgpr33
                                        ; implicit-def: $vgpr30_vgpr31
	s_andn2_saveexec_b64 s[0:1], s[34:35]
	s_cbranch_execz .LBB453_146
.LBB453_224:
	v_sub_u32_e32 v9, v50, v8
	v_lshlrev_b32_e32 v9, 2, v9
	ds_write_b32 v9, v51
	v_sub_u32_e32 v9, v48, v8
	v_lshlrev_b32_e32 v9, 2, v9
	ds_write_b32 v9, v49
	;; [unrolled: 3-line block ×13, first 2 shown]
	v_sub_u32_e32 v9, v22, v8
	v_lshlrev_b32_e32 v9, 2, v9
	s_or_b64 s[36:37], s[36:37], exec
	ds_write_b32 v9, v23
	s_or_b64 exec, exec, s[0:1]
	s_and_b64 exec, exec, s[36:37]
	s_cbranch_execnz .LBB453_147
	s_branch .LBB453_148
.LBB453_225:
	v_sub_u32_e32 v70, v50, v4
	v_mov_b32_e32 v71, 0
	v_lshlrev_b64 v[70:71], 2, v[70:71]
	v_add_co_u32_e32 v70, vcc, v3, v70
	v_addc_co_u32_e32 v71, vcc, v7, v71, vcc
	global_store_dword v[70:71], v20, off
	s_or_b64 exec, exec, s[38:39]
	s_and_saveexec_b64 s[38:39], s[28:29]
	s_cbranch_execz .LBB453_159
.LBB453_226:
	v_sub_u32_e32 v70, v48, v4
	v_mov_b32_e32 v71, 0
	v_lshlrev_b64 v[70:71], 2, v[70:71]
	v_add_co_u32_e32 v70, vcc, v3, v70
	v_addc_co_u32_e32 v71, vcc, v7, v71, vcc
	global_store_dword v[70:71], v21, off
	s_or_b64 exec, exec, s[38:39]
	s_and_saveexec_b64 s[38:39], s[26:27]
	s_cbranch_execz .LBB453_160
.LBB453_227:
	v_sub_u32_e32 v70, v46, v4
	v_mov_b32_e32 v71, 0
	v_lshlrev_b64 v[70:71], 2, v[70:71]
	v_add_co_u32_e32 v70, vcc, v3, v70
	v_addc_co_u32_e32 v71, vcc, v7, v71, vcc
	global_store_dword v[70:71], v18, off
	s_or_b64 exec, exec, s[38:39]
	s_and_saveexec_b64 s[38:39], s[24:25]
	s_cbranch_execz .LBB453_161
.LBB453_228:
	v_sub_u32_e32 v70, v44, v4
	v_mov_b32_e32 v71, 0
	v_lshlrev_b64 v[70:71], 2, v[70:71]
	v_add_co_u32_e32 v70, vcc, v3, v70
	v_addc_co_u32_e32 v71, vcc, v7, v71, vcc
	global_store_dword v[70:71], v19, off
	s_or_b64 exec, exec, s[38:39]
	s_and_saveexec_b64 s[38:39], s[22:23]
	s_cbranch_execz .LBB453_162
.LBB453_229:
	v_sub_u32_e32 v70, v42, v4
	v_mov_b32_e32 v71, 0
	v_lshlrev_b64 v[70:71], 2, v[70:71]
	v_add_co_u32_e32 v70, vcc, v3, v70
	v_addc_co_u32_e32 v71, vcc, v7, v71, vcc
	global_store_dword v[70:71], v16, off
	s_or_b64 exec, exec, s[38:39]
	s_and_saveexec_b64 s[38:39], s[20:21]
	s_cbranch_execz .LBB453_163
.LBB453_230:
	v_sub_u32_e32 v70, v40, v4
	v_mov_b32_e32 v71, 0
	v_lshlrev_b64 v[70:71], 2, v[70:71]
	v_add_co_u32_e32 v70, vcc, v3, v70
	v_addc_co_u32_e32 v71, vcc, v7, v71, vcc
	global_store_dword v[70:71], v17, off
	s_or_b64 exec, exec, s[38:39]
	s_and_saveexec_b64 s[38:39], s[18:19]
	s_cbranch_execz .LBB453_164
.LBB453_231:
	v_sub_u32_e32 v70, v38, v4
	v_mov_b32_e32 v71, 0
	v_lshlrev_b64 v[70:71], 2, v[70:71]
	v_add_co_u32_e32 v70, vcc, v3, v70
	v_addc_co_u32_e32 v71, vcc, v7, v71, vcc
	global_store_dword v[70:71], v14, off
	s_or_b64 exec, exec, s[38:39]
	s_and_saveexec_b64 s[38:39], s[16:17]
	s_cbranch_execz .LBB453_165
.LBB453_232:
	v_sub_u32_e32 v70, v36, v4
	v_mov_b32_e32 v71, 0
	v_lshlrev_b64 v[70:71], 2, v[70:71]
	v_add_co_u32_e32 v70, vcc, v3, v70
	v_addc_co_u32_e32 v71, vcc, v7, v71, vcc
	global_store_dword v[70:71], v15, off
	s_or_b64 exec, exec, s[38:39]
	s_and_saveexec_b64 s[38:39], s[14:15]
	s_cbranch_execz .LBB453_166
.LBB453_233:
	v_sub_u32_e32 v70, v34, v4
	v_mov_b32_e32 v71, 0
	v_lshlrev_b64 v[70:71], 2, v[70:71]
	v_add_co_u32_e32 v70, vcc, v3, v70
	v_addc_co_u32_e32 v71, vcc, v7, v71, vcc
	global_store_dword v[70:71], v12, off
	s_or_b64 exec, exec, s[38:39]
	s_and_saveexec_b64 s[38:39], s[12:13]
	s_cbranch_execz .LBB453_167
.LBB453_234:
	v_sub_u32_e32 v70, v32, v4
	v_mov_b32_e32 v71, 0
	v_lshlrev_b64 v[70:71], 2, v[70:71]
	v_add_co_u32_e32 v70, vcc, v3, v70
	v_addc_co_u32_e32 v71, vcc, v7, v71, vcc
	global_store_dword v[70:71], v13, off
	s_or_b64 exec, exec, s[38:39]
	s_and_saveexec_b64 s[38:39], s[10:11]
	s_cbranch_execz .LBB453_168
.LBB453_235:
	v_sub_u32_e32 v70, v30, v4
	v_mov_b32_e32 v71, 0
	v_lshlrev_b64 v[70:71], 2, v[70:71]
	v_add_co_u32_e32 v70, vcc, v3, v70
	v_addc_co_u32_e32 v71, vcc, v7, v71, vcc
	global_store_dword v[70:71], v10, off
	s_or_b64 exec, exec, s[38:39]
	s_and_saveexec_b64 s[38:39], s[8:9]
	s_cbranch_execz .LBB453_169
.LBB453_236:
	v_sub_u32_e32 v70, v28, v4
	v_mov_b32_e32 v71, 0
	v_lshlrev_b64 v[70:71], 2, v[70:71]
	v_add_co_u32_e32 v70, vcc, v3, v70
	v_addc_co_u32_e32 v71, vcc, v7, v71, vcc
	global_store_dword v[70:71], v11, off
	s_or_b64 exec, exec, s[38:39]
	s_and_saveexec_b64 s[38:39], s[6:7]
	s_cbranch_execz .LBB453_170
.LBB453_237:
	v_sub_u32_e32 v70, v26, v4
	v_mov_b32_e32 v71, 0
	v_lshlrev_b64 v[70:71], 2, v[70:71]
	v_add_co_u32_e32 v70, vcc, v3, v70
	v_addc_co_u32_e32 v71, vcc, v7, v71, vcc
	global_store_dword v[70:71], v8, off
	s_or_b64 exec, exec, s[38:39]
	s_and_saveexec_b64 s[38:39], s[4:5]
	s_cbranch_execnz .LBB453_171
	s_branch .LBB453_172
.LBB453_238:
	v_sub_u32_e32 v69, v50, v4
	v_lshlrev_b32_e32 v69, 2, v69
	ds_write_b32 v69, v20
	s_or_b64 exec, exec, s[38:39]
	s_and_saveexec_b64 s[30:31], s[28:29]
	s_cbranch_execz .LBB453_176
.LBB453_239:
	v_sub_u32_e32 v20, v48, v4
	v_lshlrev_b32_e32 v20, 2, v20
	ds_write_b32 v20, v21
	s_or_b64 exec, exec, s[30:31]
	s_and_saveexec_b64 s[28:29], s[26:27]
	s_cbranch_execz .LBB453_177
.LBB453_240:
	v_sub_u32_e32 v20, v46, v4
	v_lshlrev_b32_e32 v20, 2, v20
	ds_write_b32 v20, v18
	s_or_b64 exec, exec, s[28:29]
	s_and_saveexec_b64 s[26:27], s[24:25]
	s_cbranch_execz .LBB453_178
.LBB453_241:
	v_sub_u32_e32 v18, v44, v4
	v_lshlrev_b32_e32 v18, 2, v18
	ds_write_b32 v18, v19
	s_or_b64 exec, exec, s[26:27]
	s_and_saveexec_b64 s[24:25], s[22:23]
	s_cbranch_execz .LBB453_179
.LBB453_242:
	v_sub_u32_e32 v18, v42, v4
	v_lshlrev_b32_e32 v18, 2, v18
	ds_write_b32 v18, v16
	s_or_b64 exec, exec, s[24:25]
	s_and_saveexec_b64 s[22:23], s[20:21]
	s_cbranch_execz .LBB453_180
.LBB453_243:
	v_sub_u32_e32 v16, v40, v4
	v_lshlrev_b32_e32 v16, 2, v16
	ds_write_b32 v16, v17
	s_or_b64 exec, exec, s[22:23]
	s_and_saveexec_b64 s[20:21], s[18:19]
	s_cbranch_execz .LBB453_181
.LBB453_244:
	v_sub_u32_e32 v16, v38, v4
	v_lshlrev_b32_e32 v16, 2, v16
	ds_write_b32 v16, v14
	s_or_b64 exec, exec, s[20:21]
	s_and_saveexec_b64 s[18:19], s[16:17]
	s_cbranch_execz .LBB453_182
.LBB453_245:
	v_sub_u32_e32 v14, v36, v4
	v_lshlrev_b32_e32 v14, 2, v14
	ds_write_b32 v14, v15
	s_or_b64 exec, exec, s[18:19]
	s_and_saveexec_b64 s[16:17], s[14:15]
	s_cbranch_execz .LBB453_183
.LBB453_246:
	v_sub_u32_e32 v14, v34, v4
	v_lshlrev_b32_e32 v14, 2, v14
	ds_write_b32 v14, v12
	s_or_b64 exec, exec, s[16:17]
	s_and_saveexec_b64 s[14:15], s[12:13]
	s_cbranch_execz .LBB453_184
.LBB453_247:
	v_sub_u32_e32 v12, v32, v4
	v_lshlrev_b32_e32 v12, 2, v12
	ds_write_b32 v12, v13
	s_or_b64 exec, exec, s[14:15]
	s_and_saveexec_b64 s[12:13], s[10:11]
	s_cbranch_execz .LBB453_185
.LBB453_248:
	v_sub_u32_e32 v12, v30, v4
	v_lshlrev_b32_e32 v12, 2, v12
	ds_write_b32 v12, v10
	s_or_b64 exec, exec, s[12:13]
	s_and_saveexec_b64 s[10:11], s[8:9]
	s_cbranch_execz .LBB453_186
.LBB453_249:
	v_sub_u32_e32 v10, v28, v4
	v_lshlrev_b32_e32 v10, 2, v10
	ds_write_b32 v10, v11
	s_or_b64 exec, exec, s[10:11]
	s_and_saveexec_b64 s[8:9], s[6:7]
	s_cbranch_execz .LBB453_187
.LBB453_250:
	v_sub_u32_e32 v10, v26, v4
	v_lshlrev_b32_e32 v10, 2, v10
	ds_write_b32 v10, v8
	s_or_b64 exec, exec, s[8:9]
	s_and_saveexec_b64 s[6:7], s[4:5]
	s_cbranch_execnz .LBB453_188
	s_branch .LBB453_189
.LBB453_251:
	v_sub_u32_e32 v12, v50, v8
	v_mov_b32_e32 v13, 0
	v_lshlrev_b64 v[14:15], 3, v[12:13]
	v_add_co_u32_e32 v14, vcc, v3, v14
	v_addc_co_u32_e32 v15, vcc, v7, v15, vcc
	v_mov_b32_e32 v12, v51
	global_store_dwordx2 v[14:15], v[12:13], off
	s_or_b64 exec, exec, s[36:37]
	s_and_saveexec_b64 s[36:37], s[26:27]
	s_cbranch_execz .LBB453_193
.LBB453_252:
	v_sub_u32_e32 v12, v48, v8
	v_mov_b32_e32 v13, 0
	v_lshlrev_b64 v[14:15], 3, v[12:13]
	v_add_co_u32_e32 v14, vcc, v3, v14
	v_addc_co_u32_e32 v15, vcc, v7, v15, vcc
	v_mov_b32_e32 v12, v49
	global_store_dwordx2 v[14:15], v[12:13], off
	s_or_b64 exec, exec, s[36:37]
	s_and_saveexec_b64 s[36:37], s[24:25]
	s_cbranch_execz .LBB453_194
.LBB453_253:
	v_sub_u32_e32 v12, v46, v8
	v_mov_b32_e32 v13, 0
	v_lshlrev_b64 v[14:15], 3, v[12:13]
	v_add_co_u32_e32 v14, vcc, v3, v14
	v_addc_co_u32_e32 v15, vcc, v7, v15, vcc
	v_mov_b32_e32 v12, v47
	global_store_dwordx2 v[14:15], v[12:13], off
	s_or_b64 exec, exec, s[36:37]
	s_and_saveexec_b64 s[36:37], s[22:23]
	s_cbranch_execz .LBB453_195
.LBB453_254:
	v_sub_u32_e32 v12, v44, v8
	v_mov_b32_e32 v13, 0
	v_lshlrev_b64 v[14:15], 3, v[12:13]
	v_add_co_u32_e32 v14, vcc, v3, v14
	v_addc_co_u32_e32 v15, vcc, v7, v15, vcc
	v_mov_b32_e32 v12, v45
	global_store_dwordx2 v[14:15], v[12:13], off
	s_or_b64 exec, exec, s[36:37]
	s_and_saveexec_b64 s[36:37], s[20:21]
	s_cbranch_execz .LBB453_196
.LBB453_255:
	v_sub_u32_e32 v12, v42, v8
	v_mov_b32_e32 v13, 0
	v_lshlrev_b64 v[14:15], 3, v[12:13]
	v_add_co_u32_e32 v14, vcc, v3, v14
	v_addc_co_u32_e32 v15, vcc, v7, v15, vcc
	v_mov_b32_e32 v12, v43
	global_store_dwordx2 v[14:15], v[12:13], off
	s_or_b64 exec, exec, s[36:37]
	s_and_saveexec_b64 s[36:37], s[18:19]
	s_cbranch_execz .LBB453_197
.LBB453_256:
	v_sub_u32_e32 v12, v40, v8
	v_mov_b32_e32 v13, 0
	v_lshlrev_b64 v[14:15], 3, v[12:13]
	v_add_co_u32_e32 v14, vcc, v3, v14
	v_addc_co_u32_e32 v15, vcc, v7, v15, vcc
	v_mov_b32_e32 v12, v41
	global_store_dwordx2 v[14:15], v[12:13], off
	s_or_b64 exec, exec, s[36:37]
	s_and_saveexec_b64 s[36:37], s[16:17]
	s_cbranch_execz .LBB453_198
.LBB453_257:
	v_sub_u32_e32 v12, v38, v8
	v_mov_b32_e32 v13, 0
	v_lshlrev_b64 v[14:15], 3, v[12:13]
	v_add_co_u32_e32 v14, vcc, v3, v14
	v_addc_co_u32_e32 v15, vcc, v7, v15, vcc
	v_mov_b32_e32 v12, v39
	global_store_dwordx2 v[14:15], v[12:13], off
	s_or_b64 exec, exec, s[36:37]
	s_and_saveexec_b64 s[36:37], s[14:15]
	s_cbranch_execz .LBB453_199
.LBB453_258:
	v_sub_u32_e32 v12, v36, v8
	v_mov_b32_e32 v13, 0
	v_lshlrev_b64 v[14:15], 3, v[12:13]
	v_add_co_u32_e32 v14, vcc, v3, v14
	v_addc_co_u32_e32 v15, vcc, v7, v15, vcc
	v_mov_b32_e32 v12, v37
	global_store_dwordx2 v[14:15], v[12:13], off
	s_or_b64 exec, exec, s[36:37]
	s_and_saveexec_b64 s[36:37], s[12:13]
	s_cbranch_execz .LBB453_200
.LBB453_259:
	v_sub_u32_e32 v12, v34, v8
	v_mov_b32_e32 v13, 0
	v_lshlrev_b64 v[14:15], 3, v[12:13]
	v_add_co_u32_e32 v14, vcc, v3, v14
	v_addc_co_u32_e32 v15, vcc, v7, v15, vcc
	v_mov_b32_e32 v12, v35
	global_store_dwordx2 v[14:15], v[12:13], off
	s_or_b64 exec, exec, s[36:37]
	s_and_saveexec_b64 s[36:37], s[10:11]
	s_cbranch_execz .LBB453_201
.LBB453_260:
	v_sub_u32_e32 v12, v32, v8
	v_mov_b32_e32 v13, 0
	v_lshlrev_b64 v[14:15], 3, v[12:13]
	v_add_co_u32_e32 v14, vcc, v3, v14
	v_addc_co_u32_e32 v15, vcc, v7, v15, vcc
	v_mov_b32_e32 v12, v33
	global_store_dwordx2 v[14:15], v[12:13], off
	s_or_b64 exec, exec, s[36:37]
	s_and_saveexec_b64 s[36:37], s[8:9]
	s_cbranch_execz .LBB453_202
.LBB453_261:
	v_sub_u32_e32 v12, v30, v8
	v_mov_b32_e32 v13, 0
	v_lshlrev_b64 v[14:15], 3, v[12:13]
	v_add_co_u32_e32 v14, vcc, v3, v14
	v_addc_co_u32_e32 v15, vcc, v7, v15, vcc
	v_mov_b32_e32 v12, v31
	global_store_dwordx2 v[14:15], v[12:13], off
	s_or_b64 exec, exec, s[36:37]
	s_and_saveexec_b64 s[36:37], s[6:7]
	s_cbranch_execz .LBB453_203
.LBB453_262:
	v_sub_u32_e32 v12, v28, v8
	v_mov_b32_e32 v13, 0
	v_lshlrev_b64 v[14:15], 3, v[12:13]
	v_add_co_u32_e32 v14, vcc, v3, v14
	v_addc_co_u32_e32 v15, vcc, v7, v15, vcc
	v_mov_b32_e32 v12, v29
	global_store_dwordx2 v[14:15], v[12:13], off
	s_or_b64 exec, exec, s[36:37]
	s_and_saveexec_b64 s[36:37], s[4:5]
	s_cbranch_execz .LBB453_204
.LBB453_263:
	v_sub_u32_e32 v12, v26, v8
	v_mov_b32_e32 v13, 0
	v_lshlrev_b64 v[14:15], 3, v[12:13]
	v_add_co_u32_e32 v14, vcc, v3, v14
	v_addc_co_u32_e32 v15, vcc, v7, v15, vcc
	v_mov_b32_e32 v12, v27
	global_store_dwordx2 v[14:15], v[12:13], off
	s_or_b64 exec, exec, s[36:37]
	s_and_saveexec_b64 s[36:37], s[2:3]
	s_cbranch_execnz .LBB453_205
	s_branch .LBB453_206
.LBB453_264:
	v_sub_u32_e32 v9, v50, v8
	v_lshlrev_b32_e32 v9, 2, v9
	ds_write_b32 v9, v51
	s_or_b64 exec, exec, s[36:37]
	s_and_saveexec_b64 s[28:29], s[26:27]
	s_cbranch_execz .LBB453_210
.LBB453_265:
	v_sub_u32_e32 v9, v48, v8
	v_lshlrev_b32_e32 v9, 2, v9
	ds_write_b32 v9, v49
	s_or_b64 exec, exec, s[28:29]
	s_and_saveexec_b64 s[26:27], s[24:25]
	s_cbranch_execz .LBB453_211
.LBB453_266:
	v_sub_u32_e32 v9, v46, v8
	v_lshlrev_b32_e32 v9, 2, v9
	ds_write_b32 v9, v47
	s_or_b64 exec, exec, s[26:27]
	s_and_saveexec_b64 s[24:25], s[22:23]
	s_cbranch_execz .LBB453_212
.LBB453_267:
	v_sub_u32_e32 v9, v44, v8
	v_lshlrev_b32_e32 v9, 2, v9
	ds_write_b32 v9, v45
	s_or_b64 exec, exec, s[24:25]
	s_and_saveexec_b64 s[22:23], s[20:21]
	s_cbranch_execz .LBB453_213
.LBB453_268:
	v_sub_u32_e32 v9, v42, v8
	v_lshlrev_b32_e32 v9, 2, v9
	ds_write_b32 v9, v43
	s_or_b64 exec, exec, s[22:23]
	s_and_saveexec_b64 s[20:21], s[18:19]
	s_cbranch_execz .LBB453_214
.LBB453_269:
	v_sub_u32_e32 v9, v40, v8
	v_lshlrev_b32_e32 v9, 2, v9
	ds_write_b32 v9, v41
	s_or_b64 exec, exec, s[20:21]
	s_and_saveexec_b64 s[18:19], s[16:17]
	s_cbranch_execz .LBB453_215
.LBB453_270:
	v_sub_u32_e32 v9, v38, v8
	v_lshlrev_b32_e32 v9, 2, v9
	ds_write_b32 v9, v39
	s_or_b64 exec, exec, s[18:19]
	s_and_saveexec_b64 s[16:17], s[14:15]
	s_cbranch_execz .LBB453_216
.LBB453_271:
	v_sub_u32_e32 v9, v36, v8
	v_lshlrev_b32_e32 v9, 2, v9
	ds_write_b32 v9, v37
	s_or_b64 exec, exec, s[16:17]
	s_and_saveexec_b64 s[14:15], s[12:13]
	s_cbranch_execz .LBB453_217
.LBB453_272:
	v_sub_u32_e32 v9, v34, v8
	v_lshlrev_b32_e32 v9, 2, v9
	ds_write_b32 v9, v35
	s_or_b64 exec, exec, s[14:15]
	s_and_saveexec_b64 s[12:13], s[10:11]
	s_cbranch_execz .LBB453_218
.LBB453_273:
	v_sub_u32_e32 v9, v32, v8
	v_lshlrev_b32_e32 v9, 2, v9
	ds_write_b32 v9, v33
	s_or_b64 exec, exec, s[12:13]
	s_and_saveexec_b64 s[10:11], s[8:9]
	s_cbranch_execz .LBB453_219
.LBB453_274:
	v_sub_u32_e32 v9, v30, v8
	v_lshlrev_b32_e32 v9, 2, v9
	ds_write_b32 v9, v31
	s_or_b64 exec, exec, s[10:11]
	s_and_saveexec_b64 s[8:9], s[6:7]
	s_cbranch_execz .LBB453_220
.LBB453_275:
	v_sub_u32_e32 v9, v28, v8
	v_lshlrev_b32_e32 v9, 2, v9
	ds_write_b32 v9, v29
	s_or_b64 exec, exec, s[8:9]
	s_and_saveexec_b64 s[6:7], s[4:5]
	s_cbranch_execz .LBB453_221
.LBB453_276:
	v_sub_u32_e32 v9, v26, v8
	v_lshlrev_b32_e32 v9, 2, v9
	ds_write_b32 v9, v27
	s_or_b64 exec, exec, s[6:7]
	s_and_saveexec_b64 s[4:5], s[2:3]
	s_cbranch_execnz .LBB453_222
	s_branch .LBB453_223
	.section	.rodata,"a",@progbits
	.p2align	6, 0x0
	.amdhsa_kernel _ZN7rocprim17ROCPRIM_400000_NS6detail17trampoline_kernelINS0_14default_configENS1_33run_length_encode_config_selectorIijNS0_4plusIjEEEEZZNS1_33reduce_by_key_impl_wrapped_configILNS1_25lookback_scan_determinismE0ES3_S7_PKiNS0_17constant_iteratorIjlEEPiPlSF_S6_NS0_8equal_toIiEEEE10hipError_tPvRmT2_T3_mT4_T5_T6_T7_T8_P12ihipStream_tbENKUlT_T0_E_clISt17integral_constantIbLb1EESZ_EEDaSU_SV_EUlSU_E_NS1_11comp_targetILNS1_3genE4ELNS1_11target_archE910ELNS1_3gpuE8ELNS1_3repE0EEENS1_30default_config_static_selectorELNS0_4arch9wavefront6targetE1EEEvT1_
		.amdhsa_group_segment_fixed_size 15360
		.amdhsa_private_segment_fixed_size 0
		.amdhsa_kernarg_size 128
		.amdhsa_user_sgpr_count 6
		.amdhsa_user_sgpr_private_segment_buffer 1
		.amdhsa_user_sgpr_dispatch_ptr 0
		.amdhsa_user_sgpr_queue_ptr 0
		.amdhsa_user_sgpr_kernarg_segment_ptr 1
		.amdhsa_user_sgpr_dispatch_id 0
		.amdhsa_user_sgpr_flat_scratch_init 0
		.amdhsa_user_sgpr_kernarg_preload_length 0
		.amdhsa_user_sgpr_kernarg_preload_offset 0
		.amdhsa_user_sgpr_private_segment_size 0
		.amdhsa_uses_dynamic_stack 0
		.amdhsa_system_sgpr_private_segment_wavefront_offset 0
		.amdhsa_system_sgpr_workgroup_id_x 1
		.amdhsa_system_sgpr_workgroup_id_y 0
		.amdhsa_system_sgpr_workgroup_id_z 0
		.amdhsa_system_sgpr_workgroup_info 0
		.amdhsa_system_vgpr_workitem_id 0
		.amdhsa_next_free_vgpr 104
		.amdhsa_next_free_sgpr 66
		.amdhsa_accum_offset 104
		.amdhsa_reserve_vcc 1
		.amdhsa_reserve_flat_scratch 0
		.amdhsa_float_round_mode_32 0
		.amdhsa_float_round_mode_16_64 0
		.amdhsa_float_denorm_mode_32 3
		.amdhsa_float_denorm_mode_16_64 3
		.amdhsa_dx10_clamp 1
		.amdhsa_ieee_mode 1
		.amdhsa_fp16_overflow 0
		.amdhsa_tg_split 0
		.amdhsa_exception_fp_ieee_invalid_op 0
		.amdhsa_exception_fp_denorm_src 0
		.amdhsa_exception_fp_ieee_div_zero 0
		.amdhsa_exception_fp_ieee_overflow 0
		.amdhsa_exception_fp_ieee_underflow 0
		.amdhsa_exception_fp_ieee_inexact 0
		.amdhsa_exception_int_div_zero 0
	.end_amdhsa_kernel
	.section	.text._ZN7rocprim17ROCPRIM_400000_NS6detail17trampoline_kernelINS0_14default_configENS1_33run_length_encode_config_selectorIijNS0_4plusIjEEEEZZNS1_33reduce_by_key_impl_wrapped_configILNS1_25lookback_scan_determinismE0ES3_S7_PKiNS0_17constant_iteratorIjlEEPiPlSF_S6_NS0_8equal_toIiEEEE10hipError_tPvRmT2_T3_mT4_T5_T6_T7_T8_P12ihipStream_tbENKUlT_T0_E_clISt17integral_constantIbLb1EESZ_EEDaSU_SV_EUlSU_E_NS1_11comp_targetILNS1_3genE4ELNS1_11target_archE910ELNS1_3gpuE8ELNS1_3repE0EEENS1_30default_config_static_selectorELNS0_4arch9wavefront6targetE1EEEvT1_,"axG",@progbits,_ZN7rocprim17ROCPRIM_400000_NS6detail17trampoline_kernelINS0_14default_configENS1_33run_length_encode_config_selectorIijNS0_4plusIjEEEEZZNS1_33reduce_by_key_impl_wrapped_configILNS1_25lookback_scan_determinismE0ES3_S7_PKiNS0_17constant_iteratorIjlEEPiPlSF_S6_NS0_8equal_toIiEEEE10hipError_tPvRmT2_T3_mT4_T5_T6_T7_T8_P12ihipStream_tbENKUlT_T0_E_clISt17integral_constantIbLb1EESZ_EEDaSU_SV_EUlSU_E_NS1_11comp_targetILNS1_3genE4ELNS1_11target_archE910ELNS1_3gpuE8ELNS1_3repE0EEENS1_30default_config_static_selectorELNS0_4arch9wavefront6targetE1EEEvT1_,comdat
.Lfunc_end453:
	.size	_ZN7rocprim17ROCPRIM_400000_NS6detail17trampoline_kernelINS0_14default_configENS1_33run_length_encode_config_selectorIijNS0_4plusIjEEEEZZNS1_33reduce_by_key_impl_wrapped_configILNS1_25lookback_scan_determinismE0ES3_S7_PKiNS0_17constant_iteratorIjlEEPiPlSF_S6_NS0_8equal_toIiEEEE10hipError_tPvRmT2_T3_mT4_T5_T6_T7_T8_P12ihipStream_tbENKUlT_T0_E_clISt17integral_constantIbLb1EESZ_EEDaSU_SV_EUlSU_E_NS1_11comp_targetILNS1_3genE4ELNS1_11target_archE910ELNS1_3gpuE8ELNS1_3repE0EEENS1_30default_config_static_selectorELNS0_4arch9wavefront6targetE1EEEvT1_, .Lfunc_end453-_ZN7rocprim17ROCPRIM_400000_NS6detail17trampoline_kernelINS0_14default_configENS1_33run_length_encode_config_selectorIijNS0_4plusIjEEEEZZNS1_33reduce_by_key_impl_wrapped_configILNS1_25lookback_scan_determinismE0ES3_S7_PKiNS0_17constant_iteratorIjlEEPiPlSF_S6_NS0_8equal_toIiEEEE10hipError_tPvRmT2_T3_mT4_T5_T6_T7_T8_P12ihipStream_tbENKUlT_T0_E_clISt17integral_constantIbLb1EESZ_EEDaSU_SV_EUlSU_E_NS1_11comp_targetILNS1_3genE4ELNS1_11target_archE910ELNS1_3gpuE8ELNS1_3repE0EEENS1_30default_config_static_selectorELNS0_4arch9wavefront6targetE1EEEvT1_
                                        ; -- End function
	.section	.AMDGPU.csdata,"",@progbits
; Kernel info:
; codeLenInByte = 15292
; NumSgprs: 70
; NumVgprs: 104
; NumAgprs: 0
; TotalNumVgprs: 104
; ScratchSize: 0
; MemoryBound: 0
; FloatMode: 240
; IeeeMode: 1
; LDSByteSize: 15360 bytes/workgroup (compile time only)
; SGPRBlocks: 8
; VGPRBlocks: 12
; NumSGPRsForWavesPerEU: 70
; NumVGPRsForWavesPerEU: 104
; AccumOffset: 104
; Occupancy: 4
; WaveLimiterHint : 1
; COMPUTE_PGM_RSRC2:SCRATCH_EN: 0
; COMPUTE_PGM_RSRC2:USER_SGPR: 6
; COMPUTE_PGM_RSRC2:TRAP_HANDLER: 0
; COMPUTE_PGM_RSRC2:TGID_X_EN: 1
; COMPUTE_PGM_RSRC2:TGID_Y_EN: 0
; COMPUTE_PGM_RSRC2:TGID_Z_EN: 0
; COMPUTE_PGM_RSRC2:TIDIG_COMP_CNT: 0
; COMPUTE_PGM_RSRC3_GFX90A:ACCUM_OFFSET: 25
; COMPUTE_PGM_RSRC3_GFX90A:TG_SPLIT: 0
	.section	.text._ZN7rocprim17ROCPRIM_400000_NS6detail17trampoline_kernelINS0_14default_configENS1_33run_length_encode_config_selectorIijNS0_4plusIjEEEEZZNS1_33reduce_by_key_impl_wrapped_configILNS1_25lookback_scan_determinismE0ES3_S7_PKiNS0_17constant_iteratorIjlEEPiPlSF_S6_NS0_8equal_toIiEEEE10hipError_tPvRmT2_T3_mT4_T5_T6_T7_T8_P12ihipStream_tbENKUlT_T0_E_clISt17integral_constantIbLb1EESZ_EEDaSU_SV_EUlSU_E_NS1_11comp_targetILNS1_3genE3ELNS1_11target_archE908ELNS1_3gpuE7ELNS1_3repE0EEENS1_30default_config_static_selectorELNS0_4arch9wavefront6targetE1EEEvT1_,"axG",@progbits,_ZN7rocprim17ROCPRIM_400000_NS6detail17trampoline_kernelINS0_14default_configENS1_33run_length_encode_config_selectorIijNS0_4plusIjEEEEZZNS1_33reduce_by_key_impl_wrapped_configILNS1_25lookback_scan_determinismE0ES3_S7_PKiNS0_17constant_iteratorIjlEEPiPlSF_S6_NS0_8equal_toIiEEEE10hipError_tPvRmT2_T3_mT4_T5_T6_T7_T8_P12ihipStream_tbENKUlT_T0_E_clISt17integral_constantIbLb1EESZ_EEDaSU_SV_EUlSU_E_NS1_11comp_targetILNS1_3genE3ELNS1_11target_archE908ELNS1_3gpuE7ELNS1_3repE0EEENS1_30default_config_static_selectorELNS0_4arch9wavefront6targetE1EEEvT1_,comdat
	.protected	_ZN7rocprim17ROCPRIM_400000_NS6detail17trampoline_kernelINS0_14default_configENS1_33run_length_encode_config_selectorIijNS0_4plusIjEEEEZZNS1_33reduce_by_key_impl_wrapped_configILNS1_25lookback_scan_determinismE0ES3_S7_PKiNS0_17constant_iteratorIjlEEPiPlSF_S6_NS0_8equal_toIiEEEE10hipError_tPvRmT2_T3_mT4_T5_T6_T7_T8_P12ihipStream_tbENKUlT_T0_E_clISt17integral_constantIbLb1EESZ_EEDaSU_SV_EUlSU_E_NS1_11comp_targetILNS1_3genE3ELNS1_11target_archE908ELNS1_3gpuE7ELNS1_3repE0EEENS1_30default_config_static_selectorELNS0_4arch9wavefront6targetE1EEEvT1_ ; -- Begin function _ZN7rocprim17ROCPRIM_400000_NS6detail17trampoline_kernelINS0_14default_configENS1_33run_length_encode_config_selectorIijNS0_4plusIjEEEEZZNS1_33reduce_by_key_impl_wrapped_configILNS1_25lookback_scan_determinismE0ES3_S7_PKiNS0_17constant_iteratorIjlEEPiPlSF_S6_NS0_8equal_toIiEEEE10hipError_tPvRmT2_T3_mT4_T5_T6_T7_T8_P12ihipStream_tbENKUlT_T0_E_clISt17integral_constantIbLb1EESZ_EEDaSU_SV_EUlSU_E_NS1_11comp_targetILNS1_3genE3ELNS1_11target_archE908ELNS1_3gpuE7ELNS1_3repE0EEENS1_30default_config_static_selectorELNS0_4arch9wavefront6targetE1EEEvT1_
	.globl	_ZN7rocprim17ROCPRIM_400000_NS6detail17trampoline_kernelINS0_14default_configENS1_33run_length_encode_config_selectorIijNS0_4plusIjEEEEZZNS1_33reduce_by_key_impl_wrapped_configILNS1_25lookback_scan_determinismE0ES3_S7_PKiNS0_17constant_iteratorIjlEEPiPlSF_S6_NS0_8equal_toIiEEEE10hipError_tPvRmT2_T3_mT4_T5_T6_T7_T8_P12ihipStream_tbENKUlT_T0_E_clISt17integral_constantIbLb1EESZ_EEDaSU_SV_EUlSU_E_NS1_11comp_targetILNS1_3genE3ELNS1_11target_archE908ELNS1_3gpuE7ELNS1_3repE0EEENS1_30default_config_static_selectorELNS0_4arch9wavefront6targetE1EEEvT1_
	.p2align	8
	.type	_ZN7rocprim17ROCPRIM_400000_NS6detail17trampoline_kernelINS0_14default_configENS1_33run_length_encode_config_selectorIijNS0_4plusIjEEEEZZNS1_33reduce_by_key_impl_wrapped_configILNS1_25lookback_scan_determinismE0ES3_S7_PKiNS0_17constant_iteratorIjlEEPiPlSF_S6_NS0_8equal_toIiEEEE10hipError_tPvRmT2_T3_mT4_T5_T6_T7_T8_P12ihipStream_tbENKUlT_T0_E_clISt17integral_constantIbLb1EESZ_EEDaSU_SV_EUlSU_E_NS1_11comp_targetILNS1_3genE3ELNS1_11target_archE908ELNS1_3gpuE7ELNS1_3repE0EEENS1_30default_config_static_selectorELNS0_4arch9wavefront6targetE1EEEvT1_,@function
_ZN7rocprim17ROCPRIM_400000_NS6detail17trampoline_kernelINS0_14default_configENS1_33run_length_encode_config_selectorIijNS0_4plusIjEEEEZZNS1_33reduce_by_key_impl_wrapped_configILNS1_25lookback_scan_determinismE0ES3_S7_PKiNS0_17constant_iteratorIjlEEPiPlSF_S6_NS0_8equal_toIiEEEE10hipError_tPvRmT2_T3_mT4_T5_T6_T7_T8_P12ihipStream_tbENKUlT_T0_E_clISt17integral_constantIbLb1EESZ_EEDaSU_SV_EUlSU_E_NS1_11comp_targetILNS1_3genE3ELNS1_11target_archE908ELNS1_3gpuE7ELNS1_3repE0EEENS1_30default_config_static_selectorELNS0_4arch9wavefront6targetE1EEEvT1_: ; @_ZN7rocprim17ROCPRIM_400000_NS6detail17trampoline_kernelINS0_14default_configENS1_33run_length_encode_config_selectorIijNS0_4plusIjEEEEZZNS1_33reduce_by_key_impl_wrapped_configILNS1_25lookback_scan_determinismE0ES3_S7_PKiNS0_17constant_iteratorIjlEEPiPlSF_S6_NS0_8equal_toIiEEEE10hipError_tPvRmT2_T3_mT4_T5_T6_T7_T8_P12ihipStream_tbENKUlT_T0_E_clISt17integral_constantIbLb1EESZ_EEDaSU_SV_EUlSU_E_NS1_11comp_targetILNS1_3genE3ELNS1_11target_archE908ELNS1_3gpuE7ELNS1_3repE0EEENS1_30default_config_static_selectorELNS0_4arch9wavefront6targetE1EEEvT1_
; %bb.0:
	.section	.rodata,"a",@progbits
	.p2align	6, 0x0
	.amdhsa_kernel _ZN7rocprim17ROCPRIM_400000_NS6detail17trampoline_kernelINS0_14default_configENS1_33run_length_encode_config_selectorIijNS0_4plusIjEEEEZZNS1_33reduce_by_key_impl_wrapped_configILNS1_25lookback_scan_determinismE0ES3_S7_PKiNS0_17constant_iteratorIjlEEPiPlSF_S6_NS0_8equal_toIiEEEE10hipError_tPvRmT2_T3_mT4_T5_T6_T7_T8_P12ihipStream_tbENKUlT_T0_E_clISt17integral_constantIbLb1EESZ_EEDaSU_SV_EUlSU_E_NS1_11comp_targetILNS1_3genE3ELNS1_11target_archE908ELNS1_3gpuE7ELNS1_3repE0EEENS1_30default_config_static_selectorELNS0_4arch9wavefront6targetE1EEEvT1_
		.amdhsa_group_segment_fixed_size 0
		.amdhsa_private_segment_fixed_size 0
		.amdhsa_kernarg_size 128
		.amdhsa_user_sgpr_count 6
		.amdhsa_user_sgpr_private_segment_buffer 1
		.amdhsa_user_sgpr_dispatch_ptr 0
		.amdhsa_user_sgpr_queue_ptr 0
		.amdhsa_user_sgpr_kernarg_segment_ptr 1
		.amdhsa_user_sgpr_dispatch_id 0
		.amdhsa_user_sgpr_flat_scratch_init 0
		.amdhsa_user_sgpr_kernarg_preload_length 0
		.amdhsa_user_sgpr_kernarg_preload_offset 0
		.amdhsa_user_sgpr_private_segment_size 0
		.amdhsa_uses_dynamic_stack 0
		.amdhsa_system_sgpr_private_segment_wavefront_offset 0
		.amdhsa_system_sgpr_workgroup_id_x 1
		.amdhsa_system_sgpr_workgroup_id_y 0
		.amdhsa_system_sgpr_workgroup_id_z 0
		.amdhsa_system_sgpr_workgroup_info 0
		.amdhsa_system_vgpr_workitem_id 0
		.amdhsa_next_free_vgpr 1
		.amdhsa_next_free_sgpr 0
		.amdhsa_accum_offset 4
		.amdhsa_reserve_vcc 0
		.amdhsa_reserve_flat_scratch 0
		.amdhsa_float_round_mode_32 0
		.amdhsa_float_round_mode_16_64 0
		.amdhsa_float_denorm_mode_32 3
		.amdhsa_float_denorm_mode_16_64 3
		.amdhsa_dx10_clamp 1
		.amdhsa_ieee_mode 1
		.amdhsa_fp16_overflow 0
		.amdhsa_tg_split 0
		.amdhsa_exception_fp_ieee_invalid_op 0
		.amdhsa_exception_fp_denorm_src 0
		.amdhsa_exception_fp_ieee_div_zero 0
		.amdhsa_exception_fp_ieee_overflow 0
		.amdhsa_exception_fp_ieee_underflow 0
		.amdhsa_exception_fp_ieee_inexact 0
		.amdhsa_exception_int_div_zero 0
	.end_amdhsa_kernel
	.section	.text._ZN7rocprim17ROCPRIM_400000_NS6detail17trampoline_kernelINS0_14default_configENS1_33run_length_encode_config_selectorIijNS0_4plusIjEEEEZZNS1_33reduce_by_key_impl_wrapped_configILNS1_25lookback_scan_determinismE0ES3_S7_PKiNS0_17constant_iteratorIjlEEPiPlSF_S6_NS0_8equal_toIiEEEE10hipError_tPvRmT2_T3_mT4_T5_T6_T7_T8_P12ihipStream_tbENKUlT_T0_E_clISt17integral_constantIbLb1EESZ_EEDaSU_SV_EUlSU_E_NS1_11comp_targetILNS1_3genE3ELNS1_11target_archE908ELNS1_3gpuE7ELNS1_3repE0EEENS1_30default_config_static_selectorELNS0_4arch9wavefront6targetE1EEEvT1_,"axG",@progbits,_ZN7rocprim17ROCPRIM_400000_NS6detail17trampoline_kernelINS0_14default_configENS1_33run_length_encode_config_selectorIijNS0_4plusIjEEEEZZNS1_33reduce_by_key_impl_wrapped_configILNS1_25lookback_scan_determinismE0ES3_S7_PKiNS0_17constant_iteratorIjlEEPiPlSF_S6_NS0_8equal_toIiEEEE10hipError_tPvRmT2_T3_mT4_T5_T6_T7_T8_P12ihipStream_tbENKUlT_T0_E_clISt17integral_constantIbLb1EESZ_EEDaSU_SV_EUlSU_E_NS1_11comp_targetILNS1_3genE3ELNS1_11target_archE908ELNS1_3gpuE7ELNS1_3repE0EEENS1_30default_config_static_selectorELNS0_4arch9wavefront6targetE1EEEvT1_,comdat
.Lfunc_end454:
	.size	_ZN7rocprim17ROCPRIM_400000_NS6detail17trampoline_kernelINS0_14default_configENS1_33run_length_encode_config_selectorIijNS0_4plusIjEEEEZZNS1_33reduce_by_key_impl_wrapped_configILNS1_25lookback_scan_determinismE0ES3_S7_PKiNS0_17constant_iteratorIjlEEPiPlSF_S6_NS0_8equal_toIiEEEE10hipError_tPvRmT2_T3_mT4_T5_T6_T7_T8_P12ihipStream_tbENKUlT_T0_E_clISt17integral_constantIbLb1EESZ_EEDaSU_SV_EUlSU_E_NS1_11comp_targetILNS1_3genE3ELNS1_11target_archE908ELNS1_3gpuE7ELNS1_3repE0EEENS1_30default_config_static_selectorELNS0_4arch9wavefront6targetE1EEEvT1_, .Lfunc_end454-_ZN7rocprim17ROCPRIM_400000_NS6detail17trampoline_kernelINS0_14default_configENS1_33run_length_encode_config_selectorIijNS0_4plusIjEEEEZZNS1_33reduce_by_key_impl_wrapped_configILNS1_25lookback_scan_determinismE0ES3_S7_PKiNS0_17constant_iteratorIjlEEPiPlSF_S6_NS0_8equal_toIiEEEE10hipError_tPvRmT2_T3_mT4_T5_T6_T7_T8_P12ihipStream_tbENKUlT_T0_E_clISt17integral_constantIbLb1EESZ_EEDaSU_SV_EUlSU_E_NS1_11comp_targetILNS1_3genE3ELNS1_11target_archE908ELNS1_3gpuE7ELNS1_3repE0EEENS1_30default_config_static_selectorELNS0_4arch9wavefront6targetE1EEEvT1_
                                        ; -- End function
	.section	.AMDGPU.csdata,"",@progbits
; Kernel info:
; codeLenInByte = 0
; NumSgprs: 4
; NumVgprs: 0
; NumAgprs: 0
; TotalNumVgprs: 0
; ScratchSize: 0
; MemoryBound: 0
; FloatMode: 240
; IeeeMode: 1
; LDSByteSize: 0 bytes/workgroup (compile time only)
; SGPRBlocks: 0
; VGPRBlocks: 0
; NumSGPRsForWavesPerEU: 4
; NumVGPRsForWavesPerEU: 1
; AccumOffset: 4
; Occupancy: 8
; WaveLimiterHint : 0
; COMPUTE_PGM_RSRC2:SCRATCH_EN: 0
; COMPUTE_PGM_RSRC2:USER_SGPR: 6
; COMPUTE_PGM_RSRC2:TRAP_HANDLER: 0
; COMPUTE_PGM_RSRC2:TGID_X_EN: 1
; COMPUTE_PGM_RSRC2:TGID_Y_EN: 0
; COMPUTE_PGM_RSRC2:TGID_Z_EN: 0
; COMPUTE_PGM_RSRC2:TIDIG_COMP_CNT: 0
; COMPUTE_PGM_RSRC3_GFX90A:ACCUM_OFFSET: 0
; COMPUTE_PGM_RSRC3_GFX90A:TG_SPLIT: 0
	.section	.text._ZN7rocprim17ROCPRIM_400000_NS6detail17trampoline_kernelINS0_14default_configENS1_33run_length_encode_config_selectorIijNS0_4plusIjEEEEZZNS1_33reduce_by_key_impl_wrapped_configILNS1_25lookback_scan_determinismE0ES3_S7_PKiNS0_17constant_iteratorIjlEEPiPlSF_S6_NS0_8equal_toIiEEEE10hipError_tPvRmT2_T3_mT4_T5_T6_T7_T8_P12ihipStream_tbENKUlT_T0_E_clISt17integral_constantIbLb1EESZ_EEDaSU_SV_EUlSU_E_NS1_11comp_targetILNS1_3genE2ELNS1_11target_archE906ELNS1_3gpuE6ELNS1_3repE0EEENS1_30default_config_static_selectorELNS0_4arch9wavefront6targetE1EEEvT1_,"axG",@progbits,_ZN7rocprim17ROCPRIM_400000_NS6detail17trampoline_kernelINS0_14default_configENS1_33run_length_encode_config_selectorIijNS0_4plusIjEEEEZZNS1_33reduce_by_key_impl_wrapped_configILNS1_25lookback_scan_determinismE0ES3_S7_PKiNS0_17constant_iteratorIjlEEPiPlSF_S6_NS0_8equal_toIiEEEE10hipError_tPvRmT2_T3_mT4_T5_T6_T7_T8_P12ihipStream_tbENKUlT_T0_E_clISt17integral_constantIbLb1EESZ_EEDaSU_SV_EUlSU_E_NS1_11comp_targetILNS1_3genE2ELNS1_11target_archE906ELNS1_3gpuE6ELNS1_3repE0EEENS1_30default_config_static_selectorELNS0_4arch9wavefront6targetE1EEEvT1_,comdat
	.protected	_ZN7rocprim17ROCPRIM_400000_NS6detail17trampoline_kernelINS0_14default_configENS1_33run_length_encode_config_selectorIijNS0_4plusIjEEEEZZNS1_33reduce_by_key_impl_wrapped_configILNS1_25lookback_scan_determinismE0ES3_S7_PKiNS0_17constant_iteratorIjlEEPiPlSF_S6_NS0_8equal_toIiEEEE10hipError_tPvRmT2_T3_mT4_T5_T6_T7_T8_P12ihipStream_tbENKUlT_T0_E_clISt17integral_constantIbLb1EESZ_EEDaSU_SV_EUlSU_E_NS1_11comp_targetILNS1_3genE2ELNS1_11target_archE906ELNS1_3gpuE6ELNS1_3repE0EEENS1_30default_config_static_selectorELNS0_4arch9wavefront6targetE1EEEvT1_ ; -- Begin function _ZN7rocprim17ROCPRIM_400000_NS6detail17trampoline_kernelINS0_14default_configENS1_33run_length_encode_config_selectorIijNS0_4plusIjEEEEZZNS1_33reduce_by_key_impl_wrapped_configILNS1_25lookback_scan_determinismE0ES3_S7_PKiNS0_17constant_iteratorIjlEEPiPlSF_S6_NS0_8equal_toIiEEEE10hipError_tPvRmT2_T3_mT4_T5_T6_T7_T8_P12ihipStream_tbENKUlT_T0_E_clISt17integral_constantIbLb1EESZ_EEDaSU_SV_EUlSU_E_NS1_11comp_targetILNS1_3genE2ELNS1_11target_archE906ELNS1_3gpuE6ELNS1_3repE0EEENS1_30default_config_static_selectorELNS0_4arch9wavefront6targetE1EEEvT1_
	.globl	_ZN7rocprim17ROCPRIM_400000_NS6detail17trampoline_kernelINS0_14default_configENS1_33run_length_encode_config_selectorIijNS0_4plusIjEEEEZZNS1_33reduce_by_key_impl_wrapped_configILNS1_25lookback_scan_determinismE0ES3_S7_PKiNS0_17constant_iteratorIjlEEPiPlSF_S6_NS0_8equal_toIiEEEE10hipError_tPvRmT2_T3_mT4_T5_T6_T7_T8_P12ihipStream_tbENKUlT_T0_E_clISt17integral_constantIbLb1EESZ_EEDaSU_SV_EUlSU_E_NS1_11comp_targetILNS1_3genE2ELNS1_11target_archE906ELNS1_3gpuE6ELNS1_3repE0EEENS1_30default_config_static_selectorELNS0_4arch9wavefront6targetE1EEEvT1_
	.p2align	8
	.type	_ZN7rocprim17ROCPRIM_400000_NS6detail17trampoline_kernelINS0_14default_configENS1_33run_length_encode_config_selectorIijNS0_4plusIjEEEEZZNS1_33reduce_by_key_impl_wrapped_configILNS1_25lookback_scan_determinismE0ES3_S7_PKiNS0_17constant_iteratorIjlEEPiPlSF_S6_NS0_8equal_toIiEEEE10hipError_tPvRmT2_T3_mT4_T5_T6_T7_T8_P12ihipStream_tbENKUlT_T0_E_clISt17integral_constantIbLb1EESZ_EEDaSU_SV_EUlSU_E_NS1_11comp_targetILNS1_3genE2ELNS1_11target_archE906ELNS1_3gpuE6ELNS1_3repE0EEENS1_30default_config_static_selectorELNS0_4arch9wavefront6targetE1EEEvT1_,@function
_ZN7rocprim17ROCPRIM_400000_NS6detail17trampoline_kernelINS0_14default_configENS1_33run_length_encode_config_selectorIijNS0_4plusIjEEEEZZNS1_33reduce_by_key_impl_wrapped_configILNS1_25lookback_scan_determinismE0ES3_S7_PKiNS0_17constant_iteratorIjlEEPiPlSF_S6_NS0_8equal_toIiEEEE10hipError_tPvRmT2_T3_mT4_T5_T6_T7_T8_P12ihipStream_tbENKUlT_T0_E_clISt17integral_constantIbLb1EESZ_EEDaSU_SV_EUlSU_E_NS1_11comp_targetILNS1_3genE2ELNS1_11target_archE906ELNS1_3gpuE6ELNS1_3repE0EEENS1_30default_config_static_selectorELNS0_4arch9wavefront6targetE1EEEvT1_: ; @_ZN7rocprim17ROCPRIM_400000_NS6detail17trampoline_kernelINS0_14default_configENS1_33run_length_encode_config_selectorIijNS0_4plusIjEEEEZZNS1_33reduce_by_key_impl_wrapped_configILNS1_25lookback_scan_determinismE0ES3_S7_PKiNS0_17constant_iteratorIjlEEPiPlSF_S6_NS0_8equal_toIiEEEE10hipError_tPvRmT2_T3_mT4_T5_T6_T7_T8_P12ihipStream_tbENKUlT_T0_E_clISt17integral_constantIbLb1EESZ_EEDaSU_SV_EUlSU_E_NS1_11comp_targetILNS1_3genE2ELNS1_11target_archE906ELNS1_3gpuE6ELNS1_3repE0EEENS1_30default_config_static_selectorELNS0_4arch9wavefront6targetE1EEEvT1_
; %bb.0:
	.section	.rodata,"a",@progbits
	.p2align	6, 0x0
	.amdhsa_kernel _ZN7rocprim17ROCPRIM_400000_NS6detail17trampoline_kernelINS0_14default_configENS1_33run_length_encode_config_selectorIijNS0_4plusIjEEEEZZNS1_33reduce_by_key_impl_wrapped_configILNS1_25lookback_scan_determinismE0ES3_S7_PKiNS0_17constant_iteratorIjlEEPiPlSF_S6_NS0_8equal_toIiEEEE10hipError_tPvRmT2_T3_mT4_T5_T6_T7_T8_P12ihipStream_tbENKUlT_T0_E_clISt17integral_constantIbLb1EESZ_EEDaSU_SV_EUlSU_E_NS1_11comp_targetILNS1_3genE2ELNS1_11target_archE906ELNS1_3gpuE6ELNS1_3repE0EEENS1_30default_config_static_selectorELNS0_4arch9wavefront6targetE1EEEvT1_
		.amdhsa_group_segment_fixed_size 0
		.amdhsa_private_segment_fixed_size 0
		.amdhsa_kernarg_size 128
		.amdhsa_user_sgpr_count 6
		.amdhsa_user_sgpr_private_segment_buffer 1
		.amdhsa_user_sgpr_dispatch_ptr 0
		.amdhsa_user_sgpr_queue_ptr 0
		.amdhsa_user_sgpr_kernarg_segment_ptr 1
		.amdhsa_user_sgpr_dispatch_id 0
		.amdhsa_user_sgpr_flat_scratch_init 0
		.amdhsa_user_sgpr_kernarg_preload_length 0
		.amdhsa_user_sgpr_kernarg_preload_offset 0
		.amdhsa_user_sgpr_private_segment_size 0
		.amdhsa_uses_dynamic_stack 0
		.amdhsa_system_sgpr_private_segment_wavefront_offset 0
		.amdhsa_system_sgpr_workgroup_id_x 1
		.amdhsa_system_sgpr_workgroup_id_y 0
		.amdhsa_system_sgpr_workgroup_id_z 0
		.amdhsa_system_sgpr_workgroup_info 0
		.amdhsa_system_vgpr_workitem_id 0
		.amdhsa_next_free_vgpr 1
		.amdhsa_next_free_sgpr 0
		.amdhsa_accum_offset 4
		.amdhsa_reserve_vcc 0
		.amdhsa_reserve_flat_scratch 0
		.amdhsa_float_round_mode_32 0
		.amdhsa_float_round_mode_16_64 0
		.amdhsa_float_denorm_mode_32 3
		.amdhsa_float_denorm_mode_16_64 3
		.amdhsa_dx10_clamp 1
		.amdhsa_ieee_mode 1
		.amdhsa_fp16_overflow 0
		.amdhsa_tg_split 0
		.amdhsa_exception_fp_ieee_invalid_op 0
		.amdhsa_exception_fp_denorm_src 0
		.amdhsa_exception_fp_ieee_div_zero 0
		.amdhsa_exception_fp_ieee_overflow 0
		.amdhsa_exception_fp_ieee_underflow 0
		.amdhsa_exception_fp_ieee_inexact 0
		.amdhsa_exception_int_div_zero 0
	.end_amdhsa_kernel
	.section	.text._ZN7rocprim17ROCPRIM_400000_NS6detail17trampoline_kernelINS0_14default_configENS1_33run_length_encode_config_selectorIijNS0_4plusIjEEEEZZNS1_33reduce_by_key_impl_wrapped_configILNS1_25lookback_scan_determinismE0ES3_S7_PKiNS0_17constant_iteratorIjlEEPiPlSF_S6_NS0_8equal_toIiEEEE10hipError_tPvRmT2_T3_mT4_T5_T6_T7_T8_P12ihipStream_tbENKUlT_T0_E_clISt17integral_constantIbLb1EESZ_EEDaSU_SV_EUlSU_E_NS1_11comp_targetILNS1_3genE2ELNS1_11target_archE906ELNS1_3gpuE6ELNS1_3repE0EEENS1_30default_config_static_selectorELNS0_4arch9wavefront6targetE1EEEvT1_,"axG",@progbits,_ZN7rocprim17ROCPRIM_400000_NS6detail17trampoline_kernelINS0_14default_configENS1_33run_length_encode_config_selectorIijNS0_4plusIjEEEEZZNS1_33reduce_by_key_impl_wrapped_configILNS1_25lookback_scan_determinismE0ES3_S7_PKiNS0_17constant_iteratorIjlEEPiPlSF_S6_NS0_8equal_toIiEEEE10hipError_tPvRmT2_T3_mT4_T5_T6_T7_T8_P12ihipStream_tbENKUlT_T0_E_clISt17integral_constantIbLb1EESZ_EEDaSU_SV_EUlSU_E_NS1_11comp_targetILNS1_3genE2ELNS1_11target_archE906ELNS1_3gpuE6ELNS1_3repE0EEENS1_30default_config_static_selectorELNS0_4arch9wavefront6targetE1EEEvT1_,comdat
.Lfunc_end455:
	.size	_ZN7rocprim17ROCPRIM_400000_NS6detail17trampoline_kernelINS0_14default_configENS1_33run_length_encode_config_selectorIijNS0_4plusIjEEEEZZNS1_33reduce_by_key_impl_wrapped_configILNS1_25lookback_scan_determinismE0ES3_S7_PKiNS0_17constant_iteratorIjlEEPiPlSF_S6_NS0_8equal_toIiEEEE10hipError_tPvRmT2_T3_mT4_T5_T6_T7_T8_P12ihipStream_tbENKUlT_T0_E_clISt17integral_constantIbLb1EESZ_EEDaSU_SV_EUlSU_E_NS1_11comp_targetILNS1_3genE2ELNS1_11target_archE906ELNS1_3gpuE6ELNS1_3repE0EEENS1_30default_config_static_selectorELNS0_4arch9wavefront6targetE1EEEvT1_, .Lfunc_end455-_ZN7rocprim17ROCPRIM_400000_NS6detail17trampoline_kernelINS0_14default_configENS1_33run_length_encode_config_selectorIijNS0_4plusIjEEEEZZNS1_33reduce_by_key_impl_wrapped_configILNS1_25lookback_scan_determinismE0ES3_S7_PKiNS0_17constant_iteratorIjlEEPiPlSF_S6_NS0_8equal_toIiEEEE10hipError_tPvRmT2_T3_mT4_T5_T6_T7_T8_P12ihipStream_tbENKUlT_T0_E_clISt17integral_constantIbLb1EESZ_EEDaSU_SV_EUlSU_E_NS1_11comp_targetILNS1_3genE2ELNS1_11target_archE906ELNS1_3gpuE6ELNS1_3repE0EEENS1_30default_config_static_selectorELNS0_4arch9wavefront6targetE1EEEvT1_
                                        ; -- End function
	.section	.AMDGPU.csdata,"",@progbits
; Kernel info:
; codeLenInByte = 0
; NumSgprs: 4
; NumVgprs: 0
; NumAgprs: 0
; TotalNumVgprs: 0
; ScratchSize: 0
; MemoryBound: 0
; FloatMode: 240
; IeeeMode: 1
; LDSByteSize: 0 bytes/workgroup (compile time only)
; SGPRBlocks: 0
; VGPRBlocks: 0
; NumSGPRsForWavesPerEU: 4
; NumVGPRsForWavesPerEU: 1
; AccumOffset: 4
; Occupancy: 8
; WaveLimiterHint : 0
; COMPUTE_PGM_RSRC2:SCRATCH_EN: 0
; COMPUTE_PGM_RSRC2:USER_SGPR: 6
; COMPUTE_PGM_RSRC2:TRAP_HANDLER: 0
; COMPUTE_PGM_RSRC2:TGID_X_EN: 1
; COMPUTE_PGM_RSRC2:TGID_Y_EN: 0
; COMPUTE_PGM_RSRC2:TGID_Z_EN: 0
; COMPUTE_PGM_RSRC2:TIDIG_COMP_CNT: 0
; COMPUTE_PGM_RSRC3_GFX90A:ACCUM_OFFSET: 0
; COMPUTE_PGM_RSRC3_GFX90A:TG_SPLIT: 0
	.section	.text._ZN7rocprim17ROCPRIM_400000_NS6detail17trampoline_kernelINS0_14default_configENS1_33run_length_encode_config_selectorIijNS0_4plusIjEEEEZZNS1_33reduce_by_key_impl_wrapped_configILNS1_25lookback_scan_determinismE0ES3_S7_PKiNS0_17constant_iteratorIjlEEPiPlSF_S6_NS0_8equal_toIiEEEE10hipError_tPvRmT2_T3_mT4_T5_T6_T7_T8_P12ihipStream_tbENKUlT_T0_E_clISt17integral_constantIbLb1EESZ_EEDaSU_SV_EUlSU_E_NS1_11comp_targetILNS1_3genE10ELNS1_11target_archE1201ELNS1_3gpuE5ELNS1_3repE0EEENS1_30default_config_static_selectorELNS0_4arch9wavefront6targetE1EEEvT1_,"axG",@progbits,_ZN7rocprim17ROCPRIM_400000_NS6detail17trampoline_kernelINS0_14default_configENS1_33run_length_encode_config_selectorIijNS0_4plusIjEEEEZZNS1_33reduce_by_key_impl_wrapped_configILNS1_25lookback_scan_determinismE0ES3_S7_PKiNS0_17constant_iteratorIjlEEPiPlSF_S6_NS0_8equal_toIiEEEE10hipError_tPvRmT2_T3_mT4_T5_T6_T7_T8_P12ihipStream_tbENKUlT_T0_E_clISt17integral_constantIbLb1EESZ_EEDaSU_SV_EUlSU_E_NS1_11comp_targetILNS1_3genE10ELNS1_11target_archE1201ELNS1_3gpuE5ELNS1_3repE0EEENS1_30default_config_static_selectorELNS0_4arch9wavefront6targetE1EEEvT1_,comdat
	.protected	_ZN7rocprim17ROCPRIM_400000_NS6detail17trampoline_kernelINS0_14default_configENS1_33run_length_encode_config_selectorIijNS0_4plusIjEEEEZZNS1_33reduce_by_key_impl_wrapped_configILNS1_25lookback_scan_determinismE0ES3_S7_PKiNS0_17constant_iteratorIjlEEPiPlSF_S6_NS0_8equal_toIiEEEE10hipError_tPvRmT2_T3_mT4_T5_T6_T7_T8_P12ihipStream_tbENKUlT_T0_E_clISt17integral_constantIbLb1EESZ_EEDaSU_SV_EUlSU_E_NS1_11comp_targetILNS1_3genE10ELNS1_11target_archE1201ELNS1_3gpuE5ELNS1_3repE0EEENS1_30default_config_static_selectorELNS0_4arch9wavefront6targetE1EEEvT1_ ; -- Begin function _ZN7rocprim17ROCPRIM_400000_NS6detail17trampoline_kernelINS0_14default_configENS1_33run_length_encode_config_selectorIijNS0_4plusIjEEEEZZNS1_33reduce_by_key_impl_wrapped_configILNS1_25lookback_scan_determinismE0ES3_S7_PKiNS0_17constant_iteratorIjlEEPiPlSF_S6_NS0_8equal_toIiEEEE10hipError_tPvRmT2_T3_mT4_T5_T6_T7_T8_P12ihipStream_tbENKUlT_T0_E_clISt17integral_constantIbLb1EESZ_EEDaSU_SV_EUlSU_E_NS1_11comp_targetILNS1_3genE10ELNS1_11target_archE1201ELNS1_3gpuE5ELNS1_3repE0EEENS1_30default_config_static_selectorELNS0_4arch9wavefront6targetE1EEEvT1_
	.globl	_ZN7rocprim17ROCPRIM_400000_NS6detail17trampoline_kernelINS0_14default_configENS1_33run_length_encode_config_selectorIijNS0_4plusIjEEEEZZNS1_33reduce_by_key_impl_wrapped_configILNS1_25lookback_scan_determinismE0ES3_S7_PKiNS0_17constant_iteratorIjlEEPiPlSF_S6_NS0_8equal_toIiEEEE10hipError_tPvRmT2_T3_mT4_T5_T6_T7_T8_P12ihipStream_tbENKUlT_T0_E_clISt17integral_constantIbLb1EESZ_EEDaSU_SV_EUlSU_E_NS1_11comp_targetILNS1_3genE10ELNS1_11target_archE1201ELNS1_3gpuE5ELNS1_3repE0EEENS1_30default_config_static_selectorELNS0_4arch9wavefront6targetE1EEEvT1_
	.p2align	8
	.type	_ZN7rocprim17ROCPRIM_400000_NS6detail17trampoline_kernelINS0_14default_configENS1_33run_length_encode_config_selectorIijNS0_4plusIjEEEEZZNS1_33reduce_by_key_impl_wrapped_configILNS1_25lookback_scan_determinismE0ES3_S7_PKiNS0_17constant_iteratorIjlEEPiPlSF_S6_NS0_8equal_toIiEEEE10hipError_tPvRmT2_T3_mT4_T5_T6_T7_T8_P12ihipStream_tbENKUlT_T0_E_clISt17integral_constantIbLb1EESZ_EEDaSU_SV_EUlSU_E_NS1_11comp_targetILNS1_3genE10ELNS1_11target_archE1201ELNS1_3gpuE5ELNS1_3repE0EEENS1_30default_config_static_selectorELNS0_4arch9wavefront6targetE1EEEvT1_,@function
_ZN7rocprim17ROCPRIM_400000_NS6detail17trampoline_kernelINS0_14default_configENS1_33run_length_encode_config_selectorIijNS0_4plusIjEEEEZZNS1_33reduce_by_key_impl_wrapped_configILNS1_25lookback_scan_determinismE0ES3_S7_PKiNS0_17constant_iteratorIjlEEPiPlSF_S6_NS0_8equal_toIiEEEE10hipError_tPvRmT2_T3_mT4_T5_T6_T7_T8_P12ihipStream_tbENKUlT_T0_E_clISt17integral_constantIbLb1EESZ_EEDaSU_SV_EUlSU_E_NS1_11comp_targetILNS1_3genE10ELNS1_11target_archE1201ELNS1_3gpuE5ELNS1_3repE0EEENS1_30default_config_static_selectorELNS0_4arch9wavefront6targetE1EEEvT1_: ; @_ZN7rocprim17ROCPRIM_400000_NS6detail17trampoline_kernelINS0_14default_configENS1_33run_length_encode_config_selectorIijNS0_4plusIjEEEEZZNS1_33reduce_by_key_impl_wrapped_configILNS1_25lookback_scan_determinismE0ES3_S7_PKiNS0_17constant_iteratorIjlEEPiPlSF_S6_NS0_8equal_toIiEEEE10hipError_tPvRmT2_T3_mT4_T5_T6_T7_T8_P12ihipStream_tbENKUlT_T0_E_clISt17integral_constantIbLb1EESZ_EEDaSU_SV_EUlSU_E_NS1_11comp_targetILNS1_3genE10ELNS1_11target_archE1201ELNS1_3gpuE5ELNS1_3repE0EEENS1_30default_config_static_selectorELNS0_4arch9wavefront6targetE1EEEvT1_
; %bb.0:
	.section	.rodata,"a",@progbits
	.p2align	6, 0x0
	.amdhsa_kernel _ZN7rocprim17ROCPRIM_400000_NS6detail17trampoline_kernelINS0_14default_configENS1_33run_length_encode_config_selectorIijNS0_4plusIjEEEEZZNS1_33reduce_by_key_impl_wrapped_configILNS1_25lookback_scan_determinismE0ES3_S7_PKiNS0_17constant_iteratorIjlEEPiPlSF_S6_NS0_8equal_toIiEEEE10hipError_tPvRmT2_T3_mT4_T5_T6_T7_T8_P12ihipStream_tbENKUlT_T0_E_clISt17integral_constantIbLb1EESZ_EEDaSU_SV_EUlSU_E_NS1_11comp_targetILNS1_3genE10ELNS1_11target_archE1201ELNS1_3gpuE5ELNS1_3repE0EEENS1_30default_config_static_selectorELNS0_4arch9wavefront6targetE1EEEvT1_
		.amdhsa_group_segment_fixed_size 0
		.amdhsa_private_segment_fixed_size 0
		.amdhsa_kernarg_size 128
		.amdhsa_user_sgpr_count 6
		.amdhsa_user_sgpr_private_segment_buffer 1
		.amdhsa_user_sgpr_dispatch_ptr 0
		.amdhsa_user_sgpr_queue_ptr 0
		.amdhsa_user_sgpr_kernarg_segment_ptr 1
		.amdhsa_user_sgpr_dispatch_id 0
		.amdhsa_user_sgpr_flat_scratch_init 0
		.amdhsa_user_sgpr_kernarg_preload_length 0
		.amdhsa_user_sgpr_kernarg_preload_offset 0
		.amdhsa_user_sgpr_private_segment_size 0
		.amdhsa_uses_dynamic_stack 0
		.amdhsa_system_sgpr_private_segment_wavefront_offset 0
		.amdhsa_system_sgpr_workgroup_id_x 1
		.amdhsa_system_sgpr_workgroup_id_y 0
		.amdhsa_system_sgpr_workgroup_id_z 0
		.amdhsa_system_sgpr_workgroup_info 0
		.amdhsa_system_vgpr_workitem_id 0
		.amdhsa_next_free_vgpr 1
		.amdhsa_next_free_sgpr 0
		.amdhsa_accum_offset 4
		.amdhsa_reserve_vcc 0
		.amdhsa_reserve_flat_scratch 0
		.amdhsa_float_round_mode_32 0
		.amdhsa_float_round_mode_16_64 0
		.amdhsa_float_denorm_mode_32 3
		.amdhsa_float_denorm_mode_16_64 3
		.amdhsa_dx10_clamp 1
		.amdhsa_ieee_mode 1
		.amdhsa_fp16_overflow 0
		.amdhsa_tg_split 0
		.amdhsa_exception_fp_ieee_invalid_op 0
		.amdhsa_exception_fp_denorm_src 0
		.amdhsa_exception_fp_ieee_div_zero 0
		.amdhsa_exception_fp_ieee_overflow 0
		.amdhsa_exception_fp_ieee_underflow 0
		.amdhsa_exception_fp_ieee_inexact 0
		.amdhsa_exception_int_div_zero 0
	.end_amdhsa_kernel
	.section	.text._ZN7rocprim17ROCPRIM_400000_NS6detail17trampoline_kernelINS0_14default_configENS1_33run_length_encode_config_selectorIijNS0_4plusIjEEEEZZNS1_33reduce_by_key_impl_wrapped_configILNS1_25lookback_scan_determinismE0ES3_S7_PKiNS0_17constant_iteratorIjlEEPiPlSF_S6_NS0_8equal_toIiEEEE10hipError_tPvRmT2_T3_mT4_T5_T6_T7_T8_P12ihipStream_tbENKUlT_T0_E_clISt17integral_constantIbLb1EESZ_EEDaSU_SV_EUlSU_E_NS1_11comp_targetILNS1_3genE10ELNS1_11target_archE1201ELNS1_3gpuE5ELNS1_3repE0EEENS1_30default_config_static_selectorELNS0_4arch9wavefront6targetE1EEEvT1_,"axG",@progbits,_ZN7rocprim17ROCPRIM_400000_NS6detail17trampoline_kernelINS0_14default_configENS1_33run_length_encode_config_selectorIijNS0_4plusIjEEEEZZNS1_33reduce_by_key_impl_wrapped_configILNS1_25lookback_scan_determinismE0ES3_S7_PKiNS0_17constant_iteratorIjlEEPiPlSF_S6_NS0_8equal_toIiEEEE10hipError_tPvRmT2_T3_mT4_T5_T6_T7_T8_P12ihipStream_tbENKUlT_T0_E_clISt17integral_constantIbLb1EESZ_EEDaSU_SV_EUlSU_E_NS1_11comp_targetILNS1_3genE10ELNS1_11target_archE1201ELNS1_3gpuE5ELNS1_3repE0EEENS1_30default_config_static_selectorELNS0_4arch9wavefront6targetE1EEEvT1_,comdat
.Lfunc_end456:
	.size	_ZN7rocprim17ROCPRIM_400000_NS6detail17trampoline_kernelINS0_14default_configENS1_33run_length_encode_config_selectorIijNS0_4plusIjEEEEZZNS1_33reduce_by_key_impl_wrapped_configILNS1_25lookback_scan_determinismE0ES3_S7_PKiNS0_17constant_iteratorIjlEEPiPlSF_S6_NS0_8equal_toIiEEEE10hipError_tPvRmT2_T3_mT4_T5_T6_T7_T8_P12ihipStream_tbENKUlT_T0_E_clISt17integral_constantIbLb1EESZ_EEDaSU_SV_EUlSU_E_NS1_11comp_targetILNS1_3genE10ELNS1_11target_archE1201ELNS1_3gpuE5ELNS1_3repE0EEENS1_30default_config_static_selectorELNS0_4arch9wavefront6targetE1EEEvT1_, .Lfunc_end456-_ZN7rocprim17ROCPRIM_400000_NS6detail17trampoline_kernelINS0_14default_configENS1_33run_length_encode_config_selectorIijNS0_4plusIjEEEEZZNS1_33reduce_by_key_impl_wrapped_configILNS1_25lookback_scan_determinismE0ES3_S7_PKiNS0_17constant_iteratorIjlEEPiPlSF_S6_NS0_8equal_toIiEEEE10hipError_tPvRmT2_T3_mT4_T5_T6_T7_T8_P12ihipStream_tbENKUlT_T0_E_clISt17integral_constantIbLb1EESZ_EEDaSU_SV_EUlSU_E_NS1_11comp_targetILNS1_3genE10ELNS1_11target_archE1201ELNS1_3gpuE5ELNS1_3repE0EEENS1_30default_config_static_selectorELNS0_4arch9wavefront6targetE1EEEvT1_
                                        ; -- End function
	.section	.AMDGPU.csdata,"",@progbits
; Kernel info:
; codeLenInByte = 0
; NumSgprs: 4
; NumVgprs: 0
; NumAgprs: 0
; TotalNumVgprs: 0
; ScratchSize: 0
; MemoryBound: 0
; FloatMode: 240
; IeeeMode: 1
; LDSByteSize: 0 bytes/workgroup (compile time only)
; SGPRBlocks: 0
; VGPRBlocks: 0
; NumSGPRsForWavesPerEU: 4
; NumVGPRsForWavesPerEU: 1
; AccumOffset: 4
; Occupancy: 8
; WaveLimiterHint : 0
; COMPUTE_PGM_RSRC2:SCRATCH_EN: 0
; COMPUTE_PGM_RSRC2:USER_SGPR: 6
; COMPUTE_PGM_RSRC2:TRAP_HANDLER: 0
; COMPUTE_PGM_RSRC2:TGID_X_EN: 1
; COMPUTE_PGM_RSRC2:TGID_Y_EN: 0
; COMPUTE_PGM_RSRC2:TGID_Z_EN: 0
; COMPUTE_PGM_RSRC2:TIDIG_COMP_CNT: 0
; COMPUTE_PGM_RSRC3_GFX90A:ACCUM_OFFSET: 0
; COMPUTE_PGM_RSRC3_GFX90A:TG_SPLIT: 0
	.section	.text._ZN7rocprim17ROCPRIM_400000_NS6detail17trampoline_kernelINS0_14default_configENS1_33run_length_encode_config_selectorIijNS0_4plusIjEEEEZZNS1_33reduce_by_key_impl_wrapped_configILNS1_25lookback_scan_determinismE0ES3_S7_PKiNS0_17constant_iteratorIjlEEPiPlSF_S6_NS0_8equal_toIiEEEE10hipError_tPvRmT2_T3_mT4_T5_T6_T7_T8_P12ihipStream_tbENKUlT_T0_E_clISt17integral_constantIbLb1EESZ_EEDaSU_SV_EUlSU_E_NS1_11comp_targetILNS1_3genE10ELNS1_11target_archE1200ELNS1_3gpuE4ELNS1_3repE0EEENS1_30default_config_static_selectorELNS0_4arch9wavefront6targetE1EEEvT1_,"axG",@progbits,_ZN7rocprim17ROCPRIM_400000_NS6detail17trampoline_kernelINS0_14default_configENS1_33run_length_encode_config_selectorIijNS0_4plusIjEEEEZZNS1_33reduce_by_key_impl_wrapped_configILNS1_25lookback_scan_determinismE0ES3_S7_PKiNS0_17constant_iteratorIjlEEPiPlSF_S6_NS0_8equal_toIiEEEE10hipError_tPvRmT2_T3_mT4_T5_T6_T7_T8_P12ihipStream_tbENKUlT_T0_E_clISt17integral_constantIbLb1EESZ_EEDaSU_SV_EUlSU_E_NS1_11comp_targetILNS1_3genE10ELNS1_11target_archE1200ELNS1_3gpuE4ELNS1_3repE0EEENS1_30default_config_static_selectorELNS0_4arch9wavefront6targetE1EEEvT1_,comdat
	.protected	_ZN7rocprim17ROCPRIM_400000_NS6detail17trampoline_kernelINS0_14default_configENS1_33run_length_encode_config_selectorIijNS0_4plusIjEEEEZZNS1_33reduce_by_key_impl_wrapped_configILNS1_25lookback_scan_determinismE0ES3_S7_PKiNS0_17constant_iteratorIjlEEPiPlSF_S6_NS0_8equal_toIiEEEE10hipError_tPvRmT2_T3_mT4_T5_T6_T7_T8_P12ihipStream_tbENKUlT_T0_E_clISt17integral_constantIbLb1EESZ_EEDaSU_SV_EUlSU_E_NS1_11comp_targetILNS1_3genE10ELNS1_11target_archE1200ELNS1_3gpuE4ELNS1_3repE0EEENS1_30default_config_static_selectorELNS0_4arch9wavefront6targetE1EEEvT1_ ; -- Begin function _ZN7rocprim17ROCPRIM_400000_NS6detail17trampoline_kernelINS0_14default_configENS1_33run_length_encode_config_selectorIijNS0_4plusIjEEEEZZNS1_33reduce_by_key_impl_wrapped_configILNS1_25lookback_scan_determinismE0ES3_S7_PKiNS0_17constant_iteratorIjlEEPiPlSF_S6_NS0_8equal_toIiEEEE10hipError_tPvRmT2_T3_mT4_T5_T6_T7_T8_P12ihipStream_tbENKUlT_T0_E_clISt17integral_constantIbLb1EESZ_EEDaSU_SV_EUlSU_E_NS1_11comp_targetILNS1_3genE10ELNS1_11target_archE1200ELNS1_3gpuE4ELNS1_3repE0EEENS1_30default_config_static_selectorELNS0_4arch9wavefront6targetE1EEEvT1_
	.globl	_ZN7rocprim17ROCPRIM_400000_NS6detail17trampoline_kernelINS0_14default_configENS1_33run_length_encode_config_selectorIijNS0_4plusIjEEEEZZNS1_33reduce_by_key_impl_wrapped_configILNS1_25lookback_scan_determinismE0ES3_S7_PKiNS0_17constant_iteratorIjlEEPiPlSF_S6_NS0_8equal_toIiEEEE10hipError_tPvRmT2_T3_mT4_T5_T6_T7_T8_P12ihipStream_tbENKUlT_T0_E_clISt17integral_constantIbLb1EESZ_EEDaSU_SV_EUlSU_E_NS1_11comp_targetILNS1_3genE10ELNS1_11target_archE1200ELNS1_3gpuE4ELNS1_3repE0EEENS1_30default_config_static_selectorELNS0_4arch9wavefront6targetE1EEEvT1_
	.p2align	8
	.type	_ZN7rocprim17ROCPRIM_400000_NS6detail17trampoline_kernelINS0_14default_configENS1_33run_length_encode_config_selectorIijNS0_4plusIjEEEEZZNS1_33reduce_by_key_impl_wrapped_configILNS1_25lookback_scan_determinismE0ES3_S7_PKiNS0_17constant_iteratorIjlEEPiPlSF_S6_NS0_8equal_toIiEEEE10hipError_tPvRmT2_T3_mT4_T5_T6_T7_T8_P12ihipStream_tbENKUlT_T0_E_clISt17integral_constantIbLb1EESZ_EEDaSU_SV_EUlSU_E_NS1_11comp_targetILNS1_3genE10ELNS1_11target_archE1200ELNS1_3gpuE4ELNS1_3repE0EEENS1_30default_config_static_selectorELNS0_4arch9wavefront6targetE1EEEvT1_,@function
_ZN7rocprim17ROCPRIM_400000_NS6detail17trampoline_kernelINS0_14default_configENS1_33run_length_encode_config_selectorIijNS0_4plusIjEEEEZZNS1_33reduce_by_key_impl_wrapped_configILNS1_25lookback_scan_determinismE0ES3_S7_PKiNS0_17constant_iteratorIjlEEPiPlSF_S6_NS0_8equal_toIiEEEE10hipError_tPvRmT2_T3_mT4_T5_T6_T7_T8_P12ihipStream_tbENKUlT_T0_E_clISt17integral_constantIbLb1EESZ_EEDaSU_SV_EUlSU_E_NS1_11comp_targetILNS1_3genE10ELNS1_11target_archE1200ELNS1_3gpuE4ELNS1_3repE0EEENS1_30default_config_static_selectorELNS0_4arch9wavefront6targetE1EEEvT1_: ; @_ZN7rocprim17ROCPRIM_400000_NS6detail17trampoline_kernelINS0_14default_configENS1_33run_length_encode_config_selectorIijNS0_4plusIjEEEEZZNS1_33reduce_by_key_impl_wrapped_configILNS1_25lookback_scan_determinismE0ES3_S7_PKiNS0_17constant_iteratorIjlEEPiPlSF_S6_NS0_8equal_toIiEEEE10hipError_tPvRmT2_T3_mT4_T5_T6_T7_T8_P12ihipStream_tbENKUlT_T0_E_clISt17integral_constantIbLb1EESZ_EEDaSU_SV_EUlSU_E_NS1_11comp_targetILNS1_3genE10ELNS1_11target_archE1200ELNS1_3gpuE4ELNS1_3repE0EEENS1_30default_config_static_selectorELNS0_4arch9wavefront6targetE1EEEvT1_
; %bb.0:
	.section	.rodata,"a",@progbits
	.p2align	6, 0x0
	.amdhsa_kernel _ZN7rocprim17ROCPRIM_400000_NS6detail17trampoline_kernelINS0_14default_configENS1_33run_length_encode_config_selectorIijNS0_4plusIjEEEEZZNS1_33reduce_by_key_impl_wrapped_configILNS1_25lookback_scan_determinismE0ES3_S7_PKiNS0_17constant_iteratorIjlEEPiPlSF_S6_NS0_8equal_toIiEEEE10hipError_tPvRmT2_T3_mT4_T5_T6_T7_T8_P12ihipStream_tbENKUlT_T0_E_clISt17integral_constantIbLb1EESZ_EEDaSU_SV_EUlSU_E_NS1_11comp_targetILNS1_3genE10ELNS1_11target_archE1200ELNS1_3gpuE4ELNS1_3repE0EEENS1_30default_config_static_selectorELNS0_4arch9wavefront6targetE1EEEvT1_
		.amdhsa_group_segment_fixed_size 0
		.amdhsa_private_segment_fixed_size 0
		.amdhsa_kernarg_size 128
		.amdhsa_user_sgpr_count 6
		.amdhsa_user_sgpr_private_segment_buffer 1
		.amdhsa_user_sgpr_dispatch_ptr 0
		.amdhsa_user_sgpr_queue_ptr 0
		.amdhsa_user_sgpr_kernarg_segment_ptr 1
		.amdhsa_user_sgpr_dispatch_id 0
		.amdhsa_user_sgpr_flat_scratch_init 0
		.amdhsa_user_sgpr_kernarg_preload_length 0
		.amdhsa_user_sgpr_kernarg_preload_offset 0
		.amdhsa_user_sgpr_private_segment_size 0
		.amdhsa_uses_dynamic_stack 0
		.amdhsa_system_sgpr_private_segment_wavefront_offset 0
		.amdhsa_system_sgpr_workgroup_id_x 1
		.amdhsa_system_sgpr_workgroup_id_y 0
		.amdhsa_system_sgpr_workgroup_id_z 0
		.amdhsa_system_sgpr_workgroup_info 0
		.amdhsa_system_vgpr_workitem_id 0
		.amdhsa_next_free_vgpr 1
		.amdhsa_next_free_sgpr 0
		.amdhsa_accum_offset 4
		.amdhsa_reserve_vcc 0
		.amdhsa_reserve_flat_scratch 0
		.amdhsa_float_round_mode_32 0
		.amdhsa_float_round_mode_16_64 0
		.amdhsa_float_denorm_mode_32 3
		.amdhsa_float_denorm_mode_16_64 3
		.amdhsa_dx10_clamp 1
		.amdhsa_ieee_mode 1
		.amdhsa_fp16_overflow 0
		.amdhsa_tg_split 0
		.amdhsa_exception_fp_ieee_invalid_op 0
		.amdhsa_exception_fp_denorm_src 0
		.amdhsa_exception_fp_ieee_div_zero 0
		.amdhsa_exception_fp_ieee_overflow 0
		.amdhsa_exception_fp_ieee_underflow 0
		.amdhsa_exception_fp_ieee_inexact 0
		.amdhsa_exception_int_div_zero 0
	.end_amdhsa_kernel
	.section	.text._ZN7rocprim17ROCPRIM_400000_NS6detail17trampoline_kernelINS0_14default_configENS1_33run_length_encode_config_selectorIijNS0_4plusIjEEEEZZNS1_33reduce_by_key_impl_wrapped_configILNS1_25lookback_scan_determinismE0ES3_S7_PKiNS0_17constant_iteratorIjlEEPiPlSF_S6_NS0_8equal_toIiEEEE10hipError_tPvRmT2_T3_mT4_T5_T6_T7_T8_P12ihipStream_tbENKUlT_T0_E_clISt17integral_constantIbLb1EESZ_EEDaSU_SV_EUlSU_E_NS1_11comp_targetILNS1_3genE10ELNS1_11target_archE1200ELNS1_3gpuE4ELNS1_3repE0EEENS1_30default_config_static_selectorELNS0_4arch9wavefront6targetE1EEEvT1_,"axG",@progbits,_ZN7rocprim17ROCPRIM_400000_NS6detail17trampoline_kernelINS0_14default_configENS1_33run_length_encode_config_selectorIijNS0_4plusIjEEEEZZNS1_33reduce_by_key_impl_wrapped_configILNS1_25lookback_scan_determinismE0ES3_S7_PKiNS0_17constant_iteratorIjlEEPiPlSF_S6_NS0_8equal_toIiEEEE10hipError_tPvRmT2_T3_mT4_T5_T6_T7_T8_P12ihipStream_tbENKUlT_T0_E_clISt17integral_constantIbLb1EESZ_EEDaSU_SV_EUlSU_E_NS1_11comp_targetILNS1_3genE10ELNS1_11target_archE1200ELNS1_3gpuE4ELNS1_3repE0EEENS1_30default_config_static_selectorELNS0_4arch9wavefront6targetE1EEEvT1_,comdat
.Lfunc_end457:
	.size	_ZN7rocprim17ROCPRIM_400000_NS6detail17trampoline_kernelINS0_14default_configENS1_33run_length_encode_config_selectorIijNS0_4plusIjEEEEZZNS1_33reduce_by_key_impl_wrapped_configILNS1_25lookback_scan_determinismE0ES3_S7_PKiNS0_17constant_iteratorIjlEEPiPlSF_S6_NS0_8equal_toIiEEEE10hipError_tPvRmT2_T3_mT4_T5_T6_T7_T8_P12ihipStream_tbENKUlT_T0_E_clISt17integral_constantIbLb1EESZ_EEDaSU_SV_EUlSU_E_NS1_11comp_targetILNS1_3genE10ELNS1_11target_archE1200ELNS1_3gpuE4ELNS1_3repE0EEENS1_30default_config_static_selectorELNS0_4arch9wavefront6targetE1EEEvT1_, .Lfunc_end457-_ZN7rocprim17ROCPRIM_400000_NS6detail17trampoline_kernelINS0_14default_configENS1_33run_length_encode_config_selectorIijNS0_4plusIjEEEEZZNS1_33reduce_by_key_impl_wrapped_configILNS1_25lookback_scan_determinismE0ES3_S7_PKiNS0_17constant_iteratorIjlEEPiPlSF_S6_NS0_8equal_toIiEEEE10hipError_tPvRmT2_T3_mT4_T5_T6_T7_T8_P12ihipStream_tbENKUlT_T0_E_clISt17integral_constantIbLb1EESZ_EEDaSU_SV_EUlSU_E_NS1_11comp_targetILNS1_3genE10ELNS1_11target_archE1200ELNS1_3gpuE4ELNS1_3repE0EEENS1_30default_config_static_selectorELNS0_4arch9wavefront6targetE1EEEvT1_
                                        ; -- End function
	.section	.AMDGPU.csdata,"",@progbits
; Kernel info:
; codeLenInByte = 0
; NumSgprs: 4
; NumVgprs: 0
; NumAgprs: 0
; TotalNumVgprs: 0
; ScratchSize: 0
; MemoryBound: 0
; FloatMode: 240
; IeeeMode: 1
; LDSByteSize: 0 bytes/workgroup (compile time only)
; SGPRBlocks: 0
; VGPRBlocks: 0
; NumSGPRsForWavesPerEU: 4
; NumVGPRsForWavesPerEU: 1
; AccumOffset: 4
; Occupancy: 8
; WaveLimiterHint : 0
; COMPUTE_PGM_RSRC2:SCRATCH_EN: 0
; COMPUTE_PGM_RSRC2:USER_SGPR: 6
; COMPUTE_PGM_RSRC2:TRAP_HANDLER: 0
; COMPUTE_PGM_RSRC2:TGID_X_EN: 1
; COMPUTE_PGM_RSRC2:TGID_Y_EN: 0
; COMPUTE_PGM_RSRC2:TGID_Z_EN: 0
; COMPUTE_PGM_RSRC2:TIDIG_COMP_CNT: 0
; COMPUTE_PGM_RSRC3_GFX90A:ACCUM_OFFSET: 0
; COMPUTE_PGM_RSRC3_GFX90A:TG_SPLIT: 0
	.section	.text._ZN7rocprim17ROCPRIM_400000_NS6detail17trampoline_kernelINS0_14default_configENS1_33run_length_encode_config_selectorIijNS0_4plusIjEEEEZZNS1_33reduce_by_key_impl_wrapped_configILNS1_25lookback_scan_determinismE0ES3_S7_PKiNS0_17constant_iteratorIjlEEPiPlSF_S6_NS0_8equal_toIiEEEE10hipError_tPvRmT2_T3_mT4_T5_T6_T7_T8_P12ihipStream_tbENKUlT_T0_E_clISt17integral_constantIbLb1EESZ_EEDaSU_SV_EUlSU_E_NS1_11comp_targetILNS1_3genE9ELNS1_11target_archE1100ELNS1_3gpuE3ELNS1_3repE0EEENS1_30default_config_static_selectorELNS0_4arch9wavefront6targetE1EEEvT1_,"axG",@progbits,_ZN7rocprim17ROCPRIM_400000_NS6detail17trampoline_kernelINS0_14default_configENS1_33run_length_encode_config_selectorIijNS0_4plusIjEEEEZZNS1_33reduce_by_key_impl_wrapped_configILNS1_25lookback_scan_determinismE0ES3_S7_PKiNS0_17constant_iteratorIjlEEPiPlSF_S6_NS0_8equal_toIiEEEE10hipError_tPvRmT2_T3_mT4_T5_T6_T7_T8_P12ihipStream_tbENKUlT_T0_E_clISt17integral_constantIbLb1EESZ_EEDaSU_SV_EUlSU_E_NS1_11comp_targetILNS1_3genE9ELNS1_11target_archE1100ELNS1_3gpuE3ELNS1_3repE0EEENS1_30default_config_static_selectorELNS0_4arch9wavefront6targetE1EEEvT1_,comdat
	.protected	_ZN7rocprim17ROCPRIM_400000_NS6detail17trampoline_kernelINS0_14default_configENS1_33run_length_encode_config_selectorIijNS0_4plusIjEEEEZZNS1_33reduce_by_key_impl_wrapped_configILNS1_25lookback_scan_determinismE0ES3_S7_PKiNS0_17constant_iteratorIjlEEPiPlSF_S6_NS0_8equal_toIiEEEE10hipError_tPvRmT2_T3_mT4_T5_T6_T7_T8_P12ihipStream_tbENKUlT_T0_E_clISt17integral_constantIbLb1EESZ_EEDaSU_SV_EUlSU_E_NS1_11comp_targetILNS1_3genE9ELNS1_11target_archE1100ELNS1_3gpuE3ELNS1_3repE0EEENS1_30default_config_static_selectorELNS0_4arch9wavefront6targetE1EEEvT1_ ; -- Begin function _ZN7rocprim17ROCPRIM_400000_NS6detail17trampoline_kernelINS0_14default_configENS1_33run_length_encode_config_selectorIijNS0_4plusIjEEEEZZNS1_33reduce_by_key_impl_wrapped_configILNS1_25lookback_scan_determinismE0ES3_S7_PKiNS0_17constant_iteratorIjlEEPiPlSF_S6_NS0_8equal_toIiEEEE10hipError_tPvRmT2_T3_mT4_T5_T6_T7_T8_P12ihipStream_tbENKUlT_T0_E_clISt17integral_constantIbLb1EESZ_EEDaSU_SV_EUlSU_E_NS1_11comp_targetILNS1_3genE9ELNS1_11target_archE1100ELNS1_3gpuE3ELNS1_3repE0EEENS1_30default_config_static_selectorELNS0_4arch9wavefront6targetE1EEEvT1_
	.globl	_ZN7rocprim17ROCPRIM_400000_NS6detail17trampoline_kernelINS0_14default_configENS1_33run_length_encode_config_selectorIijNS0_4plusIjEEEEZZNS1_33reduce_by_key_impl_wrapped_configILNS1_25lookback_scan_determinismE0ES3_S7_PKiNS0_17constant_iteratorIjlEEPiPlSF_S6_NS0_8equal_toIiEEEE10hipError_tPvRmT2_T3_mT4_T5_T6_T7_T8_P12ihipStream_tbENKUlT_T0_E_clISt17integral_constantIbLb1EESZ_EEDaSU_SV_EUlSU_E_NS1_11comp_targetILNS1_3genE9ELNS1_11target_archE1100ELNS1_3gpuE3ELNS1_3repE0EEENS1_30default_config_static_selectorELNS0_4arch9wavefront6targetE1EEEvT1_
	.p2align	8
	.type	_ZN7rocprim17ROCPRIM_400000_NS6detail17trampoline_kernelINS0_14default_configENS1_33run_length_encode_config_selectorIijNS0_4plusIjEEEEZZNS1_33reduce_by_key_impl_wrapped_configILNS1_25lookback_scan_determinismE0ES3_S7_PKiNS0_17constant_iteratorIjlEEPiPlSF_S6_NS0_8equal_toIiEEEE10hipError_tPvRmT2_T3_mT4_T5_T6_T7_T8_P12ihipStream_tbENKUlT_T0_E_clISt17integral_constantIbLb1EESZ_EEDaSU_SV_EUlSU_E_NS1_11comp_targetILNS1_3genE9ELNS1_11target_archE1100ELNS1_3gpuE3ELNS1_3repE0EEENS1_30default_config_static_selectorELNS0_4arch9wavefront6targetE1EEEvT1_,@function
_ZN7rocprim17ROCPRIM_400000_NS6detail17trampoline_kernelINS0_14default_configENS1_33run_length_encode_config_selectorIijNS0_4plusIjEEEEZZNS1_33reduce_by_key_impl_wrapped_configILNS1_25lookback_scan_determinismE0ES3_S7_PKiNS0_17constant_iteratorIjlEEPiPlSF_S6_NS0_8equal_toIiEEEE10hipError_tPvRmT2_T3_mT4_T5_T6_T7_T8_P12ihipStream_tbENKUlT_T0_E_clISt17integral_constantIbLb1EESZ_EEDaSU_SV_EUlSU_E_NS1_11comp_targetILNS1_3genE9ELNS1_11target_archE1100ELNS1_3gpuE3ELNS1_3repE0EEENS1_30default_config_static_selectorELNS0_4arch9wavefront6targetE1EEEvT1_: ; @_ZN7rocprim17ROCPRIM_400000_NS6detail17trampoline_kernelINS0_14default_configENS1_33run_length_encode_config_selectorIijNS0_4plusIjEEEEZZNS1_33reduce_by_key_impl_wrapped_configILNS1_25lookback_scan_determinismE0ES3_S7_PKiNS0_17constant_iteratorIjlEEPiPlSF_S6_NS0_8equal_toIiEEEE10hipError_tPvRmT2_T3_mT4_T5_T6_T7_T8_P12ihipStream_tbENKUlT_T0_E_clISt17integral_constantIbLb1EESZ_EEDaSU_SV_EUlSU_E_NS1_11comp_targetILNS1_3genE9ELNS1_11target_archE1100ELNS1_3gpuE3ELNS1_3repE0EEENS1_30default_config_static_selectorELNS0_4arch9wavefront6targetE1EEEvT1_
; %bb.0:
	.section	.rodata,"a",@progbits
	.p2align	6, 0x0
	.amdhsa_kernel _ZN7rocprim17ROCPRIM_400000_NS6detail17trampoline_kernelINS0_14default_configENS1_33run_length_encode_config_selectorIijNS0_4plusIjEEEEZZNS1_33reduce_by_key_impl_wrapped_configILNS1_25lookback_scan_determinismE0ES3_S7_PKiNS0_17constant_iteratorIjlEEPiPlSF_S6_NS0_8equal_toIiEEEE10hipError_tPvRmT2_T3_mT4_T5_T6_T7_T8_P12ihipStream_tbENKUlT_T0_E_clISt17integral_constantIbLb1EESZ_EEDaSU_SV_EUlSU_E_NS1_11comp_targetILNS1_3genE9ELNS1_11target_archE1100ELNS1_3gpuE3ELNS1_3repE0EEENS1_30default_config_static_selectorELNS0_4arch9wavefront6targetE1EEEvT1_
		.amdhsa_group_segment_fixed_size 0
		.amdhsa_private_segment_fixed_size 0
		.amdhsa_kernarg_size 128
		.amdhsa_user_sgpr_count 6
		.amdhsa_user_sgpr_private_segment_buffer 1
		.amdhsa_user_sgpr_dispatch_ptr 0
		.amdhsa_user_sgpr_queue_ptr 0
		.amdhsa_user_sgpr_kernarg_segment_ptr 1
		.amdhsa_user_sgpr_dispatch_id 0
		.amdhsa_user_sgpr_flat_scratch_init 0
		.amdhsa_user_sgpr_kernarg_preload_length 0
		.amdhsa_user_sgpr_kernarg_preload_offset 0
		.amdhsa_user_sgpr_private_segment_size 0
		.amdhsa_uses_dynamic_stack 0
		.amdhsa_system_sgpr_private_segment_wavefront_offset 0
		.amdhsa_system_sgpr_workgroup_id_x 1
		.amdhsa_system_sgpr_workgroup_id_y 0
		.amdhsa_system_sgpr_workgroup_id_z 0
		.amdhsa_system_sgpr_workgroup_info 0
		.amdhsa_system_vgpr_workitem_id 0
		.amdhsa_next_free_vgpr 1
		.amdhsa_next_free_sgpr 0
		.amdhsa_accum_offset 4
		.amdhsa_reserve_vcc 0
		.amdhsa_reserve_flat_scratch 0
		.amdhsa_float_round_mode_32 0
		.amdhsa_float_round_mode_16_64 0
		.amdhsa_float_denorm_mode_32 3
		.amdhsa_float_denorm_mode_16_64 3
		.amdhsa_dx10_clamp 1
		.amdhsa_ieee_mode 1
		.amdhsa_fp16_overflow 0
		.amdhsa_tg_split 0
		.amdhsa_exception_fp_ieee_invalid_op 0
		.amdhsa_exception_fp_denorm_src 0
		.amdhsa_exception_fp_ieee_div_zero 0
		.amdhsa_exception_fp_ieee_overflow 0
		.amdhsa_exception_fp_ieee_underflow 0
		.amdhsa_exception_fp_ieee_inexact 0
		.amdhsa_exception_int_div_zero 0
	.end_amdhsa_kernel
	.section	.text._ZN7rocprim17ROCPRIM_400000_NS6detail17trampoline_kernelINS0_14default_configENS1_33run_length_encode_config_selectorIijNS0_4plusIjEEEEZZNS1_33reduce_by_key_impl_wrapped_configILNS1_25lookback_scan_determinismE0ES3_S7_PKiNS0_17constant_iteratorIjlEEPiPlSF_S6_NS0_8equal_toIiEEEE10hipError_tPvRmT2_T3_mT4_T5_T6_T7_T8_P12ihipStream_tbENKUlT_T0_E_clISt17integral_constantIbLb1EESZ_EEDaSU_SV_EUlSU_E_NS1_11comp_targetILNS1_3genE9ELNS1_11target_archE1100ELNS1_3gpuE3ELNS1_3repE0EEENS1_30default_config_static_selectorELNS0_4arch9wavefront6targetE1EEEvT1_,"axG",@progbits,_ZN7rocprim17ROCPRIM_400000_NS6detail17trampoline_kernelINS0_14default_configENS1_33run_length_encode_config_selectorIijNS0_4plusIjEEEEZZNS1_33reduce_by_key_impl_wrapped_configILNS1_25lookback_scan_determinismE0ES3_S7_PKiNS0_17constant_iteratorIjlEEPiPlSF_S6_NS0_8equal_toIiEEEE10hipError_tPvRmT2_T3_mT4_T5_T6_T7_T8_P12ihipStream_tbENKUlT_T0_E_clISt17integral_constantIbLb1EESZ_EEDaSU_SV_EUlSU_E_NS1_11comp_targetILNS1_3genE9ELNS1_11target_archE1100ELNS1_3gpuE3ELNS1_3repE0EEENS1_30default_config_static_selectorELNS0_4arch9wavefront6targetE1EEEvT1_,comdat
.Lfunc_end458:
	.size	_ZN7rocprim17ROCPRIM_400000_NS6detail17trampoline_kernelINS0_14default_configENS1_33run_length_encode_config_selectorIijNS0_4plusIjEEEEZZNS1_33reduce_by_key_impl_wrapped_configILNS1_25lookback_scan_determinismE0ES3_S7_PKiNS0_17constant_iteratorIjlEEPiPlSF_S6_NS0_8equal_toIiEEEE10hipError_tPvRmT2_T3_mT4_T5_T6_T7_T8_P12ihipStream_tbENKUlT_T0_E_clISt17integral_constantIbLb1EESZ_EEDaSU_SV_EUlSU_E_NS1_11comp_targetILNS1_3genE9ELNS1_11target_archE1100ELNS1_3gpuE3ELNS1_3repE0EEENS1_30default_config_static_selectorELNS0_4arch9wavefront6targetE1EEEvT1_, .Lfunc_end458-_ZN7rocprim17ROCPRIM_400000_NS6detail17trampoline_kernelINS0_14default_configENS1_33run_length_encode_config_selectorIijNS0_4plusIjEEEEZZNS1_33reduce_by_key_impl_wrapped_configILNS1_25lookback_scan_determinismE0ES3_S7_PKiNS0_17constant_iteratorIjlEEPiPlSF_S6_NS0_8equal_toIiEEEE10hipError_tPvRmT2_T3_mT4_T5_T6_T7_T8_P12ihipStream_tbENKUlT_T0_E_clISt17integral_constantIbLb1EESZ_EEDaSU_SV_EUlSU_E_NS1_11comp_targetILNS1_3genE9ELNS1_11target_archE1100ELNS1_3gpuE3ELNS1_3repE0EEENS1_30default_config_static_selectorELNS0_4arch9wavefront6targetE1EEEvT1_
                                        ; -- End function
	.section	.AMDGPU.csdata,"",@progbits
; Kernel info:
; codeLenInByte = 0
; NumSgprs: 4
; NumVgprs: 0
; NumAgprs: 0
; TotalNumVgprs: 0
; ScratchSize: 0
; MemoryBound: 0
; FloatMode: 240
; IeeeMode: 1
; LDSByteSize: 0 bytes/workgroup (compile time only)
; SGPRBlocks: 0
; VGPRBlocks: 0
; NumSGPRsForWavesPerEU: 4
; NumVGPRsForWavesPerEU: 1
; AccumOffset: 4
; Occupancy: 8
; WaveLimiterHint : 0
; COMPUTE_PGM_RSRC2:SCRATCH_EN: 0
; COMPUTE_PGM_RSRC2:USER_SGPR: 6
; COMPUTE_PGM_RSRC2:TRAP_HANDLER: 0
; COMPUTE_PGM_RSRC2:TGID_X_EN: 1
; COMPUTE_PGM_RSRC2:TGID_Y_EN: 0
; COMPUTE_PGM_RSRC2:TGID_Z_EN: 0
; COMPUTE_PGM_RSRC2:TIDIG_COMP_CNT: 0
; COMPUTE_PGM_RSRC3_GFX90A:ACCUM_OFFSET: 0
; COMPUTE_PGM_RSRC3_GFX90A:TG_SPLIT: 0
	.section	.text._ZN7rocprim17ROCPRIM_400000_NS6detail17trampoline_kernelINS0_14default_configENS1_33run_length_encode_config_selectorIijNS0_4plusIjEEEEZZNS1_33reduce_by_key_impl_wrapped_configILNS1_25lookback_scan_determinismE0ES3_S7_PKiNS0_17constant_iteratorIjlEEPiPlSF_S6_NS0_8equal_toIiEEEE10hipError_tPvRmT2_T3_mT4_T5_T6_T7_T8_P12ihipStream_tbENKUlT_T0_E_clISt17integral_constantIbLb1EESZ_EEDaSU_SV_EUlSU_E_NS1_11comp_targetILNS1_3genE8ELNS1_11target_archE1030ELNS1_3gpuE2ELNS1_3repE0EEENS1_30default_config_static_selectorELNS0_4arch9wavefront6targetE1EEEvT1_,"axG",@progbits,_ZN7rocprim17ROCPRIM_400000_NS6detail17trampoline_kernelINS0_14default_configENS1_33run_length_encode_config_selectorIijNS0_4plusIjEEEEZZNS1_33reduce_by_key_impl_wrapped_configILNS1_25lookback_scan_determinismE0ES3_S7_PKiNS0_17constant_iteratorIjlEEPiPlSF_S6_NS0_8equal_toIiEEEE10hipError_tPvRmT2_T3_mT4_T5_T6_T7_T8_P12ihipStream_tbENKUlT_T0_E_clISt17integral_constantIbLb1EESZ_EEDaSU_SV_EUlSU_E_NS1_11comp_targetILNS1_3genE8ELNS1_11target_archE1030ELNS1_3gpuE2ELNS1_3repE0EEENS1_30default_config_static_selectorELNS0_4arch9wavefront6targetE1EEEvT1_,comdat
	.protected	_ZN7rocprim17ROCPRIM_400000_NS6detail17trampoline_kernelINS0_14default_configENS1_33run_length_encode_config_selectorIijNS0_4plusIjEEEEZZNS1_33reduce_by_key_impl_wrapped_configILNS1_25lookback_scan_determinismE0ES3_S7_PKiNS0_17constant_iteratorIjlEEPiPlSF_S6_NS0_8equal_toIiEEEE10hipError_tPvRmT2_T3_mT4_T5_T6_T7_T8_P12ihipStream_tbENKUlT_T0_E_clISt17integral_constantIbLb1EESZ_EEDaSU_SV_EUlSU_E_NS1_11comp_targetILNS1_3genE8ELNS1_11target_archE1030ELNS1_3gpuE2ELNS1_3repE0EEENS1_30default_config_static_selectorELNS0_4arch9wavefront6targetE1EEEvT1_ ; -- Begin function _ZN7rocprim17ROCPRIM_400000_NS6detail17trampoline_kernelINS0_14default_configENS1_33run_length_encode_config_selectorIijNS0_4plusIjEEEEZZNS1_33reduce_by_key_impl_wrapped_configILNS1_25lookback_scan_determinismE0ES3_S7_PKiNS0_17constant_iteratorIjlEEPiPlSF_S6_NS0_8equal_toIiEEEE10hipError_tPvRmT2_T3_mT4_T5_T6_T7_T8_P12ihipStream_tbENKUlT_T0_E_clISt17integral_constantIbLb1EESZ_EEDaSU_SV_EUlSU_E_NS1_11comp_targetILNS1_3genE8ELNS1_11target_archE1030ELNS1_3gpuE2ELNS1_3repE0EEENS1_30default_config_static_selectorELNS0_4arch9wavefront6targetE1EEEvT1_
	.globl	_ZN7rocprim17ROCPRIM_400000_NS6detail17trampoline_kernelINS0_14default_configENS1_33run_length_encode_config_selectorIijNS0_4plusIjEEEEZZNS1_33reduce_by_key_impl_wrapped_configILNS1_25lookback_scan_determinismE0ES3_S7_PKiNS0_17constant_iteratorIjlEEPiPlSF_S6_NS0_8equal_toIiEEEE10hipError_tPvRmT2_T3_mT4_T5_T6_T7_T8_P12ihipStream_tbENKUlT_T0_E_clISt17integral_constantIbLb1EESZ_EEDaSU_SV_EUlSU_E_NS1_11comp_targetILNS1_3genE8ELNS1_11target_archE1030ELNS1_3gpuE2ELNS1_3repE0EEENS1_30default_config_static_selectorELNS0_4arch9wavefront6targetE1EEEvT1_
	.p2align	8
	.type	_ZN7rocprim17ROCPRIM_400000_NS6detail17trampoline_kernelINS0_14default_configENS1_33run_length_encode_config_selectorIijNS0_4plusIjEEEEZZNS1_33reduce_by_key_impl_wrapped_configILNS1_25lookback_scan_determinismE0ES3_S7_PKiNS0_17constant_iteratorIjlEEPiPlSF_S6_NS0_8equal_toIiEEEE10hipError_tPvRmT2_T3_mT4_T5_T6_T7_T8_P12ihipStream_tbENKUlT_T0_E_clISt17integral_constantIbLb1EESZ_EEDaSU_SV_EUlSU_E_NS1_11comp_targetILNS1_3genE8ELNS1_11target_archE1030ELNS1_3gpuE2ELNS1_3repE0EEENS1_30default_config_static_selectorELNS0_4arch9wavefront6targetE1EEEvT1_,@function
_ZN7rocprim17ROCPRIM_400000_NS6detail17trampoline_kernelINS0_14default_configENS1_33run_length_encode_config_selectorIijNS0_4plusIjEEEEZZNS1_33reduce_by_key_impl_wrapped_configILNS1_25lookback_scan_determinismE0ES3_S7_PKiNS0_17constant_iteratorIjlEEPiPlSF_S6_NS0_8equal_toIiEEEE10hipError_tPvRmT2_T3_mT4_T5_T6_T7_T8_P12ihipStream_tbENKUlT_T0_E_clISt17integral_constantIbLb1EESZ_EEDaSU_SV_EUlSU_E_NS1_11comp_targetILNS1_3genE8ELNS1_11target_archE1030ELNS1_3gpuE2ELNS1_3repE0EEENS1_30default_config_static_selectorELNS0_4arch9wavefront6targetE1EEEvT1_: ; @_ZN7rocprim17ROCPRIM_400000_NS6detail17trampoline_kernelINS0_14default_configENS1_33run_length_encode_config_selectorIijNS0_4plusIjEEEEZZNS1_33reduce_by_key_impl_wrapped_configILNS1_25lookback_scan_determinismE0ES3_S7_PKiNS0_17constant_iteratorIjlEEPiPlSF_S6_NS0_8equal_toIiEEEE10hipError_tPvRmT2_T3_mT4_T5_T6_T7_T8_P12ihipStream_tbENKUlT_T0_E_clISt17integral_constantIbLb1EESZ_EEDaSU_SV_EUlSU_E_NS1_11comp_targetILNS1_3genE8ELNS1_11target_archE1030ELNS1_3gpuE2ELNS1_3repE0EEENS1_30default_config_static_selectorELNS0_4arch9wavefront6targetE1EEEvT1_
; %bb.0:
	.section	.rodata,"a",@progbits
	.p2align	6, 0x0
	.amdhsa_kernel _ZN7rocprim17ROCPRIM_400000_NS6detail17trampoline_kernelINS0_14default_configENS1_33run_length_encode_config_selectorIijNS0_4plusIjEEEEZZNS1_33reduce_by_key_impl_wrapped_configILNS1_25lookback_scan_determinismE0ES3_S7_PKiNS0_17constant_iteratorIjlEEPiPlSF_S6_NS0_8equal_toIiEEEE10hipError_tPvRmT2_T3_mT4_T5_T6_T7_T8_P12ihipStream_tbENKUlT_T0_E_clISt17integral_constantIbLb1EESZ_EEDaSU_SV_EUlSU_E_NS1_11comp_targetILNS1_3genE8ELNS1_11target_archE1030ELNS1_3gpuE2ELNS1_3repE0EEENS1_30default_config_static_selectorELNS0_4arch9wavefront6targetE1EEEvT1_
		.amdhsa_group_segment_fixed_size 0
		.amdhsa_private_segment_fixed_size 0
		.amdhsa_kernarg_size 128
		.amdhsa_user_sgpr_count 6
		.amdhsa_user_sgpr_private_segment_buffer 1
		.amdhsa_user_sgpr_dispatch_ptr 0
		.amdhsa_user_sgpr_queue_ptr 0
		.amdhsa_user_sgpr_kernarg_segment_ptr 1
		.amdhsa_user_sgpr_dispatch_id 0
		.amdhsa_user_sgpr_flat_scratch_init 0
		.amdhsa_user_sgpr_kernarg_preload_length 0
		.amdhsa_user_sgpr_kernarg_preload_offset 0
		.amdhsa_user_sgpr_private_segment_size 0
		.amdhsa_uses_dynamic_stack 0
		.amdhsa_system_sgpr_private_segment_wavefront_offset 0
		.amdhsa_system_sgpr_workgroup_id_x 1
		.amdhsa_system_sgpr_workgroup_id_y 0
		.amdhsa_system_sgpr_workgroup_id_z 0
		.amdhsa_system_sgpr_workgroup_info 0
		.amdhsa_system_vgpr_workitem_id 0
		.amdhsa_next_free_vgpr 1
		.amdhsa_next_free_sgpr 0
		.amdhsa_accum_offset 4
		.amdhsa_reserve_vcc 0
		.amdhsa_reserve_flat_scratch 0
		.amdhsa_float_round_mode_32 0
		.amdhsa_float_round_mode_16_64 0
		.amdhsa_float_denorm_mode_32 3
		.amdhsa_float_denorm_mode_16_64 3
		.amdhsa_dx10_clamp 1
		.amdhsa_ieee_mode 1
		.amdhsa_fp16_overflow 0
		.amdhsa_tg_split 0
		.amdhsa_exception_fp_ieee_invalid_op 0
		.amdhsa_exception_fp_denorm_src 0
		.amdhsa_exception_fp_ieee_div_zero 0
		.amdhsa_exception_fp_ieee_overflow 0
		.amdhsa_exception_fp_ieee_underflow 0
		.amdhsa_exception_fp_ieee_inexact 0
		.amdhsa_exception_int_div_zero 0
	.end_amdhsa_kernel
	.section	.text._ZN7rocprim17ROCPRIM_400000_NS6detail17trampoline_kernelINS0_14default_configENS1_33run_length_encode_config_selectorIijNS0_4plusIjEEEEZZNS1_33reduce_by_key_impl_wrapped_configILNS1_25lookback_scan_determinismE0ES3_S7_PKiNS0_17constant_iteratorIjlEEPiPlSF_S6_NS0_8equal_toIiEEEE10hipError_tPvRmT2_T3_mT4_T5_T6_T7_T8_P12ihipStream_tbENKUlT_T0_E_clISt17integral_constantIbLb1EESZ_EEDaSU_SV_EUlSU_E_NS1_11comp_targetILNS1_3genE8ELNS1_11target_archE1030ELNS1_3gpuE2ELNS1_3repE0EEENS1_30default_config_static_selectorELNS0_4arch9wavefront6targetE1EEEvT1_,"axG",@progbits,_ZN7rocprim17ROCPRIM_400000_NS6detail17trampoline_kernelINS0_14default_configENS1_33run_length_encode_config_selectorIijNS0_4plusIjEEEEZZNS1_33reduce_by_key_impl_wrapped_configILNS1_25lookback_scan_determinismE0ES3_S7_PKiNS0_17constant_iteratorIjlEEPiPlSF_S6_NS0_8equal_toIiEEEE10hipError_tPvRmT2_T3_mT4_T5_T6_T7_T8_P12ihipStream_tbENKUlT_T0_E_clISt17integral_constantIbLb1EESZ_EEDaSU_SV_EUlSU_E_NS1_11comp_targetILNS1_3genE8ELNS1_11target_archE1030ELNS1_3gpuE2ELNS1_3repE0EEENS1_30default_config_static_selectorELNS0_4arch9wavefront6targetE1EEEvT1_,comdat
.Lfunc_end459:
	.size	_ZN7rocprim17ROCPRIM_400000_NS6detail17trampoline_kernelINS0_14default_configENS1_33run_length_encode_config_selectorIijNS0_4plusIjEEEEZZNS1_33reduce_by_key_impl_wrapped_configILNS1_25lookback_scan_determinismE0ES3_S7_PKiNS0_17constant_iteratorIjlEEPiPlSF_S6_NS0_8equal_toIiEEEE10hipError_tPvRmT2_T3_mT4_T5_T6_T7_T8_P12ihipStream_tbENKUlT_T0_E_clISt17integral_constantIbLb1EESZ_EEDaSU_SV_EUlSU_E_NS1_11comp_targetILNS1_3genE8ELNS1_11target_archE1030ELNS1_3gpuE2ELNS1_3repE0EEENS1_30default_config_static_selectorELNS0_4arch9wavefront6targetE1EEEvT1_, .Lfunc_end459-_ZN7rocprim17ROCPRIM_400000_NS6detail17trampoline_kernelINS0_14default_configENS1_33run_length_encode_config_selectorIijNS0_4plusIjEEEEZZNS1_33reduce_by_key_impl_wrapped_configILNS1_25lookback_scan_determinismE0ES3_S7_PKiNS0_17constant_iteratorIjlEEPiPlSF_S6_NS0_8equal_toIiEEEE10hipError_tPvRmT2_T3_mT4_T5_T6_T7_T8_P12ihipStream_tbENKUlT_T0_E_clISt17integral_constantIbLb1EESZ_EEDaSU_SV_EUlSU_E_NS1_11comp_targetILNS1_3genE8ELNS1_11target_archE1030ELNS1_3gpuE2ELNS1_3repE0EEENS1_30default_config_static_selectorELNS0_4arch9wavefront6targetE1EEEvT1_
                                        ; -- End function
	.section	.AMDGPU.csdata,"",@progbits
; Kernel info:
; codeLenInByte = 0
; NumSgprs: 4
; NumVgprs: 0
; NumAgprs: 0
; TotalNumVgprs: 0
; ScratchSize: 0
; MemoryBound: 0
; FloatMode: 240
; IeeeMode: 1
; LDSByteSize: 0 bytes/workgroup (compile time only)
; SGPRBlocks: 0
; VGPRBlocks: 0
; NumSGPRsForWavesPerEU: 4
; NumVGPRsForWavesPerEU: 1
; AccumOffset: 4
; Occupancy: 8
; WaveLimiterHint : 0
; COMPUTE_PGM_RSRC2:SCRATCH_EN: 0
; COMPUTE_PGM_RSRC2:USER_SGPR: 6
; COMPUTE_PGM_RSRC2:TRAP_HANDLER: 0
; COMPUTE_PGM_RSRC2:TGID_X_EN: 1
; COMPUTE_PGM_RSRC2:TGID_Y_EN: 0
; COMPUTE_PGM_RSRC2:TGID_Z_EN: 0
; COMPUTE_PGM_RSRC2:TIDIG_COMP_CNT: 0
; COMPUTE_PGM_RSRC3_GFX90A:ACCUM_OFFSET: 0
; COMPUTE_PGM_RSRC3_GFX90A:TG_SPLIT: 0
	.section	.text._ZN7rocprim17ROCPRIM_400000_NS6detail17trampoline_kernelINS0_14default_configENS1_33run_length_encode_config_selectorIijNS0_4plusIjEEEEZZNS1_33reduce_by_key_impl_wrapped_configILNS1_25lookback_scan_determinismE0ES3_S7_PKiNS0_17constant_iteratorIjlEEPiPlSF_S6_NS0_8equal_toIiEEEE10hipError_tPvRmT2_T3_mT4_T5_T6_T7_T8_P12ihipStream_tbENKUlT_T0_E_clISt17integral_constantIbLb1EESY_IbLb0EEEEDaSU_SV_EUlSU_E_NS1_11comp_targetILNS1_3genE0ELNS1_11target_archE4294967295ELNS1_3gpuE0ELNS1_3repE0EEENS1_30default_config_static_selectorELNS0_4arch9wavefront6targetE1EEEvT1_,"axG",@progbits,_ZN7rocprim17ROCPRIM_400000_NS6detail17trampoline_kernelINS0_14default_configENS1_33run_length_encode_config_selectorIijNS0_4plusIjEEEEZZNS1_33reduce_by_key_impl_wrapped_configILNS1_25lookback_scan_determinismE0ES3_S7_PKiNS0_17constant_iteratorIjlEEPiPlSF_S6_NS0_8equal_toIiEEEE10hipError_tPvRmT2_T3_mT4_T5_T6_T7_T8_P12ihipStream_tbENKUlT_T0_E_clISt17integral_constantIbLb1EESY_IbLb0EEEEDaSU_SV_EUlSU_E_NS1_11comp_targetILNS1_3genE0ELNS1_11target_archE4294967295ELNS1_3gpuE0ELNS1_3repE0EEENS1_30default_config_static_selectorELNS0_4arch9wavefront6targetE1EEEvT1_,comdat
	.protected	_ZN7rocprim17ROCPRIM_400000_NS6detail17trampoline_kernelINS0_14default_configENS1_33run_length_encode_config_selectorIijNS0_4plusIjEEEEZZNS1_33reduce_by_key_impl_wrapped_configILNS1_25lookback_scan_determinismE0ES3_S7_PKiNS0_17constant_iteratorIjlEEPiPlSF_S6_NS0_8equal_toIiEEEE10hipError_tPvRmT2_T3_mT4_T5_T6_T7_T8_P12ihipStream_tbENKUlT_T0_E_clISt17integral_constantIbLb1EESY_IbLb0EEEEDaSU_SV_EUlSU_E_NS1_11comp_targetILNS1_3genE0ELNS1_11target_archE4294967295ELNS1_3gpuE0ELNS1_3repE0EEENS1_30default_config_static_selectorELNS0_4arch9wavefront6targetE1EEEvT1_ ; -- Begin function _ZN7rocprim17ROCPRIM_400000_NS6detail17trampoline_kernelINS0_14default_configENS1_33run_length_encode_config_selectorIijNS0_4plusIjEEEEZZNS1_33reduce_by_key_impl_wrapped_configILNS1_25lookback_scan_determinismE0ES3_S7_PKiNS0_17constant_iteratorIjlEEPiPlSF_S6_NS0_8equal_toIiEEEE10hipError_tPvRmT2_T3_mT4_T5_T6_T7_T8_P12ihipStream_tbENKUlT_T0_E_clISt17integral_constantIbLb1EESY_IbLb0EEEEDaSU_SV_EUlSU_E_NS1_11comp_targetILNS1_3genE0ELNS1_11target_archE4294967295ELNS1_3gpuE0ELNS1_3repE0EEENS1_30default_config_static_selectorELNS0_4arch9wavefront6targetE1EEEvT1_
	.globl	_ZN7rocprim17ROCPRIM_400000_NS6detail17trampoline_kernelINS0_14default_configENS1_33run_length_encode_config_selectorIijNS0_4plusIjEEEEZZNS1_33reduce_by_key_impl_wrapped_configILNS1_25lookback_scan_determinismE0ES3_S7_PKiNS0_17constant_iteratorIjlEEPiPlSF_S6_NS0_8equal_toIiEEEE10hipError_tPvRmT2_T3_mT4_T5_T6_T7_T8_P12ihipStream_tbENKUlT_T0_E_clISt17integral_constantIbLb1EESY_IbLb0EEEEDaSU_SV_EUlSU_E_NS1_11comp_targetILNS1_3genE0ELNS1_11target_archE4294967295ELNS1_3gpuE0ELNS1_3repE0EEENS1_30default_config_static_selectorELNS0_4arch9wavefront6targetE1EEEvT1_
	.p2align	8
	.type	_ZN7rocprim17ROCPRIM_400000_NS6detail17trampoline_kernelINS0_14default_configENS1_33run_length_encode_config_selectorIijNS0_4plusIjEEEEZZNS1_33reduce_by_key_impl_wrapped_configILNS1_25lookback_scan_determinismE0ES3_S7_PKiNS0_17constant_iteratorIjlEEPiPlSF_S6_NS0_8equal_toIiEEEE10hipError_tPvRmT2_T3_mT4_T5_T6_T7_T8_P12ihipStream_tbENKUlT_T0_E_clISt17integral_constantIbLb1EESY_IbLb0EEEEDaSU_SV_EUlSU_E_NS1_11comp_targetILNS1_3genE0ELNS1_11target_archE4294967295ELNS1_3gpuE0ELNS1_3repE0EEENS1_30default_config_static_selectorELNS0_4arch9wavefront6targetE1EEEvT1_,@function
_ZN7rocprim17ROCPRIM_400000_NS6detail17trampoline_kernelINS0_14default_configENS1_33run_length_encode_config_selectorIijNS0_4plusIjEEEEZZNS1_33reduce_by_key_impl_wrapped_configILNS1_25lookback_scan_determinismE0ES3_S7_PKiNS0_17constant_iteratorIjlEEPiPlSF_S6_NS0_8equal_toIiEEEE10hipError_tPvRmT2_T3_mT4_T5_T6_T7_T8_P12ihipStream_tbENKUlT_T0_E_clISt17integral_constantIbLb1EESY_IbLb0EEEEDaSU_SV_EUlSU_E_NS1_11comp_targetILNS1_3genE0ELNS1_11target_archE4294967295ELNS1_3gpuE0ELNS1_3repE0EEENS1_30default_config_static_selectorELNS0_4arch9wavefront6targetE1EEEvT1_: ; @_ZN7rocprim17ROCPRIM_400000_NS6detail17trampoline_kernelINS0_14default_configENS1_33run_length_encode_config_selectorIijNS0_4plusIjEEEEZZNS1_33reduce_by_key_impl_wrapped_configILNS1_25lookback_scan_determinismE0ES3_S7_PKiNS0_17constant_iteratorIjlEEPiPlSF_S6_NS0_8equal_toIiEEEE10hipError_tPvRmT2_T3_mT4_T5_T6_T7_T8_P12ihipStream_tbENKUlT_T0_E_clISt17integral_constantIbLb1EESY_IbLb0EEEEDaSU_SV_EUlSU_E_NS1_11comp_targetILNS1_3genE0ELNS1_11target_archE4294967295ELNS1_3gpuE0ELNS1_3repE0EEENS1_30default_config_static_selectorELNS0_4arch9wavefront6targetE1EEEvT1_
; %bb.0:
	.section	.rodata,"a",@progbits
	.p2align	6, 0x0
	.amdhsa_kernel _ZN7rocprim17ROCPRIM_400000_NS6detail17trampoline_kernelINS0_14default_configENS1_33run_length_encode_config_selectorIijNS0_4plusIjEEEEZZNS1_33reduce_by_key_impl_wrapped_configILNS1_25lookback_scan_determinismE0ES3_S7_PKiNS0_17constant_iteratorIjlEEPiPlSF_S6_NS0_8equal_toIiEEEE10hipError_tPvRmT2_T3_mT4_T5_T6_T7_T8_P12ihipStream_tbENKUlT_T0_E_clISt17integral_constantIbLb1EESY_IbLb0EEEEDaSU_SV_EUlSU_E_NS1_11comp_targetILNS1_3genE0ELNS1_11target_archE4294967295ELNS1_3gpuE0ELNS1_3repE0EEENS1_30default_config_static_selectorELNS0_4arch9wavefront6targetE1EEEvT1_
		.amdhsa_group_segment_fixed_size 0
		.amdhsa_private_segment_fixed_size 0
		.amdhsa_kernarg_size 128
		.amdhsa_user_sgpr_count 6
		.amdhsa_user_sgpr_private_segment_buffer 1
		.amdhsa_user_sgpr_dispatch_ptr 0
		.amdhsa_user_sgpr_queue_ptr 0
		.amdhsa_user_sgpr_kernarg_segment_ptr 1
		.amdhsa_user_sgpr_dispatch_id 0
		.amdhsa_user_sgpr_flat_scratch_init 0
		.amdhsa_user_sgpr_kernarg_preload_length 0
		.amdhsa_user_sgpr_kernarg_preload_offset 0
		.amdhsa_user_sgpr_private_segment_size 0
		.amdhsa_uses_dynamic_stack 0
		.amdhsa_system_sgpr_private_segment_wavefront_offset 0
		.amdhsa_system_sgpr_workgroup_id_x 1
		.amdhsa_system_sgpr_workgroup_id_y 0
		.amdhsa_system_sgpr_workgroup_id_z 0
		.amdhsa_system_sgpr_workgroup_info 0
		.amdhsa_system_vgpr_workitem_id 0
		.amdhsa_next_free_vgpr 1
		.amdhsa_next_free_sgpr 0
		.amdhsa_accum_offset 4
		.amdhsa_reserve_vcc 0
		.amdhsa_reserve_flat_scratch 0
		.amdhsa_float_round_mode_32 0
		.amdhsa_float_round_mode_16_64 0
		.amdhsa_float_denorm_mode_32 3
		.amdhsa_float_denorm_mode_16_64 3
		.amdhsa_dx10_clamp 1
		.amdhsa_ieee_mode 1
		.amdhsa_fp16_overflow 0
		.amdhsa_tg_split 0
		.amdhsa_exception_fp_ieee_invalid_op 0
		.amdhsa_exception_fp_denorm_src 0
		.amdhsa_exception_fp_ieee_div_zero 0
		.amdhsa_exception_fp_ieee_overflow 0
		.amdhsa_exception_fp_ieee_underflow 0
		.amdhsa_exception_fp_ieee_inexact 0
		.amdhsa_exception_int_div_zero 0
	.end_amdhsa_kernel
	.section	.text._ZN7rocprim17ROCPRIM_400000_NS6detail17trampoline_kernelINS0_14default_configENS1_33run_length_encode_config_selectorIijNS0_4plusIjEEEEZZNS1_33reduce_by_key_impl_wrapped_configILNS1_25lookback_scan_determinismE0ES3_S7_PKiNS0_17constant_iteratorIjlEEPiPlSF_S6_NS0_8equal_toIiEEEE10hipError_tPvRmT2_T3_mT4_T5_T6_T7_T8_P12ihipStream_tbENKUlT_T0_E_clISt17integral_constantIbLb1EESY_IbLb0EEEEDaSU_SV_EUlSU_E_NS1_11comp_targetILNS1_3genE0ELNS1_11target_archE4294967295ELNS1_3gpuE0ELNS1_3repE0EEENS1_30default_config_static_selectorELNS0_4arch9wavefront6targetE1EEEvT1_,"axG",@progbits,_ZN7rocprim17ROCPRIM_400000_NS6detail17trampoline_kernelINS0_14default_configENS1_33run_length_encode_config_selectorIijNS0_4plusIjEEEEZZNS1_33reduce_by_key_impl_wrapped_configILNS1_25lookback_scan_determinismE0ES3_S7_PKiNS0_17constant_iteratorIjlEEPiPlSF_S6_NS0_8equal_toIiEEEE10hipError_tPvRmT2_T3_mT4_T5_T6_T7_T8_P12ihipStream_tbENKUlT_T0_E_clISt17integral_constantIbLb1EESY_IbLb0EEEEDaSU_SV_EUlSU_E_NS1_11comp_targetILNS1_3genE0ELNS1_11target_archE4294967295ELNS1_3gpuE0ELNS1_3repE0EEENS1_30default_config_static_selectorELNS0_4arch9wavefront6targetE1EEEvT1_,comdat
.Lfunc_end460:
	.size	_ZN7rocprim17ROCPRIM_400000_NS6detail17trampoline_kernelINS0_14default_configENS1_33run_length_encode_config_selectorIijNS0_4plusIjEEEEZZNS1_33reduce_by_key_impl_wrapped_configILNS1_25lookback_scan_determinismE0ES3_S7_PKiNS0_17constant_iteratorIjlEEPiPlSF_S6_NS0_8equal_toIiEEEE10hipError_tPvRmT2_T3_mT4_T5_T6_T7_T8_P12ihipStream_tbENKUlT_T0_E_clISt17integral_constantIbLb1EESY_IbLb0EEEEDaSU_SV_EUlSU_E_NS1_11comp_targetILNS1_3genE0ELNS1_11target_archE4294967295ELNS1_3gpuE0ELNS1_3repE0EEENS1_30default_config_static_selectorELNS0_4arch9wavefront6targetE1EEEvT1_, .Lfunc_end460-_ZN7rocprim17ROCPRIM_400000_NS6detail17trampoline_kernelINS0_14default_configENS1_33run_length_encode_config_selectorIijNS0_4plusIjEEEEZZNS1_33reduce_by_key_impl_wrapped_configILNS1_25lookback_scan_determinismE0ES3_S7_PKiNS0_17constant_iteratorIjlEEPiPlSF_S6_NS0_8equal_toIiEEEE10hipError_tPvRmT2_T3_mT4_T5_T6_T7_T8_P12ihipStream_tbENKUlT_T0_E_clISt17integral_constantIbLb1EESY_IbLb0EEEEDaSU_SV_EUlSU_E_NS1_11comp_targetILNS1_3genE0ELNS1_11target_archE4294967295ELNS1_3gpuE0ELNS1_3repE0EEENS1_30default_config_static_selectorELNS0_4arch9wavefront6targetE1EEEvT1_
                                        ; -- End function
	.section	.AMDGPU.csdata,"",@progbits
; Kernel info:
; codeLenInByte = 0
; NumSgprs: 4
; NumVgprs: 0
; NumAgprs: 0
; TotalNumVgprs: 0
; ScratchSize: 0
; MemoryBound: 0
; FloatMode: 240
; IeeeMode: 1
; LDSByteSize: 0 bytes/workgroup (compile time only)
; SGPRBlocks: 0
; VGPRBlocks: 0
; NumSGPRsForWavesPerEU: 4
; NumVGPRsForWavesPerEU: 1
; AccumOffset: 4
; Occupancy: 8
; WaveLimiterHint : 0
; COMPUTE_PGM_RSRC2:SCRATCH_EN: 0
; COMPUTE_PGM_RSRC2:USER_SGPR: 6
; COMPUTE_PGM_RSRC2:TRAP_HANDLER: 0
; COMPUTE_PGM_RSRC2:TGID_X_EN: 1
; COMPUTE_PGM_RSRC2:TGID_Y_EN: 0
; COMPUTE_PGM_RSRC2:TGID_Z_EN: 0
; COMPUTE_PGM_RSRC2:TIDIG_COMP_CNT: 0
; COMPUTE_PGM_RSRC3_GFX90A:ACCUM_OFFSET: 0
; COMPUTE_PGM_RSRC3_GFX90A:TG_SPLIT: 0
	.section	.text._ZN7rocprim17ROCPRIM_400000_NS6detail17trampoline_kernelINS0_14default_configENS1_33run_length_encode_config_selectorIijNS0_4plusIjEEEEZZNS1_33reduce_by_key_impl_wrapped_configILNS1_25lookback_scan_determinismE0ES3_S7_PKiNS0_17constant_iteratorIjlEEPiPlSF_S6_NS0_8equal_toIiEEEE10hipError_tPvRmT2_T3_mT4_T5_T6_T7_T8_P12ihipStream_tbENKUlT_T0_E_clISt17integral_constantIbLb1EESY_IbLb0EEEEDaSU_SV_EUlSU_E_NS1_11comp_targetILNS1_3genE5ELNS1_11target_archE942ELNS1_3gpuE9ELNS1_3repE0EEENS1_30default_config_static_selectorELNS0_4arch9wavefront6targetE1EEEvT1_,"axG",@progbits,_ZN7rocprim17ROCPRIM_400000_NS6detail17trampoline_kernelINS0_14default_configENS1_33run_length_encode_config_selectorIijNS0_4plusIjEEEEZZNS1_33reduce_by_key_impl_wrapped_configILNS1_25lookback_scan_determinismE0ES3_S7_PKiNS0_17constant_iteratorIjlEEPiPlSF_S6_NS0_8equal_toIiEEEE10hipError_tPvRmT2_T3_mT4_T5_T6_T7_T8_P12ihipStream_tbENKUlT_T0_E_clISt17integral_constantIbLb1EESY_IbLb0EEEEDaSU_SV_EUlSU_E_NS1_11comp_targetILNS1_3genE5ELNS1_11target_archE942ELNS1_3gpuE9ELNS1_3repE0EEENS1_30default_config_static_selectorELNS0_4arch9wavefront6targetE1EEEvT1_,comdat
	.protected	_ZN7rocprim17ROCPRIM_400000_NS6detail17trampoline_kernelINS0_14default_configENS1_33run_length_encode_config_selectorIijNS0_4plusIjEEEEZZNS1_33reduce_by_key_impl_wrapped_configILNS1_25lookback_scan_determinismE0ES3_S7_PKiNS0_17constant_iteratorIjlEEPiPlSF_S6_NS0_8equal_toIiEEEE10hipError_tPvRmT2_T3_mT4_T5_T6_T7_T8_P12ihipStream_tbENKUlT_T0_E_clISt17integral_constantIbLb1EESY_IbLb0EEEEDaSU_SV_EUlSU_E_NS1_11comp_targetILNS1_3genE5ELNS1_11target_archE942ELNS1_3gpuE9ELNS1_3repE0EEENS1_30default_config_static_selectorELNS0_4arch9wavefront6targetE1EEEvT1_ ; -- Begin function _ZN7rocprim17ROCPRIM_400000_NS6detail17trampoline_kernelINS0_14default_configENS1_33run_length_encode_config_selectorIijNS0_4plusIjEEEEZZNS1_33reduce_by_key_impl_wrapped_configILNS1_25lookback_scan_determinismE0ES3_S7_PKiNS0_17constant_iteratorIjlEEPiPlSF_S6_NS0_8equal_toIiEEEE10hipError_tPvRmT2_T3_mT4_T5_T6_T7_T8_P12ihipStream_tbENKUlT_T0_E_clISt17integral_constantIbLb1EESY_IbLb0EEEEDaSU_SV_EUlSU_E_NS1_11comp_targetILNS1_3genE5ELNS1_11target_archE942ELNS1_3gpuE9ELNS1_3repE0EEENS1_30default_config_static_selectorELNS0_4arch9wavefront6targetE1EEEvT1_
	.globl	_ZN7rocprim17ROCPRIM_400000_NS6detail17trampoline_kernelINS0_14default_configENS1_33run_length_encode_config_selectorIijNS0_4plusIjEEEEZZNS1_33reduce_by_key_impl_wrapped_configILNS1_25lookback_scan_determinismE0ES3_S7_PKiNS0_17constant_iteratorIjlEEPiPlSF_S6_NS0_8equal_toIiEEEE10hipError_tPvRmT2_T3_mT4_T5_T6_T7_T8_P12ihipStream_tbENKUlT_T0_E_clISt17integral_constantIbLb1EESY_IbLb0EEEEDaSU_SV_EUlSU_E_NS1_11comp_targetILNS1_3genE5ELNS1_11target_archE942ELNS1_3gpuE9ELNS1_3repE0EEENS1_30default_config_static_selectorELNS0_4arch9wavefront6targetE1EEEvT1_
	.p2align	8
	.type	_ZN7rocprim17ROCPRIM_400000_NS6detail17trampoline_kernelINS0_14default_configENS1_33run_length_encode_config_selectorIijNS0_4plusIjEEEEZZNS1_33reduce_by_key_impl_wrapped_configILNS1_25lookback_scan_determinismE0ES3_S7_PKiNS0_17constant_iteratorIjlEEPiPlSF_S6_NS0_8equal_toIiEEEE10hipError_tPvRmT2_T3_mT4_T5_T6_T7_T8_P12ihipStream_tbENKUlT_T0_E_clISt17integral_constantIbLb1EESY_IbLb0EEEEDaSU_SV_EUlSU_E_NS1_11comp_targetILNS1_3genE5ELNS1_11target_archE942ELNS1_3gpuE9ELNS1_3repE0EEENS1_30default_config_static_selectorELNS0_4arch9wavefront6targetE1EEEvT1_,@function
_ZN7rocprim17ROCPRIM_400000_NS6detail17trampoline_kernelINS0_14default_configENS1_33run_length_encode_config_selectorIijNS0_4plusIjEEEEZZNS1_33reduce_by_key_impl_wrapped_configILNS1_25lookback_scan_determinismE0ES3_S7_PKiNS0_17constant_iteratorIjlEEPiPlSF_S6_NS0_8equal_toIiEEEE10hipError_tPvRmT2_T3_mT4_T5_T6_T7_T8_P12ihipStream_tbENKUlT_T0_E_clISt17integral_constantIbLb1EESY_IbLb0EEEEDaSU_SV_EUlSU_E_NS1_11comp_targetILNS1_3genE5ELNS1_11target_archE942ELNS1_3gpuE9ELNS1_3repE0EEENS1_30default_config_static_selectorELNS0_4arch9wavefront6targetE1EEEvT1_: ; @_ZN7rocprim17ROCPRIM_400000_NS6detail17trampoline_kernelINS0_14default_configENS1_33run_length_encode_config_selectorIijNS0_4plusIjEEEEZZNS1_33reduce_by_key_impl_wrapped_configILNS1_25lookback_scan_determinismE0ES3_S7_PKiNS0_17constant_iteratorIjlEEPiPlSF_S6_NS0_8equal_toIiEEEE10hipError_tPvRmT2_T3_mT4_T5_T6_T7_T8_P12ihipStream_tbENKUlT_T0_E_clISt17integral_constantIbLb1EESY_IbLb0EEEEDaSU_SV_EUlSU_E_NS1_11comp_targetILNS1_3genE5ELNS1_11target_archE942ELNS1_3gpuE9ELNS1_3repE0EEENS1_30default_config_static_selectorELNS0_4arch9wavefront6targetE1EEEvT1_
; %bb.0:
	.section	.rodata,"a",@progbits
	.p2align	6, 0x0
	.amdhsa_kernel _ZN7rocprim17ROCPRIM_400000_NS6detail17trampoline_kernelINS0_14default_configENS1_33run_length_encode_config_selectorIijNS0_4plusIjEEEEZZNS1_33reduce_by_key_impl_wrapped_configILNS1_25lookback_scan_determinismE0ES3_S7_PKiNS0_17constant_iteratorIjlEEPiPlSF_S6_NS0_8equal_toIiEEEE10hipError_tPvRmT2_T3_mT4_T5_T6_T7_T8_P12ihipStream_tbENKUlT_T0_E_clISt17integral_constantIbLb1EESY_IbLb0EEEEDaSU_SV_EUlSU_E_NS1_11comp_targetILNS1_3genE5ELNS1_11target_archE942ELNS1_3gpuE9ELNS1_3repE0EEENS1_30default_config_static_selectorELNS0_4arch9wavefront6targetE1EEEvT1_
		.amdhsa_group_segment_fixed_size 0
		.amdhsa_private_segment_fixed_size 0
		.amdhsa_kernarg_size 128
		.amdhsa_user_sgpr_count 6
		.amdhsa_user_sgpr_private_segment_buffer 1
		.amdhsa_user_sgpr_dispatch_ptr 0
		.amdhsa_user_sgpr_queue_ptr 0
		.amdhsa_user_sgpr_kernarg_segment_ptr 1
		.amdhsa_user_sgpr_dispatch_id 0
		.amdhsa_user_sgpr_flat_scratch_init 0
		.amdhsa_user_sgpr_kernarg_preload_length 0
		.amdhsa_user_sgpr_kernarg_preload_offset 0
		.amdhsa_user_sgpr_private_segment_size 0
		.amdhsa_uses_dynamic_stack 0
		.amdhsa_system_sgpr_private_segment_wavefront_offset 0
		.amdhsa_system_sgpr_workgroup_id_x 1
		.amdhsa_system_sgpr_workgroup_id_y 0
		.amdhsa_system_sgpr_workgroup_id_z 0
		.amdhsa_system_sgpr_workgroup_info 0
		.amdhsa_system_vgpr_workitem_id 0
		.amdhsa_next_free_vgpr 1
		.amdhsa_next_free_sgpr 0
		.amdhsa_accum_offset 4
		.amdhsa_reserve_vcc 0
		.amdhsa_reserve_flat_scratch 0
		.amdhsa_float_round_mode_32 0
		.amdhsa_float_round_mode_16_64 0
		.amdhsa_float_denorm_mode_32 3
		.amdhsa_float_denorm_mode_16_64 3
		.amdhsa_dx10_clamp 1
		.amdhsa_ieee_mode 1
		.amdhsa_fp16_overflow 0
		.amdhsa_tg_split 0
		.amdhsa_exception_fp_ieee_invalid_op 0
		.amdhsa_exception_fp_denorm_src 0
		.amdhsa_exception_fp_ieee_div_zero 0
		.amdhsa_exception_fp_ieee_overflow 0
		.amdhsa_exception_fp_ieee_underflow 0
		.amdhsa_exception_fp_ieee_inexact 0
		.amdhsa_exception_int_div_zero 0
	.end_amdhsa_kernel
	.section	.text._ZN7rocprim17ROCPRIM_400000_NS6detail17trampoline_kernelINS0_14default_configENS1_33run_length_encode_config_selectorIijNS0_4plusIjEEEEZZNS1_33reduce_by_key_impl_wrapped_configILNS1_25lookback_scan_determinismE0ES3_S7_PKiNS0_17constant_iteratorIjlEEPiPlSF_S6_NS0_8equal_toIiEEEE10hipError_tPvRmT2_T3_mT4_T5_T6_T7_T8_P12ihipStream_tbENKUlT_T0_E_clISt17integral_constantIbLb1EESY_IbLb0EEEEDaSU_SV_EUlSU_E_NS1_11comp_targetILNS1_3genE5ELNS1_11target_archE942ELNS1_3gpuE9ELNS1_3repE0EEENS1_30default_config_static_selectorELNS0_4arch9wavefront6targetE1EEEvT1_,"axG",@progbits,_ZN7rocprim17ROCPRIM_400000_NS6detail17trampoline_kernelINS0_14default_configENS1_33run_length_encode_config_selectorIijNS0_4plusIjEEEEZZNS1_33reduce_by_key_impl_wrapped_configILNS1_25lookback_scan_determinismE0ES3_S7_PKiNS0_17constant_iteratorIjlEEPiPlSF_S6_NS0_8equal_toIiEEEE10hipError_tPvRmT2_T3_mT4_T5_T6_T7_T8_P12ihipStream_tbENKUlT_T0_E_clISt17integral_constantIbLb1EESY_IbLb0EEEEDaSU_SV_EUlSU_E_NS1_11comp_targetILNS1_3genE5ELNS1_11target_archE942ELNS1_3gpuE9ELNS1_3repE0EEENS1_30default_config_static_selectorELNS0_4arch9wavefront6targetE1EEEvT1_,comdat
.Lfunc_end461:
	.size	_ZN7rocprim17ROCPRIM_400000_NS6detail17trampoline_kernelINS0_14default_configENS1_33run_length_encode_config_selectorIijNS0_4plusIjEEEEZZNS1_33reduce_by_key_impl_wrapped_configILNS1_25lookback_scan_determinismE0ES3_S7_PKiNS0_17constant_iteratorIjlEEPiPlSF_S6_NS0_8equal_toIiEEEE10hipError_tPvRmT2_T3_mT4_T5_T6_T7_T8_P12ihipStream_tbENKUlT_T0_E_clISt17integral_constantIbLb1EESY_IbLb0EEEEDaSU_SV_EUlSU_E_NS1_11comp_targetILNS1_3genE5ELNS1_11target_archE942ELNS1_3gpuE9ELNS1_3repE0EEENS1_30default_config_static_selectorELNS0_4arch9wavefront6targetE1EEEvT1_, .Lfunc_end461-_ZN7rocprim17ROCPRIM_400000_NS6detail17trampoline_kernelINS0_14default_configENS1_33run_length_encode_config_selectorIijNS0_4plusIjEEEEZZNS1_33reduce_by_key_impl_wrapped_configILNS1_25lookback_scan_determinismE0ES3_S7_PKiNS0_17constant_iteratorIjlEEPiPlSF_S6_NS0_8equal_toIiEEEE10hipError_tPvRmT2_T3_mT4_T5_T6_T7_T8_P12ihipStream_tbENKUlT_T0_E_clISt17integral_constantIbLb1EESY_IbLb0EEEEDaSU_SV_EUlSU_E_NS1_11comp_targetILNS1_3genE5ELNS1_11target_archE942ELNS1_3gpuE9ELNS1_3repE0EEENS1_30default_config_static_selectorELNS0_4arch9wavefront6targetE1EEEvT1_
                                        ; -- End function
	.section	.AMDGPU.csdata,"",@progbits
; Kernel info:
; codeLenInByte = 0
; NumSgprs: 4
; NumVgprs: 0
; NumAgprs: 0
; TotalNumVgprs: 0
; ScratchSize: 0
; MemoryBound: 0
; FloatMode: 240
; IeeeMode: 1
; LDSByteSize: 0 bytes/workgroup (compile time only)
; SGPRBlocks: 0
; VGPRBlocks: 0
; NumSGPRsForWavesPerEU: 4
; NumVGPRsForWavesPerEU: 1
; AccumOffset: 4
; Occupancy: 8
; WaveLimiterHint : 0
; COMPUTE_PGM_RSRC2:SCRATCH_EN: 0
; COMPUTE_PGM_RSRC2:USER_SGPR: 6
; COMPUTE_PGM_RSRC2:TRAP_HANDLER: 0
; COMPUTE_PGM_RSRC2:TGID_X_EN: 1
; COMPUTE_PGM_RSRC2:TGID_Y_EN: 0
; COMPUTE_PGM_RSRC2:TGID_Z_EN: 0
; COMPUTE_PGM_RSRC2:TIDIG_COMP_CNT: 0
; COMPUTE_PGM_RSRC3_GFX90A:ACCUM_OFFSET: 0
; COMPUTE_PGM_RSRC3_GFX90A:TG_SPLIT: 0
	.section	.text._ZN7rocprim17ROCPRIM_400000_NS6detail17trampoline_kernelINS0_14default_configENS1_33run_length_encode_config_selectorIijNS0_4plusIjEEEEZZNS1_33reduce_by_key_impl_wrapped_configILNS1_25lookback_scan_determinismE0ES3_S7_PKiNS0_17constant_iteratorIjlEEPiPlSF_S6_NS0_8equal_toIiEEEE10hipError_tPvRmT2_T3_mT4_T5_T6_T7_T8_P12ihipStream_tbENKUlT_T0_E_clISt17integral_constantIbLb1EESY_IbLb0EEEEDaSU_SV_EUlSU_E_NS1_11comp_targetILNS1_3genE4ELNS1_11target_archE910ELNS1_3gpuE8ELNS1_3repE0EEENS1_30default_config_static_selectorELNS0_4arch9wavefront6targetE1EEEvT1_,"axG",@progbits,_ZN7rocprim17ROCPRIM_400000_NS6detail17trampoline_kernelINS0_14default_configENS1_33run_length_encode_config_selectorIijNS0_4plusIjEEEEZZNS1_33reduce_by_key_impl_wrapped_configILNS1_25lookback_scan_determinismE0ES3_S7_PKiNS0_17constant_iteratorIjlEEPiPlSF_S6_NS0_8equal_toIiEEEE10hipError_tPvRmT2_T3_mT4_T5_T6_T7_T8_P12ihipStream_tbENKUlT_T0_E_clISt17integral_constantIbLb1EESY_IbLb0EEEEDaSU_SV_EUlSU_E_NS1_11comp_targetILNS1_3genE4ELNS1_11target_archE910ELNS1_3gpuE8ELNS1_3repE0EEENS1_30default_config_static_selectorELNS0_4arch9wavefront6targetE1EEEvT1_,comdat
	.protected	_ZN7rocprim17ROCPRIM_400000_NS6detail17trampoline_kernelINS0_14default_configENS1_33run_length_encode_config_selectorIijNS0_4plusIjEEEEZZNS1_33reduce_by_key_impl_wrapped_configILNS1_25lookback_scan_determinismE0ES3_S7_PKiNS0_17constant_iteratorIjlEEPiPlSF_S6_NS0_8equal_toIiEEEE10hipError_tPvRmT2_T3_mT4_T5_T6_T7_T8_P12ihipStream_tbENKUlT_T0_E_clISt17integral_constantIbLb1EESY_IbLb0EEEEDaSU_SV_EUlSU_E_NS1_11comp_targetILNS1_3genE4ELNS1_11target_archE910ELNS1_3gpuE8ELNS1_3repE0EEENS1_30default_config_static_selectorELNS0_4arch9wavefront6targetE1EEEvT1_ ; -- Begin function _ZN7rocprim17ROCPRIM_400000_NS6detail17trampoline_kernelINS0_14default_configENS1_33run_length_encode_config_selectorIijNS0_4plusIjEEEEZZNS1_33reduce_by_key_impl_wrapped_configILNS1_25lookback_scan_determinismE0ES3_S7_PKiNS0_17constant_iteratorIjlEEPiPlSF_S6_NS0_8equal_toIiEEEE10hipError_tPvRmT2_T3_mT4_T5_T6_T7_T8_P12ihipStream_tbENKUlT_T0_E_clISt17integral_constantIbLb1EESY_IbLb0EEEEDaSU_SV_EUlSU_E_NS1_11comp_targetILNS1_3genE4ELNS1_11target_archE910ELNS1_3gpuE8ELNS1_3repE0EEENS1_30default_config_static_selectorELNS0_4arch9wavefront6targetE1EEEvT1_
	.globl	_ZN7rocprim17ROCPRIM_400000_NS6detail17trampoline_kernelINS0_14default_configENS1_33run_length_encode_config_selectorIijNS0_4plusIjEEEEZZNS1_33reduce_by_key_impl_wrapped_configILNS1_25lookback_scan_determinismE0ES3_S7_PKiNS0_17constant_iteratorIjlEEPiPlSF_S6_NS0_8equal_toIiEEEE10hipError_tPvRmT2_T3_mT4_T5_T6_T7_T8_P12ihipStream_tbENKUlT_T0_E_clISt17integral_constantIbLb1EESY_IbLb0EEEEDaSU_SV_EUlSU_E_NS1_11comp_targetILNS1_3genE4ELNS1_11target_archE910ELNS1_3gpuE8ELNS1_3repE0EEENS1_30default_config_static_selectorELNS0_4arch9wavefront6targetE1EEEvT1_
	.p2align	8
	.type	_ZN7rocprim17ROCPRIM_400000_NS6detail17trampoline_kernelINS0_14default_configENS1_33run_length_encode_config_selectorIijNS0_4plusIjEEEEZZNS1_33reduce_by_key_impl_wrapped_configILNS1_25lookback_scan_determinismE0ES3_S7_PKiNS0_17constant_iteratorIjlEEPiPlSF_S6_NS0_8equal_toIiEEEE10hipError_tPvRmT2_T3_mT4_T5_T6_T7_T8_P12ihipStream_tbENKUlT_T0_E_clISt17integral_constantIbLb1EESY_IbLb0EEEEDaSU_SV_EUlSU_E_NS1_11comp_targetILNS1_3genE4ELNS1_11target_archE910ELNS1_3gpuE8ELNS1_3repE0EEENS1_30default_config_static_selectorELNS0_4arch9wavefront6targetE1EEEvT1_,@function
_ZN7rocprim17ROCPRIM_400000_NS6detail17trampoline_kernelINS0_14default_configENS1_33run_length_encode_config_selectorIijNS0_4plusIjEEEEZZNS1_33reduce_by_key_impl_wrapped_configILNS1_25lookback_scan_determinismE0ES3_S7_PKiNS0_17constant_iteratorIjlEEPiPlSF_S6_NS0_8equal_toIiEEEE10hipError_tPvRmT2_T3_mT4_T5_T6_T7_T8_P12ihipStream_tbENKUlT_T0_E_clISt17integral_constantIbLb1EESY_IbLb0EEEEDaSU_SV_EUlSU_E_NS1_11comp_targetILNS1_3genE4ELNS1_11target_archE910ELNS1_3gpuE8ELNS1_3repE0EEENS1_30default_config_static_selectorELNS0_4arch9wavefront6targetE1EEEvT1_: ; @_ZN7rocprim17ROCPRIM_400000_NS6detail17trampoline_kernelINS0_14default_configENS1_33run_length_encode_config_selectorIijNS0_4plusIjEEEEZZNS1_33reduce_by_key_impl_wrapped_configILNS1_25lookback_scan_determinismE0ES3_S7_PKiNS0_17constant_iteratorIjlEEPiPlSF_S6_NS0_8equal_toIiEEEE10hipError_tPvRmT2_T3_mT4_T5_T6_T7_T8_P12ihipStream_tbENKUlT_T0_E_clISt17integral_constantIbLb1EESY_IbLb0EEEEDaSU_SV_EUlSU_E_NS1_11comp_targetILNS1_3genE4ELNS1_11target_archE910ELNS1_3gpuE8ELNS1_3repE0EEENS1_30default_config_static_selectorELNS0_4arch9wavefront6targetE1EEEvT1_
; %bb.0:
	s_load_dwordx8 s[36:43], s[4:5], 0x40
	s_load_dwordx4 s[0:3], s[4:5], 0x0
	s_load_dword s7, s[4:5], 0x10
	s_load_dwordx4 s[44:47], s[4:5], 0x60
	s_mov_b64 s[12:13], -1
	s_waitcnt lgkmcnt(0)
	s_mul_i32 s8, s40, s39
	s_mul_hi_u32 s9, s40, s38
	s_add_i32 s8, s9, s8
	s_mul_i32 s9, s41, s38
	s_add_i32 s8, s8, s9
	s_lshl_b64 s[2:3], s[2:3], 2
	s_add_u32 s2, s0, s2
	s_addc_u32 s3, s1, s3
	s_mul_i32 s0, s6, 0xf00
	s_mov_b32 s1, 0
	s_lshl_b64 s[0:1], s[0:1], 2
	s_add_u32 s0, s2, s0
	s_mul_i32 s9, s40, s38
	s_addc_u32 s1, s3, s1
	s_add_u32 s2, s9, s6
	s_addc_u32 s3, s8, 0
	s_add_u32 s8, s42, -1
	s_addc_u32 s9, s43, -1
	s_cmp_eq_u64 s[2:3], s[8:9]
	s_cselect_b64 s[34:35], -1, 0
	s_cmp_lg_u64 s[2:3], s[8:9]
	s_cselect_b64 s[10:11], -1, 0
	s_mul_i32 s33, s8, 0xfffff100
	s_and_b64 vcc, exec, s[34:35]
	s_cbranch_vccnz .LBB462_2
; %bb.1:
	v_lshlrev_b32_e32 v1, 2, v0
	v_mov_b32_e32 v2, s1
	v_add_co_u32_e32 v4, vcc, s0, v1
	v_addc_co_u32_e32 v5, vcc, 0, v2, vcc
	v_add_co_u32_e32 v2, vcc, 0x1000, v4
	v_addc_co_u32_e32 v3, vcc, 0, v5, vcc
	global_load_dword v6, v1, s[0:1]
	global_load_dword v7, v1, s[0:1] offset:1024
	global_load_dword v8, v1, s[0:1] offset:2048
	;; [unrolled: 1-line block ×3, first 2 shown]
	global_load_dword v10, v[2:3], off
	global_load_dword v11, v[2:3], off offset:1024
	global_load_dword v12, v[2:3], off offset:2048
	;; [unrolled: 1-line block ×3, first 2 shown]
	v_add_co_u32_e32 v2, vcc, 0x2000, v4
	v_addc_co_u32_e32 v3, vcc, 0, v5, vcc
	v_add_co_u32_e32 v4, vcc, 0x3000, v4
	v_addc_co_u32_e32 v5, vcc, 0, v5, vcc
	global_load_dword v14, v[2:3], off
	global_load_dword v15, v[2:3], off offset:1024
	global_load_dword v16, v[2:3], off offset:2048
	;; [unrolled: 1-line block ×3, first 2 shown]
	global_load_dword v18, v[4:5], off
	global_load_dword v19, v[4:5], off offset:1024
	global_load_dword v20, v[4:5], off offset:2048
	v_mad_u32_u24 v2, v0, 56, v1
	s_mov_b64 s[8:9], -1
	s_waitcnt vmcnt(13)
	ds_write2st64_b32 v1, v6, v7 offset1:4
	s_waitcnt vmcnt(11)
	ds_write2st64_b32 v1, v8, v9 offset0:8 offset1:12
	s_waitcnt vmcnt(9)
	ds_write2st64_b32 v1, v10, v11 offset0:16 offset1:20
	;; [unrolled: 2-line block ×6, first 2 shown]
	s_waitcnt vmcnt(0)
	ds_write_b32 v1, v20 offset:14336
	s_waitcnt lgkmcnt(0)
	s_barrier
	ds_read2_b32 v[20:21], v2 offset1:1
	ds_read2_b32 v[18:19], v2 offset0:2 offset1:3
	ds_read2_b32 v[16:17], v2 offset0:4 offset1:5
	;; [unrolled: 1-line block ×6, first 2 shown]
	ds_read_b32 v1, v2 offset:56
	s_waitcnt lgkmcnt(7)
	v_mov_b32_e32 v22, v20
	s_waitcnt lgkmcnt(6)
	v_mov_b32_e32 v23, v18
	;; [unrolled: 2-line block ×7, first 2 shown]
	s_add_i32 s33, s33, s44
	s_cbranch_execz .LBB462_3
	s_branch .LBB462_34
.LBB462_2:
	s_mov_b64 s[8:9], 0
                                        ; implicit-def: $vgpr1
                                        ; implicit-def: $vgpr8
                                        ; implicit-def: $vgpr10
                                        ; implicit-def: $vgpr12
                                        ; implicit-def: $vgpr14
                                        ; implicit-def: $vgpr16
                                        ; implicit-def: $vgpr18
                                        ; implicit-def: $vgpr20
                                        ; implicit-def: $vgpr2_vgpr3
                                        ; implicit-def: $vgpr4_vgpr5
                                        ; implicit-def: $vgpr22_vgpr23
                                        ; implicit-def: $vgpr6_vgpr7
	s_add_i32 s33, s33, s44
	s_andn2_b64 vcc, exec, s[12:13]
	s_cbranch_vccnz .LBB462_34
.LBB462_3:
	v_cmp_gt_u32_e32 vcc, s33, v0
                                        ; implicit-def: $vgpr1
	s_and_saveexec_b64 s[8:9], vcc
	s_cbranch_execz .LBB462_5
; %bb.4:
	s_waitcnt lgkmcnt(0)
	v_lshlrev_b32_e32 v1, 2, v0
	global_load_dword v1, v1, s[0:1]
.LBB462_5:
	s_or_b64 exec, exec, s[8:9]
	v_or_b32_e32 v2, 0x100, v0
	v_cmp_gt_u32_e32 vcc, s33, v2
                                        ; implicit-def: $vgpr2
	s_and_saveexec_b64 s[8:9], vcc
	s_cbranch_execz .LBB462_7
; %bb.6:
	v_lshlrev_b32_e32 v2, 2, v0
	global_load_dword v2, v2, s[0:1] offset:1024
.LBB462_7:
	s_or_b64 exec, exec, s[8:9]
	v_or_b32_e32 v3, 0x200, v0
	v_cmp_gt_u32_e32 vcc, s33, v3
                                        ; implicit-def: $vgpr3
	s_and_saveexec_b64 s[8:9], vcc
	s_cbranch_execz .LBB462_9
; %bb.8:
	v_lshlrev_b32_e32 v3, 2, v0
	global_load_dword v3, v3, s[0:1] offset:2048
.LBB462_9:
	s_or_b64 exec, exec, s[8:9]
	v_or_b32_e32 v4, 0x300, v0
	v_cmp_gt_u32_e32 vcc, s33, v4
                                        ; implicit-def: $vgpr4
	s_and_saveexec_b64 s[8:9], vcc
	s_cbranch_execz .LBB462_11
; %bb.10:
	v_lshlrev_b32_e32 v4, 2, v0
	global_load_dword v4, v4, s[0:1] offset:3072
.LBB462_11:
	s_or_b64 exec, exec, s[8:9]
	v_or_b32_e32 v6, 0x400, v0
	v_cmp_gt_u32_e32 vcc, s33, v6
                                        ; implicit-def: $vgpr5
	s_and_saveexec_b64 s[8:9], vcc
	s_cbranch_execz .LBB462_13
; %bb.12:
	v_lshlrev_b32_e32 v5, 2, v6
	global_load_dword v5, v5, s[0:1]
.LBB462_13:
	s_or_b64 exec, exec, s[8:9]
	v_or_b32_e32 v7, 0x500, v0
	v_cmp_gt_u32_e32 vcc, s33, v7
                                        ; implicit-def: $vgpr6
	s_and_saveexec_b64 s[8:9], vcc
	s_cbranch_execz .LBB462_15
; %bb.14:
	v_lshlrev_b32_e32 v6, 2, v7
	global_load_dword v6, v6, s[0:1]
.LBB462_15:
	s_or_b64 exec, exec, s[8:9]
	v_or_b32_e32 v8, 0x600, v0
	v_cmp_gt_u32_e32 vcc, s33, v8
                                        ; implicit-def: $vgpr7
	s_and_saveexec_b64 s[8:9], vcc
	s_cbranch_execz .LBB462_17
; %bb.16:
	v_lshlrev_b32_e32 v7, 2, v8
	global_load_dword v7, v7, s[0:1]
.LBB462_17:
	s_or_b64 exec, exec, s[8:9]
	v_or_b32_e32 v9, 0x700, v0
	v_cmp_gt_u32_e32 vcc, s33, v9
                                        ; implicit-def: $vgpr8
	s_and_saveexec_b64 s[8:9], vcc
	s_cbranch_execz .LBB462_19
; %bb.18:
	v_lshlrev_b32_e32 v8, 2, v9
	global_load_dword v8, v8, s[0:1]
.LBB462_19:
	s_or_b64 exec, exec, s[8:9]
	v_or_b32_e32 v10, 0x800, v0
	v_cmp_gt_u32_e32 vcc, s33, v10
                                        ; implicit-def: $vgpr9
	s_and_saveexec_b64 s[8:9], vcc
	s_cbranch_execz .LBB462_21
; %bb.20:
	v_lshlrev_b32_e32 v9, 2, v10
	global_load_dword v9, v9, s[0:1]
.LBB462_21:
	s_or_b64 exec, exec, s[8:9]
	v_or_b32_e32 v11, 0x900, v0
	v_cmp_gt_u32_e32 vcc, s33, v11
                                        ; implicit-def: $vgpr10
	s_and_saveexec_b64 s[8:9], vcc
	s_cbranch_execz .LBB462_23
; %bb.22:
	v_lshlrev_b32_e32 v10, 2, v11
	global_load_dword v10, v10, s[0:1]
.LBB462_23:
	s_or_b64 exec, exec, s[8:9]
	v_or_b32_e32 v12, 0xa00, v0
	v_cmp_gt_u32_e32 vcc, s33, v12
                                        ; implicit-def: $vgpr11
	s_and_saveexec_b64 s[8:9], vcc
	s_cbranch_execz .LBB462_25
; %bb.24:
	v_lshlrev_b32_e32 v11, 2, v12
	global_load_dword v11, v11, s[0:1]
.LBB462_25:
	s_or_b64 exec, exec, s[8:9]
	v_or_b32_e32 v13, 0xb00, v0
	v_cmp_gt_u32_e32 vcc, s33, v13
                                        ; implicit-def: $vgpr12
	s_and_saveexec_b64 s[8:9], vcc
	s_cbranch_execz .LBB462_27
; %bb.26:
	v_lshlrev_b32_e32 v12, 2, v13
	global_load_dword v12, v12, s[0:1]
.LBB462_27:
	s_or_b64 exec, exec, s[8:9]
	v_or_b32_e32 v14, 0xc00, v0
	v_cmp_gt_u32_e32 vcc, s33, v14
                                        ; implicit-def: $vgpr13
	s_and_saveexec_b64 s[8:9], vcc
	s_cbranch_execz .LBB462_29
; %bb.28:
	v_lshlrev_b32_e32 v13, 2, v14
	global_load_dword v13, v13, s[0:1]
.LBB462_29:
	s_or_b64 exec, exec, s[8:9]
	v_or_b32_e32 v15, 0xd00, v0
	v_cmp_gt_u32_e32 vcc, s33, v15
                                        ; implicit-def: $vgpr14
	s_and_saveexec_b64 s[8:9], vcc
	s_cbranch_execz .LBB462_31
; %bb.30:
	v_lshlrev_b32_e32 v14, 2, v15
	global_load_dword v14, v14, s[0:1]
.LBB462_31:
	s_or_b64 exec, exec, s[8:9]
	v_or_b32_e32 v16, 0xe00, v0
	v_cmp_gt_u32_e32 vcc, s33, v16
                                        ; implicit-def: $vgpr15
	s_and_saveexec_b64 s[8:9], vcc
	s_cbranch_execz .LBB462_33
; %bb.32:
	v_lshlrev_b32_e32 v15, 2, v16
	global_load_dword v15, v15, s[0:1]
.LBB462_33:
	s_or_b64 exec, exec, s[8:9]
	v_lshlrev_b32_e32 v16, 2, v0
	s_waitcnt vmcnt(0) lgkmcnt(0)
	ds_write2st64_b32 v16, v1, v2 offset1:4
	ds_write2st64_b32 v16, v3, v4 offset0:8 offset1:12
	ds_write2st64_b32 v16, v5, v6 offset0:16 offset1:20
	;; [unrolled: 1-line block ×6, first 2 shown]
	ds_write_b32 v16, v15 offset:14336
	v_mad_u32_u24 v1, v0, 56, v16
	s_waitcnt lgkmcnt(0)
	s_barrier
	ds_read2_b32 v[20:21], v1 offset1:1
	ds_read2_b32 v[18:19], v1 offset0:2 offset1:3
	ds_read2_b32 v[16:17], v1 offset0:4 offset1:5
	;; [unrolled: 1-line block ×6, first 2 shown]
	ds_read_b32 v1, v1 offset:56
	v_mad_u32_u24 v2, v0, 15, 14
	v_cmp_gt_u32_e64 s[8:9], s33, v2
	s_waitcnt lgkmcnt(7)
	v_mov_b32_e32 v22, v20
	s_waitcnt lgkmcnt(6)
	v_mov_b32_e32 v23, v18
	;; [unrolled: 2-line block ×7, first 2 shown]
.LBB462_34:
	v_mov_b32_e32 v52, s7
                                        ; implicit-def: $vgpr53
	s_and_saveexec_b64 s[12:13], s[8:9]
; %bb.35:
	v_mov_b32_e32 v53, s7
; %bb.36:
	s_or_b64 exec, exec, s[12:13]
	s_load_dwordx2 s[50:51], s[4:5], 0x70
	s_cmp_eq_u64 s[2:3], 0
	s_cselect_b64 s[48:49], -1, 0
	s_cmp_lg_u64 s[2:3], 0
	s_mov_b64 s[8:9], 0
	s_cselect_b64 s[12:13], -1, 0
	s_and_b64 vcc, exec, s[10:11]
	s_waitcnt lgkmcnt(0)
	s_barrier
	s_cbranch_vccz .LBB462_42
; %bb.37:
	s_and_b64 vcc, exec, s[12:13]
	s_cbranch_vccz .LBB462_43
; %bb.38:
	s_add_u32 s8, s0, -4
	s_addc_u32 s9, s1, -1
	s_load_dword s7, s[8:9], 0x0
	v_lshlrev_b32_e32 v24, 2, v0
	v_cmp_ne_u32_e32 vcc, 0, v0
	ds_write_b32 v24, v1
	s_waitcnt lgkmcnt(0)
	v_mov_b32_e32 v7, s7
	s_barrier
	s_and_saveexec_b64 s[8:9], vcc
	s_cbranch_execz .LBB462_40
; %bb.39:
	v_add_u32_e32 v7, -4, v24
	ds_read_b32 v7, v7
.LBB462_40:
	s_or_b64 exec, exec, s[8:9]
	v_cmp_ne_u32_e32 vcc, v22, v21
	v_cndmask_b32_e64 v67, 0, 1, vcc
	v_cmp_ne_u32_e32 vcc, v23, v21
	v_cndmask_b32_e64 v66, 0, 1, vcc
	;; [unrolled: 2-line block ×14, first 2 shown]
	s_waitcnt lgkmcnt(0)
	v_cmp_ne_u32_e64 s[10:11], v7, v20
	s_mov_b64 s[8:9], -1
.LBB462_41:
                                        ; implicit-def: $sgpr7
	s_branch .LBB462_55
.LBB462_42:
                                        ; implicit-def: $sgpr10_sgpr11
                                        ; implicit-def: $vgpr54
                                        ; implicit-def: $vgpr55
                                        ; implicit-def: $vgpr56
                                        ; implicit-def: $vgpr57
                                        ; implicit-def: $vgpr58
                                        ; implicit-def: $vgpr59
                                        ; implicit-def: $vgpr60
                                        ; implicit-def: $vgpr61
                                        ; implicit-def: $vgpr62
                                        ; implicit-def: $vgpr63
                                        ; implicit-def: $vgpr64
                                        ; implicit-def: $vgpr65
                                        ; implicit-def: $vgpr66
                                        ; implicit-def: $vgpr67
                                        ; implicit-def: $sgpr7
	s_cbranch_execnz .LBB462_47
	s_branch .LBB462_55
.LBB462_43:
                                        ; implicit-def: $sgpr10_sgpr11
                                        ; implicit-def: $vgpr54
                                        ; implicit-def: $vgpr55
                                        ; implicit-def: $vgpr56
                                        ; implicit-def: $vgpr57
                                        ; implicit-def: $vgpr58
                                        ; implicit-def: $vgpr59
                                        ; implicit-def: $vgpr60
                                        ; implicit-def: $vgpr61
                                        ; implicit-def: $vgpr62
                                        ; implicit-def: $vgpr63
                                        ; implicit-def: $vgpr64
                                        ; implicit-def: $vgpr65
                                        ; implicit-def: $vgpr66
                                        ; implicit-def: $vgpr67
	s_cbranch_execz .LBB462_41
; %bb.44:
	v_cmp_ne_u32_e32 vcc, v21, v22
	v_cndmask_b32_e64 v67, 0, 1, vcc
	v_cmp_ne_u32_e32 vcc, v21, v23
	v_cndmask_b32_e64 v66, 0, 1, vcc
	;; [unrolled: 2-line block ×13, first 2 shown]
	v_cmp_ne_u32_e32 vcc, v9, v1
	v_lshlrev_b32_e32 v7, 2, v0
	v_cndmask_b32_e64 v54, 0, 1, vcc
	v_cmp_ne_u32_e32 vcc, 0, v0
	ds_write_b32 v7, v1
	s_waitcnt lgkmcnt(0)
	s_barrier
	s_waitcnt lgkmcnt(0)
                                        ; implicit-def: $sgpr10_sgpr11
	s_and_saveexec_b64 s[14:15], vcc
	s_xor_b64 s[14:15], exec, s[14:15]
	s_cbranch_execz .LBB462_46
; %bb.45:
	v_add_u32_e32 v2, -4, v7
	ds_read_b32 v2, v2
	s_or_b64 s[8:9], s[8:9], exec
	s_waitcnt lgkmcnt(0)
	v_cmp_ne_u32_e32 vcc, v2, v20
	s_and_b64 s[10:11], vcc, exec
.LBB462_46:
	s_or_b64 exec, exec, s[14:15]
	s_mov_b32 s7, 1
	s_branch .LBB462_55
.LBB462_47:
	s_mul_hi_u32 s7, s2, 0xfffff100
	s_mulk_i32 s3, 0xf100
	s_sub_i32 s7, s7, s2
	s_add_i32 s7, s7, s3
	s_mulk_i32 s2, 0xf100
	s_add_u32 s2, s2, s44
	s_addc_u32 s3, s7, s45
	s_and_b64 vcc, exec, s[12:13]
	s_cbranch_vccz .LBB462_52
; %bb.48:
	s_add_u32 s0, s0, -4
	s_addc_u32 s1, s1, -1
	v_mad_u32_u24 v4, v0, 15, 14
	v_mov_b32_e32 v5, 0
	s_load_dword s7, s[0:1], 0x0
	v_cmp_gt_u64_e32 vcc, s[2:3], v[4:5]
	v_cmp_ne_u32_e64 s[0:1], v9, v1
	v_mad_u32_u24 v4, v0, 15, 13
	s_and_b64 s[8:9], vcc, s[0:1]
	v_cmp_gt_u64_e32 vcc, s[2:3], v[4:5]
	v_cmp_ne_u32_e64 s[0:1], v8, v9
	v_mad_u32_u24 v4, v0, 15, 12
	s_and_b64 s[10:11], vcc, s[0:1]
	;; [unrolled: 4-line block ×13, first 2 shown]
	v_cmp_gt_u64_e32 vcc, s[2:3], v[4:5]
	v_cmp_ne_u32_e64 s[0:1], v20, v21
	v_lshlrev_b32_e32 v3, 2, v0
	v_mul_u32_u24_e32 v2, 15, v0
	s_and_b64 s[0:1], vcc, s[0:1]
	v_cmp_ne_u32_e32 vcc, 0, v0
	s_waitcnt lgkmcnt(0)
	v_mov_b32_e32 v4, s7
	ds_write_b32 v3, v1
	s_waitcnt lgkmcnt(0)
	s_barrier
	s_and_saveexec_b64 s[42:43], vcc
	s_cbranch_execz .LBB462_50
; %bb.49:
	v_add_u32_e32 v3, -4, v3
	ds_read_b32 v4, v3
.LBB462_50:
	s_or_b64 exec, exec, s[42:43]
	v_mov_b32_e32 v3, v5
	v_cndmask_b32_e64 v67, 0, 1, s[0:1]
	v_cmp_gt_u64_e32 vcc, s[2:3], v[2:3]
	s_waitcnt lgkmcnt(0)
	v_cmp_ne_u32_e64 s[0:1], v4, v20
	v_cndmask_b32_e64 v54, 0, 1, s[8:9]
	v_cndmask_b32_e64 v55, 0, 1, s[10:11]
	;; [unrolled: 1-line block ×13, first 2 shown]
	s_and_b64 s[10:11], vcc, s[0:1]
	s_mov_b64 s[8:9], -1
.LBB462_51:
                                        ; implicit-def: $sgpr7
	v_mov_b32_e32 v68, s7
	s_and_saveexec_b64 s[0:1], s[8:9]
	s_cbranch_execnz .LBB462_56
	s_branch .LBB462_57
.LBB462_52:
                                        ; implicit-def: $sgpr10_sgpr11
                                        ; implicit-def: $vgpr54
                                        ; implicit-def: $vgpr55
                                        ; implicit-def: $vgpr56
                                        ; implicit-def: $vgpr57
                                        ; implicit-def: $vgpr58
                                        ; implicit-def: $vgpr59
                                        ; implicit-def: $vgpr60
                                        ; implicit-def: $vgpr61
                                        ; implicit-def: $vgpr62
                                        ; implicit-def: $vgpr63
                                        ; implicit-def: $vgpr64
                                        ; implicit-def: $vgpr65
                                        ; implicit-def: $vgpr66
                                        ; implicit-def: $vgpr67
	s_cbranch_execz .LBB462_51
; %bb.53:
	v_mad_u32_u24 v2, v0, 15, 14
	v_mov_b32_e32 v3, 0
	v_cmp_gt_u64_e32 vcc, s[2:3], v[2:3]
	v_cmp_ne_u32_e64 s[0:1], v9, v1
	s_and_b64 s[0:1], vcc, s[0:1]
	v_mad_u32_u24 v2, v0, 15, 13
	v_cndmask_b32_e64 v54, 0, 1, s[0:1]
	v_cmp_gt_u64_e32 vcc, s[2:3], v[2:3]
	v_cmp_ne_u32_e64 s[0:1], v8, v9
	s_and_b64 s[0:1], vcc, s[0:1]
	v_mad_u32_u24 v2, v0, 15, 12
	v_cndmask_b32_e64 v55, 0, 1, s[0:1]
	;; [unrolled: 5-line block ×13, first 2 shown]
	v_cmp_gt_u64_e32 vcc, s[2:3], v[2:3]
	v_cmp_ne_u32_e64 s[0:1], v20, v21
	s_and_b64 s[0:1], vcc, s[0:1]
	v_lshlrev_b32_e32 v4, 2, v0
	s_mov_b32 s7, 1
	v_cndmask_b32_e64 v67, 0, 1, s[0:1]
	v_cmp_ne_u32_e32 vcc, 0, v0
	ds_write_b32 v4, v1
	s_waitcnt lgkmcnt(0)
	s_barrier
	s_waitcnt lgkmcnt(0)
                                        ; implicit-def: $sgpr10_sgpr11
	s_and_saveexec_b64 s[12:13], vcc
	s_cbranch_execz .LBB462_152
; %bb.54:
	v_add_u32_e32 v2, -4, v4
	ds_read_b32 v4, v2
	v_mul_u32_u24_e32 v2, 15, v0
	v_cmp_gt_u64_e32 vcc, s[2:3], v[2:3]
	s_or_b64 s[8:9], s[8:9], exec
	s_waitcnt lgkmcnt(0)
	v_cmp_ne_u32_e64 s[0:1], v4, v20
	s_and_b64 s[0:1], vcc, s[0:1]
	s_and_b64 s[10:11], s[0:1], exec
	s_or_b64 exec, exec, s[12:13]
.LBB462_55:
	v_mov_b32_e32 v68, s7
	s_and_saveexec_b64 s[0:1], s[8:9]
.LBB462_56:
	v_cndmask_b32_e64 v68, 0, 1, s[10:11]
.LBB462_57:
	s_or_b64 exec, exec, s[0:1]
	s_load_dwordx4 s[40:43], s[4:5], 0x20
	s_load_dwordx2 s[44:45], s[4:5], 0x30
	s_cmp_eq_u64 s[38:39], 0
	v_add3_u32 v2, v67, v68, v66
	s_cselect_b64 s[38:39], -1, 0
	s_cmp_lg_u32 s6, 0
	v_cmp_eq_u32_e64 s[24:25], 0, v67
	v_cmp_eq_u32_e64 s[22:23], 0, v66
	;; [unrolled: 1-line block ×3, first 2 shown]
	v_add3_u32 v72, v2, v65, v64
	v_cmp_eq_u32_e64 s[18:19], 0, v64
	v_cmp_eq_u32_e64 s[16:17], 0, v63
	;; [unrolled: 1-line block ×10, first 2 shown]
	v_cmp_eq_u32_e32 vcc, 0, v54
	v_mbcnt_lo_u32_b32 v71, -1, 0
	v_lshrrev_b32_e32 v69, 6, v0
	v_or_b32_e32 v70, 63, v0
	s_cbranch_scc0 .LBB462_88
; %bb.58:
	v_cndmask_b32_e64 v2, 0, v52, s[24:25]
	v_add_u32_e32 v2, v2, v52
	v_cndmask_b32_e64 v2, 0, v2, s[22:23]
	v_add_u32_e32 v2, v2, v52
	;; [unrolled: 2-line block ×11, first 2 shown]
	v_cndmask_b32_e64 v2, 0, v2, s[2:3]
	v_add3_u32 v3, v72, v63, v62
	v_add_u32_e32 v2, v2, v52
	v_add3_u32 v3, v3, v61, v60
	v_cndmask_b32_e64 v2, 0, v2, s[0:1]
	v_add3_u32 v3, v3, v59, v58
	v_add_u32_e32 v2, v2, v52
	v_add3_u32 v3, v3, v57, v56
	v_cndmask_b32_e32 v2, 0, v2, vcc
	v_add3_u32 v3, v3, v55, v54
	v_add_u32_e32 v2, v2, v53
	v_mbcnt_hi_u32_b32 v25, -1, v71
	v_and_b32_e32 v4, 15, v25
	v_mov_b32_dpp v6, v2 row_shr:1 row_mask:0xf bank_mask:0xf
	v_cmp_eq_u32_e32 vcc, 0, v3
	v_mov_b32_dpp v5, v3 row_shr:1 row_mask:0xf bank_mask:0xf
	v_cndmask_b32_e32 v6, 0, v6, vcc
	v_cmp_eq_u32_e32 vcc, 0, v4
	v_cndmask_b32_e64 v5, v5, 0, vcc
	v_add_u32_e32 v3, v5, v3
	v_cndmask_b32_e64 v5, v6, 0, vcc
	v_add_u32_e32 v2, v5, v2
	v_cmp_eq_u32_e32 vcc, 0, v3
	v_mov_b32_dpp v5, v3 row_shr:2 row_mask:0xf bank_mask:0xf
	v_cmp_lt_u32_e64 s[26:27], 1, v4
	v_mov_b32_dpp v6, v2 row_shr:2 row_mask:0xf bank_mask:0xf
	v_cndmask_b32_e64 v5, 0, v5, s[26:27]
	s_and_b64 vcc, s[26:27], vcc
	v_cndmask_b32_e32 v6, 0, v6, vcc
	v_add_u32_e32 v3, v3, v5
	v_add_u32_e32 v2, v6, v2
	v_cmp_eq_u32_e32 vcc, 0, v3
	v_mov_b32_dpp v5, v3 row_shr:4 row_mask:0xf bank_mask:0xf
	v_cmp_lt_u32_e64 s[26:27], 3, v4
	v_mov_b32_dpp v6, v2 row_shr:4 row_mask:0xf bank_mask:0xf
	v_cndmask_b32_e64 v5, 0, v5, s[26:27]
	s_and_b64 vcc, s[26:27], vcc
	v_cndmask_b32_e32 v6, 0, v6, vcc
	v_add_u32_e32 v3, v5, v3
	v_add_u32_e32 v2, v2, v6
	v_cmp_eq_u32_e32 vcc, 0, v3
	v_cmp_lt_u32_e64 s[26:27], 7, v4
	v_mov_b32_dpp v5, v3 row_shr:8 row_mask:0xf bank_mask:0xf
	v_mov_b32_dpp v6, v2 row_shr:8 row_mask:0xf bank_mask:0xf
	s_and_b64 vcc, s[26:27], vcc
	v_cndmask_b32_e64 v4, 0, v5, s[26:27]
	v_cndmask_b32_e32 v5, 0, v6, vcc
	v_add_u32_e32 v2, v5, v2
	v_add_u32_e32 v3, v4, v3
	v_bfe_i32 v6, v25, 4, 1
	v_mov_b32_dpp v5, v2 row_bcast:15 row_mask:0xf bank_mask:0xf
	v_mov_b32_dpp v4, v3 row_bcast:15 row_mask:0xf bank_mask:0xf
	v_cmp_eq_u32_e32 vcc, 0, v3
	v_cndmask_b32_e32 v5, 0, v5, vcc
	v_and_b32_e32 v4, v6, v4
	v_add_u32_e32 v3, v4, v3
	v_and_b32_e32 v4, v6, v5
	v_add_u32_e32 v4, v4, v2
	v_mov_b32_dpp v2, v3 row_bcast:31 row_mask:0xf bank_mask:0xf
	v_cmp_eq_u32_e32 vcc, 0, v3
	v_cmp_lt_u32_e64 s[26:27], 31, v25
	v_mov_b32_dpp v5, v4 row_bcast:31 row_mask:0xf bank_mask:0xf
	v_cndmask_b32_e64 v2, 0, v2, s[26:27]
	s_and_b64 vcc, s[26:27], vcc
	v_add_u32_e32 v2, v2, v3
	v_cndmask_b32_e32 v3, 0, v5, vcc
	v_add_u32_e32 v3, v3, v4
	v_cmp_eq_u32_e32 vcc, v70, v0
	v_lshlrev_b32_e32 v4, 3, v69
	s_and_saveexec_b64 s[26:27], vcc
	s_cbranch_execz .LBB462_60
; %bb.59:
	ds_write_b64 v4, v[2:3] offset:2064
.LBB462_60:
	s_or_b64 exec, exec, s[26:27]
	v_cmp_gt_u32_e32 vcc, 4, v0
	s_waitcnt lgkmcnt(0)
	s_barrier
	s_and_saveexec_b64 s[30:31], vcc
	s_cbranch_execz .LBB462_62
; %bb.61:
	v_lshlrev_b32_e32 v5, 3, v0
	ds_read_b64 v[6:7], v5 offset:2064
	v_and_b32_e32 v22, 3, v25
	v_cmp_lt_u32_e64 s[26:27], 1, v22
	s_waitcnt lgkmcnt(0)
	v_mov_b32_dpp v24, v7 row_shr:1 row_mask:0xf bank_mask:0xf
	v_cmp_eq_u32_e32 vcc, 0, v6
	v_mov_b32_dpp v23, v6 row_shr:1 row_mask:0xf bank_mask:0xf
	v_cndmask_b32_e32 v24, 0, v24, vcc
	v_cmp_eq_u32_e32 vcc, 0, v22
	v_cndmask_b32_e64 v23, v23, 0, vcc
	v_add_u32_e32 v6, v23, v6
	v_cndmask_b32_e64 v23, v24, 0, vcc
	v_add_u32_e32 v7, v23, v7
	v_cmp_eq_u32_e32 vcc, 0, v6
	v_mov_b32_dpp v23, v6 row_shr:2 row_mask:0xf bank_mask:0xf
	v_mov_b32_dpp v24, v7 row_shr:2 row_mask:0xf bank_mask:0xf
	v_cndmask_b32_e64 v22, 0, v23, s[26:27]
	s_and_b64 vcc, s[26:27], vcc
	v_add_u32_e32 v6, v22, v6
	v_cndmask_b32_e32 v22, 0, v24, vcc
	v_add_u32_e32 v7, v22, v7
	ds_write_b64 v5, v[6:7] offset:2064
.LBB462_62:
	s_or_b64 exec, exec, s[30:31]
	v_cmp_gt_u32_e32 vcc, 64, v0
	v_cmp_lt_u32_e64 s[26:27], 63, v0
	v_mov_b32_e32 v22, 0
	v_mov_b32_e32 v23, 0
	s_waitcnt lgkmcnt(0)
	s_barrier
	s_and_saveexec_b64 s[30:31], s[26:27]
	s_cbranch_execz .LBB462_64
; %bb.63:
	ds_read_b64 v[22:23], v4 offset:2056
	v_cmp_eq_u32_e64 s[26:27], 0, v2
	s_waitcnt lgkmcnt(0)
	v_add_u32_e32 v4, v22, v2
	v_cndmask_b32_e64 v2, 0, v23, s[26:27]
	v_add_u32_e32 v3, v2, v3
	v_mov_b32_e32 v2, v4
.LBB462_64:
	s_or_b64 exec, exec, s[30:31]
	v_add_u32_e32 v4, -1, v25
	v_and_b32_e32 v5, 64, v25
	v_cmp_lt_i32_e64 s[26:27], v4, v5
	v_cndmask_b32_e64 v4, v4, v25, s[26:27]
	v_lshlrev_b32_e32 v4, 2, v4
	ds_bpermute_b32 v30, v4, v2
	ds_bpermute_b32 v31, v4, v3
	v_cmp_eq_u32_e64 s[26:27], 0, v25
	s_and_saveexec_b64 s[52:53], vcc
	s_cbranch_execz .LBB462_87
; %bb.65:
	v_mov_b32_e32 v7, 0
	ds_read_b64 v[2:3], v7 offset:2088
	s_waitcnt lgkmcnt(0)
	v_readfirstlane_b32 s7, v2
	v_readfirstlane_b32 s56, v3
	s_and_saveexec_b64 s[30:31], s[26:27]
	s_cbranch_execz .LBB462_67
; %bb.66:
	s_add_i32 s54, s6, 64
	s_mov_b32 s55, 0
	s_lshl_b64 s[58:59], s[54:55], 4
	s_add_u32 s58, s36, s58
	s_addc_u32 s59, s37, s59
	s_and_b32 s61, s56, 0xff000000
	s_mov_b32 s60, s55
	s_and_b32 s63, s56, 0xff0000
	s_mov_b32 s62, s55
	s_or_b64 s[60:61], s[62:63], s[60:61]
	s_and_b32 s63, s56, 0xff00
	s_or_b64 s[60:61], s[60:61], s[62:63]
	s_and_b32 s63, s56, 0xff
	s_or_b64 s[54:55], s[60:61], s[62:63]
	v_mov_b32_e32 v4, s7
	v_mov_b32_e32 v5, s55
	v_mov_b32_e32 v6, 1
	v_pk_mov_b32 v[2:3], s[58:59], s[58:59] op_sel:[0,1]
	;;#ASMSTART
	global_store_dwordx4 v[2:3], v[4:7] off	
s_waitcnt vmcnt(0)
	;;#ASMEND
.LBB462_67:
	s_or_b64 exec, exec, s[30:31]
	v_xad_u32 v24, v25, -1, s6
	v_add_u32_e32 v6, 64, v24
	v_lshlrev_b64 v[2:3], 4, v[6:7]
	v_mov_b32_e32 v4, s37
	v_add_co_u32_e32 v26, vcc, s36, v2
	v_addc_co_u32_e32 v27, vcc, v4, v3, vcc
	;;#ASMSTART
	global_load_dwordx4 v[2:5], v[26:27] off glc	
s_waitcnt vmcnt(0)
	;;#ASMEND
	v_and_b32_e32 v5, 0xff, v3
	v_and_b32_e32 v6, 0xff00, v3
	v_or3_b32 v5, 0, v5, v6
	v_or3_b32 v2, v2, 0, 0
	v_and_b32_e32 v6, 0xff000000, v3
	v_and_b32_e32 v3, 0xff0000, v3
	v_or3_b32 v3, v5, v3, v6
	v_or3_b32 v2, v2, 0, 0
	v_cmp_eq_u16_sdwa s[54:55], v4, v7 src0_sel:BYTE_0 src1_sel:DWORD
	s_and_saveexec_b64 s[30:31], s[54:55]
	s_cbranch_execz .LBB462_73
; %bb.68:
	s_mov_b32 s57, 1
	s_mov_b64 s[54:55], 0
	v_mov_b32_e32 v6, 0
.LBB462_69:                             ; =>This Loop Header: Depth=1
                                        ;     Child Loop BB462_70 Depth 2
	s_max_u32 s58, s57, 1
.LBB462_70:                             ;   Parent Loop BB462_69 Depth=1
                                        ; =>  This Inner Loop Header: Depth=2
	s_add_i32 s58, s58, -1
	s_cmp_eq_u32 s58, 0
	s_sleep 1
	s_cbranch_scc0 .LBB462_70
; %bb.71:                               ;   in Loop: Header=BB462_69 Depth=1
	s_cmp_lt_u32 s57, 32
	s_cselect_b64 s[58:59], -1, 0
	s_cmp_lg_u64 s[58:59], 0
	s_addc_u32 s57, s57, 0
	;;#ASMSTART
	global_load_dwordx4 v[2:5], v[26:27] off glc	
s_waitcnt vmcnt(0)
	;;#ASMEND
	v_cmp_ne_u16_sdwa s[58:59], v4, v6 src0_sel:BYTE_0 src1_sel:DWORD
	s_or_b64 s[54:55], s[58:59], s[54:55]
	s_andn2_b64 exec, exec, s[54:55]
	s_cbranch_execnz .LBB462_69
; %bb.72:
	s_or_b64 exec, exec, s[54:55]
.LBB462_73:
	s_or_b64 exec, exec, s[30:31]
	v_mov_b32_e32 v32, 2
	v_cmp_eq_u16_sdwa s[30:31], v4, v32 src0_sel:BYTE_0 src1_sel:DWORD
	v_lshlrev_b64 v[26:27], v25, -1
	v_and_b32_e32 v5, s31, v27
	v_and_b32_e32 v33, 63, v25
	v_or_b32_e32 v5, 0x80000000, v5
	v_cmp_ne_u32_e32 vcc, 63, v33
	v_and_b32_e32 v6, s30, v26
	v_ffbl_b32_e32 v5, v5
	v_addc_co_u32_e32 v7, vcc, 0, v25, vcc
	v_add_u32_e32 v5, 32, v5
	v_ffbl_b32_e32 v6, v6
	v_lshlrev_b32_e32 v34, 2, v7
	v_min_u32_e32 v5, v6, v5
	ds_bpermute_b32 v6, v34, v3
	v_cmp_eq_u32_e32 vcc, 0, v2
	v_cmp_lt_u32_e64 s[30:31], v33, v5
	ds_bpermute_b32 v7, v34, v2
	s_and_b64 vcc, s[30:31], vcc
	s_waitcnt lgkmcnt(1)
	v_cndmask_b32_e32 v6, 0, v6, vcc
	v_cmp_gt_u32_e32 vcc, 62, v33
	v_add_u32_e32 v3, v6, v3
	v_cndmask_b32_e64 v6, 0, 1, vcc
	v_lshlrev_b32_e32 v6, 1, v6
	v_add_lshl_u32 v35, v6, v25, 2
	s_waitcnt lgkmcnt(0)
	v_cndmask_b32_e64 v7, 0, v7, s[30:31]
	ds_bpermute_b32 v6, v35, v3
	v_add_u32_e32 v2, v7, v2
	ds_bpermute_b32 v7, v35, v2
	v_add_u32_e32 v36, 2, v33
	v_cmp_eq_u32_e32 vcc, 0, v2
	s_waitcnt lgkmcnt(1)
	v_cndmask_b32_e32 v6, 0, v6, vcc
	v_cmp_gt_u32_e32 vcc, v36, v5
	v_cndmask_b32_e64 v6, v6, 0, vcc
	v_add_u32_e32 v3, v6, v3
	s_waitcnt lgkmcnt(0)
	v_cndmask_b32_e64 v6, v7, 0, vcc
	v_cmp_gt_u32_e32 vcc, 60, v33
	v_cndmask_b32_e64 v7, 0, 1, vcc
	v_lshlrev_b32_e32 v7, 2, v7
	v_add_lshl_u32 v37, v7, v25, 2
	ds_bpermute_b32 v7, v37, v3
	v_add_u32_e32 v2, v2, v6
	ds_bpermute_b32 v6, v37, v2
	v_add_u32_e32 v38, 4, v33
	v_cmp_eq_u32_e32 vcc, 0, v2
	s_waitcnt lgkmcnt(1)
	v_cndmask_b32_e32 v7, 0, v7, vcc
	v_cmp_gt_u32_e32 vcc, v38, v5
	v_cndmask_b32_e64 v7, v7, 0, vcc
	s_waitcnt lgkmcnt(0)
	v_cndmask_b32_e64 v6, v6, 0, vcc
	v_cmp_gt_u32_e32 vcc, 56, v33
	v_add_u32_e32 v3, v3, v7
	v_cndmask_b32_e64 v7, 0, 1, vcc
	v_lshlrev_b32_e32 v7, 3, v7
	v_add_lshl_u32 v39, v7, v25, 2
	ds_bpermute_b32 v7, v39, v3
	v_add_u32_e32 v2, v2, v6
	ds_bpermute_b32 v6, v39, v2
	v_add_u32_e32 v40, 8, v33
	v_cmp_eq_u32_e32 vcc, 0, v2
	s_waitcnt lgkmcnt(1)
	v_cndmask_b32_e32 v7, 0, v7, vcc
	v_cmp_gt_u32_e32 vcc, v40, v5
	v_cndmask_b32_e64 v7, v7, 0, vcc
	s_waitcnt lgkmcnt(0)
	v_cndmask_b32_e64 v6, v6, 0, vcc
	v_cmp_gt_u32_e32 vcc, 48, v33
	v_add_u32_e32 v3, v3, v7
	v_cndmask_b32_e64 v7, 0, 1, vcc
	v_lshlrev_b32_e32 v7, 4, v7
	v_add_lshl_u32 v41, v7, v25, 2
	ds_bpermute_b32 v7, v41, v3
	v_add_u32_e32 v2, v2, v6
	ds_bpermute_b32 v6, v41, v2
	v_add_u32_e32 v42, 16, v33
	v_cmp_eq_u32_e32 vcc, 0, v2
	s_waitcnt lgkmcnt(1)
	v_cndmask_b32_e32 v7, 0, v7, vcc
	v_cmp_gt_u32_e32 vcc, v42, v5
	v_cndmask_b32_e64 v7, v7, 0, vcc
	s_waitcnt lgkmcnt(0)
	v_cndmask_b32_e64 v6, v6, 0, vcc
	v_cmp_gt_u32_e32 vcc, 32, v33
	v_add_u32_e32 v3, v3, v7
	v_cndmask_b32_e64 v7, 0, 1, vcc
	v_lshlrev_b32_e32 v7, 5, v7
	v_add_lshl_u32 v43, v7, v25, 2
	ds_bpermute_b32 v7, v43, v3
	v_add_u32_e32 v2, v2, v6
	ds_bpermute_b32 v6, v43, v2
	v_add_u32_e32 v44, 32, v33
	v_cmp_eq_u32_e32 vcc, 0, v2
	s_waitcnt lgkmcnt(1)
	v_cndmask_b32_e32 v7, 0, v7, vcc
	v_cmp_gt_u32_e32 vcc, v44, v5
	v_cndmask_b32_e64 v5, v7, 0, vcc
	v_add_u32_e32 v3, v5, v3
	s_waitcnt lgkmcnt(0)
	v_cndmask_b32_e64 v5, v6, 0, vcc
	v_add_u32_e32 v2, v5, v2
	v_mov_b32_e32 v25, 0
	s_branch .LBB462_75
.LBB462_74:                             ;   in Loop: Header=BB462_75 Depth=1
	s_or_b64 exec, exec, s[30:31]
	v_cmp_eq_u16_sdwa s[30:31], v4, v32 src0_sel:BYTE_0 src1_sel:DWORD
	v_and_b32_e32 v5, s31, v27
	v_or_b32_e32 v5, 0x80000000, v5
	v_and_b32_e32 v28, s30, v26
	v_ffbl_b32_e32 v5, v5
	v_add_u32_e32 v5, 32, v5
	v_ffbl_b32_e32 v28, v28
	v_min_u32_e32 v5, v28, v5
	ds_bpermute_b32 v28, v34, v3
	v_cmp_eq_u32_e32 vcc, 0, v2
	v_cmp_lt_u32_e64 s[30:31], v33, v5
	ds_bpermute_b32 v29, v34, v2
	s_and_b64 vcc, s[30:31], vcc
	s_waitcnt lgkmcnt(1)
	v_cndmask_b32_e32 v28, 0, v28, vcc
	v_add_u32_e32 v3, v28, v3
	ds_bpermute_b32 v28, v35, v3
	s_waitcnt lgkmcnt(1)
	v_cndmask_b32_e64 v29, 0, v29, s[30:31]
	v_add_u32_e32 v2, v29, v2
	v_cmp_eq_u32_e32 vcc, 0, v2
	ds_bpermute_b32 v29, v35, v2
	s_waitcnt lgkmcnt(1)
	v_cndmask_b32_e32 v28, 0, v28, vcc
	v_cmp_gt_u32_e32 vcc, v36, v5
	v_cndmask_b32_e64 v28, v28, 0, vcc
	v_add_u32_e32 v3, v28, v3
	ds_bpermute_b32 v28, v37, v3
	s_waitcnt lgkmcnt(1)
	v_cndmask_b32_e64 v29, v29, 0, vcc
	v_add_u32_e32 v2, v2, v29
	v_cmp_eq_u32_e32 vcc, 0, v2
	ds_bpermute_b32 v29, v37, v2
	s_waitcnt lgkmcnt(1)
	v_cndmask_b32_e32 v28, 0, v28, vcc
	v_cmp_gt_u32_e32 vcc, v38, v5
	v_cndmask_b32_e64 v28, v28, 0, vcc
	v_add_u32_e32 v3, v3, v28
	ds_bpermute_b32 v28, v39, v3
	s_waitcnt lgkmcnt(1)
	v_cndmask_b32_e64 v29, v29, 0, vcc
	v_add_u32_e32 v2, v2, v29
	ds_bpermute_b32 v29, v39, v2
	v_cmp_eq_u32_e32 vcc, 0, v2
	s_waitcnt lgkmcnt(1)
	v_cndmask_b32_e32 v28, 0, v28, vcc
	v_cmp_gt_u32_e32 vcc, v40, v5
	v_cndmask_b32_e64 v28, v28, 0, vcc
	v_add_u32_e32 v3, v3, v28
	ds_bpermute_b32 v28, v41, v3
	s_waitcnt lgkmcnt(1)
	v_cndmask_b32_e64 v29, v29, 0, vcc
	v_add_u32_e32 v2, v2, v29
	ds_bpermute_b32 v29, v41, v2
	v_cmp_eq_u32_e32 vcc, 0, v2
	;; [unrolled: 11-line block ×3, first 2 shown]
	s_waitcnt lgkmcnt(1)
	v_cndmask_b32_e32 v28, 0, v28, vcc
	v_cmp_gt_u32_e32 vcc, v44, v5
	v_cndmask_b32_e64 v5, v28, 0, vcc
	v_add_u32_e32 v3, v5, v3
	s_waitcnt lgkmcnt(0)
	v_cndmask_b32_e64 v5, v29, 0, vcc
	v_cmp_eq_u32_e32 vcc, 0, v6
	v_cndmask_b32_e32 v3, 0, v3, vcc
	v_subrev_u32_e32 v24, 64, v24
	v_add3_u32 v2, v2, v6, v5
	v_add_u32_e32 v3, v3, v7
.LBB462_75:                             ; =>This Loop Header: Depth=1
                                        ;     Child Loop BB462_78 Depth 2
                                        ;       Child Loop BB462_79 Depth 3
	v_cmp_ne_u16_sdwa s[30:31], v4, v32 src0_sel:BYTE_0 src1_sel:DWORD
	v_mov_b32_e32 v7, v3
	v_cndmask_b32_e64 v3, 0, 1, s[30:31]
	;;#ASMSTART
	;;#ASMEND
	v_cmp_ne_u32_e32 vcc, 0, v3
	s_cmp_lg_u64 vcc, exec
	v_mov_b32_e32 v6, v2
	s_cbranch_scc1 .LBB462_82
; %bb.76:                               ;   in Loop: Header=BB462_75 Depth=1
	v_lshlrev_b64 v[2:3], 4, v[24:25]
	v_mov_b32_e32 v4, s37
	v_add_co_u32_e32 v28, vcc, s36, v2
	v_addc_co_u32_e32 v29, vcc, v4, v3, vcc
	;;#ASMSTART
	global_load_dwordx4 v[2:5], v[28:29] off glc	
s_waitcnt vmcnt(0)
	;;#ASMEND
	v_and_b32_e32 v5, 0xff, v3
	v_and_b32_e32 v45, 0xff00, v3
	v_or3_b32 v5, 0, v5, v45
	v_or3_b32 v2, v2, 0, 0
	v_and_b32_e32 v45, 0xff000000, v3
	v_and_b32_e32 v3, 0xff0000, v3
	v_or3_b32 v3, v5, v3, v45
	v_or3_b32 v2, v2, 0, 0
	v_cmp_eq_u16_sdwa s[54:55], v4, v25 src0_sel:BYTE_0 src1_sel:DWORD
	s_and_saveexec_b64 s[30:31], s[54:55]
	s_cbranch_execz .LBB462_74
; %bb.77:                               ;   in Loop: Header=BB462_75 Depth=1
	s_mov_b32 s57, 1
	s_mov_b64 s[54:55], 0
.LBB462_78:                             ;   Parent Loop BB462_75 Depth=1
                                        ; =>  This Loop Header: Depth=2
                                        ;       Child Loop BB462_79 Depth 3
	s_max_u32 s58, s57, 1
.LBB462_79:                             ;   Parent Loop BB462_75 Depth=1
                                        ;     Parent Loop BB462_78 Depth=2
                                        ; =>    This Inner Loop Header: Depth=3
	s_add_i32 s58, s58, -1
	s_cmp_eq_u32 s58, 0
	s_sleep 1
	s_cbranch_scc0 .LBB462_79
; %bb.80:                               ;   in Loop: Header=BB462_78 Depth=2
	s_cmp_lt_u32 s57, 32
	s_cselect_b64 s[58:59], -1, 0
	s_cmp_lg_u64 s[58:59], 0
	s_addc_u32 s57, s57, 0
	;;#ASMSTART
	global_load_dwordx4 v[2:5], v[28:29] off glc	
s_waitcnt vmcnt(0)
	;;#ASMEND
	v_cmp_ne_u16_sdwa s[58:59], v4, v25 src0_sel:BYTE_0 src1_sel:DWORD
	s_or_b64 s[54:55], s[58:59], s[54:55]
	s_andn2_b64 exec, exec, s[54:55]
	s_cbranch_execnz .LBB462_78
; %bb.81:                               ;   in Loop: Header=BB462_75 Depth=1
	s_or_b64 exec, exec, s[54:55]
	s_branch .LBB462_74
.LBB462_82:                             ;   in Loop: Header=BB462_75 Depth=1
                                        ; implicit-def: $vgpr3
                                        ; implicit-def: $vgpr2
                                        ; implicit-def: $vgpr4
	s_cbranch_execz .LBB462_75
; %bb.83:
	s_and_saveexec_b64 s[30:31], s[26:27]
	s_cbranch_execz .LBB462_85
; %bb.84:
	s_cmp_eq_u32 s7, 0
	s_cselect_b64 vcc, -1, 0
	s_mov_b32 s55, 0
	v_cndmask_b32_e32 v2, 0, v7, vcc
	s_add_i32 s54, s6, 64
	v_add_u32_e32 v2, s56, v2
	s_lshl_b64 s[54:55], s[54:55], 4
	s_add_u32 s54, s36, s54
	v_and_b32_e32 v3, 0xff000000, v2
	v_and_b32_e32 v4, 0xff0000, v2
	s_addc_u32 s55, s37, s55
	v_or_b32_e32 v3, v4, v3
	v_and_b32_e32 v4, 0xff00, v2
	v_and_b32_e32 v2, 0xff, v2
	v_add_u32_e32 v24, s7, v6
	v_mov_b32_e32 v27, 0
	v_or3_b32 v25, v3, v4, v2
	v_mov_b32_e32 v26, 2
	v_pk_mov_b32 v[2:3], s[54:55], s[54:55] op_sel:[0,1]
	;;#ASMSTART
	global_store_dwordx4 v[2:3], v[24:27] off	
s_waitcnt vmcnt(0)
	;;#ASMEND
	v_mov_b32_e32 v4, s7
	v_mov_b32_e32 v5, s56
	ds_write_b128 v27, v[4:7] offset:2048
.LBB462_85:
	s_or_b64 exec, exec, s[30:31]
	v_cmp_eq_u32_e32 vcc, 0, v0
	s_and_b64 exec, exec, vcc
	s_cbranch_execz .LBB462_87
; %bb.86:
	v_mov_b32_e32 v2, 0
	ds_write_b64 v2, v[6:7] offset:2088
.LBB462_87:
	s_or_b64 exec, exec, s[52:53]
	v_mov_b32_e32 v4, 0
	s_waitcnt lgkmcnt(0)
	s_barrier
	ds_read_b64 v[2:3], v4 offset:2088
	v_cndmask_b32_e64 v6, v30, v22, s[26:27]
	v_cmp_eq_u32_e32 vcc, 0, v6
	v_cndmask_b32_e64 v5, v31, v23, s[26:27]
	s_waitcnt lgkmcnt(0)
	v_cndmask_b32_e32 v7, 0, v3, vcc
	v_add_u32_e32 v5, v7, v5
	v_cmp_eq_u32_e32 vcc, 0, v0
	v_cndmask_b32_e32 v51, v5, v3, vcc
	v_cndmask_b32_e64 v3, v6, 0, vcc
	v_cmp_eq_u32_e32 vcc, 0, v68
	v_add_u32_e32 v50, v2, v3
	v_cndmask_b32_e32 v2, 0, v51, vcc
	v_add_u32_e32 v49, v2, v52
	v_cndmask_b32_e64 v2, 0, v49, s[24:25]
	v_add_u32_e32 v47, v2, v52
	v_cndmask_b32_e64 v2, 0, v47, s[22:23]
	;; [unrolled: 2-line block ×8, first 2 shown]
	v_add_u32_e32 v48, v50, v68
	v_add_u32_e32 v33, v2, v52
	v_add_u32_e32 v46, v48, v67
	v_cndmask_b32_e64 v2, 0, v33, s[8:9]
	v_add_u32_e32 v44, v46, v66
	v_add_u32_e32 v31, v2, v52
	v_add_u32_e32 v42, v44, v65
	v_cndmask_b32_e64 v2, 0, v31, s[28:29]
	;; [unrolled: 4-line block ×3, first 2 shown]
	v_add_u32_e32 v36, v38, v62
	v_add_u32_e32 v27, v2, v52
	s_barrier
	ds_read_b128 v[2:5], v4 offset:2048
	v_add_u32_e32 v34, v36, v61
	v_add_u32_e32 v32, v34, v60
	;; [unrolled: 1-line block ×4, first 2 shown]
	v_cndmask_b32_e64 v6, 0, v27, s[2:3]
	v_add_u32_e32 v26, v28, v57
	v_add_u32_e32 v23, v6, v52
	s_waitcnt lgkmcnt(0)
	v_cmp_eq_u32_e32 vcc, 0, v2
	v_add_u32_e32 v22, v26, v56
	v_cndmask_b32_e64 v6, 0, v23, s[0:1]
	v_cndmask_b32_e32 v5, 0, v5, vcc
	v_add_u32_e32 v24, v22, v55
	v_add_u32_e32 v25, v6, v52
	;; [unrolled: 1-line block ×3, first 2 shown]
	s_branch .LBB462_100
.LBB462_88:
                                        ; implicit-def: $vgpr2
                                        ; implicit-def: $vgpr6
                                        ; implicit-def: $vgpr24_vgpr25
                                        ; implicit-def: $vgpr22_vgpr23
                                        ; implicit-def: $vgpr26_vgpr27
                                        ; implicit-def: $vgpr28_vgpr29
                                        ; implicit-def: $vgpr50_vgpr51
                                        ; implicit-def: $vgpr48_vgpr49
                                        ; implicit-def: $vgpr46_vgpr47
                                        ; implicit-def: $vgpr44_vgpr45
                                        ; implicit-def: $vgpr42_vgpr43
                                        ; implicit-def: $vgpr40_vgpr41
                                        ; implicit-def: $vgpr38_vgpr39
                                        ; implicit-def: $vgpr36_vgpr37
                                        ; implicit-def: $vgpr34_vgpr35
                                        ; implicit-def: $vgpr32_vgpr33
                                        ; implicit-def: $vgpr30_vgpr31
	s_cbranch_execz .LBB462_100
; %bb.89:
	s_and_b64 s[0:1], s[38:39], exec
	s_cselect_b32 s1, 0, s51
	s_cselect_b32 s0, 0, s50
	s_cmp_eq_u64 s[0:1], 0
	v_mov_b32_e32 v6, v52
	s_cbranch_scc1 .LBB462_91
; %bb.90:
	v_mov_b32_e32 v2, 0
	global_load_dword v6, v2, s[0:1]
.LBB462_91:
	v_cmp_eq_u32_e64 s[0:1], 0, v67
	v_cndmask_b32_e64 v2, 0, v52, s[0:1]
	v_add_u32_e32 v2, v2, v52
	v_cmp_eq_u32_e64 s[2:3], 0, v66
	v_cndmask_b32_e64 v2, 0, v2, s[2:3]
	v_add_u32_e32 v2, v2, v52
	;; [unrolled: 3-line block ×11, first 2 shown]
	v_cmp_eq_u32_e64 s[22:23], 0, v56
	v_cndmask_b32_e64 v2, 0, v2, s[22:23]
	v_add3_u32 v3, v72, v63, v62
	v_add_u32_e32 v2, v2, v52
	v_cmp_eq_u32_e32 vcc, 0, v55
	v_add3_u32 v3, v3, v61, v60
	v_cndmask_b32_e32 v2, 0, v2, vcc
	v_add3_u32 v3, v3, v59, v58
	v_add_u32_e32 v2, v2, v52
	v_cmp_eq_u32_e64 s[24:25], 0, v54
	v_add3_u32 v3, v3, v57, v56
	v_cndmask_b32_e64 v2, 0, v2, s[24:25]
	v_add3_u32 v3, v3, v55, v54
	v_add_u32_e32 v2, v2, v53
	v_mbcnt_hi_u32_b32 v7, -1, v71
	v_and_b32_e32 v4, 15, v7
	v_mov_b32_dpp v22, v2 row_shr:1 row_mask:0xf bank_mask:0xf
	v_cmp_eq_u32_e64 s[24:25], 0, v3
	v_mov_b32_dpp v5, v3 row_shr:1 row_mask:0xf bank_mask:0xf
	v_cndmask_b32_e64 v22, 0, v22, s[24:25]
	v_cmp_eq_u32_e64 s[24:25], 0, v4
	v_cndmask_b32_e64 v5, v5, 0, s[24:25]
	v_add_u32_e32 v3, v5, v3
	v_cndmask_b32_e64 v5, v22, 0, s[24:25]
	v_add_u32_e32 v2, v5, v2
	v_cmp_eq_u32_e64 s[24:25], 0, v3
	v_mov_b32_dpp v5, v3 row_shr:2 row_mask:0xf bank_mask:0xf
	v_cmp_lt_u32_e64 s[26:27], 1, v4
	v_mov_b32_dpp v22, v2 row_shr:2 row_mask:0xf bank_mask:0xf
	v_cndmask_b32_e64 v5, 0, v5, s[26:27]
	s_and_b64 s[24:25], s[26:27], s[24:25]
	v_cndmask_b32_e64 v22, 0, v22, s[24:25]
	v_add_u32_e32 v3, v3, v5
	v_add_u32_e32 v2, v22, v2
	v_cmp_eq_u32_e64 s[24:25], 0, v3
	v_mov_b32_dpp v5, v3 row_shr:4 row_mask:0xf bank_mask:0xf
	v_cmp_lt_u32_e64 s[26:27], 3, v4
	v_mov_b32_dpp v22, v2 row_shr:4 row_mask:0xf bank_mask:0xf
	v_cndmask_b32_e64 v5, 0, v5, s[26:27]
	s_and_b64 s[24:25], s[26:27], s[24:25]
	v_cndmask_b32_e64 v22, 0, v22, s[24:25]
	v_add_u32_e32 v3, v5, v3
	v_add_u32_e32 v2, v2, v22
	v_cmp_eq_u32_e64 s[24:25], 0, v3
	v_cmp_lt_u32_e64 s[26:27], 7, v4
	v_mov_b32_dpp v5, v3 row_shr:8 row_mask:0xf bank_mask:0xf
	v_mov_b32_dpp v22, v2 row_shr:8 row_mask:0xf bank_mask:0xf
	s_and_b64 s[24:25], s[26:27], s[24:25]
	v_cndmask_b32_e64 v4, 0, v5, s[26:27]
	v_cndmask_b32_e64 v5, 0, v22, s[24:25]
	v_add_u32_e32 v2, v5, v2
	v_add_u32_e32 v3, v4, v3
	v_bfe_i32 v22, v7, 4, 1
	v_mov_b32_dpp v5, v2 row_bcast:15 row_mask:0xf bank_mask:0xf
	v_mov_b32_dpp v4, v3 row_bcast:15 row_mask:0xf bank_mask:0xf
	v_cmp_eq_u32_e64 s[24:25], 0, v3
	v_cndmask_b32_e64 v5, 0, v5, s[24:25]
	v_and_b32_e32 v4, v22, v4
	v_add_u32_e32 v3, v4, v3
	v_and_b32_e32 v4, v22, v5
	v_add_u32_e32 v4, v4, v2
	v_mov_b32_dpp v2, v3 row_bcast:31 row_mask:0xf bank_mask:0xf
	v_cmp_eq_u32_e64 s[24:25], 0, v3
	v_cmp_lt_u32_e64 s[26:27], 31, v7
	v_mov_b32_dpp v5, v4 row_bcast:31 row_mask:0xf bank_mask:0xf
	v_cndmask_b32_e64 v2, 0, v2, s[26:27]
	s_and_b64 s[24:25], s[26:27], s[24:25]
	v_add_u32_e32 v2, v2, v3
	v_cndmask_b32_e64 v3, 0, v5, s[24:25]
	v_add_u32_e32 v3, v3, v4
	v_cmp_eq_u32_e64 s[24:25], v70, v0
	s_and_saveexec_b64 s[26:27], s[24:25]
	s_cbranch_execz .LBB462_93
; %bb.92:
	v_lshlrev_b32_e32 v4, 3, v69
	ds_write_b64 v4, v[2:3] offset:2064
.LBB462_93:
	s_or_b64 exec, exec, s[26:27]
	v_cmp_gt_u32_e64 s[24:25], 4, v0
	s_waitcnt lgkmcnt(0)
	s_barrier
	s_and_saveexec_b64 s[28:29], s[24:25]
	s_cbranch_execz .LBB462_95
; %bb.94:
	v_lshlrev_b32_e32 v22, 3, v0
	ds_read_b64 v[4:5], v22 offset:2064
	v_and_b32_e32 v23, 3, v7
	v_cmp_lt_u32_e64 s[26:27], 1, v23
	s_waitcnt lgkmcnt(0)
	v_mov_b32_dpp v25, v5 row_shr:1 row_mask:0xf bank_mask:0xf
	v_cmp_eq_u32_e64 s[24:25], 0, v4
	v_mov_b32_dpp v24, v4 row_shr:1 row_mask:0xf bank_mask:0xf
	v_cndmask_b32_e64 v25, 0, v25, s[24:25]
	v_cmp_eq_u32_e64 s[24:25], 0, v23
	v_cndmask_b32_e64 v24, v24, 0, s[24:25]
	v_add_u32_e32 v4, v24, v4
	v_cndmask_b32_e64 v24, v25, 0, s[24:25]
	v_add_u32_e32 v5, v24, v5
	v_cmp_eq_u32_e64 s[24:25], 0, v4
	v_mov_b32_dpp v24, v4 row_shr:2 row_mask:0xf bank_mask:0xf
	v_mov_b32_dpp v25, v5 row_shr:2 row_mask:0xf bank_mask:0xf
	v_cndmask_b32_e64 v23, 0, v24, s[26:27]
	s_and_b64 s[24:25], s[26:27], s[24:25]
	v_add_u32_e32 v4, v23, v4
	v_cndmask_b32_e64 v23, 0, v25, s[24:25]
	v_add_u32_e32 v5, v23, v5
	ds_write_b64 v22, v[4:5] offset:2064
.LBB462_95:
	s_or_b64 exec, exec, s[28:29]
	v_cmp_lt_u32_e64 s[24:25], 63, v0
	v_mov_b32_e32 v23, 0
	v_mov_b32_e32 v4, 0
	s_waitcnt vmcnt(0)
	v_mov_b32_e32 v5, v6
	s_waitcnt lgkmcnt(0)
	s_barrier
	s_and_saveexec_b64 s[26:27], s[24:25]
	s_cbranch_execz .LBB462_97
; %bb.96:
	v_lshlrev_b32_e32 v4, 3, v69
	ds_read_b64 v[4:5], v4 offset:2056
	s_waitcnt lgkmcnt(0)
	v_cmp_eq_u32_e64 s[24:25], 0, v4
	v_cndmask_b32_e64 v22, 0, v6, s[24:25]
	v_add_u32_e32 v5, v22, v5
.LBB462_97:
	s_or_b64 exec, exec, s[26:27]
	v_cmp_eq_u32_e64 s[24:25], 0, v2
	v_add_u32_e32 v22, v4, v2
	v_cndmask_b32_e64 v2, 0, v5, s[24:25]
	v_add_u32_e32 v2, v2, v3
	v_add_u32_e32 v3, -1, v7
	v_and_b32_e32 v24, 64, v7
	v_cmp_lt_i32_e64 s[24:25], v3, v24
	v_cndmask_b32_e64 v3, v3, v7, s[24:25]
	v_lshlrev_b32_e32 v3, 2, v3
	ds_bpermute_b32 v22, v3, v22
	ds_bpermute_b32 v2, v3, v2
	v_cmp_eq_u32_e64 s[24:25], 0, v7
	v_cmp_eq_u32_e64 s[26:27], 0, v68
	s_waitcnt lgkmcnt(1)
	v_cndmask_b32_e64 v3, v22, v4, s[24:25]
	s_waitcnt lgkmcnt(0)
	v_cndmask_b32_e64 v2, v2, v5, s[24:25]
	v_cmp_eq_u32_e64 s[24:25], 0, v0
	v_cndmask_b32_e64 v51, v2, v6, s[24:25]
	v_cndmask_b32_e64 v2, 0, v51, s[26:27]
	v_add_u32_e32 v49, v2, v52
	v_cndmask_b32_e64 v2, 0, v49, s[0:1]
	v_add_u32_e32 v47, v2, v52
	;; [unrolled: 2-line block ×8, first 2 shown]
	v_cndmask_b32_e64 v50, v3, 0, s[24:25]
	v_cndmask_b32_e64 v2, 0, v35, s[14:15]
	v_add_u32_e32 v48, v50, v68
	v_add_u32_e32 v33, v2, v52
	v_add_u32_e32 v46, v48, v67
	v_cndmask_b32_e64 v2, 0, v33, s[16:17]
	v_add_u32_e32 v44, v46, v66
	v_add_u32_e32 v31, v2, v52
	v_add_u32_e32 v42, v44, v65
	;; [unrolled: 4-line block ×3, first 2 shown]
	v_cndmask_b32_e64 v2, 0, v29, s[20:21]
	v_add_u32_e32 v36, v38, v62
	v_add_u32_e32 v27, v2, v52
	ds_read_b64 v[2:3], v23 offset:2088
	v_add_u32_e32 v34, v36, v61
	v_add_u32_e32 v32, v34, v60
	;; [unrolled: 1-line block ×3, first 2 shown]
	v_cndmask_b32_e64 v4, 0, v27, s[22:23]
	v_add_u32_e32 v28, v30, v58
	v_add_u32_e32 v23, v4, v52
	;; [unrolled: 1-line block ×3, first 2 shown]
	v_cndmask_b32_e32 v4, 0, v23, vcc
	s_waitcnt lgkmcnt(0)
	v_cmp_eq_u32_e32 vcc, 0, v2
	v_add_u32_e32 v22, v26, v56
	v_add_u32_e32 v25, v4, v52
	v_cndmask_b32_e32 v4, 0, v6, vcc
	v_add_u32_e32 v24, v22, v55
	v_add_u32_e32 v6, v4, v3
	s_and_saveexec_b64 s[0:1], s[24:25]
	s_cbranch_execz .LBB462_99
; %bb.98:
	s_add_u32 s2, s36, 0x400
	v_and_b32_e32 v3, 0xff000000, v6
	v_and_b32_e32 v4, 0xff0000, v6
	s_addc_u32 s3, s37, 0
	v_or_b32_e32 v3, v4, v3
	v_and_b32_e32 v4, 0xff00, v6
	v_and_b32_e32 v7, 0xff, v6
	v_mov_b32_e32 v5, 0
	v_or3_b32 v3, v3, v4, v7
	v_mov_b32_e32 v4, 2
	v_pk_mov_b32 v[52:53], s[2:3], s[2:3] op_sel:[0,1]
	;;#ASMSTART
	global_store_dwordx4 v[52:53], v[2:5] off	
s_waitcnt vmcnt(0)
	;;#ASMEND
.LBB462_99:
	s_or_b64 exec, exec, s[0:1]
	v_mov_b32_e32 v4, 0
.LBB462_100:
	s_and_b64 s[0:1], s[38:39], exec
	s_cselect_b32 s1, 0, s47
	s_cselect_b32 s0, 0, s46
	s_cmp_eq_u64 s[0:1], 0
	v_pk_mov_b32 v[52:53], 0, 0
	s_waitcnt lgkmcnt(0)
	s_barrier
	s_cbranch_scc1 .LBB462_102
; %bb.101:
	v_mov_b32_e32 v3, 0
	global_load_dwordx2 v[52:53], v3, s[0:1]
.LBB462_102:
	s_waitcnt vmcnt(0)
	v_lshlrev_b64 v[70:71], 2, v[52:53]
	v_mov_b32_e32 v3, s41
	v_add_co_u32_e32 v7, vcc, s40, v70
	v_mov_b32_e32 v5, 0
	v_addc_co_u32_e32 v69, vcc, v3, v71, vcc
	v_lshlrev_b64 v[70:71], 2, v[4:5]
	v_add_co_u32_e32 v3, vcc, v7, v70
	v_addc_co_u32_e32 v7, vcc, v69, v71, vcc
	v_cmp_eq_u32_e32 vcc, 0, v68
	v_cndmask_b32_e64 v69, 1, 2, vcc
	v_cmp_eq_u32_e32 vcc, 0, v67
	v_cndmask_b32_e64 v70, 1, 2, vcc
	v_cmp_eq_u32_e32 vcc, 0, v66
	v_and_b32_e32 v69, v70, v69
	v_cndmask_b32_e64 v70, 1, 2, vcc
	v_cmp_eq_u32_e32 vcc, 0, v65
	v_and_b32_e32 v69, v69, v70
	;; [unrolled: 3-line block ×13, first 2 shown]
	v_cndmask_b32_e64 v70, 1, 2, vcc
	s_movk_i32 s30, 0x100
	v_and_b32_e32 v69, v69, v70
	v_cmp_gt_u32_e32 vcc, s30, v2
	v_cmp_ne_u32_e64 s[28:29], 0, v68
	v_cmp_ne_u32_e64 s[26:27], 0, v67
	;; [unrolled: 1-line block ×15, first 2 shown]
	s_mov_b64 s[36:37], -1
	v_cmp_gt_i16_e64 s[30:31], 2, v69
	s_cbranch_vccz .LBB462_109
; %bb.103:
	s_and_saveexec_b64 s[36:37], s[30:31]
	s_cbranch_execz .LBB462_108
; %bb.104:
	v_cmp_ne_u16_e32 vcc, 1, v69
	s_mov_b64 s[38:39], 0
	s_and_saveexec_b64 s[30:31], vcc
	s_xor_b64 s[30:31], exec, s[30:31]
	s_cbranch_execnz .LBB462_153
; %bb.105:
	s_andn2_saveexec_b64 s[30:31], s[30:31]
	s_cbranch_execnz .LBB462_169
.LBB462_106:
	s_or_b64 exec, exec, s[30:31]
	s_and_b64 exec, exec, s[38:39]
	s_cbranch_execz .LBB462_108
.LBB462_107:
	v_sub_u32_e32 v70, v24, v4
	v_mov_b32_e32 v71, 0
	v_lshlrev_b64 v[70:71], 2, v[70:71]
	v_add_co_u32_e32 v70, vcc, v3, v70
	v_addc_co_u32_e32 v71, vcc, v7, v71, vcc
	global_store_dword v[70:71], v1, off
.LBB462_108:
	s_or_b64 exec, exec, s[36:37]
	s_mov_b64 s[36:37], 0
.LBB462_109:
	s_and_b64 vcc, exec, s[36:37]
	s_cbranch_vccz .LBB462_131
; %bb.110:
	v_cmp_gt_i16_e32 vcc, 2, v69
	s_and_saveexec_b64 s[30:31], vcc
	s_cbranch_execz .LBB462_115
; %bb.111:
	v_cmp_ne_u16_e32 vcc, 1, v69
	s_mov_b64 s[38:39], 0
	s_and_saveexec_b64 s[36:37], vcc
	s_xor_b64 s[36:37], exec, s[36:37]
	s_cbranch_execnz .LBB462_170
; %bb.112:
	s_andn2_saveexec_b64 s[0:1], s[36:37]
	s_cbranch_execnz .LBB462_186
.LBB462_113:
	s_or_b64 exec, exec, s[0:1]
	s_and_b64 exec, exec, s[38:39]
	s_cbranch_execz .LBB462_115
.LBB462_114:
	v_sub_u32_e32 v8, v24, v4
	v_lshlrev_b32_e32 v8, 2, v8
	ds_write_b32 v8, v1
.LBB462_115:
	s_or_b64 exec, exec, s[30:31]
	v_cmp_lt_u32_e32 vcc, v0, v2
	s_waitcnt lgkmcnt(0)
	s_barrier
	s_and_saveexec_b64 s[2:3], vcc
	s_cbranch_execz .LBB462_130
; %bb.116:
	v_xad_u32 v1, v0, -1, v2
	s_movk_i32 s0, 0x1700
	v_cmp_gt_u32_e64 s[4:5], s0, v1
	s_movk_i32 s0, 0x16ff
	v_cmp_lt_u32_e32 vcc, s0, v1
	v_mov_b32_e32 v8, v0
	s_and_saveexec_b64 s[6:7], vcc
	s_cbranch_execz .LBB462_127
; %bb.117:
	v_sub_u32_e32 v8, v0, v2
	v_or_b32_e32 v8, 0xff, v8
	v_cmp_ge_u32_e32 vcc, v8, v0
	s_mov_b64 s[0:1], -1
	v_mov_b32_e32 v8, v0
	s_and_saveexec_b64 s[8:9], vcc
	s_cbranch_execz .LBB462_126
; %bb.118:
	v_lshrrev_b32_e32 v12, 8, v1
	v_add_u32_e32 v8, -1, v12
	v_or_b32_e32 v1, 0x100, v0
	v_lshrrev_b32_e32 v9, 1, v8
	v_add_u32_e32 v13, 1, v9
	v_cmp_lt_u32_e32 vcc, 13, v8
	v_mov_b32_e32 v16, 0
	v_pk_mov_b32 v[8:9], v[0:1], v[0:1] op_sel:[0,1]
	s_and_saveexec_b64 s[10:11], vcc
	s_cbranch_execz .LBB462_122
; %bb.119:
	v_and_b32_e32 v14, -8, v13
	v_lshlrev_b32_e32 v15, 2, v0
	s_mov_b32 s14, 0
	s_mov_b64 s[12:13], 0
	v_mov_b32_e32 v11, 0
	v_pk_mov_b32 v[8:9], v[0:1], v[0:1] op_sel:[0,1]
.LBB462_120:                            ; =>This Inner Loop Header: Depth=1
	v_mov_b32_e32 v10, v8
	v_add_u32_e32 v14, -8, v14
	v_lshlrev_b64 v[94:95], 2, v[10:11]
	v_mov_b32_e32 v10, v9
	ds_read2st64_b32 v[18:19], v15 offset1:4
	s_add_i32 s14, s14, 16
	v_cmp_eq_u32_e32 vcc, 0, v14
	v_lshlrev_b64 v[98:99], 2, v[10:11]
	v_add_u32_e32 v10, 0x200, v8
	s_or_b64 s[12:13], vcc, s[12:13]
	v_add_co_u32_e32 v98, vcc, v3, v98
	v_add_u32_e32 v16, 0x200, v9
	ds_read2st64_b32 v[20:21], v15 offset0:8 offset1:12
	v_mov_b32_e32 v17, v11
	ds_read2st64_b32 v[72:73], v15 offset0:16 offset1:20
	v_add_co_u32_e64 v94, s[0:1], v3, v94
	v_addc_co_u32_e32 v99, vcc, v7, v99, vcc
	v_lshlrev_b64 v[100:101], 2, v[10:11]
	v_lshlrev_b64 v[96:97], 2, v[16:17]
	v_addc_co_u32_e64 v95, s[0:1], v7, v95, s[0:1]
	v_add_u32_e32 v10, 0x400, v8
	v_add_co_u32_e32 v100, vcc, v3, v100
	v_add_u32_e32 v70, 0x400, v9
	v_mov_b32_e32 v71, v11
	ds_read2st64_b32 v[76:77], v15 offset0:24 offset1:28
	v_add_co_u32_e64 v96, s[0:1], v3, v96
	v_addc_co_u32_e32 v101, vcc, v7, v101, vcc
	v_lshlrev_b64 v[102:103], 2, v[10:11]
	ds_read2st64_b32 v[80:81], v15 offset0:32 offset1:36
	ds_read2st64_b32 v[84:85], v15 offset0:40 offset1:44
	;; [unrolled: 1-line block ×4, first 2 shown]
	v_lshlrev_b64 v[70:71], 2, v[70:71]
	v_addc_co_u32_e64 v97, s[0:1], v7, v97, s[0:1]
	v_add_u32_e32 v10, 0x600, v8
	s_waitcnt lgkmcnt(7)
	global_store_dword v[94:95], v18, off
	global_store_dword v[98:99], v19, off
	s_waitcnt lgkmcnt(6)
	global_store_dword v[100:101], v20, off
	global_store_dword v[96:97], v21, off
	v_add_co_u32_e32 v18, vcc, v3, v102
	v_add_u32_e32 v74, 0x600, v9
	v_mov_b32_e32 v75, v11
	v_add_co_u32_e64 v70, s[0:1], v3, v70
	v_addc_co_u32_e32 v19, vcc, v7, v103, vcc
	v_lshlrev_b64 v[20:21], 2, v[10:11]
	v_lshlrev_b64 v[74:75], 2, v[74:75]
	v_addc_co_u32_e64 v71, s[0:1], v7, v71, s[0:1]
	v_add_u32_e32 v10, 0x800, v8
	s_waitcnt lgkmcnt(5)
	global_store_dword v[18:19], v72, off
	global_store_dword v[70:71], v73, off
	v_add_co_u32_e32 v18, vcc, v3, v20
	v_add_u32_e32 v78, 0x800, v9
	v_mov_b32_e32 v79, v11
	v_add_co_u32_e64 v74, s[0:1], v3, v74
	v_addc_co_u32_e32 v19, vcc, v7, v21, vcc
	v_lshlrev_b64 v[20:21], 2, v[10:11]
	v_lshlrev_b64 v[78:79], 2, v[78:79]
	v_addc_co_u32_e64 v75, s[0:1], v7, v75, s[0:1]
	v_add_u32_e32 v10, 0xa00, v8
	;; [unrolled: 12-line block ×4, first 2 shown]
	s_waitcnt lgkmcnt(2)
	global_store_dword v[18:19], v84, off
	global_store_dword v[82:83], v85, off
	v_add_co_u32_e32 v18, vcc, v3, v20
	v_add_u32_e32 v90, 0xe00, v9
	v_mov_b32_e32 v91, v11
	v_add_co_u32_e64 v86, s[0:1], v3, v86
	v_addc_co_u32_e32 v19, vcc, v7, v21, vcc
	v_lshlrev_b64 v[20:21], 2, v[10:11]
	v_lshlrev_b64 v[90:91], 2, v[90:91]
	v_addc_co_u32_e64 v87, s[0:1], v7, v87, s[0:1]
	s_waitcnt lgkmcnt(1)
	global_store_dword v[18:19], v88, off
	global_store_dword v[86:87], v89, off
	v_add_co_u32_e32 v18, vcc, v3, v20
	v_add_u32_e32 v15, 0x4000, v15
	v_add_u32_e32 v9, 0x1000, v9
	v_mov_b32_e32 v16, s14
	v_add_co_u32_e64 v90, s[0:1], v3, v90
	v_add_u32_e32 v8, 0x1000, v8
	v_addc_co_u32_e32 v19, vcc, v7, v21, vcc
	v_addc_co_u32_e64 v91, s[0:1], v7, v91, s[0:1]
	s_waitcnt lgkmcnt(0)
	global_store_dword v[18:19], v92, off
	global_store_dword v[90:91], v93, off
	s_andn2_b64 exec, exec, s[12:13]
	s_cbranch_execnz .LBB462_120
; %bb.121:
	s_or_b64 exec, exec, s[12:13]
.LBB462_122:
	s_or_b64 exec, exec, s[10:11]
	v_and_b32_e32 v1, 7, v13
	v_cmp_ne_u32_e32 vcc, 0, v1
	s_and_saveexec_b64 s[10:11], vcc
	s_cbranch_execz .LBB462_125
; %bb.123:
	v_lshlrev_b32_e32 v10, 2, v0
	v_lshl_or_b32 v13, v16, 10, v10
	s_mov_b64 s[12:13], 0
	v_mov_b32_e32 v11, 0
.LBB462_124:                            ; =>This Inner Loop Header: Depth=1
	ds_read2st64_b32 v[14:15], v13 offset1:4
	v_mov_b32_e32 v10, v8
	v_add_u32_e32 v1, -1, v1
	v_lshlrev_b64 v[16:17], 2, v[10:11]
	v_mov_b32_e32 v10, v9
	v_cmp_eq_u32_e32 vcc, 0, v1
	v_add_co_u32_e64 v16, s[0:1], v3, v16
	v_lshlrev_b64 v[18:19], 2, v[10:11]
	v_add_u32_e32 v8, 0x200, v8
	v_add_u32_e32 v13, 0x800, v13
	;; [unrolled: 1-line block ×3, first 2 shown]
	v_addc_co_u32_e64 v17, s[0:1], v7, v17, s[0:1]
	s_or_b64 s[12:13], vcc, s[12:13]
	v_add_co_u32_e32 v18, vcc, v3, v18
	v_addc_co_u32_e32 v19, vcc, v7, v19, vcc
	s_waitcnt lgkmcnt(0)
	global_store_dword v[16:17], v14, off
	global_store_dword v[18:19], v15, off
	s_andn2_b64 exec, exec, s[12:13]
	s_cbranch_execnz .LBB462_124
.LBB462_125:
	s_or_b64 exec, exec, s[10:11]
	v_add_u32_e32 v1, 1, v12
	v_and_b32_e32 v9, 0x1fffffe, v1
	v_cmp_ne_u32_e32 vcc, v1, v9
	v_lshl_or_b32 v8, v9, 8, v0
	s_orn2_b64 s[0:1], vcc, exec
.LBB462_126:
	s_or_b64 exec, exec, s[8:9]
	s_andn2_b64 s[4:5], s[4:5], exec
	s_and_b64 s[0:1], s[0:1], exec
	s_or_b64 s[4:5], s[4:5], s[0:1]
.LBB462_127:
	s_or_b64 exec, exec, s[6:7]
	s_and_b64 exec, exec, s[4:5]
	s_cbranch_execz .LBB462_130
; %bb.128:
	v_lshlrev_b32_e32 v1, 2, v8
	s_mov_b64 s[0:1], 0
	v_mov_b32_e32 v9, 0
.LBB462_129:                            ; =>This Inner Loop Header: Depth=1
	ds_read_b32 v12, v1
	v_lshlrev_b64 v[10:11], 2, v[8:9]
	v_add_co_u32_e32 v10, vcc, v3, v10
	v_add_u32_e32 v8, 0x100, v8
	v_addc_co_u32_e32 v11, vcc, v7, v11, vcc
	v_cmp_ge_u32_e32 vcc, v8, v2
	v_add_u32_e32 v1, 0x400, v1
	s_or_b64 s[0:1], vcc, s[0:1]
	s_waitcnt lgkmcnt(0)
	global_store_dword v[10:11], v12, off
	s_andn2_b64 exec, exec, s[0:1]
	s_cbranch_execnz .LBB462_129
.LBB462_130:
	s_or_b64 exec, exec, s[2:3]
.LBB462_131:
	s_cmpk_lg_i32 s33, 0xf00
	s_cselect_b64 s[0:1], -1, 0
	v_cndmask_b32_e64 v11, 0, 1, s[48:49]
	s_and_b64 s[0:1], s[34:35], s[0:1]
	v_cmp_eq_u32_e32 vcc, 0, v0
	v_sub_u32_e32 v1, v2, v11
	v_cndmask_b32_e64 v3, 0, 1, s[0:1]
	s_and_b64 s[0:1], vcc, s[48:49]
	v_add_u32_e32 v1, v1, v3
	v_cndmask_b32_e64 v3, v68, 0, s[0:1]
	s_mul_hi_u32 s0, s33, 0x88888889
	s_lshr_b32 s0, s0, 3
	v_mad_i32_i24 v7, v0, -15, s33
	v_cmp_eq_u32_e32 vcc, s0, v0
	v_cmp_ne_u32_e64 s[0:1], 0, v7
	v_cndmask_b32_e64 v8, 1, v3, s[0:1]
	v_cmp_ne_u32_e64 s[0:1], 1, v7
	v_cndmask_b32_e64 v9, 1, v67, s[0:1]
	;; [unrolled: 2-line block ×14, first 2 shown]
	v_cmp_ne_u32_e64 s[0:1], 14, v7
	s_and_b64 vcc, s[34:35], vcc
	v_cndmask_b32_e64 v7, 1, v54, s[0:1]
	v_cndmask_b32_e32 v20, v57, v20, vcc
	v_cndmask_b32_e32 v19, v58, v19, vcc
	;; [unrolled: 1-line block ×4, first 2 shown]
	v_lshlrev_b64 v[8:9], 3, v[52:53]
	v_cndmask_b32_e32 v54, v54, v7, vcc
	v_cndmask_b32_e32 v55, v55, v68, vcc
	;; [unrolled: 1-line block ×11, first 2 shown]
	v_mov_b32_e32 v3, s43
	v_add_co_u32_e32 v7, vcc, s42, v8
	v_addc_co_u32_e32 v3, vcc, v3, v9, vcc
	v_lshlrev_b64 v[8:9], 3, v[4:5]
	v_add_co_u32_e32 v5, vcc, v7, v8
	v_addc_co_u32_e32 v10, vcc, v3, v9, vcc
	v_lshlrev_b32_e32 v3, 3, v11
	v_add_co_u32_e32 v3, vcc, v3, v5
	v_addc_co_u32_e32 v7, vcc, 0, v10, vcc
	v_add_co_u32_e32 v3, vcc, -8, v3
	v_addc_co_u32_e32 v7, vcc, -1, v7, vcc
	v_cmp_eq_u32_e32 vcc, 0, v58
	v_cndmask_b32_e64 v9, 1, 2, vcc
	v_cmp_eq_u32_e32 vcc, 0, v57
	v_add_u32_e32 v8, v4, v11
	v_cndmask_b32_e64 v11, 1, 2, vcc
	v_cmp_eq_u32_e32 vcc, 0, v56
	v_and_b32_e32 v9, v11, v9
	v_cndmask_b32_e64 v11, 1, 2, vcc
	v_cmp_eq_u32_e32 vcc, 0, v12
	v_and_b32_e32 v9, v9, v11
	;; [unrolled: 3-line block ×13, first 2 shown]
	v_cndmask_b32_e64 v11, 1, 2, vcc
	s_movk_i32 s30, 0x100
	v_and_b32_e32 v9, v9, v11
	v_cmp_gt_u32_e32 vcc, s30, v1
	v_cmp_ne_u32_e64 s[28:29], 0, v58
	v_cmp_ne_u32_e64 s[26:27], 0, v57
	;; [unrolled: 1-line block ×15, first 2 shown]
	s_mov_b64 s[36:37], -1
	v_cmp_gt_i16_e64 s[30:31], 2, v9
	s_barrier
	s_cbranch_vccz .LBB462_138
; %bb.132:
	s_and_saveexec_b64 s[36:37], s[30:31]
	s_cbranch_execz .LBB462_137
; %bb.133:
	v_cmp_ne_u16_e32 vcc, 1, v9
	s_mov_b64 s[38:39], 0
	s_and_saveexec_b64 s[30:31], vcc
	s_xor_b64 s[30:31], exec, s[30:31]
	s_cbranch_execnz .LBB462_187
; %bb.134:
	s_andn2_saveexec_b64 s[30:31], s[30:31]
	s_cbranch_execnz .LBB462_203
.LBB462_135:
	s_or_b64 exec, exec, s[30:31]
	s_and_b64 exec, exec, s[38:39]
	s_cbranch_execz .LBB462_137
.LBB462_136:
	v_mov_b32_e32 v13, 0
	v_sub_u32_e32 v14, v24, v8
	v_mov_b32_e32 v15, v13
	v_lshlrev_b64 v[14:15], 3, v[14:15]
	v_add_co_u32_e32 v14, vcc, v3, v14
	v_mov_b32_e32 v12, v25
	v_addc_co_u32_e32 v15, vcc, v7, v15, vcc
	global_store_dwordx2 v[14:15], v[12:13], off
.LBB462_137:
	s_or_b64 exec, exec, s[36:37]
	s_mov_b64 s[36:37], 0
.LBB462_138:
	s_and_b64 vcc, exec, s[36:37]
	s_cbranch_vccz .LBB462_148
; %bb.139:
	v_cmp_gt_i16_e32 vcc, 2, v9
	s_and_saveexec_b64 s[30:31], vcc
	s_cbranch_execz .LBB462_144
; %bb.140:
	v_cmp_ne_u16_e32 vcc, 1, v9
	s_mov_b64 s[38:39], 0
	s_and_saveexec_b64 s[36:37], vcc
	s_xor_b64 s[36:37], exec, s[36:37]
	s_cbranch_execnz .LBB462_204
; %bb.141:
	s_andn2_saveexec_b64 s[0:1], s[36:37]
	s_cbranch_execnz .LBB462_220
.LBB462_142:
	s_or_b64 exec, exec, s[0:1]
	s_and_b64 exec, exec, s[38:39]
	s_cbranch_execz .LBB462_144
.LBB462_143:
	v_sub_u32_e32 v8, v24, v8
	v_lshlrev_b32_e32 v8, 2, v8
	ds_write_b32 v8, v25
.LBB462_144:
	s_or_b64 exec, exec, s[30:31]
	v_cmp_lt_u32_e32 vcc, v0, v1
	s_waitcnt lgkmcnt(0)
	s_barrier
	s_and_saveexec_b64 s[0:1], vcc
	s_cbranch_execz .LBB462_147
; %bb.145:
	v_lshlrev_b32_e32 v11, 2, v0
	s_mov_b64 s[2:3], 0
	v_mov_b32_e32 v9, 0
	v_mov_b32_e32 v8, v0
.LBB462_146:                            ; =>This Inner Loop Header: Depth=1
	ds_read_b32 v12, v11
	v_lshlrev_b64 v[14:15], 3, v[8:9]
	v_add_co_u32_e32 v14, vcc, v3, v14
	v_add_u32_e32 v8, 0x100, v8
	v_addc_co_u32_e32 v15, vcc, v7, v15, vcc
	v_cmp_ge_u32_e32 vcc, v8, v1
	v_mov_b32_e32 v13, v9
	v_add_u32_e32 v11, 0x400, v11
	s_or_b64 s[2:3], vcc, s[2:3]
	s_waitcnt lgkmcnt(0)
	global_store_dwordx2 v[14:15], v[12:13], off
	s_andn2_b64 exec, exec, s[2:3]
	s_cbranch_execnz .LBB462_146
.LBB462_147:
	s_or_b64 exec, exec, s[0:1]
.LBB462_148:
	s_movk_i32 s0, 0xff
	v_cmp_eq_u32_e32 vcc, s0, v0
	s_and_b64 s[0:1], vcc, s[34:35]
	s_and_saveexec_b64 s[2:3], s[0:1]
	s_cbranch_execz .LBB462_151
; %bb.149:
	v_add_co_u32_e32 v0, vcc, v2, v4
	v_addc_co_u32_e64 v1, s[0:1], 0, 0, vcc
	v_add_co_u32_e32 v0, vcc, v0, v52
	v_mov_b32_e32 v3, 0
	v_addc_co_u32_e32 v1, vcc, v1, v53, vcc
	s_cmpk_lg_i32 s33, 0xf00
	global_store_dwordx2 v3, v[0:1], s[44:45]
	s_cbranch_scc1 .LBB462_151
; %bb.150:
	v_lshlrev_b64 v[0:1], 3, v[2:3]
	v_add_co_u32_e32 v0, vcc, v5, v0
	v_mov_b32_e32 v7, v3
	v_addc_co_u32_e32 v1, vcc, v10, v1, vcc
	global_store_dwordx2 v[0:1], v[6:7], off offset:-8
.LBB462_151:
	s_endpgm
.LBB462_152:
	s_or_b64 exec, exec, s[12:13]
	v_mov_b32_e32 v68, s7
	s_and_saveexec_b64 s[0:1], s[8:9]
	s_cbranch_execnz .LBB462_56
	s_branch .LBB462_57
.LBB462_153:
	s_and_saveexec_b64 s[38:39], s[28:29]
	s_cbranch_execnz .LBB462_221
; %bb.154:
	s_or_b64 exec, exec, s[38:39]
	s_and_saveexec_b64 s[38:39], s[26:27]
	s_cbranch_execnz .LBB462_222
.LBB462_155:
	s_or_b64 exec, exec, s[38:39]
	s_and_saveexec_b64 s[38:39], s[24:25]
	s_cbranch_execnz .LBB462_223
.LBB462_156:
	s_or_b64 exec, exec, s[38:39]
	s_and_saveexec_b64 s[38:39], s[22:23]
	s_cbranch_execnz .LBB462_224
.LBB462_157:
	s_or_b64 exec, exec, s[38:39]
	s_and_saveexec_b64 s[38:39], s[20:21]
	s_cbranch_execnz .LBB462_225
.LBB462_158:
	s_or_b64 exec, exec, s[38:39]
	s_and_saveexec_b64 s[38:39], s[18:19]
	s_cbranch_execnz .LBB462_226
.LBB462_159:
	s_or_b64 exec, exec, s[38:39]
	s_and_saveexec_b64 s[38:39], s[16:17]
	s_cbranch_execnz .LBB462_227
.LBB462_160:
	s_or_b64 exec, exec, s[38:39]
	s_and_saveexec_b64 s[38:39], s[14:15]
	s_cbranch_execnz .LBB462_228
.LBB462_161:
	s_or_b64 exec, exec, s[38:39]
	s_and_saveexec_b64 s[38:39], s[12:13]
	s_cbranch_execnz .LBB462_229
.LBB462_162:
	s_or_b64 exec, exec, s[38:39]
	s_and_saveexec_b64 s[38:39], s[10:11]
	s_cbranch_execnz .LBB462_230
.LBB462_163:
	s_or_b64 exec, exec, s[38:39]
	s_and_saveexec_b64 s[38:39], s[8:9]
	s_cbranch_execnz .LBB462_231
.LBB462_164:
	s_or_b64 exec, exec, s[38:39]
	s_and_saveexec_b64 s[38:39], s[6:7]
	s_cbranch_execnz .LBB462_232
.LBB462_165:
	s_or_b64 exec, exec, s[38:39]
	s_and_saveexec_b64 s[38:39], s[4:5]
	s_cbranch_execnz .LBB462_233
.LBB462_166:
	s_or_b64 exec, exec, s[38:39]
	s_and_saveexec_b64 s[38:39], s[2:3]
	s_cbranch_execz .LBB462_168
.LBB462_167:
	v_sub_u32_e32 v70, v22, v4
	v_mov_b32_e32 v71, 0
	v_lshlrev_b64 v[70:71], 2, v[70:71]
	v_add_co_u32_e32 v70, vcc, v3, v70
	v_addc_co_u32_e32 v71, vcc, v7, v71, vcc
	global_store_dword v[70:71], v9, off
.LBB462_168:
	s_or_b64 exec, exec, s[38:39]
	s_and_b64 s[38:39], s[0:1], exec
	s_andn2_saveexec_b64 s[30:31], s[30:31]
	s_cbranch_execz .LBB462_106
.LBB462_169:
	v_sub_u32_e32 v70, v50, v4
	v_mov_b32_e32 v71, 0
	v_lshlrev_b64 v[72:73], 2, v[70:71]
	v_add_co_u32_e32 v72, vcc, v3, v72
	v_addc_co_u32_e32 v73, vcc, v7, v73, vcc
	v_sub_u32_e32 v70, v48, v4
	global_store_dword v[72:73], v20, off
	v_lshlrev_b64 v[72:73], 2, v[70:71]
	v_add_co_u32_e32 v72, vcc, v3, v72
	v_addc_co_u32_e32 v73, vcc, v7, v73, vcc
	v_sub_u32_e32 v70, v46, v4
	global_store_dword v[72:73], v21, off
	;; [unrolled: 5-line block ×12, first 2 shown]
	v_lshlrev_b64 v[72:73], 2, v[70:71]
	v_add_co_u32_e32 v72, vcc, v3, v72
	v_sub_u32_e32 v70, v22, v4
	v_addc_co_u32_e32 v73, vcc, v7, v73, vcc
	v_lshlrev_b64 v[70:71], 2, v[70:71]
	v_add_co_u32_e32 v70, vcc, v3, v70
	v_addc_co_u32_e32 v71, vcc, v7, v71, vcc
	s_or_b64 s[38:39], s[38:39], exec
	global_store_dword v[72:73], v8, off
	global_store_dword v[70:71], v9, off
	s_or_b64 exec, exec, s[30:31]
	s_and_b64 exec, exec, s[38:39]
	s_cbranch_execnz .LBB462_107
	s_branch .LBB462_108
.LBB462_170:
	s_and_saveexec_b64 s[38:39], s[28:29]
	s_cbranch_execnz .LBB462_234
; %bb.171:
	s_or_b64 exec, exec, s[38:39]
	s_and_saveexec_b64 s[28:29], s[26:27]
	s_cbranch_execnz .LBB462_235
.LBB462_172:
	s_or_b64 exec, exec, s[28:29]
	s_and_saveexec_b64 s[26:27], s[24:25]
	s_cbranch_execnz .LBB462_236
.LBB462_173:
	s_or_b64 exec, exec, s[26:27]
	s_and_saveexec_b64 s[24:25], s[22:23]
	s_cbranch_execnz .LBB462_237
.LBB462_174:
	s_or_b64 exec, exec, s[24:25]
	s_and_saveexec_b64 s[22:23], s[20:21]
	s_cbranch_execnz .LBB462_238
.LBB462_175:
	s_or_b64 exec, exec, s[22:23]
	s_and_saveexec_b64 s[20:21], s[18:19]
	s_cbranch_execnz .LBB462_239
.LBB462_176:
	s_or_b64 exec, exec, s[20:21]
	s_and_saveexec_b64 s[18:19], s[16:17]
	s_cbranch_execnz .LBB462_240
.LBB462_177:
	s_or_b64 exec, exec, s[18:19]
	s_and_saveexec_b64 s[16:17], s[14:15]
	s_cbranch_execnz .LBB462_241
.LBB462_178:
	s_or_b64 exec, exec, s[16:17]
	s_and_saveexec_b64 s[14:15], s[12:13]
	s_cbranch_execnz .LBB462_242
.LBB462_179:
	s_or_b64 exec, exec, s[14:15]
	s_and_saveexec_b64 s[12:13], s[10:11]
	s_cbranch_execnz .LBB462_243
.LBB462_180:
	s_or_b64 exec, exec, s[12:13]
	s_and_saveexec_b64 s[10:11], s[8:9]
	s_cbranch_execnz .LBB462_244
.LBB462_181:
	s_or_b64 exec, exec, s[10:11]
	s_and_saveexec_b64 s[8:9], s[6:7]
	s_cbranch_execnz .LBB462_245
.LBB462_182:
	s_or_b64 exec, exec, s[8:9]
	s_and_saveexec_b64 s[6:7], s[4:5]
	s_cbranch_execnz .LBB462_246
.LBB462_183:
	s_or_b64 exec, exec, s[6:7]
	s_and_saveexec_b64 s[4:5], s[2:3]
	s_cbranch_execz .LBB462_185
.LBB462_184:
	v_sub_u32_e32 v8, v22, v4
	v_lshlrev_b32_e32 v8, 2, v8
	ds_write_b32 v8, v9
.LBB462_185:
	s_or_b64 exec, exec, s[4:5]
	s_and_b64 s[38:39], s[0:1], exec
                                        ; implicit-def: $vgpr9
                                        ; implicit-def: $vgpr11
                                        ; implicit-def: $vgpr13
                                        ; implicit-def: $vgpr15
                                        ; implicit-def: $vgpr17
                                        ; implicit-def: $vgpr19
                                        ; implicit-def: $vgpr21
	s_andn2_saveexec_b64 s[0:1], s[36:37]
	s_cbranch_execz .LBB462_113
.LBB462_186:
	v_sub_u32_e32 v69, v50, v4
	v_lshlrev_b32_e32 v69, 2, v69
	ds_write_b32 v69, v20
	v_sub_u32_e32 v20, v48, v4
	v_lshlrev_b32_e32 v20, 2, v20
	ds_write_b32 v20, v21
	;; [unrolled: 3-line block ×13, first 2 shown]
	v_sub_u32_e32 v8, v22, v4
	v_lshlrev_b32_e32 v8, 2, v8
	s_or_b64 s[38:39], s[38:39], exec
	ds_write_b32 v8, v9
	s_or_b64 exec, exec, s[0:1]
	s_and_b64 exec, exec, s[38:39]
	s_cbranch_execnz .LBB462_114
	s_branch .LBB462_115
.LBB462_187:
	s_and_saveexec_b64 s[38:39], s[28:29]
	s_cbranch_execnz .LBB462_247
; %bb.188:
	s_or_b64 exec, exec, s[38:39]
	s_and_saveexec_b64 s[38:39], s[26:27]
	s_cbranch_execnz .LBB462_248
.LBB462_189:
	s_or_b64 exec, exec, s[38:39]
	s_and_saveexec_b64 s[38:39], s[24:25]
	s_cbranch_execnz .LBB462_249
.LBB462_190:
	s_or_b64 exec, exec, s[38:39]
	s_and_saveexec_b64 s[38:39], s[22:23]
	s_cbranch_execnz .LBB462_250
.LBB462_191:
	s_or_b64 exec, exec, s[38:39]
	s_and_saveexec_b64 s[38:39], s[20:21]
	s_cbranch_execnz .LBB462_251
.LBB462_192:
	s_or_b64 exec, exec, s[38:39]
	s_and_saveexec_b64 s[38:39], s[18:19]
	s_cbranch_execnz .LBB462_252
.LBB462_193:
	s_or_b64 exec, exec, s[38:39]
	s_and_saveexec_b64 s[38:39], s[16:17]
	s_cbranch_execnz .LBB462_253
.LBB462_194:
	s_or_b64 exec, exec, s[38:39]
	s_and_saveexec_b64 s[38:39], s[14:15]
	s_cbranch_execnz .LBB462_254
.LBB462_195:
	s_or_b64 exec, exec, s[38:39]
	s_and_saveexec_b64 s[38:39], s[12:13]
	s_cbranch_execnz .LBB462_255
.LBB462_196:
	s_or_b64 exec, exec, s[38:39]
	s_and_saveexec_b64 s[38:39], s[10:11]
	s_cbranch_execnz .LBB462_256
.LBB462_197:
	s_or_b64 exec, exec, s[38:39]
	s_and_saveexec_b64 s[38:39], s[8:9]
	s_cbranch_execnz .LBB462_257
.LBB462_198:
	s_or_b64 exec, exec, s[38:39]
	s_and_saveexec_b64 s[38:39], s[6:7]
	s_cbranch_execnz .LBB462_258
.LBB462_199:
	s_or_b64 exec, exec, s[38:39]
	s_and_saveexec_b64 s[38:39], s[4:5]
	s_cbranch_execnz .LBB462_259
.LBB462_200:
	s_or_b64 exec, exec, s[38:39]
	s_and_saveexec_b64 s[38:39], s[2:3]
	s_cbranch_execz .LBB462_202
.LBB462_201:
	v_sub_u32_e32 v12, v22, v8
	v_mov_b32_e32 v13, 0
	v_lshlrev_b64 v[14:15], 3, v[12:13]
	v_add_co_u32_e32 v14, vcc, v3, v14
	v_addc_co_u32_e32 v15, vcc, v7, v15, vcc
	v_mov_b32_e32 v12, v23
	global_store_dwordx2 v[14:15], v[12:13], off
.LBB462_202:
	s_or_b64 exec, exec, s[38:39]
	s_and_b64 s[38:39], s[0:1], exec
	s_andn2_saveexec_b64 s[30:31], s[30:31]
	s_cbranch_execz .LBB462_135
.LBB462_203:
	v_mov_b32_e32 v13, 0
	v_sub_u32_e32 v14, v50, v8
	v_mov_b32_e32 v15, v13
	v_lshlrev_b64 v[14:15], 3, v[14:15]
	v_add_co_u32_e32 v14, vcc, v3, v14
	v_mov_b32_e32 v12, v51
	v_addc_co_u32_e32 v15, vcc, v7, v15, vcc
	global_store_dwordx2 v[14:15], v[12:13], off
	v_sub_u32_e32 v14, v48, v8
	v_mov_b32_e32 v15, v13
	v_lshlrev_b64 v[14:15], 3, v[14:15]
	v_add_co_u32_e32 v14, vcc, v3, v14
	v_mov_b32_e32 v12, v49
	v_addc_co_u32_e32 v15, vcc, v7, v15, vcc
	global_store_dwordx2 v[14:15], v[12:13], off
	;; [unrolled: 7-line block ×13, first 2 shown]
	v_sub_u32_e32 v14, v22, v8
	v_mov_b32_e32 v15, v13
	v_lshlrev_b64 v[14:15], 3, v[14:15]
	v_add_co_u32_e32 v14, vcc, v3, v14
	v_mov_b32_e32 v12, v23
	v_addc_co_u32_e32 v15, vcc, v7, v15, vcc
	s_or_b64 s[38:39], s[38:39], exec
	global_store_dwordx2 v[14:15], v[12:13], off
	s_or_b64 exec, exec, s[30:31]
	s_and_b64 exec, exec, s[38:39]
	s_cbranch_execnz .LBB462_136
	s_branch .LBB462_137
.LBB462_204:
	s_and_saveexec_b64 s[38:39], s[28:29]
	s_cbranch_execnz .LBB462_260
; %bb.205:
	s_or_b64 exec, exec, s[38:39]
	s_and_saveexec_b64 s[28:29], s[26:27]
	s_cbranch_execnz .LBB462_261
.LBB462_206:
	s_or_b64 exec, exec, s[28:29]
	s_and_saveexec_b64 s[26:27], s[24:25]
	s_cbranch_execnz .LBB462_262
.LBB462_207:
	s_or_b64 exec, exec, s[26:27]
	s_and_saveexec_b64 s[24:25], s[22:23]
	s_cbranch_execnz .LBB462_263
.LBB462_208:
	s_or_b64 exec, exec, s[24:25]
	s_and_saveexec_b64 s[22:23], s[20:21]
	s_cbranch_execnz .LBB462_264
.LBB462_209:
	s_or_b64 exec, exec, s[22:23]
	s_and_saveexec_b64 s[20:21], s[18:19]
	s_cbranch_execnz .LBB462_265
.LBB462_210:
	s_or_b64 exec, exec, s[20:21]
	s_and_saveexec_b64 s[18:19], s[16:17]
	s_cbranch_execnz .LBB462_266
.LBB462_211:
	s_or_b64 exec, exec, s[18:19]
	s_and_saveexec_b64 s[16:17], s[14:15]
	s_cbranch_execnz .LBB462_267
.LBB462_212:
	s_or_b64 exec, exec, s[16:17]
	s_and_saveexec_b64 s[14:15], s[12:13]
	s_cbranch_execnz .LBB462_268
.LBB462_213:
	s_or_b64 exec, exec, s[14:15]
	s_and_saveexec_b64 s[12:13], s[10:11]
	s_cbranch_execnz .LBB462_269
.LBB462_214:
	s_or_b64 exec, exec, s[12:13]
	s_and_saveexec_b64 s[10:11], s[8:9]
	s_cbranch_execnz .LBB462_270
.LBB462_215:
	s_or_b64 exec, exec, s[10:11]
	s_and_saveexec_b64 s[8:9], s[6:7]
	s_cbranch_execnz .LBB462_271
.LBB462_216:
	s_or_b64 exec, exec, s[8:9]
	s_and_saveexec_b64 s[6:7], s[4:5]
	s_cbranch_execnz .LBB462_272
.LBB462_217:
	s_or_b64 exec, exec, s[6:7]
	s_and_saveexec_b64 s[4:5], s[2:3]
	s_cbranch_execz .LBB462_219
.LBB462_218:
	v_sub_u32_e32 v9, v22, v8
	v_lshlrev_b32_e32 v9, 2, v9
	ds_write_b32 v9, v23
.LBB462_219:
	s_or_b64 exec, exec, s[4:5]
	s_and_b64 s[38:39], s[0:1], exec
                                        ; implicit-def: $vgpr22_vgpr23
                                        ; implicit-def: $vgpr26_vgpr27
                                        ; implicit-def: $vgpr28_vgpr29
                                        ; implicit-def: $vgpr50_vgpr51
                                        ; implicit-def: $vgpr48_vgpr49
                                        ; implicit-def: $vgpr46_vgpr47
                                        ; implicit-def: $vgpr44_vgpr45
                                        ; implicit-def: $vgpr42_vgpr43
                                        ; implicit-def: $vgpr40_vgpr41
                                        ; implicit-def: $vgpr38_vgpr39
                                        ; implicit-def: $vgpr36_vgpr37
                                        ; implicit-def: $vgpr34_vgpr35
                                        ; implicit-def: $vgpr32_vgpr33
                                        ; implicit-def: $vgpr30_vgpr31
	s_andn2_saveexec_b64 s[0:1], s[36:37]
	s_cbranch_execz .LBB462_142
.LBB462_220:
	v_sub_u32_e32 v9, v50, v8
	v_lshlrev_b32_e32 v9, 2, v9
	ds_write_b32 v9, v51
	v_sub_u32_e32 v9, v48, v8
	v_lshlrev_b32_e32 v9, 2, v9
	ds_write_b32 v9, v49
	;; [unrolled: 3-line block ×13, first 2 shown]
	v_sub_u32_e32 v9, v22, v8
	v_lshlrev_b32_e32 v9, 2, v9
	s_or_b64 s[38:39], s[38:39], exec
	ds_write_b32 v9, v23
	s_or_b64 exec, exec, s[0:1]
	s_and_b64 exec, exec, s[38:39]
	s_cbranch_execnz .LBB462_143
	s_branch .LBB462_144
.LBB462_221:
	v_sub_u32_e32 v70, v50, v4
	v_mov_b32_e32 v71, 0
	v_lshlrev_b64 v[70:71], 2, v[70:71]
	v_add_co_u32_e32 v70, vcc, v3, v70
	v_addc_co_u32_e32 v71, vcc, v7, v71, vcc
	global_store_dword v[70:71], v20, off
	s_or_b64 exec, exec, s[38:39]
	s_and_saveexec_b64 s[38:39], s[26:27]
	s_cbranch_execz .LBB462_155
.LBB462_222:
	v_sub_u32_e32 v70, v48, v4
	v_mov_b32_e32 v71, 0
	v_lshlrev_b64 v[70:71], 2, v[70:71]
	v_add_co_u32_e32 v70, vcc, v3, v70
	v_addc_co_u32_e32 v71, vcc, v7, v71, vcc
	global_store_dword v[70:71], v21, off
	s_or_b64 exec, exec, s[38:39]
	s_and_saveexec_b64 s[38:39], s[24:25]
	s_cbranch_execz .LBB462_156
.LBB462_223:
	v_sub_u32_e32 v70, v46, v4
	v_mov_b32_e32 v71, 0
	v_lshlrev_b64 v[70:71], 2, v[70:71]
	v_add_co_u32_e32 v70, vcc, v3, v70
	v_addc_co_u32_e32 v71, vcc, v7, v71, vcc
	global_store_dword v[70:71], v18, off
	s_or_b64 exec, exec, s[38:39]
	s_and_saveexec_b64 s[38:39], s[22:23]
	s_cbranch_execz .LBB462_157
.LBB462_224:
	v_sub_u32_e32 v70, v44, v4
	v_mov_b32_e32 v71, 0
	v_lshlrev_b64 v[70:71], 2, v[70:71]
	v_add_co_u32_e32 v70, vcc, v3, v70
	v_addc_co_u32_e32 v71, vcc, v7, v71, vcc
	global_store_dword v[70:71], v19, off
	s_or_b64 exec, exec, s[38:39]
	s_and_saveexec_b64 s[38:39], s[20:21]
	s_cbranch_execz .LBB462_158
.LBB462_225:
	v_sub_u32_e32 v70, v42, v4
	v_mov_b32_e32 v71, 0
	v_lshlrev_b64 v[70:71], 2, v[70:71]
	v_add_co_u32_e32 v70, vcc, v3, v70
	v_addc_co_u32_e32 v71, vcc, v7, v71, vcc
	global_store_dword v[70:71], v16, off
	s_or_b64 exec, exec, s[38:39]
	s_and_saveexec_b64 s[38:39], s[18:19]
	s_cbranch_execz .LBB462_159
.LBB462_226:
	v_sub_u32_e32 v70, v40, v4
	v_mov_b32_e32 v71, 0
	v_lshlrev_b64 v[70:71], 2, v[70:71]
	v_add_co_u32_e32 v70, vcc, v3, v70
	v_addc_co_u32_e32 v71, vcc, v7, v71, vcc
	global_store_dword v[70:71], v17, off
	s_or_b64 exec, exec, s[38:39]
	s_and_saveexec_b64 s[38:39], s[16:17]
	s_cbranch_execz .LBB462_160
.LBB462_227:
	v_sub_u32_e32 v70, v38, v4
	v_mov_b32_e32 v71, 0
	v_lshlrev_b64 v[70:71], 2, v[70:71]
	v_add_co_u32_e32 v70, vcc, v3, v70
	v_addc_co_u32_e32 v71, vcc, v7, v71, vcc
	global_store_dword v[70:71], v14, off
	s_or_b64 exec, exec, s[38:39]
	s_and_saveexec_b64 s[38:39], s[14:15]
	s_cbranch_execz .LBB462_161
.LBB462_228:
	v_sub_u32_e32 v70, v36, v4
	v_mov_b32_e32 v71, 0
	v_lshlrev_b64 v[70:71], 2, v[70:71]
	v_add_co_u32_e32 v70, vcc, v3, v70
	v_addc_co_u32_e32 v71, vcc, v7, v71, vcc
	global_store_dword v[70:71], v15, off
	s_or_b64 exec, exec, s[38:39]
	s_and_saveexec_b64 s[38:39], s[12:13]
	s_cbranch_execz .LBB462_162
.LBB462_229:
	v_sub_u32_e32 v70, v34, v4
	v_mov_b32_e32 v71, 0
	v_lshlrev_b64 v[70:71], 2, v[70:71]
	v_add_co_u32_e32 v70, vcc, v3, v70
	v_addc_co_u32_e32 v71, vcc, v7, v71, vcc
	global_store_dword v[70:71], v12, off
	s_or_b64 exec, exec, s[38:39]
	s_and_saveexec_b64 s[38:39], s[10:11]
	s_cbranch_execz .LBB462_163
.LBB462_230:
	v_sub_u32_e32 v70, v32, v4
	v_mov_b32_e32 v71, 0
	v_lshlrev_b64 v[70:71], 2, v[70:71]
	v_add_co_u32_e32 v70, vcc, v3, v70
	v_addc_co_u32_e32 v71, vcc, v7, v71, vcc
	global_store_dword v[70:71], v13, off
	s_or_b64 exec, exec, s[38:39]
	s_and_saveexec_b64 s[38:39], s[8:9]
	s_cbranch_execz .LBB462_164
.LBB462_231:
	v_sub_u32_e32 v70, v30, v4
	v_mov_b32_e32 v71, 0
	v_lshlrev_b64 v[70:71], 2, v[70:71]
	v_add_co_u32_e32 v70, vcc, v3, v70
	v_addc_co_u32_e32 v71, vcc, v7, v71, vcc
	global_store_dword v[70:71], v10, off
	s_or_b64 exec, exec, s[38:39]
	s_and_saveexec_b64 s[38:39], s[6:7]
	s_cbranch_execz .LBB462_165
.LBB462_232:
	v_sub_u32_e32 v70, v28, v4
	v_mov_b32_e32 v71, 0
	v_lshlrev_b64 v[70:71], 2, v[70:71]
	v_add_co_u32_e32 v70, vcc, v3, v70
	v_addc_co_u32_e32 v71, vcc, v7, v71, vcc
	global_store_dword v[70:71], v11, off
	s_or_b64 exec, exec, s[38:39]
	s_and_saveexec_b64 s[38:39], s[4:5]
	s_cbranch_execz .LBB462_166
.LBB462_233:
	v_sub_u32_e32 v70, v26, v4
	v_mov_b32_e32 v71, 0
	v_lshlrev_b64 v[70:71], 2, v[70:71]
	v_add_co_u32_e32 v70, vcc, v3, v70
	v_addc_co_u32_e32 v71, vcc, v7, v71, vcc
	global_store_dword v[70:71], v8, off
	s_or_b64 exec, exec, s[38:39]
	s_and_saveexec_b64 s[38:39], s[2:3]
	s_cbranch_execnz .LBB462_167
	s_branch .LBB462_168
.LBB462_234:
	v_sub_u32_e32 v69, v50, v4
	v_lshlrev_b32_e32 v69, 2, v69
	ds_write_b32 v69, v20
	s_or_b64 exec, exec, s[38:39]
	s_and_saveexec_b64 s[28:29], s[26:27]
	s_cbranch_execz .LBB462_172
.LBB462_235:
	v_sub_u32_e32 v20, v48, v4
	v_lshlrev_b32_e32 v20, 2, v20
	ds_write_b32 v20, v21
	s_or_b64 exec, exec, s[28:29]
	s_and_saveexec_b64 s[26:27], s[24:25]
	s_cbranch_execz .LBB462_173
.LBB462_236:
	v_sub_u32_e32 v20, v46, v4
	v_lshlrev_b32_e32 v20, 2, v20
	ds_write_b32 v20, v18
	s_or_b64 exec, exec, s[26:27]
	s_and_saveexec_b64 s[24:25], s[22:23]
	s_cbranch_execz .LBB462_174
.LBB462_237:
	v_sub_u32_e32 v18, v44, v4
	v_lshlrev_b32_e32 v18, 2, v18
	ds_write_b32 v18, v19
	s_or_b64 exec, exec, s[24:25]
	s_and_saveexec_b64 s[22:23], s[20:21]
	s_cbranch_execz .LBB462_175
.LBB462_238:
	v_sub_u32_e32 v18, v42, v4
	v_lshlrev_b32_e32 v18, 2, v18
	ds_write_b32 v18, v16
	s_or_b64 exec, exec, s[22:23]
	s_and_saveexec_b64 s[20:21], s[18:19]
	s_cbranch_execz .LBB462_176
.LBB462_239:
	v_sub_u32_e32 v16, v40, v4
	v_lshlrev_b32_e32 v16, 2, v16
	ds_write_b32 v16, v17
	s_or_b64 exec, exec, s[20:21]
	s_and_saveexec_b64 s[18:19], s[16:17]
	s_cbranch_execz .LBB462_177
.LBB462_240:
	v_sub_u32_e32 v16, v38, v4
	v_lshlrev_b32_e32 v16, 2, v16
	ds_write_b32 v16, v14
	s_or_b64 exec, exec, s[18:19]
	s_and_saveexec_b64 s[16:17], s[14:15]
	s_cbranch_execz .LBB462_178
.LBB462_241:
	v_sub_u32_e32 v14, v36, v4
	v_lshlrev_b32_e32 v14, 2, v14
	ds_write_b32 v14, v15
	s_or_b64 exec, exec, s[16:17]
	s_and_saveexec_b64 s[14:15], s[12:13]
	s_cbranch_execz .LBB462_179
.LBB462_242:
	v_sub_u32_e32 v14, v34, v4
	v_lshlrev_b32_e32 v14, 2, v14
	ds_write_b32 v14, v12
	s_or_b64 exec, exec, s[14:15]
	s_and_saveexec_b64 s[12:13], s[10:11]
	s_cbranch_execz .LBB462_180
.LBB462_243:
	v_sub_u32_e32 v12, v32, v4
	v_lshlrev_b32_e32 v12, 2, v12
	ds_write_b32 v12, v13
	s_or_b64 exec, exec, s[12:13]
	s_and_saveexec_b64 s[10:11], s[8:9]
	s_cbranch_execz .LBB462_181
.LBB462_244:
	v_sub_u32_e32 v12, v30, v4
	v_lshlrev_b32_e32 v12, 2, v12
	ds_write_b32 v12, v10
	s_or_b64 exec, exec, s[10:11]
	s_and_saveexec_b64 s[8:9], s[6:7]
	s_cbranch_execz .LBB462_182
.LBB462_245:
	v_sub_u32_e32 v10, v28, v4
	v_lshlrev_b32_e32 v10, 2, v10
	ds_write_b32 v10, v11
	s_or_b64 exec, exec, s[8:9]
	s_and_saveexec_b64 s[6:7], s[4:5]
	s_cbranch_execz .LBB462_183
.LBB462_246:
	v_sub_u32_e32 v10, v26, v4
	v_lshlrev_b32_e32 v10, 2, v10
	ds_write_b32 v10, v8
	s_or_b64 exec, exec, s[6:7]
	s_and_saveexec_b64 s[4:5], s[2:3]
	s_cbranch_execnz .LBB462_184
	s_branch .LBB462_185
.LBB462_247:
	v_sub_u32_e32 v12, v50, v8
	v_mov_b32_e32 v13, 0
	v_lshlrev_b64 v[14:15], 3, v[12:13]
	v_add_co_u32_e32 v14, vcc, v3, v14
	v_addc_co_u32_e32 v15, vcc, v7, v15, vcc
	v_mov_b32_e32 v12, v51
	global_store_dwordx2 v[14:15], v[12:13], off
	s_or_b64 exec, exec, s[38:39]
	s_and_saveexec_b64 s[38:39], s[26:27]
	s_cbranch_execz .LBB462_189
.LBB462_248:
	v_sub_u32_e32 v12, v48, v8
	v_mov_b32_e32 v13, 0
	v_lshlrev_b64 v[14:15], 3, v[12:13]
	v_add_co_u32_e32 v14, vcc, v3, v14
	v_addc_co_u32_e32 v15, vcc, v7, v15, vcc
	v_mov_b32_e32 v12, v49
	global_store_dwordx2 v[14:15], v[12:13], off
	s_or_b64 exec, exec, s[38:39]
	s_and_saveexec_b64 s[38:39], s[24:25]
	s_cbranch_execz .LBB462_190
.LBB462_249:
	v_sub_u32_e32 v12, v46, v8
	v_mov_b32_e32 v13, 0
	v_lshlrev_b64 v[14:15], 3, v[12:13]
	v_add_co_u32_e32 v14, vcc, v3, v14
	v_addc_co_u32_e32 v15, vcc, v7, v15, vcc
	v_mov_b32_e32 v12, v47
	global_store_dwordx2 v[14:15], v[12:13], off
	s_or_b64 exec, exec, s[38:39]
	s_and_saveexec_b64 s[38:39], s[22:23]
	s_cbranch_execz .LBB462_191
.LBB462_250:
	v_sub_u32_e32 v12, v44, v8
	v_mov_b32_e32 v13, 0
	v_lshlrev_b64 v[14:15], 3, v[12:13]
	v_add_co_u32_e32 v14, vcc, v3, v14
	v_addc_co_u32_e32 v15, vcc, v7, v15, vcc
	v_mov_b32_e32 v12, v45
	global_store_dwordx2 v[14:15], v[12:13], off
	s_or_b64 exec, exec, s[38:39]
	s_and_saveexec_b64 s[38:39], s[20:21]
	s_cbranch_execz .LBB462_192
.LBB462_251:
	v_sub_u32_e32 v12, v42, v8
	v_mov_b32_e32 v13, 0
	v_lshlrev_b64 v[14:15], 3, v[12:13]
	v_add_co_u32_e32 v14, vcc, v3, v14
	v_addc_co_u32_e32 v15, vcc, v7, v15, vcc
	v_mov_b32_e32 v12, v43
	global_store_dwordx2 v[14:15], v[12:13], off
	s_or_b64 exec, exec, s[38:39]
	s_and_saveexec_b64 s[38:39], s[18:19]
	s_cbranch_execz .LBB462_193
.LBB462_252:
	v_sub_u32_e32 v12, v40, v8
	v_mov_b32_e32 v13, 0
	v_lshlrev_b64 v[14:15], 3, v[12:13]
	v_add_co_u32_e32 v14, vcc, v3, v14
	v_addc_co_u32_e32 v15, vcc, v7, v15, vcc
	v_mov_b32_e32 v12, v41
	global_store_dwordx2 v[14:15], v[12:13], off
	s_or_b64 exec, exec, s[38:39]
	s_and_saveexec_b64 s[38:39], s[16:17]
	s_cbranch_execz .LBB462_194
.LBB462_253:
	v_sub_u32_e32 v12, v38, v8
	v_mov_b32_e32 v13, 0
	v_lshlrev_b64 v[14:15], 3, v[12:13]
	v_add_co_u32_e32 v14, vcc, v3, v14
	v_addc_co_u32_e32 v15, vcc, v7, v15, vcc
	v_mov_b32_e32 v12, v39
	global_store_dwordx2 v[14:15], v[12:13], off
	s_or_b64 exec, exec, s[38:39]
	s_and_saveexec_b64 s[38:39], s[14:15]
	s_cbranch_execz .LBB462_195
.LBB462_254:
	v_sub_u32_e32 v12, v36, v8
	v_mov_b32_e32 v13, 0
	v_lshlrev_b64 v[14:15], 3, v[12:13]
	v_add_co_u32_e32 v14, vcc, v3, v14
	v_addc_co_u32_e32 v15, vcc, v7, v15, vcc
	v_mov_b32_e32 v12, v37
	global_store_dwordx2 v[14:15], v[12:13], off
	s_or_b64 exec, exec, s[38:39]
	s_and_saveexec_b64 s[38:39], s[12:13]
	s_cbranch_execz .LBB462_196
.LBB462_255:
	v_sub_u32_e32 v12, v34, v8
	v_mov_b32_e32 v13, 0
	v_lshlrev_b64 v[14:15], 3, v[12:13]
	v_add_co_u32_e32 v14, vcc, v3, v14
	v_addc_co_u32_e32 v15, vcc, v7, v15, vcc
	v_mov_b32_e32 v12, v35
	global_store_dwordx2 v[14:15], v[12:13], off
	s_or_b64 exec, exec, s[38:39]
	s_and_saveexec_b64 s[38:39], s[10:11]
	s_cbranch_execz .LBB462_197
.LBB462_256:
	v_sub_u32_e32 v12, v32, v8
	v_mov_b32_e32 v13, 0
	v_lshlrev_b64 v[14:15], 3, v[12:13]
	v_add_co_u32_e32 v14, vcc, v3, v14
	v_addc_co_u32_e32 v15, vcc, v7, v15, vcc
	v_mov_b32_e32 v12, v33
	global_store_dwordx2 v[14:15], v[12:13], off
	s_or_b64 exec, exec, s[38:39]
	s_and_saveexec_b64 s[38:39], s[8:9]
	s_cbranch_execz .LBB462_198
.LBB462_257:
	v_sub_u32_e32 v12, v30, v8
	v_mov_b32_e32 v13, 0
	v_lshlrev_b64 v[14:15], 3, v[12:13]
	v_add_co_u32_e32 v14, vcc, v3, v14
	v_addc_co_u32_e32 v15, vcc, v7, v15, vcc
	v_mov_b32_e32 v12, v31
	global_store_dwordx2 v[14:15], v[12:13], off
	s_or_b64 exec, exec, s[38:39]
	s_and_saveexec_b64 s[38:39], s[6:7]
	s_cbranch_execz .LBB462_199
.LBB462_258:
	v_sub_u32_e32 v12, v28, v8
	v_mov_b32_e32 v13, 0
	v_lshlrev_b64 v[14:15], 3, v[12:13]
	v_add_co_u32_e32 v14, vcc, v3, v14
	v_addc_co_u32_e32 v15, vcc, v7, v15, vcc
	v_mov_b32_e32 v12, v29
	global_store_dwordx2 v[14:15], v[12:13], off
	s_or_b64 exec, exec, s[38:39]
	s_and_saveexec_b64 s[38:39], s[4:5]
	s_cbranch_execz .LBB462_200
.LBB462_259:
	v_sub_u32_e32 v12, v26, v8
	v_mov_b32_e32 v13, 0
	v_lshlrev_b64 v[14:15], 3, v[12:13]
	v_add_co_u32_e32 v14, vcc, v3, v14
	v_addc_co_u32_e32 v15, vcc, v7, v15, vcc
	v_mov_b32_e32 v12, v27
	global_store_dwordx2 v[14:15], v[12:13], off
	s_or_b64 exec, exec, s[38:39]
	s_and_saveexec_b64 s[38:39], s[2:3]
	s_cbranch_execnz .LBB462_201
	s_branch .LBB462_202
.LBB462_260:
	v_sub_u32_e32 v9, v50, v8
	v_lshlrev_b32_e32 v9, 2, v9
	ds_write_b32 v9, v51
	s_or_b64 exec, exec, s[38:39]
	s_and_saveexec_b64 s[28:29], s[26:27]
	s_cbranch_execz .LBB462_206
.LBB462_261:
	v_sub_u32_e32 v9, v48, v8
	v_lshlrev_b32_e32 v9, 2, v9
	ds_write_b32 v9, v49
	s_or_b64 exec, exec, s[28:29]
	s_and_saveexec_b64 s[26:27], s[24:25]
	s_cbranch_execz .LBB462_207
.LBB462_262:
	v_sub_u32_e32 v9, v46, v8
	v_lshlrev_b32_e32 v9, 2, v9
	ds_write_b32 v9, v47
	s_or_b64 exec, exec, s[26:27]
	s_and_saveexec_b64 s[24:25], s[22:23]
	s_cbranch_execz .LBB462_208
.LBB462_263:
	v_sub_u32_e32 v9, v44, v8
	v_lshlrev_b32_e32 v9, 2, v9
	ds_write_b32 v9, v45
	s_or_b64 exec, exec, s[24:25]
	s_and_saveexec_b64 s[22:23], s[20:21]
	s_cbranch_execz .LBB462_209
.LBB462_264:
	v_sub_u32_e32 v9, v42, v8
	v_lshlrev_b32_e32 v9, 2, v9
	ds_write_b32 v9, v43
	s_or_b64 exec, exec, s[22:23]
	s_and_saveexec_b64 s[20:21], s[18:19]
	s_cbranch_execz .LBB462_210
.LBB462_265:
	v_sub_u32_e32 v9, v40, v8
	v_lshlrev_b32_e32 v9, 2, v9
	ds_write_b32 v9, v41
	s_or_b64 exec, exec, s[20:21]
	s_and_saveexec_b64 s[18:19], s[16:17]
	s_cbranch_execz .LBB462_211
.LBB462_266:
	v_sub_u32_e32 v9, v38, v8
	v_lshlrev_b32_e32 v9, 2, v9
	ds_write_b32 v9, v39
	s_or_b64 exec, exec, s[18:19]
	s_and_saveexec_b64 s[16:17], s[14:15]
	s_cbranch_execz .LBB462_212
.LBB462_267:
	v_sub_u32_e32 v9, v36, v8
	v_lshlrev_b32_e32 v9, 2, v9
	ds_write_b32 v9, v37
	s_or_b64 exec, exec, s[16:17]
	s_and_saveexec_b64 s[14:15], s[12:13]
	s_cbranch_execz .LBB462_213
.LBB462_268:
	v_sub_u32_e32 v9, v34, v8
	v_lshlrev_b32_e32 v9, 2, v9
	ds_write_b32 v9, v35
	s_or_b64 exec, exec, s[14:15]
	s_and_saveexec_b64 s[12:13], s[10:11]
	s_cbranch_execz .LBB462_214
.LBB462_269:
	v_sub_u32_e32 v9, v32, v8
	v_lshlrev_b32_e32 v9, 2, v9
	ds_write_b32 v9, v33
	s_or_b64 exec, exec, s[12:13]
	s_and_saveexec_b64 s[10:11], s[8:9]
	s_cbranch_execz .LBB462_215
.LBB462_270:
	v_sub_u32_e32 v9, v30, v8
	v_lshlrev_b32_e32 v9, 2, v9
	ds_write_b32 v9, v31
	s_or_b64 exec, exec, s[10:11]
	s_and_saveexec_b64 s[8:9], s[6:7]
	s_cbranch_execz .LBB462_216
.LBB462_271:
	v_sub_u32_e32 v9, v28, v8
	v_lshlrev_b32_e32 v9, 2, v9
	ds_write_b32 v9, v29
	s_or_b64 exec, exec, s[8:9]
	s_and_saveexec_b64 s[6:7], s[4:5]
	s_cbranch_execz .LBB462_217
.LBB462_272:
	v_sub_u32_e32 v9, v26, v8
	v_lshlrev_b32_e32 v9, 2, v9
	ds_write_b32 v9, v27
	s_or_b64 exec, exec, s[6:7]
	s_and_saveexec_b64 s[4:5], s[2:3]
	s_cbranch_execnz .LBB462_218
	s_branch .LBB462_219
	.section	.rodata,"a",@progbits
	.p2align	6, 0x0
	.amdhsa_kernel _ZN7rocprim17ROCPRIM_400000_NS6detail17trampoline_kernelINS0_14default_configENS1_33run_length_encode_config_selectorIijNS0_4plusIjEEEEZZNS1_33reduce_by_key_impl_wrapped_configILNS1_25lookback_scan_determinismE0ES3_S7_PKiNS0_17constant_iteratorIjlEEPiPlSF_S6_NS0_8equal_toIiEEEE10hipError_tPvRmT2_T3_mT4_T5_T6_T7_T8_P12ihipStream_tbENKUlT_T0_E_clISt17integral_constantIbLb1EESY_IbLb0EEEEDaSU_SV_EUlSU_E_NS1_11comp_targetILNS1_3genE4ELNS1_11target_archE910ELNS1_3gpuE8ELNS1_3repE0EEENS1_30default_config_static_selectorELNS0_4arch9wavefront6targetE1EEEvT1_
		.amdhsa_group_segment_fixed_size 15360
		.amdhsa_private_segment_fixed_size 0
		.amdhsa_kernarg_size 128
		.amdhsa_user_sgpr_count 6
		.amdhsa_user_sgpr_private_segment_buffer 1
		.amdhsa_user_sgpr_dispatch_ptr 0
		.amdhsa_user_sgpr_queue_ptr 0
		.amdhsa_user_sgpr_kernarg_segment_ptr 1
		.amdhsa_user_sgpr_dispatch_id 0
		.amdhsa_user_sgpr_flat_scratch_init 0
		.amdhsa_user_sgpr_kernarg_preload_length 0
		.amdhsa_user_sgpr_kernarg_preload_offset 0
		.amdhsa_user_sgpr_private_segment_size 0
		.amdhsa_uses_dynamic_stack 0
		.amdhsa_system_sgpr_private_segment_wavefront_offset 0
		.amdhsa_system_sgpr_workgroup_id_x 1
		.amdhsa_system_sgpr_workgroup_id_y 0
		.amdhsa_system_sgpr_workgroup_id_z 0
		.amdhsa_system_sgpr_workgroup_info 0
		.amdhsa_system_vgpr_workitem_id 0
		.amdhsa_next_free_vgpr 104
		.amdhsa_next_free_sgpr 64
		.amdhsa_accum_offset 104
		.amdhsa_reserve_vcc 1
		.amdhsa_reserve_flat_scratch 0
		.amdhsa_float_round_mode_32 0
		.amdhsa_float_round_mode_16_64 0
		.amdhsa_float_denorm_mode_32 3
		.amdhsa_float_denorm_mode_16_64 3
		.amdhsa_dx10_clamp 1
		.amdhsa_ieee_mode 1
		.amdhsa_fp16_overflow 0
		.amdhsa_tg_split 0
		.amdhsa_exception_fp_ieee_invalid_op 0
		.amdhsa_exception_fp_denorm_src 0
		.amdhsa_exception_fp_ieee_div_zero 0
		.amdhsa_exception_fp_ieee_overflow 0
		.amdhsa_exception_fp_ieee_underflow 0
		.amdhsa_exception_fp_ieee_inexact 0
		.amdhsa_exception_int_div_zero 0
	.end_amdhsa_kernel
	.section	.text._ZN7rocprim17ROCPRIM_400000_NS6detail17trampoline_kernelINS0_14default_configENS1_33run_length_encode_config_selectorIijNS0_4plusIjEEEEZZNS1_33reduce_by_key_impl_wrapped_configILNS1_25lookback_scan_determinismE0ES3_S7_PKiNS0_17constant_iteratorIjlEEPiPlSF_S6_NS0_8equal_toIiEEEE10hipError_tPvRmT2_T3_mT4_T5_T6_T7_T8_P12ihipStream_tbENKUlT_T0_E_clISt17integral_constantIbLb1EESY_IbLb0EEEEDaSU_SV_EUlSU_E_NS1_11comp_targetILNS1_3genE4ELNS1_11target_archE910ELNS1_3gpuE8ELNS1_3repE0EEENS1_30default_config_static_selectorELNS0_4arch9wavefront6targetE1EEEvT1_,"axG",@progbits,_ZN7rocprim17ROCPRIM_400000_NS6detail17trampoline_kernelINS0_14default_configENS1_33run_length_encode_config_selectorIijNS0_4plusIjEEEEZZNS1_33reduce_by_key_impl_wrapped_configILNS1_25lookback_scan_determinismE0ES3_S7_PKiNS0_17constant_iteratorIjlEEPiPlSF_S6_NS0_8equal_toIiEEEE10hipError_tPvRmT2_T3_mT4_T5_T6_T7_T8_P12ihipStream_tbENKUlT_T0_E_clISt17integral_constantIbLb1EESY_IbLb0EEEEDaSU_SV_EUlSU_E_NS1_11comp_targetILNS1_3genE4ELNS1_11target_archE910ELNS1_3gpuE8ELNS1_3repE0EEENS1_30default_config_static_selectorELNS0_4arch9wavefront6targetE1EEEvT1_,comdat
.Lfunc_end462:
	.size	_ZN7rocprim17ROCPRIM_400000_NS6detail17trampoline_kernelINS0_14default_configENS1_33run_length_encode_config_selectorIijNS0_4plusIjEEEEZZNS1_33reduce_by_key_impl_wrapped_configILNS1_25lookback_scan_determinismE0ES3_S7_PKiNS0_17constant_iteratorIjlEEPiPlSF_S6_NS0_8equal_toIiEEEE10hipError_tPvRmT2_T3_mT4_T5_T6_T7_T8_P12ihipStream_tbENKUlT_T0_E_clISt17integral_constantIbLb1EESY_IbLb0EEEEDaSU_SV_EUlSU_E_NS1_11comp_targetILNS1_3genE4ELNS1_11target_archE910ELNS1_3gpuE8ELNS1_3repE0EEENS1_30default_config_static_selectorELNS0_4arch9wavefront6targetE1EEEvT1_, .Lfunc_end462-_ZN7rocprim17ROCPRIM_400000_NS6detail17trampoline_kernelINS0_14default_configENS1_33run_length_encode_config_selectorIijNS0_4plusIjEEEEZZNS1_33reduce_by_key_impl_wrapped_configILNS1_25lookback_scan_determinismE0ES3_S7_PKiNS0_17constant_iteratorIjlEEPiPlSF_S6_NS0_8equal_toIiEEEE10hipError_tPvRmT2_T3_mT4_T5_T6_T7_T8_P12ihipStream_tbENKUlT_T0_E_clISt17integral_constantIbLb1EESY_IbLb0EEEEDaSU_SV_EUlSU_E_NS1_11comp_targetILNS1_3genE4ELNS1_11target_archE910ELNS1_3gpuE8ELNS1_3repE0EEENS1_30default_config_static_selectorELNS0_4arch9wavefront6targetE1EEEvT1_
                                        ; -- End function
	.section	.AMDGPU.csdata,"",@progbits
; Kernel info:
; codeLenInByte = 15004
; NumSgprs: 68
; NumVgprs: 104
; NumAgprs: 0
; TotalNumVgprs: 104
; ScratchSize: 0
; MemoryBound: 0
; FloatMode: 240
; IeeeMode: 1
; LDSByteSize: 15360 bytes/workgroup (compile time only)
; SGPRBlocks: 8
; VGPRBlocks: 12
; NumSGPRsForWavesPerEU: 68
; NumVGPRsForWavesPerEU: 104
; AccumOffset: 104
; Occupancy: 4
; WaveLimiterHint : 1
; COMPUTE_PGM_RSRC2:SCRATCH_EN: 0
; COMPUTE_PGM_RSRC2:USER_SGPR: 6
; COMPUTE_PGM_RSRC2:TRAP_HANDLER: 0
; COMPUTE_PGM_RSRC2:TGID_X_EN: 1
; COMPUTE_PGM_RSRC2:TGID_Y_EN: 0
; COMPUTE_PGM_RSRC2:TGID_Z_EN: 0
; COMPUTE_PGM_RSRC2:TIDIG_COMP_CNT: 0
; COMPUTE_PGM_RSRC3_GFX90A:ACCUM_OFFSET: 25
; COMPUTE_PGM_RSRC3_GFX90A:TG_SPLIT: 0
	.section	.text._ZN7rocprim17ROCPRIM_400000_NS6detail17trampoline_kernelINS0_14default_configENS1_33run_length_encode_config_selectorIijNS0_4plusIjEEEEZZNS1_33reduce_by_key_impl_wrapped_configILNS1_25lookback_scan_determinismE0ES3_S7_PKiNS0_17constant_iteratorIjlEEPiPlSF_S6_NS0_8equal_toIiEEEE10hipError_tPvRmT2_T3_mT4_T5_T6_T7_T8_P12ihipStream_tbENKUlT_T0_E_clISt17integral_constantIbLb1EESY_IbLb0EEEEDaSU_SV_EUlSU_E_NS1_11comp_targetILNS1_3genE3ELNS1_11target_archE908ELNS1_3gpuE7ELNS1_3repE0EEENS1_30default_config_static_selectorELNS0_4arch9wavefront6targetE1EEEvT1_,"axG",@progbits,_ZN7rocprim17ROCPRIM_400000_NS6detail17trampoline_kernelINS0_14default_configENS1_33run_length_encode_config_selectorIijNS0_4plusIjEEEEZZNS1_33reduce_by_key_impl_wrapped_configILNS1_25lookback_scan_determinismE0ES3_S7_PKiNS0_17constant_iteratorIjlEEPiPlSF_S6_NS0_8equal_toIiEEEE10hipError_tPvRmT2_T3_mT4_T5_T6_T7_T8_P12ihipStream_tbENKUlT_T0_E_clISt17integral_constantIbLb1EESY_IbLb0EEEEDaSU_SV_EUlSU_E_NS1_11comp_targetILNS1_3genE3ELNS1_11target_archE908ELNS1_3gpuE7ELNS1_3repE0EEENS1_30default_config_static_selectorELNS0_4arch9wavefront6targetE1EEEvT1_,comdat
	.protected	_ZN7rocprim17ROCPRIM_400000_NS6detail17trampoline_kernelINS0_14default_configENS1_33run_length_encode_config_selectorIijNS0_4plusIjEEEEZZNS1_33reduce_by_key_impl_wrapped_configILNS1_25lookback_scan_determinismE0ES3_S7_PKiNS0_17constant_iteratorIjlEEPiPlSF_S6_NS0_8equal_toIiEEEE10hipError_tPvRmT2_T3_mT4_T5_T6_T7_T8_P12ihipStream_tbENKUlT_T0_E_clISt17integral_constantIbLb1EESY_IbLb0EEEEDaSU_SV_EUlSU_E_NS1_11comp_targetILNS1_3genE3ELNS1_11target_archE908ELNS1_3gpuE7ELNS1_3repE0EEENS1_30default_config_static_selectorELNS0_4arch9wavefront6targetE1EEEvT1_ ; -- Begin function _ZN7rocprim17ROCPRIM_400000_NS6detail17trampoline_kernelINS0_14default_configENS1_33run_length_encode_config_selectorIijNS0_4plusIjEEEEZZNS1_33reduce_by_key_impl_wrapped_configILNS1_25lookback_scan_determinismE0ES3_S7_PKiNS0_17constant_iteratorIjlEEPiPlSF_S6_NS0_8equal_toIiEEEE10hipError_tPvRmT2_T3_mT4_T5_T6_T7_T8_P12ihipStream_tbENKUlT_T0_E_clISt17integral_constantIbLb1EESY_IbLb0EEEEDaSU_SV_EUlSU_E_NS1_11comp_targetILNS1_3genE3ELNS1_11target_archE908ELNS1_3gpuE7ELNS1_3repE0EEENS1_30default_config_static_selectorELNS0_4arch9wavefront6targetE1EEEvT1_
	.globl	_ZN7rocprim17ROCPRIM_400000_NS6detail17trampoline_kernelINS0_14default_configENS1_33run_length_encode_config_selectorIijNS0_4plusIjEEEEZZNS1_33reduce_by_key_impl_wrapped_configILNS1_25lookback_scan_determinismE0ES3_S7_PKiNS0_17constant_iteratorIjlEEPiPlSF_S6_NS0_8equal_toIiEEEE10hipError_tPvRmT2_T3_mT4_T5_T6_T7_T8_P12ihipStream_tbENKUlT_T0_E_clISt17integral_constantIbLb1EESY_IbLb0EEEEDaSU_SV_EUlSU_E_NS1_11comp_targetILNS1_3genE3ELNS1_11target_archE908ELNS1_3gpuE7ELNS1_3repE0EEENS1_30default_config_static_selectorELNS0_4arch9wavefront6targetE1EEEvT1_
	.p2align	8
	.type	_ZN7rocprim17ROCPRIM_400000_NS6detail17trampoline_kernelINS0_14default_configENS1_33run_length_encode_config_selectorIijNS0_4plusIjEEEEZZNS1_33reduce_by_key_impl_wrapped_configILNS1_25lookback_scan_determinismE0ES3_S7_PKiNS0_17constant_iteratorIjlEEPiPlSF_S6_NS0_8equal_toIiEEEE10hipError_tPvRmT2_T3_mT4_T5_T6_T7_T8_P12ihipStream_tbENKUlT_T0_E_clISt17integral_constantIbLb1EESY_IbLb0EEEEDaSU_SV_EUlSU_E_NS1_11comp_targetILNS1_3genE3ELNS1_11target_archE908ELNS1_3gpuE7ELNS1_3repE0EEENS1_30default_config_static_selectorELNS0_4arch9wavefront6targetE1EEEvT1_,@function
_ZN7rocprim17ROCPRIM_400000_NS6detail17trampoline_kernelINS0_14default_configENS1_33run_length_encode_config_selectorIijNS0_4plusIjEEEEZZNS1_33reduce_by_key_impl_wrapped_configILNS1_25lookback_scan_determinismE0ES3_S7_PKiNS0_17constant_iteratorIjlEEPiPlSF_S6_NS0_8equal_toIiEEEE10hipError_tPvRmT2_T3_mT4_T5_T6_T7_T8_P12ihipStream_tbENKUlT_T0_E_clISt17integral_constantIbLb1EESY_IbLb0EEEEDaSU_SV_EUlSU_E_NS1_11comp_targetILNS1_3genE3ELNS1_11target_archE908ELNS1_3gpuE7ELNS1_3repE0EEENS1_30default_config_static_selectorELNS0_4arch9wavefront6targetE1EEEvT1_: ; @_ZN7rocprim17ROCPRIM_400000_NS6detail17trampoline_kernelINS0_14default_configENS1_33run_length_encode_config_selectorIijNS0_4plusIjEEEEZZNS1_33reduce_by_key_impl_wrapped_configILNS1_25lookback_scan_determinismE0ES3_S7_PKiNS0_17constant_iteratorIjlEEPiPlSF_S6_NS0_8equal_toIiEEEE10hipError_tPvRmT2_T3_mT4_T5_T6_T7_T8_P12ihipStream_tbENKUlT_T0_E_clISt17integral_constantIbLb1EESY_IbLb0EEEEDaSU_SV_EUlSU_E_NS1_11comp_targetILNS1_3genE3ELNS1_11target_archE908ELNS1_3gpuE7ELNS1_3repE0EEENS1_30default_config_static_selectorELNS0_4arch9wavefront6targetE1EEEvT1_
; %bb.0:
	.section	.rodata,"a",@progbits
	.p2align	6, 0x0
	.amdhsa_kernel _ZN7rocprim17ROCPRIM_400000_NS6detail17trampoline_kernelINS0_14default_configENS1_33run_length_encode_config_selectorIijNS0_4plusIjEEEEZZNS1_33reduce_by_key_impl_wrapped_configILNS1_25lookback_scan_determinismE0ES3_S7_PKiNS0_17constant_iteratorIjlEEPiPlSF_S6_NS0_8equal_toIiEEEE10hipError_tPvRmT2_T3_mT4_T5_T6_T7_T8_P12ihipStream_tbENKUlT_T0_E_clISt17integral_constantIbLb1EESY_IbLb0EEEEDaSU_SV_EUlSU_E_NS1_11comp_targetILNS1_3genE3ELNS1_11target_archE908ELNS1_3gpuE7ELNS1_3repE0EEENS1_30default_config_static_selectorELNS0_4arch9wavefront6targetE1EEEvT1_
		.amdhsa_group_segment_fixed_size 0
		.amdhsa_private_segment_fixed_size 0
		.amdhsa_kernarg_size 128
		.amdhsa_user_sgpr_count 6
		.amdhsa_user_sgpr_private_segment_buffer 1
		.amdhsa_user_sgpr_dispatch_ptr 0
		.amdhsa_user_sgpr_queue_ptr 0
		.amdhsa_user_sgpr_kernarg_segment_ptr 1
		.amdhsa_user_sgpr_dispatch_id 0
		.amdhsa_user_sgpr_flat_scratch_init 0
		.amdhsa_user_sgpr_kernarg_preload_length 0
		.amdhsa_user_sgpr_kernarg_preload_offset 0
		.amdhsa_user_sgpr_private_segment_size 0
		.amdhsa_uses_dynamic_stack 0
		.amdhsa_system_sgpr_private_segment_wavefront_offset 0
		.amdhsa_system_sgpr_workgroup_id_x 1
		.amdhsa_system_sgpr_workgroup_id_y 0
		.amdhsa_system_sgpr_workgroup_id_z 0
		.amdhsa_system_sgpr_workgroup_info 0
		.amdhsa_system_vgpr_workitem_id 0
		.amdhsa_next_free_vgpr 1
		.amdhsa_next_free_sgpr 0
		.amdhsa_accum_offset 4
		.amdhsa_reserve_vcc 0
		.amdhsa_reserve_flat_scratch 0
		.amdhsa_float_round_mode_32 0
		.amdhsa_float_round_mode_16_64 0
		.amdhsa_float_denorm_mode_32 3
		.amdhsa_float_denorm_mode_16_64 3
		.amdhsa_dx10_clamp 1
		.amdhsa_ieee_mode 1
		.amdhsa_fp16_overflow 0
		.amdhsa_tg_split 0
		.amdhsa_exception_fp_ieee_invalid_op 0
		.amdhsa_exception_fp_denorm_src 0
		.amdhsa_exception_fp_ieee_div_zero 0
		.amdhsa_exception_fp_ieee_overflow 0
		.amdhsa_exception_fp_ieee_underflow 0
		.amdhsa_exception_fp_ieee_inexact 0
		.amdhsa_exception_int_div_zero 0
	.end_amdhsa_kernel
	.section	.text._ZN7rocprim17ROCPRIM_400000_NS6detail17trampoline_kernelINS0_14default_configENS1_33run_length_encode_config_selectorIijNS0_4plusIjEEEEZZNS1_33reduce_by_key_impl_wrapped_configILNS1_25lookback_scan_determinismE0ES3_S7_PKiNS0_17constant_iteratorIjlEEPiPlSF_S6_NS0_8equal_toIiEEEE10hipError_tPvRmT2_T3_mT4_T5_T6_T7_T8_P12ihipStream_tbENKUlT_T0_E_clISt17integral_constantIbLb1EESY_IbLb0EEEEDaSU_SV_EUlSU_E_NS1_11comp_targetILNS1_3genE3ELNS1_11target_archE908ELNS1_3gpuE7ELNS1_3repE0EEENS1_30default_config_static_selectorELNS0_4arch9wavefront6targetE1EEEvT1_,"axG",@progbits,_ZN7rocprim17ROCPRIM_400000_NS6detail17trampoline_kernelINS0_14default_configENS1_33run_length_encode_config_selectorIijNS0_4plusIjEEEEZZNS1_33reduce_by_key_impl_wrapped_configILNS1_25lookback_scan_determinismE0ES3_S7_PKiNS0_17constant_iteratorIjlEEPiPlSF_S6_NS0_8equal_toIiEEEE10hipError_tPvRmT2_T3_mT4_T5_T6_T7_T8_P12ihipStream_tbENKUlT_T0_E_clISt17integral_constantIbLb1EESY_IbLb0EEEEDaSU_SV_EUlSU_E_NS1_11comp_targetILNS1_3genE3ELNS1_11target_archE908ELNS1_3gpuE7ELNS1_3repE0EEENS1_30default_config_static_selectorELNS0_4arch9wavefront6targetE1EEEvT1_,comdat
.Lfunc_end463:
	.size	_ZN7rocprim17ROCPRIM_400000_NS6detail17trampoline_kernelINS0_14default_configENS1_33run_length_encode_config_selectorIijNS0_4plusIjEEEEZZNS1_33reduce_by_key_impl_wrapped_configILNS1_25lookback_scan_determinismE0ES3_S7_PKiNS0_17constant_iteratorIjlEEPiPlSF_S6_NS0_8equal_toIiEEEE10hipError_tPvRmT2_T3_mT4_T5_T6_T7_T8_P12ihipStream_tbENKUlT_T0_E_clISt17integral_constantIbLb1EESY_IbLb0EEEEDaSU_SV_EUlSU_E_NS1_11comp_targetILNS1_3genE3ELNS1_11target_archE908ELNS1_3gpuE7ELNS1_3repE0EEENS1_30default_config_static_selectorELNS0_4arch9wavefront6targetE1EEEvT1_, .Lfunc_end463-_ZN7rocprim17ROCPRIM_400000_NS6detail17trampoline_kernelINS0_14default_configENS1_33run_length_encode_config_selectorIijNS0_4plusIjEEEEZZNS1_33reduce_by_key_impl_wrapped_configILNS1_25lookback_scan_determinismE0ES3_S7_PKiNS0_17constant_iteratorIjlEEPiPlSF_S6_NS0_8equal_toIiEEEE10hipError_tPvRmT2_T3_mT4_T5_T6_T7_T8_P12ihipStream_tbENKUlT_T0_E_clISt17integral_constantIbLb1EESY_IbLb0EEEEDaSU_SV_EUlSU_E_NS1_11comp_targetILNS1_3genE3ELNS1_11target_archE908ELNS1_3gpuE7ELNS1_3repE0EEENS1_30default_config_static_selectorELNS0_4arch9wavefront6targetE1EEEvT1_
                                        ; -- End function
	.section	.AMDGPU.csdata,"",@progbits
; Kernel info:
; codeLenInByte = 0
; NumSgprs: 4
; NumVgprs: 0
; NumAgprs: 0
; TotalNumVgprs: 0
; ScratchSize: 0
; MemoryBound: 0
; FloatMode: 240
; IeeeMode: 1
; LDSByteSize: 0 bytes/workgroup (compile time only)
; SGPRBlocks: 0
; VGPRBlocks: 0
; NumSGPRsForWavesPerEU: 4
; NumVGPRsForWavesPerEU: 1
; AccumOffset: 4
; Occupancy: 8
; WaveLimiterHint : 0
; COMPUTE_PGM_RSRC2:SCRATCH_EN: 0
; COMPUTE_PGM_RSRC2:USER_SGPR: 6
; COMPUTE_PGM_RSRC2:TRAP_HANDLER: 0
; COMPUTE_PGM_RSRC2:TGID_X_EN: 1
; COMPUTE_PGM_RSRC2:TGID_Y_EN: 0
; COMPUTE_PGM_RSRC2:TGID_Z_EN: 0
; COMPUTE_PGM_RSRC2:TIDIG_COMP_CNT: 0
; COMPUTE_PGM_RSRC3_GFX90A:ACCUM_OFFSET: 0
; COMPUTE_PGM_RSRC3_GFX90A:TG_SPLIT: 0
	.section	.text._ZN7rocprim17ROCPRIM_400000_NS6detail17trampoline_kernelINS0_14default_configENS1_33run_length_encode_config_selectorIijNS0_4plusIjEEEEZZNS1_33reduce_by_key_impl_wrapped_configILNS1_25lookback_scan_determinismE0ES3_S7_PKiNS0_17constant_iteratorIjlEEPiPlSF_S6_NS0_8equal_toIiEEEE10hipError_tPvRmT2_T3_mT4_T5_T6_T7_T8_P12ihipStream_tbENKUlT_T0_E_clISt17integral_constantIbLb1EESY_IbLb0EEEEDaSU_SV_EUlSU_E_NS1_11comp_targetILNS1_3genE2ELNS1_11target_archE906ELNS1_3gpuE6ELNS1_3repE0EEENS1_30default_config_static_selectorELNS0_4arch9wavefront6targetE1EEEvT1_,"axG",@progbits,_ZN7rocprim17ROCPRIM_400000_NS6detail17trampoline_kernelINS0_14default_configENS1_33run_length_encode_config_selectorIijNS0_4plusIjEEEEZZNS1_33reduce_by_key_impl_wrapped_configILNS1_25lookback_scan_determinismE0ES3_S7_PKiNS0_17constant_iteratorIjlEEPiPlSF_S6_NS0_8equal_toIiEEEE10hipError_tPvRmT2_T3_mT4_T5_T6_T7_T8_P12ihipStream_tbENKUlT_T0_E_clISt17integral_constantIbLb1EESY_IbLb0EEEEDaSU_SV_EUlSU_E_NS1_11comp_targetILNS1_3genE2ELNS1_11target_archE906ELNS1_3gpuE6ELNS1_3repE0EEENS1_30default_config_static_selectorELNS0_4arch9wavefront6targetE1EEEvT1_,comdat
	.protected	_ZN7rocprim17ROCPRIM_400000_NS6detail17trampoline_kernelINS0_14default_configENS1_33run_length_encode_config_selectorIijNS0_4plusIjEEEEZZNS1_33reduce_by_key_impl_wrapped_configILNS1_25lookback_scan_determinismE0ES3_S7_PKiNS0_17constant_iteratorIjlEEPiPlSF_S6_NS0_8equal_toIiEEEE10hipError_tPvRmT2_T3_mT4_T5_T6_T7_T8_P12ihipStream_tbENKUlT_T0_E_clISt17integral_constantIbLb1EESY_IbLb0EEEEDaSU_SV_EUlSU_E_NS1_11comp_targetILNS1_3genE2ELNS1_11target_archE906ELNS1_3gpuE6ELNS1_3repE0EEENS1_30default_config_static_selectorELNS0_4arch9wavefront6targetE1EEEvT1_ ; -- Begin function _ZN7rocprim17ROCPRIM_400000_NS6detail17trampoline_kernelINS0_14default_configENS1_33run_length_encode_config_selectorIijNS0_4plusIjEEEEZZNS1_33reduce_by_key_impl_wrapped_configILNS1_25lookback_scan_determinismE0ES3_S7_PKiNS0_17constant_iteratorIjlEEPiPlSF_S6_NS0_8equal_toIiEEEE10hipError_tPvRmT2_T3_mT4_T5_T6_T7_T8_P12ihipStream_tbENKUlT_T0_E_clISt17integral_constantIbLb1EESY_IbLb0EEEEDaSU_SV_EUlSU_E_NS1_11comp_targetILNS1_3genE2ELNS1_11target_archE906ELNS1_3gpuE6ELNS1_3repE0EEENS1_30default_config_static_selectorELNS0_4arch9wavefront6targetE1EEEvT1_
	.globl	_ZN7rocprim17ROCPRIM_400000_NS6detail17trampoline_kernelINS0_14default_configENS1_33run_length_encode_config_selectorIijNS0_4plusIjEEEEZZNS1_33reduce_by_key_impl_wrapped_configILNS1_25lookback_scan_determinismE0ES3_S7_PKiNS0_17constant_iteratorIjlEEPiPlSF_S6_NS0_8equal_toIiEEEE10hipError_tPvRmT2_T3_mT4_T5_T6_T7_T8_P12ihipStream_tbENKUlT_T0_E_clISt17integral_constantIbLb1EESY_IbLb0EEEEDaSU_SV_EUlSU_E_NS1_11comp_targetILNS1_3genE2ELNS1_11target_archE906ELNS1_3gpuE6ELNS1_3repE0EEENS1_30default_config_static_selectorELNS0_4arch9wavefront6targetE1EEEvT1_
	.p2align	8
	.type	_ZN7rocprim17ROCPRIM_400000_NS6detail17trampoline_kernelINS0_14default_configENS1_33run_length_encode_config_selectorIijNS0_4plusIjEEEEZZNS1_33reduce_by_key_impl_wrapped_configILNS1_25lookback_scan_determinismE0ES3_S7_PKiNS0_17constant_iteratorIjlEEPiPlSF_S6_NS0_8equal_toIiEEEE10hipError_tPvRmT2_T3_mT4_T5_T6_T7_T8_P12ihipStream_tbENKUlT_T0_E_clISt17integral_constantIbLb1EESY_IbLb0EEEEDaSU_SV_EUlSU_E_NS1_11comp_targetILNS1_3genE2ELNS1_11target_archE906ELNS1_3gpuE6ELNS1_3repE0EEENS1_30default_config_static_selectorELNS0_4arch9wavefront6targetE1EEEvT1_,@function
_ZN7rocprim17ROCPRIM_400000_NS6detail17trampoline_kernelINS0_14default_configENS1_33run_length_encode_config_selectorIijNS0_4plusIjEEEEZZNS1_33reduce_by_key_impl_wrapped_configILNS1_25lookback_scan_determinismE0ES3_S7_PKiNS0_17constant_iteratorIjlEEPiPlSF_S6_NS0_8equal_toIiEEEE10hipError_tPvRmT2_T3_mT4_T5_T6_T7_T8_P12ihipStream_tbENKUlT_T0_E_clISt17integral_constantIbLb1EESY_IbLb0EEEEDaSU_SV_EUlSU_E_NS1_11comp_targetILNS1_3genE2ELNS1_11target_archE906ELNS1_3gpuE6ELNS1_3repE0EEENS1_30default_config_static_selectorELNS0_4arch9wavefront6targetE1EEEvT1_: ; @_ZN7rocprim17ROCPRIM_400000_NS6detail17trampoline_kernelINS0_14default_configENS1_33run_length_encode_config_selectorIijNS0_4plusIjEEEEZZNS1_33reduce_by_key_impl_wrapped_configILNS1_25lookback_scan_determinismE0ES3_S7_PKiNS0_17constant_iteratorIjlEEPiPlSF_S6_NS0_8equal_toIiEEEE10hipError_tPvRmT2_T3_mT4_T5_T6_T7_T8_P12ihipStream_tbENKUlT_T0_E_clISt17integral_constantIbLb1EESY_IbLb0EEEEDaSU_SV_EUlSU_E_NS1_11comp_targetILNS1_3genE2ELNS1_11target_archE906ELNS1_3gpuE6ELNS1_3repE0EEENS1_30default_config_static_selectorELNS0_4arch9wavefront6targetE1EEEvT1_
; %bb.0:
	.section	.rodata,"a",@progbits
	.p2align	6, 0x0
	.amdhsa_kernel _ZN7rocprim17ROCPRIM_400000_NS6detail17trampoline_kernelINS0_14default_configENS1_33run_length_encode_config_selectorIijNS0_4plusIjEEEEZZNS1_33reduce_by_key_impl_wrapped_configILNS1_25lookback_scan_determinismE0ES3_S7_PKiNS0_17constant_iteratorIjlEEPiPlSF_S6_NS0_8equal_toIiEEEE10hipError_tPvRmT2_T3_mT4_T5_T6_T7_T8_P12ihipStream_tbENKUlT_T0_E_clISt17integral_constantIbLb1EESY_IbLb0EEEEDaSU_SV_EUlSU_E_NS1_11comp_targetILNS1_3genE2ELNS1_11target_archE906ELNS1_3gpuE6ELNS1_3repE0EEENS1_30default_config_static_selectorELNS0_4arch9wavefront6targetE1EEEvT1_
		.amdhsa_group_segment_fixed_size 0
		.amdhsa_private_segment_fixed_size 0
		.amdhsa_kernarg_size 128
		.amdhsa_user_sgpr_count 6
		.amdhsa_user_sgpr_private_segment_buffer 1
		.amdhsa_user_sgpr_dispatch_ptr 0
		.amdhsa_user_sgpr_queue_ptr 0
		.amdhsa_user_sgpr_kernarg_segment_ptr 1
		.amdhsa_user_sgpr_dispatch_id 0
		.amdhsa_user_sgpr_flat_scratch_init 0
		.amdhsa_user_sgpr_kernarg_preload_length 0
		.amdhsa_user_sgpr_kernarg_preload_offset 0
		.amdhsa_user_sgpr_private_segment_size 0
		.amdhsa_uses_dynamic_stack 0
		.amdhsa_system_sgpr_private_segment_wavefront_offset 0
		.amdhsa_system_sgpr_workgroup_id_x 1
		.amdhsa_system_sgpr_workgroup_id_y 0
		.amdhsa_system_sgpr_workgroup_id_z 0
		.amdhsa_system_sgpr_workgroup_info 0
		.amdhsa_system_vgpr_workitem_id 0
		.amdhsa_next_free_vgpr 1
		.amdhsa_next_free_sgpr 0
		.amdhsa_accum_offset 4
		.amdhsa_reserve_vcc 0
		.amdhsa_reserve_flat_scratch 0
		.amdhsa_float_round_mode_32 0
		.amdhsa_float_round_mode_16_64 0
		.amdhsa_float_denorm_mode_32 3
		.amdhsa_float_denorm_mode_16_64 3
		.amdhsa_dx10_clamp 1
		.amdhsa_ieee_mode 1
		.amdhsa_fp16_overflow 0
		.amdhsa_tg_split 0
		.amdhsa_exception_fp_ieee_invalid_op 0
		.amdhsa_exception_fp_denorm_src 0
		.amdhsa_exception_fp_ieee_div_zero 0
		.amdhsa_exception_fp_ieee_overflow 0
		.amdhsa_exception_fp_ieee_underflow 0
		.amdhsa_exception_fp_ieee_inexact 0
		.amdhsa_exception_int_div_zero 0
	.end_amdhsa_kernel
	.section	.text._ZN7rocprim17ROCPRIM_400000_NS6detail17trampoline_kernelINS0_14default_configENS1_33run_length_encode_config_selectorIijNS0_4plusIjEEEEZZNS1_33reduce_by_key_impl_wrapped_configILNS1_25lookback_scan_determinismE0ES3_S7_PKiNS0_17constant_iteratorIjlEEPiPlSF_S6_NS0_8equal_toIiEEEE10hipError_tPvRmT2_T3_mT4_T5_T6_T7_T8_P12ihipStream_tbENKUlT_T0_E_clISt17integral_constantIbLb1EESY_IbLb0EEEEDaSU_SV_EUlSU_E_NS1_11comp_targetILNS1_3genE2ELNS1_11target_archE906ELNS1_3gpuE6ELNS1_3repE0EEENS1_30default_config_static_selectorELNS0_4arch9wavefront6targetE1EEEvT1_,"axG",@progbits,_ZN7rocprim17ROCPRIM_400000_NS6detail17trampoline_kernelINS0_14default_configENS1_33run_length_encode_config_selectorIijNS0_4plusIjEEEEZZNS1_33reduce_by_key_impl_wrapped_configILNS1_25lookback_scan_determinismE0ES3_S7_PKiNS0_17constant_iteratorIjlEEPiPlSF_S6_NS0_8equal_toIiEEEE10hipError_tPvRmT2_T3_mT4_T5_T6_T7_T8_P12ihipStream_tbENKUlT_T0_E_clISt17integral_constantIbLb1EESY_IbLb0EEEEDaSU_SV_EUlSU_E_NS1_11comp_targetILNS1_3genE2ELNS1_11target_archE906ELNS1_3gpuE6ELNS1_3repE0EEENS1_30default_config_static_selectorELNS0_4arch9wavefront6targetE1EEEvT1_,comdat
.Lfunc_end464:
	.size	_ZN7rocprim17ROCPRIM_400000_NS6detail17trampoline_kernelINS0_14default_configENS1_33run_length_encode_config_selectorIijNS0_4plusIjEEEEZZNS1_33reduce_by_key_impl_wrapped_configILNS1_25lookback_scan_determinismE0ES3_S7_PKiNS0_17constant_iteratorIjlEEPiPlSF_S6_NS0_8equal_toIiEEEE10hipError_tPvRmT2_T3_mT4_T5_T6_T7_T8_P12ihipStream_tbENKUlT_T0_E_clISt17integral_constantIbLb1EESY_IbLb0EEEEDaSU_SV_EUlSU_E_NS1_11comp_targetILNS1_3genE2ELNS1_11target_archE906ELNS1_3gpuE6ELNS1_3repE0EEENS1_30default_config_static_selectorELNS0_4arch9wavefront6targetE1EEEvT1_, .Lfunc_end464-_ZN7rocprim17ROCPRIM_400000_NS6detail17trampoline_kernelINS0_14default_configENS1_33run_length_encode_config_selectorIijNS0_4plusIjEEEEZZNS1_33reduce_by_key_impl_wrapped_configILNS1_25lookback_scan_determinismE0ES3_S7_PKiNS0_17constant_iteratorIjlEEPiPlSF_S6_NS0_8equal_toIiEEEE10hipError_tPvRmT2_T3_mT4_T5_T6_T7_T8_P12ihipStream_tbENKUlT_T0_E_clISt17integral_constantIbLb1EESY_IbLb0EEEEDaSU_SV_EUlSU_E_NS1_11comp_targetILNS1_3genE2ELNS1_11target_archE906ELNS1_3gpuE6ELNS1_3repE0EEENS1_30default_config_static_selectorELNS0_4arch9wavefront6targetE1EEEvT1_
                                        ; -- End function
	.section	.AMDGPU.csdata,"",@progbits
; Kernel info:
; codeLenInByte = 0
; NumSgprs: 4
; NumVgprs: 0
; NumAgprs: 0
; TotalNumVgprs: 0
; ScratchSize: 0
; MemoryBound: 0
; FloatMode: 240
; IeeeMode: 1
; LDSByteSize: 0 bytes/workgroup (compile time only)
; SGPRBlocks: 0
; VGPRBlocks: 0
; NumSGPRsForWavesPerEU: 4
; NumVGPRsForWavesPerEU: 1
; AccumOffset: 4
; Occupancy: 8
; WaveLimiterHint : 0
; COMPUTE_PGM_RSRC2:SCRATCH_EN: 0
; COMPUTE_PGM_RSRC2:USER_SGPR: 6
; COMPUTE_PGM_RSRC2:TRAP_HANDLER: 0
; COMPUTE_PGM_RSRC2:TGID_X_EN: 1
; COMPUTE_PGM_RSRC2:TGID_Y_EN: 0
; COMPUTE_PGM_RSRC2:TGID_Z_EN: 0
; COMPUTE_PGM_RSRC2:TIDIG_COMP_CNT: 0
; COMPUTE_PGM_RSRC3_GFX90A:ACCUM_OFFSET: 0
; COMPUTE_PGM_RSRC3_GFX90A:TG_SPLIT: 0
	.section	.text._ZN7rocprim17ROCPRIM_400000_NS6detail17trampoline_kernelINS0_14default_configENS1_33run_length_encode_config_selectorIijNS0_4plusIjEEEEZZNS1_33reduce_by_key_impl_wrapped_configILNS1_25lookback_scan_determinismE0ES3_S7_PKiNS0_17constant_iteratorIjlEEPiPlSF_S6_NS0_8equal_toIiEEEE10hipError_tPvRmT2_T3_mT4_T5_T6_T7_T8_P12ihipStream_tbENKUlT_T0_E_clISt17integral_constantIbLb1EESY_IbLb0EEEEDaSU_SV_EUlSU_E_NS1_11comp_targetILNS1_3genE10ELNS1_11target_archE1201ELNS1_3gpuE5ELNS1_3repE0EEENS1_30default_config_static_selectorELNS0_4arch9wavefront6targetE1EEEvT1_,"axG",@progbits,_ZN7rocprim17ROCPRIM_400000_NS6detail17trampoline_kernelINS0_14default_configENS1_33run_length_encode_config_selectorIijNS0_4plusIjEEEEZZNS1_33reduce_by_key_impl_wrapped_configILNS1_25lookback_scan_determinismE0ES3_S7_PKiNS0_17constant_iteratorIjlEEPiPlSF_S6_NS0_8equal_toIiEEEE10hipError_tPvRmT2_T3_mT4_T5_T6_T7_T8_P12ihipStream_tbENKUlT_T0_E_clISt17integral_constantIbLb1EESY_IbLb0EEEEDaSU_SV_EUlSU_E_NS1_11comp_targetILNS1_3genE10ELNS1_11target_archE1201ELNS1_3gpuE5ELNS1_3repE0EEENS1_30default_config_static_selectorELNS0_4arch9wavefront6targetE1EEEvT1_,comdat
	.protected	_ZN7rocprim17ROCPRIM_400000_NS6detail17trampoline_kernelINS0_14default_configENS1_33run_length_encode_config_selectorIijNS0_4plusIjEEEEZZNS1_33reduce_by_key_impl_wrapped_configILNS1_25lookback_scan_determinismE0ES3_S7_PKiNS0_17constant_iteratorIjlEEPiPlSF_S6_NS0_8equal_toIiEEEE10hipError_tPvRmT2_T3_mT4_T5_T6_T7_T8_P12ihipStream_tbENKUlT_T0_E_clISt17integral_constantIbLb1EESY_IbLb0EEEEDaSU_SV_EUlSU_E_NS1_11comp_targetILNS1_3genE10ELNS1_11target_archE1201ELNS1_3gpuE5ELNS1_3repE0EEENS1_30default_config_static_selectorELNS0_4arch9wavefront6targetE1EEEvT1_ ; -- Begin function _ZN7rocprim17ROCPRIM_400000_NS6detail17trampoline_kernelINS0_14default_configENS1_33run_length_encode_config_selectorIijNS0_4plusIjEEEEZZNS1_33reduce_by_key_impl_wrapped_configILNS1_25lookback_scan_determinismE0ES3_S7_PKiNS0_17constant_iteratorIjlEEPiPlSF_S6_NS0_8equal_toIiEEEE10hipError_tPvRmT2_T3_mT4_T5_T6_T7_T8_P12ihipStream_tbENKUlT_T0_E_clISt17integral_constantIbLb1EESY_IbLb0EEEEDaSU_SV_EUlSU_E_NS1_11comp_targetILNS1_3genE10ELNS1_11target_archE1201ELNS1_3gpuE5ELNS1_3repE0EEENS1_30default_config_static_selectorELNS0_4arch9wavefront6targetE1EEEvT1_
	.globl	_ZN7rocprim17ROCPRIM_400000_NS6detail17trampoline_kernelINS0_14default_configENS1_33run_length_encode_config_selectorIijNS0_4plusIjEEEEZZNS1_33reduce_by_key_impl_wrapped_configILNS1_25lookback_scan_determinismE0ES3_S7_PKiNS0_17constant_iteratorIjlEEPiPlSF_S6_NS0_8equal_toIiEEEE10hipError_tPvRmT2_T3_mT4_T5_T6_T7_T8_P12ihipStream_tbENKUlT_T0_E_clISt17integral_constantIbLb1EESY_IbLb0EEEEDaSU_SV_EUlSU_E_NS1_11comp_targetILNS1_3genE10ELNS1_11target_archE1201ELNS1_3gpuE5ELNS1_3repE0EEENS1_30default_config_static_selectorELNS0_4arch9wavefront6targetE1EEEvT1_
	.p2align	8
	.type	_ZN7rocprim17ROCPRIM_400000_NS6detail17trampoline_kernelINS0_14default_configENS1_33run_length_encode_config_selectorIijNS0_4plusIjEEEEZZNS1_33reduce_by_key_impl_wrapped_configILNS1_25lookback_scan_determinismE0ES3_S7_PKiNS0_17constant_iteratorIjlEEPiPlSF_S6_NS0_8equal_toIiEEEE10hipError_tPvRmT2_T3_mT4_T5_T6_T7_T8_P12ihipStream_tbENKUlT_T0_E_clISt17integral_constantIbLb1EESY_IbLb0EEEEDaSU_SV_EUlSU_E_NS1_11comp_targetILNS1_3genE10ELNS1_11target_archE1201ELNS1_3gpuE5ELNS1_3repE0EEENS1_30default_config_static_selectorELNS0_4arch9wavefront6targetE1EEEvT1_,@function
_ZN7rocprim17ROCPRIM_400000_NS6detail17trampoline_kernelINS0_14default_configENS1_33run_length_encode_config_selectorIijNS0_4plusIjEEEEZZNS1_33reduce_by_key_impl_wrapped_configILNS1_25lookback_scan_determinismE0ES3_S7_PKiNS0_17constant_iteratorIjlEEPiPlSF_S6_NS0_8equal_toIiEEEE10hipError_tPvRmT2_T3_mT4_T5_T6_T7_T8_P12ihipStream_tbENKUlT_T0_E_clISt17integral_constantIbLb1EESY_IbLb0EEEEDaSU_SV_EUlSU_E_NS1_11comp_targetILNS1_3genE10ELNS1_11target_archE1201ELNS1_3gpuE5ELNS1_3repE0EEENS1_30default_config_static_selectorELNS0_4arch9wavefront6targetE1EEEvT1_: ; @_ZN7rocprim17ROCPRIM_400000_NS6detail17trampoline_kernelINS0_14default_configENS1_33run_length_encode_config_selectorIijNS0_4plusIjEEEEZZNS1_33reduce_by_key_impl_wrapped_configILNS1_25lookback_scan_determinismE0ES3_S7_PKiNS0_17constant_iteratorIjlEEPiPlSF_S6_NS0_8equal_toIiEEEE10hipError_tPvRmT2_T3_mT4_T5_T6_T7_T8_P12ihipStream_tbENKUlT_T0_E_clISt17integral_constantIbLb1EESY_IbLb0EEEEDaSU_SV_EUlSU_E_NS1_11comp_targetILNS1_3genE10ELNS1_11target_archE1201ELNS1_3gpuE5ELNS1_3repE0EEENS1_30default_config_static_selectorELNS0_4arch9wavefront6targetE1EEEvT1_
; %bb.0:
	.section	.rodata,"a",@progbits
	.p2align	6, 0x0
	.amdhsa_kernel _ZN7rocprim17ROCPRIM_400000_NS6detail17trampoline_kernelINS0_14default_configENS1_33run_length_encode_config_selectorIijNS0_4plusIjEEEEZZNS1_33reduce_by_key_impl_wrapped_configILNS1_25lookback_scan_determinismE0ES3_S7_PKiNS0_17constant_iteratorIjlEEPiPlSF_S6_NS0_8equal_toIiEEEE10hipError_tPvRmT2_T3_mT4_T5_T6_T7_T8_P12ihipStream_tbENKUlT_T0_E_clISt17integral_constantIbLb1EESY_IbLb0EEEEDaSU_SV_EUlSU_E_NS1_11comp_targetILNS1_3genE10ELNS1_11target_archE1201ELNS1_3gpuE5ELNS1_3repE0EEENS1_30default_config_static_selectorELNS0_4arch9wavefront6targetE1EEEvT1_
		.amdhsa_group_segment_fixed_size 0
		.amdhsa_private_segment_fixed_size 0
		.amdhsa_kernarg_size 128
		.amdhsa_user_sgpr_count 6
		.amdhsa_user_sgpr_private_segment_buffer 1
		.amdhsa_user_sgpr_dispatch_ptr 0
		.amdhsa_user_sgpr_queue_ptr 0
		.amdhsa_user_sgpr_kernarg_segment_ptr 1
		.amdhsa_user_sgpr_dispatch_id 0
		.amdhsa_user_sgpr_flat_scratch_init 0
		.amdhsa_user_sgpr_kernarg_preload_length 0
		.amdhsa_user_sgpr_kernarg_preload_offset 0
		.amdhsa_user_sgpr_private_segment_size 0
		.amdhsa_uses_dynamic_stack 0
		.amdhsa_system_sgpr_private_segment_wavefront_offset 0
		.amdhsa_system_sgpr_workgroup_id_x 1
		.amdhsa_system_sgpr_workgroup_id_y 0
		.amdhsa_system_sgpr_workgroup_id_z 0
		.amdhsa_system_sgpr_workgroup_info 0
		.amdhsa_system_vgpr_workitem_id 0
		.amdhsa_next_free_vgpr 1
		.amdhsa_next_free_sgpr 0
		.amdhsa_accum_offset 4
		.amdhsa_reserve_vcc 0
		.amdhsa_reserve_flat_scratch 0
		.amdhsa_float_round_mode_32 0
		.amdhsa_float_round_mode_16_64 0
		.amdhsa_float_denorm_mode_32 3
		.amdhsa_float_denorm_mode_16_64 3
		.amdhsa_dx10_clamp 1
		.amdhsa_ieee_mode 1
		.amdhsa_fp16_overflow 0
		.amdhsa_tg_split 0
		.amdhsa_exception_fp_ieee_invalid_op 0
		.amdhsa_exception_fp_denorm_src 0
		.amdhsa_exception_fp_ieee_div_zero 0
		.amdhsa_exception_fp_ieee_overflow 0
		.amdhsa_exception_fp_ieee_underflow 0
		.amdhsa_exception_fp_ieee_inexact 0
		.amdhsa_exception_int_div_zero 0
	.end_amdhsa_kernel
	.section	.text._ZN7rocprim17ROCPRIM_400000_NS6detail17trampoline_kernelINS0_14default_configENS1_33run_length_encode_config_selectorIijNS0_4plusIjEEEEZZNS1_33reduce_by_key_impl_wrapped_configILNS1_25lookback_scan_determinismE0ES3_S7_PKiNS0_17constant_iteratorIjlEEPiPlSF_S6_NS0_8equal_toIiEEEE10hipError_tPvRmT2_T3_mT4_T5_T6_T7_T8_P12ihipStream_tbENKUlT_T0_E_clISt17integral_constantIbLb1EESY_IbLb0EEEEDaSU_SV_EUlSU_E_NS1_11comp_targetILNS1_3genE10ELNS1_11target_archE1201ELNS1_3gpuE5ELNS1_3repE0EEENS1_30default_config_static_selectorELNS0_4arch9wavefront6targetE1EEEvT1_,"axG",@progbits,_ZN7rocprim17ROCPRIM_400000_NS6detail17trampoline_kernelINS0_14default_configENS1_33run_length_encode_config_selectorIijNS0_4plusIjEEEEZZNS1_33reduce_by_key_impl_wrapped_configILNS1_25lookback_scan_determinismE0ES3_S7_PKiNS0_17constant_iteratorIjlEEPiPlSF_S6_NS0_8equal_toIiEEEE10hipError_tPvRmT2_T3_mT4_T5_T6_T7_T8_P12ihipStream_tbENKUlT_T0_E_clISt17integral_constantIbLb1EESY_IbLb0EEEEDaSU_SV_EUlSU_E_NS1_11comp_targetILNS1_3genE10ELNS1_11target_archE1201ELNS1_3gpuE5ELNS1_3repE0EEENS1_30default_config_static_selectorELNS0_4arch9wavefront6targetE1EEEvT1_,comdat
.Lfunc_end465:
	.size	_ZN7rocprim17ROCPRIM_400000_NS6detail17trampoline_kernelINS0_14default_configENS1_33run_length_encode_config_selectorIijNS0_4plusIjEEEEZZNS1_33reduce_by_key_impl_wrapped_configILNS1_25lookback_scan_determinismE0ES3_S7_PKiNS0_17constant_iteratorIjlEEPiPlSF_S6_NS0_8equal_toIiEEEE10hipError_tPvRmT2_T3_mT4_T5_T6_T7_T8_P12ihipStream_tbENKUlT_T0_E_clISt17integral_constantIbLb1EESY_IbLb0EEEEDaSU_SV_EUlSU_E_NS1_11comp_targetILNS1_3genE10ELNS1_11target_archE1201ELNS1_3gpuE5ELNS1_3repE0EEENS1_30default_config_static_selectorELNS0_4arch9wavefront6targetE1EEEvT1_, .Lfunc_end465-_ZN7rocprim17ROCPRIM_400000_NS6detail17trampoline_kernelINS0_14default_configENS1_33run_length_encode_config_selectorIijNS0_4plusIjEEEEZZNS1_33reduce_by_key_impl_wrapped_configILNS1_25lookback_scan_determinismE0ES3_S7_PKiNS0_17constant_iteratorIjlEEPiPlSF_S6_NS0_8equal_toIiEEEE10hipError_tPvRmT2_T3_mT4_T5_T6_T7_T8_P12ihipStream_tbENKUlT_T0_E_clISt17integral_constantIbLb1EESY_IbLb0EEEEDaSU_SV_EUlSU_E_NS1_11comp_targetILNS1_3genE10ELNS1_11target_archE1201ELNS1_3gpuE5ELNS1_3repE0EEENS1_30default_config_static_selectorELNS0_4arch9wavefront6targetE1EEEvT1_
                                        ; -- End function
	.section	.AMDGPU.csdata,"",@progbits
; Kernel info:
; codeLenInByte = 0
; NumSgprs: 4
; NumVgprs: 0
; NumAgprs: 0
; TotalNumVgprs: 0
; ScratchSize: 0
; MemoryBound: 0
; FloatMode: 240
; IeeeMode: 1
; LDSByteSize: 0 bytes/workgroup (compile time only)
; SGPRBlocks: 0
; VGPRBlocks: 0
; NumSGPRsForWavesPerEU: 4
; NumVGPRsForWavesPerEU: 1
; AccumOffset: 4
; Occupancy: 8
; WaveLimiterHint : 0
; COMPUTE_PGM_RSRC2:SCRATCH_EN: 0
; COMPUTE_PGM_RSRC2:USER_SGPR: 6
; COMPUTE_PGM_RSRC2:TRAP_HANDLER: 0
; COMPUTE_PGM_RSRC2:TGID_X_EN: 1
; COMPUTE_PGM_RSRC2:TGID_Y_EN: 0
; COMPUTE_PGM_RSRC2:TGID_Z_EN: 0
; COMPUTE_PGM_RSRC2:TIDIG_COMP_CNT: 0
; COMPUTE_PGM_RSRC3_GFX90A:ACCUM_OFFSET: 0
; COMPUTE_PGM_RSRC3_GFX90A:TG_SPLIT: 0
	.section	.text._ZN7rocprim17ROCPRIM_400000_NS6detail17trampoline_kernelINS0_14default_configENS1_33run_length_encode_config_selectorIijNS0_4plusIjEEEEZZNS1_33reduce_by_key_impl_wrapped_configILNS1_25lookback_scan_determinismE0ES3_S7_PKiNS0_17constant_iteratorIjlEEPiPlSF_S6_NS0_8equal_toIiEEEE10hipError_tPvRmT2_T3_mT4_T5_T6_T7_T8_P12ihipStream_tbENKUlT_T0_E_clISt17integral_constantIbLb1EESY_IbLb0EEEEDaSU_SV_EUlSU_E_NS1_11comp_targetILNS1_3genE10ELNS1_11target_archE1200ELNS1_3gpuE4ELNS1_3repE0EEENS1_30default_config_static_selectorELNS0_4arch9wavefront6targetE1EEEvT1_,"axG",@progbits,_ZN7rocprim17ROCPRIM_400000_NS6detail17trampoline_kernelINS0_14default_configENS1_33run_length_encode_config_selectorIijNS0_4plusIjEEEEZZNS1_33reduce_by_key_impl_wrapped_configILNS1_25lookback_scan_determinismE0ES3_S7_PKiNS0_17constant_iteratorIjlEEPiPlSF_S6_NS0_8equal_toIiEEEE10hipError_tPvRmT2_T3_mT4_T5_T6_T7_T8_P12ihipStream_tbENKUlT_T0_E_clISt17integral_constantIbLb1EESY_IbLb0EEEEDaSU_SV_EUlSU_E_NS1_11comp_targetILNS1_3genE10ELNS1_11target_archE1200ELNS1_3gpuE4ELNS1_3repE0EEENS1_30default_config_static_selectorELNS0_4arch9wavefront6targetE1EEEvT1_,comdat
	.protected	_ZN7rocprim17ROCPRIM_400000_NS6detail17trampoline_kernelINS0_14default_configENS1_33run_length_encode_config_selectorIijNS0_4plusIjEEEEZZNS1_33reduce_by_key_impl_wrapped_configILNS1_25lookback_scan_determinismE0ES3_S7_PKiNS0_17constant_iteratorIjlEEPiPlSF_S6_NS0_8equal_toIiEEEE10hipError_tPvRmT2_T3_mT4_T5_T6_T7_T8_P12ihipStream_tbENKUlT_T0_E_clISt17integral_constantIbLb1EESY_IbLb0EEEEDaSU_SV_EUlSU_E_NS1_11comp_targetILNS1_3genE10ELNS1_11target_archE1200ELNS1_3gpuE4ELNS1_3repE0EEENS1_30default_config_static_selectorELNS0_4arch9wavefront6targetE1EEEvT1_ ; -- Begin function _ZN7rocprim17ROCPRIM_400000_NS6detail17trampoline_kernelINS0_14default_configENS1_33run_length_encode_config_selectorIijNS0_4plusIjEEEEZZNS1_33reduce_by_key_impl_wrapped_configILNS1_25lookback_scan_determinismE0ES3_S7_PKiNS0_17constant_iteratorIjlEEPiPlSF_S6_NS0_8equal_toIiEEEE10hipError_tPvRmT2_T3_mT4_T5_T6_T7_T8_P12ihipStream_tbENKUlT_T0_E_clISt17integral_constantIbLb1EESY_IbLb0EEEEDaSU_SV_EUlSU_E_NS1_11comp_targetILNS1_3genE10ELNS1_11target_archE1200ELNS1_3gpuE4ELNS1_3repE0EEENS1_30default_config_static_selectorELNS0_4arch9wavefront6targetE1EEEvT1_
	.globl	_ZN7rocprim17ROCPRIM_400000_NS6detail17trampoline_kernelINS0_14default_configENS1_33run_length_encode_config_selectorIijNS0_4plusIjEEEEZZNS1_33reduce_by_key_impl_wrapped_configILNS1_25lookback_scan_determinismE0ES3_S7_PKiNS0_17constant_iteratorIjlEEPiPlSF_S6_NS0_8equal_toIiEEEE10hipError_tPvRmT2_T3_mT4_T5_T6_T7_T8_P12ihipStream_tbENKUlT_T0_E_clISt17integral_constantIbLb1EESY_IbLb0EEEEDaSU_SV_EUlSU_E_NS1_11comp_targetILNS1_3genE10ELNS1_11target_archE1200ELNS1_3gpuE4ELNS1_3repE0EEENS1_30default_config_static_selectorELNS0_4arch9wavefront6targetE1EEEvT1_
	.p2align	8
	.type	_ZN7rocprim17ROCPRIM_400000_NS6detail17trampoline_kernelINS0_14default_configENS1_33run_length_encode_config_selectorIijNS0_4plusIjEEEEZZNS1_33reduce_by_key_impl_wrapped_configILNS1_25lookback_scan_determinismE0ES3_S7_PKiNS0_17constant_iteratorIjlEEPiPlSF_S6_NS0_8equal_toIiEEEE10hipError_tPvRmT2_T3_mT4_T5_T6_T7_T8_P12ihipStream_tbENKUlT_T0_E_clISt17integral_constantIbLb1EESY_IbLb0EEEEDaSU_SV_EUlSU_E_NS1_11comp_targetILNS1_3genE10ELNS1_11target_archE1200ELNS1_3gpuE4ELNS1_3repE0EEENS1_30default_config_static_selectorELNS0_4arch9wavefront6targetE1EEEvT1_,@function
_ZN7rocprim17ROCPRIM_400000_NS6detail17trampoline_kernelINS0_14default_configENS1_33run_length_encode_config_selectorIijNS0_4plusIjEEEEZZNS1_33reduce_by_key_impl_wrapped_configILNS1_25lookback_scan_determinismE0ES3_S7_PKiNS0_17constant_iteratorIjlEEPiPlSF_S6_NS0_8equal_toIiEEEE10hipError_tPvRmT2_T3_mT4_T5_T6_T7_T8_P12ihipStream_tbENKUlT_T0_E_clISt17integral_constantIbLb1EESY_IbLb0EEEEDaSU_SV_EUlSU_E_NS1_11comp_targetILNS1_3genE10ELNS1_11target_archE1200ELNS1_3gpuE4ELNS1_3repE0EEENS1_30default_config_static_selectorELNS0_4arch9wavefront6targetE1EEEvT1_: ; @_ZN7rocprim17ROCPRIM_400000_NS6detail17trampoline_kernelINS0_14default_configENS1_33run_length_encode_config_selectorIijNS0_4plusIjEEEEZZNS1_33reduce_by_key_impl_wrapped_configILNS1_25lookback_scan_determinismE0ES3_S7_PKiNS0_17constant_iteratorIjlEEPiPlSF_S6_NS0_8equal_toIiEEEE10hipError_tPvRmT2_T3_mT4_T5_T6_T7_T8_P12ihipStream_tbENKUlT_T0_E_clISt17integral_constantIbLb1EESY_IbLb0EEEEDaSU_SV_EUlSU_E_NS1_11comp_targetILNS1_3genE10ELNS1_11target_archE1200ELNS1_3gpuE4ELNS1_3repE0EEENS1_30default_config_static_selectorELNS0_4arch9wavefront6targetE1EEEvT1_
; %bb.0:
	.section	.rodata,"a",@progbits
	.p2align	6, 0x0
	.amdhsa_kernel _ZN7rocprim17ROCPRIM_400000_NS6detail17trampoline_kernelINS0_14default_configENS1_33run_length_encode_config_selectorIijNS0_4plusIjEEEEZZNS1_33reduce_by_key_impl_wrapped_configILNS1_25lookback_scan_determinismE0ES3_S7_PKiNS0_17constant_iteratorIjlEEPiPlSF_S6_NS0_8equal_toIiEEEE10hipError_tPvRmT2_T3_mT4_T5_T6_T7_T8_P12ihipStream_tbENKUlT_T0_E_clISt17integral_constantIbLb1EESY_IbLb0EEEEDaSU_SV_EUlSU_E_NS1_11comp_targetILNS1_3genE10ELNS1_11target_archE1200ELNS1_3gpuE4ELNS1_3repE0EEENS1_30default_config_static_selectorELNS0_4arch9wavefront6targetE1EEEvT1_
		.amdhsa_group_segment_fixed_size 0
		.amdhsa_private_segment_fixed_size 0
		.amdhsa_kernarg_size 128
		.amdhsa_user_sgpr_count 6
		.amdhsa_user_sgpr_private_segment_buffer 1
		.amdhsa_user_sgpr_dispatch_ptr 0
		.amdhsa_user_sgpr_queue_ptr 0
		.amdhsa_user_sgpr_kernarg_segment_ptr 1
		.amdhsa_user_sgpr_dispatch_id 0
		.amdhsa_user_sgpr_flat_scratch_init 0
		.amdhsa_user_sgpr_kernarg_preload_length 0
		.amdhsa_user_sgpr_kernarg_preload_offset 0
		.amdhsa_user_sgpr_private_segment_size 0
		.amdhsa_uses_dynamic_stack 0
		.amdhsa_system_sgpr_private_segment_wavefront_offset 0
		.amdhsa_system_sgpr_workgroup_id_x 1
		.amdhsa_system_sgpr_workgroup_id_y 0
		.amdhsa_system_sgpr_workgroup_id_z 0
		.amdhsa_system_sgpr_workgroup_info 0
		.amdhsa_system_vgpr_workitem_id 0
		.amdhsa_next_free_vgpr 1
		.amdhsa_next_free_sgpr 0
		.amdhsa_accum_offset 4
		.amdhsa_reserve_vcc 0
		.amdhsa_reserve_flat_scratch 0
		.amdhsa_float_round_mode_32 0
		.amdhsa_float_round_mode_16_64 0
		.amdhsa_float_denorm_mode_32 3
		.amdhsa_float_denorm_mode_16_64 3
		.amdhsa_dx10_clamp 1
		.amdhsa_ieee_mode 1
		.amdhsa_fp16_overflow 0
		.amdhsa_tg_split 0
		.amdhsa_exception_fp_ieee_invalid_op 0
		.amdhsa_exception_fp_denorm_src 0
		.amdhsa_exception_fp_ieee_div_zero 0
		.amdhsa_exception_fp_ieee_overflow 0
		.amdhsa_exception_fp_ieee_underflow 0
		.amdhsa_exception_fp_ieee_inexact 0
		.amdhsa_exception_int_div_zero 0
	.end_amdhsa_kernel
	.section	.text._ZN7rocprim17ROCPRIM_400000_NS6detail17trampoline_kernelINS0_14default_configENS1_33run_length_encode_config_selectorIijNS0_4plusIjEEEEZZNS1_33reduce_by_key_impl_wrapped_configILNS1_25lookback_scan_determinismE0ES3_S7_PKiNS0_17constant_iteratorIjlEEPiPlSF_S6_NS0_8equal_toIiEEEE10hipError_tPvRmT2_T3_mT4_T5_T6_T7_T8_P12ihipStream_tbENKUlT_T0_E_clISt17integral_constantIbLb1EESY_IbLb0EEEEDaSU_SV_EUlSU_E_NS1_11comp_targetILNS1_3genE10ELNS1_11target_archE1200ELNS1_3gpuE4ELNS1_3repE0EEENS1_30default_config_static_selectorELNS0_4arch9wavefront6targetE1EEEvT1_,"axG",@progbits,_ZN7rocprim17ROCPRIM_400000_NS6detail17trampoline_kernelINS0_14default_configENS1_33run_length_encode_config_selectorIijNS0_4plusIjEEEEZZNS1_33reduce_by_key_impl_wrapped_configILNS1_25lookback_scan_determinismE0ES3_S7_PKiNS0_17constant_iteratorIjlEEPiPlSF_S6_NS0_8equal_toIiEEEE10hipError_tPvRmT2_T3_mT4_T5_T6_T7_T8_P12ihipStream_tbENKUlT_T0_E_clISt17integral_constantIbLb1EESY_IbLb0EEEEDaSU_SV_EUlSU_E_NS1_11comp_targetILNS1_3genE10ELNS1_11target_archE1200ELNS1_3gpuE4ELNS1_3repE0EEENS1_30default_config_static_selectorELNS0_4arch9wavefront6targetE1EEEvT1_,comdat
.Lfunc_end466:
	.size	_ZN7rocprim17ROCPRIM_400000_NS6detail17trampoline_kernelINS0_14default_configENS1_33run_length_encode_config_selectorIijNS0_4plusIjEEEEZZNS1_33reduce_by_key_impl_wrapped_configILNS1_25lookback_scan_determinismE0ES3_S7_PKiNS0_17constant_iteratorIjlEEPiPlSF_S6_NS0_8equal_toIiEEEE10hipError_tPvRmT2_T3_mT4_T5_T6_T7_T8_P12ihipStream_tbENKUlT_T0_E_clISt17integral_constantIbLb1EESY_IbLb0EEEEDaSU_SV_EUlSU_E_NS1_11comp_targetILNS1_3genE10ELNS1_11target_archE1200ELNS1_3gpuE4ELNS1_3repE0EEENS1_30default_config_static_selectorELNS0_4arch9wavefront6targetE1EEEvT1_, .Lfunc_end466-_ZN7rocprim17ROCPRIM_400000_NS6detail17trampoline_kernelINS0_14default_configENS1_33run_length_encode_config_selectorIijNS0_4plusIjEEEEZZNS1_33reduce_by_key_impl_wrapped_configILNS1_25lookback_scan_determinismE0ES3_S7_PKiNS0_17constant_iteratorIjlEEPiPlSF_S6_NS0_8equal_toIiEEEE10hipError_tPvRmT2_T3_mT4_T5_T6_T7_T8_P12ihipStream_tbENKUlT_T0_E_clISt17integral_constantIbLb1EESY_IbLb0EEEEDaSU_SV_EUlSU_E_NS1_11comp_targetILNS1_3genE10ELNS1_11target_archE1200ELNS1_3gpuE4ELNS1_3repE0EEENS1_30default_config_static_selectorELNS0_4arch9wavefront6targetE1EEEvT1_
                                        ; -- End function
	.section	.AMDGPU.csdata,"",@progbits
; Kernel info:
; codeLenInByte = 0
; NumSgprs: 4
; NumVgprs: 0
; NumAgprs: 0
; TotalNumVgprs: 0
; ScratchSize: 0
; MemoryBound: 0
; FloatMode: 240
; IeeeMode: 1
; LDSByteSize: 0 bytes/workgroup (compile time only)
; SGPRBlocks: 0
; VGPRBlocks: 0
; NumSGPRsForWavesPerEU: 4
; NumVGPRsForWavesPerEU: 1
; AccumOffset: 4
; Occupancy: 8
; WaveLimiterHint : 0
; COMPUTE_PGM_RSRC2:SCRATCH_EN: 0
; COMPUTE_PGM_RSRC2:USER_SGPR: 6
; COMPUTE_PGM_RSRC2:TRAP_HANDLER: 0
; COMPUTE_PGM_RSRC2:TGID_X_EN: 1
; COMPUTE_PGM_RSRC2:TGID_Y_EN: 0
; COMPUTE_PGM_RSRC2:TGID_Z_EN: 0
; COMPUTE_PGM_RSRC2:TIDIG_COMP_CNT: 0
; COMPUTE_PGM_RSRC3_GFX90A:ACCUM_OFFSET: 0
; COMPUTE_PGM_RSRC3_GFX90A:TG_SPLIT: 0
	.section	.text._ZN7rocprim17ROCPRIM_400000_NS6detail17trampoline_kernelINS0_14default_configENS1_33run_length_encode_config_selectorIijNS0_4plusIjEEEEZZNS1_33reduce_by_key_impl_wrapped_configILNS1_25lookback_scan_determinismE0ES3_S7_PKiNS0_17constant_iteratorIjlEEPiPlSF_S6_NS0_8equal_toIiEEEE10hipError_tPvRmT2_T3_mT4_T5_T6_T7_T8_P12ihipStream_tbENKUlT_T0_E_clISt17integral_constantIbLb1EESY_IbLb0EEEEDaSU_SV_EUlSU_E_NS1_11comp_targetILNS1_3genE9ELNS1_11target_archE1100ELNS1_3gpuE3ELNS1_3repE0EEENS1_30default_config_static_selectorELNS0_4arch9wavefront6targetE1EEEvT1_,"axG",@progbits,_ZN7rocprim17ROCPRIM_400000_NS6detail17trampoline_kernelINS0_14default_configENS1_33run_length_encode_config_selectorIijNS0_4plusIjEEEEZZNS1_33reduce_by_key_impl_wrapped_configILNS1_25lookback_scan_determinismE0ES3_S7_PKiNS0_17constant_iteratorIjlEEPiPlSF_S6_NS0_8equal_toIiEEEE10hipError_tPvRmT2_T3_mT4_T5_T6_T7_T8_P12ihipStream_tbENKUlT_T0_E_clISt17integral_constantIbLb1EESY_IbLb0EEEEDaSU_SV_EUlSU_E_NS1_11comp_targetILNS1_3genE9ELNS1_11target_archE1100ELNS1_3gpuE3ELNS1_3repE0EEENS1_30default_config_static_selectorELNS0_4arch9wavefront6targetE1EEEvT1_,comdat
	.protected	_ZN7rocprim17ROCPRIM_400000_NS6detail17trampoline_kernelINS0_14default_configENS1_33run_length_encode_config_selectorIijNS0_4plusIjEEEEZZNS1_33reduce_by_key_impl_wrapped_configILNS1_25lookback_scan_determinismE0ES3_S7_PKiNS0_17constant_iteratorIjlEEPiPlSF_S6_NS0_8equal_toIiEEEE10hipError_tPvRmT2_T3_mT4_T5_T6_T7_T8_P12ihipStream_tbENKUlT_T0_E_clISt17integral_constantIbLb1EESY_IbLb0EEEEDaSU_SV_EUlSU_E_NS1_11comp_targetILNS1_3genE9ELNS1_11target_archE1100ELNS1_3gpuE3ELNS1_3repE0EEENS1_30default_config_static_selectorELNS0_4arch9wavefront6targetE1EEEvT1_ ; -- Begin function _ZN7rocprim17ROCPRIM_400000_NS6detail17trampoline_kernelINS0_14default_configENS1_33run_length_encode_config_selectorIijNS0_4plusIjEEEEZZNS1_33reduce_by_key_impl_wrapped_configILNS1_25lookback_scan_determinismE0ES3_S7_PKiNS0_17constant_iteratorIjlEEPiPlSF_S6_NS0_8equal_toIiEEEE10hipError_tPvRmT2_T3_mT4_T5_T6_T7_T8_P12ihipStream_tbENKUlT_T0_E_clISt17integral_constantIbLb1EESY_IbLb0EEEEDaSU_SV_EUlSU_E_NS1_11comp_targetILNS1_3genE9ELNS1_11target_archE1100ELNS1_3gpuE3ELNS1_3repE0EEENS1_30default_config_static_selectorELNS0_4arch9wavefront6targetE1EEEvT1_
	.globl	_ZN7rocprim17ROCPRIM_400000_NS6detail17trampoline_kernelINS0_14default_configENS1_33run_length_encode_config_selectorIijNS0_4plusIjEEEEZZNS1_33reduce_by_key_impl_wrapped_configILNS1_25lookback_scan_determinismE0ES3_S7_PKiNS0_17constant_iteratorIjlEEPiPlSF_S6_NS0_8equal_toIiEEEE10hipError_tPvRmT2_T3_mT4_T5_T6_T7_T8_P12ihipStream_tbENKUlT_T0_E_clISt17integral_constantIbLb1EESY_IbLb0EEEEDaSU_SV_EUlSU_E_NS1_11comp_targetILNS1_3genE9ELNS1_11target_archE1100ELNS1_3gpuE3ELNS1_3repE0EEENS1_30default_config_static_selectorELNS0_4arch9wavefront6targetE1EEEvT1_
	.p2align	8
	.type	_ZN7rocprim17ROCPRIM_400000_NS6detail17trampoline_kernelINS0_14default_configENS1_33run_length_encode_config_selectorIijNS0_4plusIjEEEEZZNS1_33reduce_by_key_impl_wrapped_configILNS1_25lookback_scan_determinismE0ES3_S7_PKiNS0_17constant_iteratorIjlEEPiPlSF_S6_NS0_8equal_toIiEEEE10hipError_tPvRmT2_T3_mT4_T5_T6_T7_T8_P12ihipStream_tbENKUlT_T0_E_clISt17integral_constantIbLb1EESY_IbLb0EEEEDaSU_SV_EUlSU_E_NS1_11comp_targetILNS1_3genE9ELNS1_11target_archE1100ELNS1_3gpuE3ELNS1_3repE0EEENS1_30default_config_static_selectorELNS0_4arch9wavefront6targetE1EEEvT1_,@function
_ZN7rocprim17ROCPRIM_400000_NS6detail17trampoline_kernelINS0_14default_configENS1_33run_length_encode_config_selectorIijNS0_4plusIjEEEEZZNS1_33reduce_by_key_impl_wrapped_configILNS1_25lookback_scan_determinismE0ES3_S7_PKiNS0_17constant_iteratorIjlEEPiPlSF_S6_NS0_8equal_toIiEEEE10hipError_tPvRmT2_T3_mT4_T5_T6_T7_T8_P12ihipStream_tbENKUlT_T0_E_clISt17integral_constantIbLb1EESY_IbLb0EEEEDaSU_SV_EUlSU_E_NS1_11comp_targetILNS1_3genE9ELNS1_11target_archE1100ELNS1_3gpuE3ELNS1_3repE0EEENS1_30default_config_static_selectorELNS0_4arch9wavefront6targetE1EEEvT1_: ; @_ZN7rocprim17ROCPRIM_400000_NS6detail17trampoline_kernelINS0_14default_configENS1_33run_length_encode_config_selectorIijNS0_4plusIjEEEEZZNS1_33reduce_by_key_impl_wrapped_configILNS1_25lookback_scan_determinismE0ES3_S7_PKiNS0_17constant_iteratorIjlEEPiPlSF_S6_NS0_8equal_toIiEEEE10hipError_tPvRmT2_T3_mT4_T5_T6_T7_T8_P12ihipStream_tbENKUlT_T0_E_clISt17integral_constantIbLb1EESY_IbLb0EEEEDaSU_SV_EUlSU_E_NS1_11comp_targetILNS1_3genE9ELNS1_11target_archE1100ELNS1_3gpuE3ELNS1_3repE0EEENS1_30default_config_static_selectorELNS0_4arch9wavefront6targetE1EEEvT1_
; %bb.0:
	.section	.rodata,"a",@progbits
	.p2align	6, 0x0
	.amdhsa_kernel _ZN7rocprim17ROCPRIM_400000_NS6detail17trampoline_kernelINS0_14default_configENS1_33run_length_encode_config_selectorIijNS0_4plusIjEEEEZZNS1_33reduce_by_key_impl_wrapped_configILNS1_25lookback_scan_determinismE0ES3_S7_PKiNS0_17constant_iteratorIjlEEPiPlSF_S6_NS0_8equal_toIiEEEE10hipError_tPvRmT2_T3_mT4_T5_T6_T7_T8_P12ihipStream_tbENKUlT_T0_E_clISt17integral_constantIbLb1EESY_IbLb0EEEEDaSU_SV_EUlSU_E_NS1_11comp_targetILNS1_3genE9ELNS1_11target_archE1100ELNS1_3gpuE3ELNS1_3repE0EEENS1_30default_config_static_selectorELNS0_4arch9wavefront6targetE1EEEvT1_
		.amdhsa_group_segment_fixed_size 0
		.amdhsa_private_segment_fixed_size 0
		.amdhsa_kernarg_size 128
		.amdhsa_user_sgpr_count 6
		.amdhsa_user_sgpr_private_segment_buffer 1
		.amdhsa_user_sgpr_dispatch_ptr 0
		.amdhsa_user_sgpr_queue_ptr 0
		.amdhsa_user_sgpr_kernarg_segment_ptr 1
		.amdhsa_user_sgpr_dispatch_id 0
		.amdhsa_user_sgpr_flat_scratch_init 0
		.amdhsa_user_sgpr_kernarg_preload_length 0
		.amdhsa_user_sgpr_kernarg_preload_offset 0
		.amdhsa_user_sgpr_private_segment_size 0
		.amdhsa_uses_dynamic_stack 0
		.amdhsa_system_sgpr_private_segment_wavefront_offset 0
		.amdhsa_system_sgpr_workgroup_id_x 1
		.amdhsa_system_sgpr_workgroup_id_y 0
		.amdhsa_system_sgpr_workgroup_id_z 0
		.amdhsa_system_sgpr_workgroup_info 0
		.amdhsa_system_vgpr_workitem_id 0
		.amdhsa_next_free_vgpr 1
		.amdhsa_next_free_sgpr 0
		.amdhsa_accum_offset 4
		.amdhsa_reserve_vcc 0
		.amdhsa_reserve_flat_scratch 0
		.amdhsa_float_round_mode_32 0
		.amdhsa_float_round_mode_16_64 0
		.amdhsa_float_denorm_mode_32 3
		.amdhsa_float_denorm_mode_16_64 3
		.amdhsa_dx10_clamp 1
		.amdhsa_ieee_mode 1
		.amdhsa_fp16_overflow 0
		.amdhsa_tg_split 0
		.amdhsa_exception_fp_ieee_invalid_op 0
		.amdhsa_exception_fp_denorm_src 0
		.amdhsa_exception_fp_ieee_div_zero 0
		.amdhsa_exception_fp_ieee_overflow 0
		.amdhsa_exception_fp_ieee_underflow 0
		.amdhsa_exception_fp_ieee_inexact 0
		.amdhsa_exception_int_div_zero 0
	.end_amdhsa_kernel
	.section	.text._ZN7rocprim17ROCPRIM_400000_NS6detail17trampoline_kernelINS0_14default_configENS1_33run_length_encode_config_selectorIijNS0_4plusIjEEEEZZNS1_33reduce_by_key_impl_wrapped_configILNS1_25lookback_scan_determinismE0ES3_S7_PKiNS0_17constant_iteratorIjlEEPiPlSF_S6_NS0_8equal_toIiEEEE10hipError_tPvRmT2_T3_mT4_T5_T6_T7_T8_P12ihipStream_tbENKUlT_T0_E_clISt17integral_constantIbLb1EESY_IbLb0EEEEDaSU_SV_EUlSU_E_NS1_11comp_targetILNS1_3genE9ELNS1_11target_archE1100ELNS1_3gpuE3ELNS1_3repE0EEENS1_30default_config_static_selectorELNS0_4arch9wavefront6targetE1EEEvT1_,"axG",@progbits,_ZN7rocprim17ROCPRIM_400000_NS6detail17trampoline_kernelINS0_14default_configENS1_33run_length_encode_config_selectorIijNS0_4plusIjEEEEZZNS1_33reduce_by_key_impl_wrapped_configILNS1_25lookback_scan_determinismE0ES3_S7_PKiNS0_17constant_iteratorIjlEEPiPlSF_S6_NS0_8equal_toIiEEEE10hipError_tPvRmT2_T3_mT4_T5_T6_T7_T8_P12ihipStream_tbENKUlT_T0_E_clISt17integral_constantIbLb1EESY_IbLb0EEEEDaSU_SV_EUlSU_E_NS1_11comp_targetILNS1_3genE9ELNS1_11target_archE1100ELNS1_3gpuE3ELNS1_3repE0EEENS1_30default_config_static_selectorELNS0_4arch9wavefront6targetE1EEEvT1_,comdat
.Lfunc_end467:
	.size	_ZN7rocprim17ROCPRIM_400000_NS6detail17trampoline_kernelINS0_14default_configENS1_33run_length_encode_config_selectorIijNS0_4plusIjEEEEZZNS1_33reduce_by_key_impl_wrapped_configILNS1_25lookback_scan_determinismE0ES3_S7_PKiNS0_17constant_iteratorIjlEEPiPlSF_S6_NS0_8equal_toIiEEEE10hipError_tPvRmT2_T3_mT4_T5_T6_T7_T8_P12ihipStream_tbENKUlT_T0_E_clISt17integral_constantIbLb1EESY_IbLb0EEEEDaSU_SV_EUlSU_E_NS1_11comp_targetILNS1_3genE9ELNS1_11target_archE1100ELNS1_3gpuE3ELNS1_3repE0EEENS1_30default_config_static_selectorELNS0_4arch9wavefront6targetE1EEEvT1_, .Lfunc_end467-_ZN7rocprim17ROCPRIM_400000_NS6detail17trampoline_kernelINS0_14default_configENS1_33run_length_encode_config_selectorIijNS0_4plusIjEEEEZZNS1_33reduce_by_key_impl_wrapped_configILNS1_25lookback_scan_determinismE0ES3_S7_PKiNS0_17constant_iteratorIjlEEPiPlSF_S6_NS0_8equal_toIiEEEE10hipError_tPvRmT2_T3_mT4_T5_T6_T7_T8_P12ihipStream_tbENKUlT_T0_E_clISt17integral_constantIbLb1EESY_IbLb0EEEEDaSU_SV_EUlSU_E_NS1_11comp_targetILNS1_3genE9ELNS1_11target_archE1100ELNS1_3gpuE3ELNS1_3repE0EEENS1_30default_config_static_selectorELNS0_4arch9wavefront6targetE1EEEvT1_
                                        ; -- End function
	.section	.AMDGPU.csdata,"",@progbits
; Kernel info:
; codeLenInByte = 0
; NumSgprs: 4
; NumVgprs: 0
; NumAgprs: 0
; TotalNumVgprs: 0
; ScratchSize: 0
; MemoryBound: 0
; FloatMode: 240
; IeeeMode: 1
; LDSByteSize: 0 bytes/workgroup (compile time only)
; SGPRBlocks: 0
; VGPRBlocks: 0
; NumSGPRsForWavesPerEU: 4
; NumVGPRsForWavesPerEU: 1
; AccumOffset: 4
; Occupancy: 8
; WaveLimiterHint : 0
; COMPUTE_PGM_RSRC2:SCRATCH_EN: 0
; COMPUTE_PGM_RSRC2:USER_SGPR: 6
; COMPUTE_PGM_RSRC2:TRAP_HANDLER: 0
; COMPUTE_PGM_RSRC2:TGID_X_EN: 1
; COMPUTE_PGM_RSRC2:TGID_Y_EN: 0
; COMPUTE_PGM_RSRC2:TGID_Z_EN: 0
; COMPUTE_PGM_RSRC2:TIDIG_COMP_CNT: 0
; COMPUTE_PGM_RSRC3_GFX90A:ACCUM_OFFSET: 0
; COMPUTE_PGM_RSRC3_GFX90A:TG_SPLIT: 0
	.section	.text._ZN7rocprim17ROCPRIM_400000_NS6detail17trampoline_kernelINS0_14default_configENS1_33run_length_encode_config_selectorIijNS0_4plusIjEEEEZZNS1_33reduce_by_key_impl_wrapped_configILNS1_25lookback_scan_determinismE0ES3_S7_PKiNS0_17constant_iteratorIjlEEPiPlSF_S6_NS0_8equal_toIiEEEE10hipError_tPvRmT2_T3_mT4_T5_T6_T7_T8_P12ihipStream_tbENKUlT_T0_E_clISt17integral_constantIbLb1EESY_IbLb0EEEEDaSU_SV_EUlSU_E_NS1_11comp_targetILNS1_3genE8ELNS1_11target_archE1030ELNS1_3gpuE2ELNS1_3repE0EEENS1_30default_config_static_selectorELNS0_4arch9wavefront6targetE1EEEvT1_,"axG",@progbits,_ZN7rocprim17ROCPRIM_400000_NS6detail17trampoline_kernelINS0_14default_configENS1_33run_length_encode_config_selectorIijNS0_4plusIjEEEEZZNS1_33reduce_by_key_impl_wrapped_configILNS1_25lookback_scan_determinismE0ES3_S7_PKiNS0_17constant_iteratorIjlEEPiPlSF_S6_NS0_8equal_toIiEEEE10hipError_tPvRmT2_T3_mT4_T5_T6_T7_T8_P12ihipStream_tbENKUlT_T0_E_clISt17integral_constantIbLb1EESY_IbLb0EEEEDaSU_SV_EUlSU_E_NS1_11comp_targetILNS1_3genE8ELNS1_11target_archE1030ELNS1_3gpuE2ELNS1_3repE0EEENS1_30default_config_static_selectorELNS0_4arch9wavefront6targetE1EEEvT1_,comdat
	.protected	_ZN7rocprim17ROCPRIM_400000_NS6detail17trampoline_kernelINS0_14default_configENS1_33run_length_encode_config_selectorIijNS0_4plusIjEEEEZZNS1_33reduce_by_key_impl_wrapped_configILNS1_25lookback_scan_determinismE0ES3_S7_PKiNS0_17constant_iteratorIjlEEPiPlSF_S6_NS0_8equal_toIiEEEE10hipError_tPvRmT2_T3_mT4_T5_T6_T7_T8_P12ihipStream_tbENKUlT_T0_E_clISt17integral_constantIbLb1EESY_IbLb0EEEEDaSU_SV_EUlSU_E_NS1_11comp_targetILNS1_3genE8ELNS1_11target_archE1030ELNS1_3gpuE2ELNS1_3repE0EEENS1_30default_config_static_selectorELNS0_4arch9wavefront6targetE1EEEvT1_ ; -- Begin function _ZN7rocprim17ROCPRIM_400000_NS6detail17trampoline_kernelINS0_14default_configENS1_33run_length_encode_config_selectorIijNS0_4plusIjEEEEZZNS1_33reduce_by_key_impl_wrapped_configILNS1_25lookback_scan_determinismE0ES3_S7_PKiNS0_17constant_iteratorIjlEEPiPlSF_S6_NS0_8equal_toIiEEEE10hipError_tPvRmT2_T3_mT4_T5_T6_T7_T8_P12ihipStream_tbENKUlT_T0_E_clISt17integral_constantIbLb1EESY_IbLb0EEEEDaSU_SV_EUlSU_E_NS1_11comp_targetILNS1_3genE8ELNS1_11target_archE1030ELNS1_3gpuE2ELNS1_3repE0EEENS1_30default_config_static_selectorELNS0_4arch9wavefront6targetE1EEEvT1_
	.globl	_ZN7rocprim17ROCPRIM_400000_NS6detail17trampoline_kernelINS0_14default_configENS1_33run_length_encode_config_selectorIijNS0_4plusIjEEEEZZNS1_33reduce_by_key_impl_wrapped_configILNS1_25lookback_scan_determinismE0ES3_S7_PKiNS0_17constant_iteratorIjlEEPiPlSF_S6_NS0_8equal_toIiEEEE10hipError_tPvRmT2_T3_mT4_T5_T6_T7_T8_P12ihipStream_tbENKUlT_T0_E_clISt17integral_constantIbLb1EESY_IbLb0EEEEDaSU_SV_EUlSU_E_NS1_11comp_targetILNS1_3genE8ELNS1_11target_archE1030ELNS1_3gpuE2ELNS1_3repE0EEENS1_30default_config_static_selectorELNS0_4arch9wavefront6targetE1EEEvT1_
	.p2align	8
	.type	_ZN7rocprim17ROCPRIM_400000_NS6detail17trampoline_kernelINS0_14default_configENS1_33run_length_encode_config_selectorIijNS0_4plusIjEEEEZZNS1_33reduce_by_key_impl_wrapped_configILNS1_25lookback_scan_determinismE0ES3_S7_PKiNS0_17constant_iteratorIjlEEPiPlSF_S6_NS0_8equal_toIiEEEE10hipError_tPvRmT2_T3_mT4_T5_T6_T7_T8_P12ihipStream_tbENKUlT_T0_E_clISt17integral_constantIbLb1EESY_IbLb0EEEEDaSU_SV_EUlSU_E_NS1_11comp_targetILNS1_3genE8ELNS1_11target_archE1030ELNS1_3gpuE2ELNS1_3repE0EEENS1_30default_config_static_selectorELNS0_4arch9wavefront6targetE1EEEvT1_,@function
_ZN7rocprim17ROCPRIM_400000_NS6detail17trampoline_kernelINS0_14default_configENS1_33run_length_encode_config_selectorIijNS0_4plusIjEEEEZZNS1_33reduce_by_key_impl_wrapped_configILNS1_25lookback_scan_determinismE0ES3_S7_PKiNS0_17constant_iteratorIjlEEPiPlSF_S6_NS0_8equal_toIiEEEE10hipError_tPvRmT2_T3_mT4_T5_T6_T7_T8_P12ihipStream_tbENKUlT_T0_E_clISt17integral_constantIbLb1EESY_IbLb0EEEEDaSU_SV_EUlSU_E_NS1_11comp_targetILNS1_3genE8ELNS1_11target_archE1030ELNS1_3gpuE2ELNS1_3repE0EEENS1_30default_config_static_selectorELNS0_4arch9wavefront6targetE1EEEvT1_: ; @_ZN7rocprim17ROCPRIM_400000_NS6detail17trampoline_kernelINS0_14default_configENS1_33run_length_encode_config_selectorIijNS0_4plusIjEEEEZZNS1_33reduce_by_key_impl_wrapped_configILNS1_25lookback_scan_determinismE0ES3_S7_PKiNS0_17constant_iteratorIjlEEPiPlSF_S6_NS0_8equal_toIiEEEE10hipError_tPvRmT2_T3_mT4_T5_T6_T7_T8_P12ihipStream_tbENKUlT_T0_E_clISt17integral_constantIbLb1EESY_IbLb0EEEEDaSU_SV_EUlSU_E_NS1_11comp_targetILNS1_3genE8ELNS1_11target_archE1030ELNS1_3gpuE2ELNS1_3repE0EEENS1_30default_config_static_selectorELNS0_4arch9wavefront6targetE1EEEvT1_
; %bb.0:
	.section	.rodata,"a",@progbits
	.p2align	6, 0x0
	.amdhsa_kernel _ZN7rocprim17ROCPRIM_400000_NS6detail17trampoline_kernelINS0_14default_configENS1_33run_length_encode_config_selectorIijNS0_4plusIjEEEEZZNS1_33reduce_by_key_impl_wrapped_configILNS1_25lookback_scan_determinismE0ES3_S7_PKiNS0_17constant_iteratorIjlEEPiPlSF_S6_NS0_8equal_toIiEEEE10hipError_tPvRmT2_T3_mT4_T5_T6_T7_T8_P12ihipStream_tbENKUlT_T0_E_clISt17integral_constantIbLb1EESY_IbLb0EEEEDaSU_SV_EUlSU_E_NS1_11comp_targetILNS1_3genE8ELNS1_11target_archE1030ELNS1_3gpuE2ELNS1_3repE0EEENS1_30default_config_static_selectorELNS0_4arch9wavefront6targetE1EEEvT1_
		.amdhsa_group_segment_fixed_size 0
		.amdhsa_private_segment_fixed_size 0
		.amdhsa_kernarg_size 128
		.amdhsa_user_sgpr_count 6
		.amdhsa_user_sgpr_private_segment_buffer 1
		.amdhsa_user_sgpr_dispatch_ptr 0
		.amdhsa_user_sgpr_queue_ptr 0
		.amdhsa_user_sgpr_kernarg_segment_ptr 1
		.amdhsa_user_sgpr_dispatch_id 0
		.amdhsa_user_sgpr_flat_scratch_init 0
		.amdhsa_user_sgpr_kernarg_preload_length 0
		.amdhsa_user_sgpr_kernarg_preload_offset 0
		.amdhsa_user_sgpr_private_segment_size 0
		.amdhsa_uses_dynamic_stack 0
		.amdhsa_system_sgpr_private_segment_wavefront_offset 0
		.amdhsa_system_sgpr_workgroup_id_x 1
		.amdhsa_system_sgpr_workgroup_id_y 0
		.amdhsa_system_sgpr_workgroup_id_z 0
		.amdhsa_system_sgpr_workgroup_info 0
		.amdhsa_system_vgpr_workitem_id 0
		.amdhsa_next_free_vgpr 1
		.amdhsa_next_free_sgpr 0
		.amdhsa_accum_offset 4
		.amdhsa_reserve_vcc 0
		.amdhsa_reserve_flat_scratch 0
		.amdhsa_float_round_mode_32 0
		.amdhsa_float_round_mode_16_64 0
		.amdhsa_float_denorm_mode_32 3
		.amdhsa_float_denorm_mode_16_64 3
		.amdhsa_dx10_clamp 1
		.amdhsa_ieee_mode 1
		.amdhsa_fp16_overflow 0
		.amdhsa_tg_split 0
		.amdhsa_exception_fp_ieee_invalid_op 0
		.amdhsa_exception_fp_denorm_src 0
		.amdhsa_exception_fp_ieee_div_zero 0
		.amdhsa_exception_fp_ieee_overflow 0
		.amdhsa_exception_fp_ieee_underflow 0
		.amdhsa_exception_fp_ieee_inexact 0
		.amdhsa_exception_int_div_zero 0
	.end_amdhsa_kernel
	.section	.text._ZN7rocprim17ROCPRIM_400000_NS6detail17trampoline_kernelINS0_14default_configENS1_33run_length_encode_config_selectorIijNS0_4plusIjEEEEZZNS1_33reduce_by_key_impl_wrapped_configILNS1_25lookback_scan_determinismE0ES3_S7_PKiNS0_17constant_iteratorIjlEEPiPlSF_S6_NS0_8equal_toIiEEEE10hipError_tPvRmT2_T3_mT4_T5_T6_T7_T8_P12ihipStream_tbENKUlT_T0_E_clISt17integral_constantIbLb1EESY_IbLb0EEEEDaSU_SV_EUlSU_E_NS1_11comp_targetILNS1_3genE8ELNS1_11target_archE1030ELNS1_3gpuE2ELNS1_3repE0EEENS1_30default_config_static_selectorELNS0_4arch9wavefront6targetE1EEEvT1_,"axG",@progbits,_ZN7rocprim17ROCPRIM_400000_NS6detail17trampoline_kernelINS0_14default_configENS1_33run_length_encode_config_selectorIijNS0_4plusIjEEEEZZNS1_33reduce_by_key_impl_wrapped_configILNS1_25lookback_scan_determinismE0ES3_S7_PKiNS0_17constant_iteratorIjlEEPiPlSF_S6_NS0_8equal_toIiEEEE10hipError_tPvRmT2_T3_mT4_T5_T6_T7_T8_P12ihipStream_tbENKUlT_T0_E_clISt17integral_constantIbLb1EESY_IbLb0EEEEDaSU_SV_EUlSU_E_NS1_11comp_targetILNS1_3genE8ELNS1_11target_archE1030ELNS1_3gpuE2ELNS1_3repE0EEENS1_30default_config_static_selectorELNS0_4arch9wavefront6targetE1EEEvT1_,comdat
.Lfunc_end468:
	.size	_ZN7rocprim17ROCPRIM_400000_NS6detail17trampoline_kernelINS0_14default_configENS1_33run_length_encode_config_selectorIijNS0_4plusIjEEEEZZNS1_33reduce_by_key_impl_wrapped_configILNS1_25lookback_scan_determinismE0ES3_S7_PKiNS0_17constant_iteratorIjlEEPiPlSF_S6_NS0_8equal_toIiEEEE10hipError_tPvRmT2_T3_mT4_T5_T6_T7_T8_P12ihipStream_tbENKUlT_T0_E_clISt17integral_constantIbLb1EESY_IbLb0EEEEDaSU_SV_EUlSU_E_NS1_11comp_targetILNS1_3genE8ELNS1_11target_archE1030ELNS1_3gpuE2ELNS1_3repE0EEENS1_30default_config_static_selectorELNS0_4arch9wavefront6targetE1EEEvT1_, .Lfunc_end468-_ZN7rocprim17ROCPRIM_400000_NS6detail17trampoline_kernelINS0_14default_configENS1_33run_length_encode_config_selectorIijNS0_4plusIjEEEEZZNS1_33reduce_by_key_impl_wrapped_configILNS1_25lookback_scan_determinismE0ES3_S7_PKiNS0_17constant_iteratorIjlEEPiPlSF_S6_NS0_8equal_toIiEEEE10hipError_tPvRmT2_T3_mT4_T5_T6_T7_T8_P12ihipStream_tbENKUlT_T0_E_clISt17integral_constantIbLb1EESY_IbLb0EEEEDaSU_SV_EUlSU_E_NS1_11comp_targetILNS1_3genE8ELNS1_11target_archE1030ELNS1_3gpuE2ELNS1_3repE0EEENS1_30default_config_static_selectorELNS0_4arch9wavefront6targetE1EEEvT1_
                                        ; -- End function
	.section	.AMDGPU.csdata,"",@progbits
; Kernel info:
; codeLenInByte = 0
; NumSgprs: 4
; NumVgprs: 0
; NumAgprs: 0
; TotalNumVgprs: 0
; ScratchSize: 0
; MemoryBound: 0
; FloatMode: 240
; IeeeMode: 1
; LDSByteSize: 0 bytes/workgroup (compile time only)
; SGPRBlocks: 0
; VGPRBlocks: 0
; NumSGPRsForWavesPerEU: 4
; NumVGPRsForWavesPerEU: 1
; AccumOffset: 4
; Occupancy: 8
; WaveLimiterHint : 0
; COMPUTE_PGM_RSRC2:SCRATCH_EN: 0
; COMPUTE_PGM_RSRC2:USER_SGPR: 6
; COMPUTE_PGM_RSRC2:TRAP_HANDLER: 0
; COMPUTE_PGM_RSRC2:TGID_X_EN: 1
; COMPUTE_PGM_RSRC2:TGID_Y_EN: 0
; COMPUTE_PGM_RSRC2:TGID_Z_EN: 0
; COMPUTE_PGM_RSRC2:TIDIG_COMP_CNT: 0
; COMPUTE_PGM_RSRC3_GFX90A:ACCUM_OFFSET: 0
; COMPUTE_PGM_RSRC3_GFX90A:TG_SPLIT: 0
	.section	.text._ZN7rocprim17ROCPRIM_400000_NS6detail17trampoline_kernelINS0_14default_configENS1_33run_length_encode_config_selectorIijNS0_4plusIjEEEEZZNS1_33reduce_by_key_impl_wrapped_configILNS1_25lookback_scan_determinismE0ES3_S7_PKiNS0_17constant_iteratorIjlEEPiPlSF_S6_NS0_8equal_toIiEEEE10hipError_tPvRmT2_T3_mT4_T5_T6_T7_T8_P12ihipStream_tbENKUlT_T0_E_clISt17integral_constantIbLb0EESY_IbLb1EEEEDaSU_SV_EUlSU_E_NS1_11comp_targetILNS1_3genE0ELNS1_11target_archE4294967295ELNS1_3gpuE0ELNS1_3repE0EEENS1_30default_config_static_selectorELNS0_4arch9wavefront6targetE1EEEvT1_,"axG",@progbits,_ZN7rocprim17ROCPRIM_400000_NS6detail17trampoline_kernelINS0_14default_configENS1_33run_length_encode_config_selectorIijNS0_4plusIjEEEEZZNS1_33reduce_by_key_impl_wrapped_configILNS1_25lookback_scan_determinismE0ES3_S7_PKiNS0_17constant_iteratorIjlEEPiPlSF_S6_NS0_8equal_toIiEEEE10hipError_tPvRmT2_T3_mT4_T5_T6_T7_T8_P12ihipStream_tbENKUlT_T0_E_clISt17integral_constantIbLb0EESY_IbLb1EEEEDaSU_SV_EUlSU_E_NS1_11comp_targetILNS1_3genE0ELNS1_11target_archE4294967295ELNS1_3gpuE0ELNS1_3repE0EEENS1_30default_config_static_selectorELNS0_4arch9wavefront6targetE1EEEvT1_,comdat
	.protected	_ZN7rocprim17ROCPRIM_400000_NS6detail17trampoline_kernelINS0_14default_configENS1_33run_length_encode_config_selectorIijNS0_4plusIjEEEEZZNS1_33reduce_by_key_impl_wrapped_configILNS1_25lookback_scan_determinismE0ES3_S7_PKiNS0_17constant_iteratorIjlEEPiPlSF_S6_NS0_8equal_toIiEEEE10hipError_tPvRmT2_T3_mT4_T5_T6_T7_T8_P12ihipStream_tbENKUlT_T0_E_clISt17integral_constantIbLb0EESY_IbLb1EEEEDaSU_SV_EUlSU_E_NS1_11comp_targetILNS1_3genE0ELNS1_11target_archE4294967295ELNS1_3gpuE0ELNS1_3repE0EEENS1_30default_config_static_selectorELNS0_4arch9wavefront6targetE1EEEvT1_ ; -- Begin function _ZN7rocprim17ROCPRIM_400000_NS6detail17trampoline_kernelINS0_14default_configENS1_33run_length_encode_config_selectorIijNS0_4plusIjEEEEZZNS1_33reduce_by_key_impl_wrapped_configILNS1_25lookback_scan_determinismE0ES3_S7_PKiNS0_17constant_iteratorIjlEEPiPlSF_S6_NS0_8equal_toIiEEEE10hipError_tPvRmT2_T3_mT4_T5_T6_T7_T8_P12ihipStream_tbENKUlT_T0_E_clISt17integral_constantIbLb0EESY_IbLb1EEEEDaSU_SV_EUlSU_E_NS1_11comp_targetILNS1_3genE0ELNS1_11target_archE4294967295ELNS1_3gpuE0ELNS1_3repE0EEENS1_30default_config_static_selectorELNS0_4arch9wavefront6targetE1EEEvT1_
	.globl	_ZN7rocprim17ROCPRIM_400000_NS6detail17trampoline_kernelINS0_14default_configENS1_33run_length_encode_config_selectorIijNS0_4plusIjEEEEZZNS1_33reduce_by_key_impl_wrapped_configILNS1_25lookback_scan_determinismE0ES3_S7_PKiNS0_17constant_iteratorIjlEEPiPlSF_S6_NS0_8equal_toIiEEEE10hipError_tPvRmT2_T3_mT4_T5_T6_T7_T8_P12ihipStream_tbENKUlT_T0_E_clISt17integral_constantIbLb0EESY_IbLb1EEEEDaSU_SV_EUlSU_E_NS1_11comp_targetILNS1_3genE0ELNS1_11target_archE4294967295ELNS1_3gpuE0ELNS1_3repE0EEENS1_30default_config_static_selectorELNS0_4arch9wavefront6targetE1EEEvT1_
	.p2align	8
	.type	_ZN7rocprim17ROCPRIM_400000_NS6detail17trampoline_kernelINS0_14default_configENS1_33run_length_encode_config_selectorIijNS0_4plusIjEEEEZZNS1_33reduce_by_key_impl_wrapped_configILNS1_25lookback_scan_determinismE0ES3_S7_PKiNS0_17constant_iteratorIjlEEPiPlSF_S6_NS0_8equal_toIiEEEE10hipError_tPvRmT2_T3_mT4_T5_T6_T7_T8_P12ihipStream_tbENKUlT_T0_E_clISt17integral_constantIbLb0EESY_IbLb1EEEEDaSU_SV_EUlSU_E_NS1_11comp_targetILNS1_3genE0ELNS1_11target_archE4294967295ELNS1_3gpuE0ELNS1_3repE0EEENS1_30default_config_static_selectorELNS0_4arch9wavefront6targetE1EEEvT1_,@function
_ZN7rocprim17ROCPRIM_400000_NS6detail17trampoline_kernelINS0_14default_configENS1_33run_length_encode_config_selectorIijNS0_4plusIjEEEEZZNS1_33reduce_by_key_impl_wrapped_configILNS1_25lookback_scan_determinismE0ES3_S7_PKiNS0_17constant_iteratorIjlEEPiPlSF_S6_NS0_8equal_toIiEEEE10hipError_tPvRmT2_T3_mT4_T5_T6_T7_T8_P12ihipStream_tbENKUlT_T0_E_clISt17integral_constantIbLb0EESY_IbLb1EEEEDaSU_SV_EUlSU_E_NS1_11comp_targetILNS1_3genE0ELNS1_11target_archE4294967295ELNS1_3gpuE0ELNS1_3repE0EEENS1_30default_config_static_selectorELNS0_4arch9wavefront6targetE1EEEvT1_: ; @_ZN7rocprim17ROCPRIM_400000_NS6detail17trampoline_kernelINS0_14default_configENS1_33run_length_encode_config_selectorIijNS0_4plusIjEEEEZZNS1_33reduce_by_key_impl_wrapped_configILNS1_25lookback_scan_determinismE0ES3_S7_PKiNS0_17constant_iteratorIjlEEPiPlSF_S6_NS0_8equal_toIiEEEE10hipError_tPvRmT2_T3_mT4_T5_T6_T7_T8_P12ihipStream_tbENKUlT_T0_E_clISt17integral_constantIbLb0EESY_IbLb1EEEEDaSU_SV_EUlSU_E_NS1_11comp_targetILNS1_3genE0ELNS1_11target_archE4294967295ELNS1_3gpuE0ELNS1_3repE0EEENS1_30default_config_static_selectorELNS0_4arch9wavefront6targetE1EEEvT1_
; %bb.0:
	.section	.rodata,"a",@progbits
	.p2align	6, 0x0
	.amdhsa_kernel _ZN7rocprim17ROCPRIM_400000_NS6detail17trampoline_kernelINS0_14default_configENS1_33run_length_encode_config_selectorIijNS0_4plusIjEEEEZZNS1_33reduce_by_key_impl_wrapped_configILNS1_25lookback_scan_determinismE0ES3_S7_PKiNS0_17constant_iteratorIjlEEPiPlSF_S6_NS0_8equal_toIiEEEE10hipError_tPvRmT2_T3_mT4_T5_T6_T7_T8_P12ihipStream_tbENKUlT_T0_E_clISt17integral_constantIbLb0EESY_IbLb1EEEEDaSU_SV_EUlSU_E_NS1_11comp_targetILNS1_3genE0ELNS1_11target_archE4294967295ELNS1_3gpuE0ELNS1_3repE0EEENS1_30default_config_static_selectorELNS0_4arch9wavefront6targetE1EEEvT1_
		.amdhsa_group_segment_fixed_size 0
		.amdhsa_private_segment_fixed_size 0
		.amdhsa_kernarg_size 128
		.amdhsa_user_sgpr_count 6
		.amdhsa_user_sgpr_private_segment_buffer 1
		.amdhsa_user_sgpr_dispatch_ptr 0
		.amdhsa_user_sgpr_queue_ptr 0
		.amdhsa_user_sgpr_kernarg_segment_ptr 1
		.amdhsa_user_sgpr_dispatch_id 0
		.amdhsa_user_sgpr_flat_scratch_init 0
		.amdhsa_user_sgpr_kernarg_preload_length 0
		.amdhsa_user_sgpr_kernarg_preload_offset 0
		.amdhsa_user_sgpr_private_segment_size 0
		.amdhsa_uses_dynamic_stack 0
		.amdhsa_system_sgpr_private_segment_wavefront_offset 0
		.amdhsa_system_sgpr_workgroup_id_x 1
		.amdhsa_system_sgpr_workgroup_id_y 0
		.amdhsa_system_sgpr_workgroup_id_z 0
		.amdhsa_system_sgpr_workgroup_info 0
		.amdhsa_system_vgpr_workitem_id 0
		.amdhsa_next_free_vgpr 1
		.amdhsa_next_free_sgpr 0
		.amdhsa_accum_offset 4
		.amdhsa_reserve_vcc 0
		.amdhsa_reserve_flat_scratch 0
		.amdhsa_float_round_mode_32 0
		.amdhsa_float_round_mode_16_64 0
		.amdhsa_float_denorm_mode_32 3
		.amdhsa_float_denorm_mode_16_64 3
		.amdhsa_dx10_clamp 1
		.amdhsa_ieee_mode 1
		.amdhsa_fp16_overflow 0
		.amdhsa_tg_split 0
		.amdhsa_exception_fp_ieee_invalid_op 0
		.amdhsa_exception_fp_denorm_src 0
		.amdhsa_exception_fp_ieee_div_zero 0
		.amdhsa_exception_fp_ieee_overflow 0
		.amdhsa_exception_fp_ieee_underflow 0
		.amdhsa_exception_fp_ieee_inexact 0
		.amdhsa_exception_int_div_zero 0
	.end_amdhsa_kernel
	.section	.text._ZN7rocprim17ROCPRIM_400000_NS6detail17trampoline_kernelINS0_14default_configENS1_33run_length_encode_config_selectorIijNS0_4plusIjEEEEZZNS1_33reduce_by_key_impl_wrapped_configILNS1_25lookback_scan_determinismE0ES3_S7_PKiNS0_17constant_iteratorIjlEEPiPlSF_S6_NS0_8equal_toIiEEEE10hipError_tPvRmT2_T3_mT4_T5_T6_T7_T8_P12ihipStream_tbENKUlT_T0_E_clISt17integral_constantIbLb0EESY_IbLb1EEEEDaSU_SV_EUlSU_E_NS1_11comp_targetILNS1_3genE0ELNS1_11target_archE4294967295ELNS1_3gpuE0ELNS1_3repE0EEENS1_30default_config_static_selectorELNS0_4arch9wavefront6targetE1EEEvT1_,"axG",@progbits,_ZN7rocprim17ROCPRIM_400000_NS6detail17trampoline_kernelINS0_14default_configENS1_33run_length_encode_config_selectorIijNS0_4plusIjEEEEZZNS1_33reduce_by_key_impl_wrapped_configILNS1_25lookback_scan_determinismE0ES3_S7_PKiNS0_17constant_iteratorIjlEEPiPlSF_S6_NS0_8equal_toIiEEEE10hipError_tPvRmT2_T3_mT4_T5_T6_T7_T8_P12ihipStream_tbENKUlT_T0_E_clISt17integral_constantIbLb0EESY_IbLb1EEEEDaSU_SV_EUlSU_E_NS1_11comp_targetILNS1_3genE0ELNS1_11target_archE4294967295ELNS1_3gpuE0ELNS1_3repE0EEENS1_30default_config_static_selectorELNS0_4arch9wavefront6targetE1EEEvT1_,comdat
.Lfunc_end469:
	.size	_ZN7rocprim17ROCPRIM_400000_NS6detail17trampoline_kernelINS0_14default_configENS1_33run_length_encode_config_selectorIijNS0_4plusIjEEEEZZNS1_33reduce_by_key_impl_wrapped_configILNS1_25lookback_scan_determinismE0ES3_S7_PKiNS0_17constant_iteratorIjlEEPiPlSF_S6_NS0_8equal_toIiEEEE10hipError_tPvRmT2_T3_mT4_T5_T6_T7_T8_P12ihipStream_tbENKUlT_T0_E_clISt17integral_constantIbLb0EESY_IbLb1EEEEDaSU_SV_EUlSU_E_NS1_11comp_targetILNS1_3genE0ELNS1_11target_archE4294967295ELNS1_3gpuE0ELNS1_3repE0EEENS1_30default_config_static_selectorELNS0_4arch9wavefront6targetE1EEEvT1_, .Lfunc_end469-_ZN7rocprim17ROCPRIM_400000_NS6detail17trampoline_kernelINS0_14default_configENS1_33run_length_encode_config_selectorIijNS0_4plusIjEEEEZZNS1_33reduce_by_key_impl_wrapped_configILNS1_25lookback_scan_determinismE0ES3_S7_PKiNS0_17constant_iteratorIjlEEPiPlSF_S6_NS0_8equal_toIiEEEE10hipError_tPvRmT2_T3_mT4_T5_T6_T7_T8_P12ihipStream_tbENKUlT_T0_E_clISt17integral_constantIbLb0EESY_IbLb1EEEEDaSU_SV_EUlSU_E_NS1_11comp_targetILNS1_3genE0ELNS1_11target_archE4294967295ELNS1_3gpuE0ELNS1_3repE0EEENS1_30default_config_static_selectorELNS0_4arch9wavefront6targetE1EEEvT1_
                                        ; -- End function
	.section	.AMDGPU.csdata,"",@progbits
; Kernel info:
; codeLenInByte = 0
; NumSgprs: 4
; NumVgprs: 0
; NumAgprs: 0
; TotalNumVgprs: 0
; ScratchSize: 0
; MemoryBound: 0
; FloatMode: 240
; IeeeMode: 1
; LDSByteSize: 0 bytes/workgroup (compile time only)
; SGPRBlocks: 0
; VGPRBlocks: 0
; NumSGPRsForWavesPerEU: 4
; NumVGPRsForWavesPerEU: 1
; AccumOffset: 4
; Occupancy: 8
; WaveLimiterHint : 0
; COMPUTE_PGM_RSRC2:SCRATCH_EN: 0
; COMPUTE_PGM_RSRC2:USER_SGPR: 6
; COMPUTE_PGM_RSRC2:TRAP_HANDLER: 0
; COMPUTE_PGM_RSRC2:TGID_X_EN: 1
; COMPUTE_PGM_RSRC2:TGID_Y_EN: 0
; COMPUTE_PGM_RSRC2:TGID_Z_EN: 0
; COMPUTE_PGM_RSRC2:TIDIG_COMP_CNT: 0
; COMPUTE_PGM_RSRC3_GFX90A:ACCUM_OFFSET: 0
; COMPUTE_PGM_RSRC3_GFX90A:TG_SPLIT: 0
	.section	.text._ZN7rocprim17ROCPRIM_400000_NS6detail17trampoline_kernelINS0_14default_configENS1_33run_length_encode_config_selectorIijNS0_4plusIjEEEEZZNS1_33reduce_by_key_impl_wrapped_configILNS1_25lookback_scan_determinismE0ES3_S7_PKiNS0_17constant_iteratorIjlEEPiPlSF_S6_NS0_8equal_toIiEEEE10hipError_tPvRmT2_T3_mT4_T5_T6_T7_T8_P12ihipStream_tbENKUlT_T0_E_clISt17integral_constantIbLb0EESY_IbLb1EEEEDaSU_SV_EUlSU_E_NS1_11comp_targetILNS1_3genE5ELNS1_11target_archE942ELNS1_3gpuE9ELNS1_3repE0EEENS1_30default_config_static_selectorELNS0_4arch9wavefront6targetE1EEEvT1_,"axG",@progbits,_ZN7rocprim17ROCPRIM_400000_NS6detail17trampoline_kernelINS0_14default_configENS1_33run_length_encode_config_selectorIijNS0_4plusIjEEEEZZNS1_33reduce_by_key_impl_wrapped_configILNS1_25lookback_scan_determinismE0ES3_S7_PKiNS0_17constant_iteratorIjlEEPiPlSF_S6_NS0_8equal_toIiEEEE10hipError_tPvRmT2_T3_mT4_T5_T6_T7_T8_P12ihipStream_tbENKUlT_T0_E_clISt17integral_constantIbLb0EESY_IbLb1EEEEDaSU_SV_EUlSU_E_NS1_11comp_targetILNS1_3genE5ELNS1_11target_archE942ELNS1_3gpuE9ELNS1_3repE0EEENS1_30default_config_static_selectorELNS0_4arch9wavefront6targetE1EEEvT1_,comdat
	.protected	_ZN7rocprim17ROCPRIM_400000_NS6detail17trampoline_kernelINS0_14default_configENS1_33run_length_encode_config_selectorIijNS0_4plusIjEEEEZZNS1_33reduce_by_key_impl_wrapped_configILNS1_25lookback_scan_determinismE0ES3_S7_PKiNS0_17constant_iteratorIjlEEPiPlSF_S6_NS0_8equal_toIiEEEE10hipError_tPvRmT2_T3_mT4_T5_T6_T7_T8_P12ihipStream_tbENKUlT_T0_E_clISt17integral_constantIbLb0EESY_IbLb1EEEEDaSU_SV_EUlSU_E_NS1_11comp_targetILNS1_3genE5ELNS1_11target_archE942ELNS1_3gpuE9ELNS1_3repE0EEENS1_30default_config_static_selectorELNS0_4arch9wavefront6targetE1EEEvT1_ ; -- Begin function _ZN7rocprim17ROCPRIM_400000_NS6detail17trampoline_kernelINS0_14default_configENS1_33run_length_encode_config_selectorIijNS0_4plusIjEEEEZZNS1_33reduce_by_key_impl_wrapped_configILNS1_25lookback_scan_determinismE0ES3_S7_PKiNS0_17constant_iteratorIjlEEPiPlSF_S6_NS0_8equal_toIiEEEE10hipError_tPvRmT2_T3_mT4_T5_T6_T7_T8_P12ihipStream_tbENKUlT_T0_E_clISt17integral_constantIbLb0EESY_IbLb1EEEEDaSU_SV_EUlSU_E_NS1_11comp_targetILNS1_3genE5ELNS1_11target_archE942ELNS1_3gpuE9ELNS1_3repE0EEENS1_30default_config_static_selectorELNS0_4arch9wavefront6targetE1EEEvT1_
	.globl	_ZN7rocprim17ROCPRIM_400000_NS6detail17trampoline_kernelINS0_14default_configENS1_33run_length_encode_config_selectorIijNS0_4plusIjEEEEZZNS1_33reduce_by_key_impl_wrapped_configILNS1_25lookback_scan_determinismE0ES3_S7_PKiNS0_17constant_iteratorIjlEEPiPlSF_S6_NS0_8equal_toIiEEEE10hipError_tPvRmT2_T3_mT4_T5_T6_T7_T8_P12ihipStream_tbENKUlT_T0_E_clISt17integral_constantIbLb0EESY_IbLb1EEEEDaSU_SV_EUlSU_E_NS1_11comp_targetILNS1_3genE5ELNS1_11target_archE942ELNS1_3gpuE9ELNS1_3repE0EEENS1_30default_config_static_selectorELNS0_4arch9wavefront6targetE1EEEvT1_
	.p2align	8
	.type	_ZN7rocprim17ROCPRIM_400000_NS6detail17trampoline_kernelINS0_14default_configENS1_33run_length_encode_config_selectorIijNS0_4plusIjEEEEZZNS1_33reduce_by_key_impl_wrapped_configILNS1_25lookback_scan_determinismE0ES3_S7_PKiNS0_17constant_iteratorIjlEEPiPlSF_S6_NS0_8equal_toIiEEEE10hipError_tPvRmT2_T3_mT4_T5_T6_T7_T8_P12ihipStream_tbENKUlT_T0_E_clISt17integral_constantIbLb0EESY_IbLb1EEEEDaSU_SV_EUlSU_E_NS1_11comp_targetILNS1_3genE5ELNS1_11target_archE942ELNS1_3gpuE9ELNS1_3repE0EEENS1_30default_config_static_selectorELNS0_4arch9wavefront6targetE1EEEvT1_,@function
_ZN7rocprim17ROCPRIM_400000_NS6detail17trampoline_kernelINS0_14default_configENS1_33run_length_encode_config_selectorIijNS0_4plusIjEEEEZZNS1_33reduce_by_key_impl_wrapped_configILNS1_25lookback_scan_determinismE0ES3_S7_PKiNS0_17constant_iteratorIjlEEPiPlSF_S6_NS0_8equal_toIiEEEE10hipError_tPvRmT2_T3_mT4_T5_T6_T7_T8_P12ihipStream_tbENKUlT_T0_E_clISt17integral_constantIbLb0EESY_IbLb1EEEEDaSU_SV_EUlSU_E_NS1_11comp_targetILNS1_3genE5ELNS1_11target_archE942ELNS1_3gpuE9ELNS1_3repE0EEENS1_30default_config_static_selectorELNS0_4arch9wavefront6targetE1EEEvT1_: ; @_ZN7rocprim17ROCPRIM_400000_NS6detail17trampoline_kernelINS0_14default_configENS1_33run_length_encode_config_selectorIijNS0_4plusIjEEEEZZNS1_33reduce_by_key_impl_wrapped_configILNS1_25lookback_scan_determinismE0ES3_S7_PKiNS0_17constant_iteratorIjlEEPiPlSF_S6_NS0_8equal_toIiEEEE10hipError_tPvRmT2_T3_mT4_T5_T6_T7_T8_P12ihipStream_tbENKUlT_T0_E_clISt17integral_constantIbLb0EESY_IbLb1EEEEDaSU_SV_EUlSU_E_NS1_11comp_targetILNS1_3genE5ELNS1_11target_archE942ELNS1_3gpuE9ELNS1_3repE0EEENS1_30default_config_static_selectorELNS0_4arch9wavefront6targetE1EEEvT1_
; %bb.0:
	.section	.rodata,"a",@progbits
	.p2align	6, 0x0
	.amdhsa_kernel _ZN7rocprim17ROCPRIM_400000_NS6detail17trampoline_kernelINS0_14default_configENS1_33run_length_encode_config_selectorIijNS0_4plusIjEEEEZZNS1_33reduce_by_key_impl_wrapped_configILNS1_25lookback_scan_determinismE0ES3_S7_PKiNS0_17constant_iteratorIjlEEPiPlSF_S6_NS0_8equal_toIiEEEE10hipError_tPvRmT2_T3_mT4_T5_T6_T7_T8_P12ihipStream_tbENKUlT_T0_E_clISt17integral_constantIbLb0EESY_IbLb1EEEEDaSU_SV_EUlSU_E_NS1_11comp_targetILNS1_3genE5ELNS1_11target_archE942ELNS1_3gpuE9ELNS1_3repE0EEENS1_30default_config_static_selectorELNS0_4arch9wavefront6targetE1EEEvT1_
		.amdhsa_group_segment_fixed_size 0
		.amdhsa_private_segment_fixed_size 0
		.amdhsa_kernarg_size 128
		.amdhsa_user_sgpr_count 6
		.amdhsa_user_sgpr_private_segment_buffer 1
		.amdhsa_user_sgpr_dispatch_ptr 0
		.amdhsa_user_sgpr_queue_ptr 0
		.amdhsa_user_sgpr_kernarg_segment_ptr 1
		.amdhsa_user_sgpr_dispatch_id 0
		.amdhsa_user_sgpr_flat_scratch_init 0
		.amdhsa_user_sgpr_kernarg_preload_length 0
		.amdhsa_user_sgpr_kernarg_preload_offset 0
		.amdhsa_user_sgpr_private_segment_size 0
		.amdhsa_uses_dynamic_stack 0
		.amdhsa_system_sgpr_private_segment_wavefront_offset 0
		.amdhsa_system_sgpr_workgroup_id_x 1
		.amdhsa_system_sgpr_workgroup_id_y 0
		.amdhsa_system_sgpr_workgroup_id_z 0
		.amdhsa_system_sgpr_workgroup_info 0
		.amdhsa_system_vgpr_workitem_id 0
		.amdhsa_next_free_vgpr 1
		.amdhsa_next_free_sgpr 0
		.amdhsa_accum_offset 4
		.amdhsa_reserve_vcc 0
		.amdhsa_reserve_flat_scratch 0
		.amdhsa_float_round_mode_32 0
		.amdhsa_float_round_mode_16_64 0
		.amdhsa_float_denorm_mode_32 3
		.amdhsa_float_denorm_mode_16_64 3
		.amdhsa_dx10_clamp 1
		.amdhsa_ieee_mode 1
		.amdhsa_fp16_overflow 0
		.amdhsa_tg_split 0
		.amdhsa_exception_fp_ieee_invalid_op 0
		.amdhsa_exception_fp_denorm_src 0
		.amdhsa_exception_fp_ieee_div_zero 0
		.amdhsa_exception_fp_ieee_overflow 0
		.amdhsa_exception_fp_ieee_underflow 0
		.amdhsa_exception_fp_ieee_inexact 0
		.amdhsa_exception_int_div_zero 0
	.end_amdhsa_kernel
	.section	.text._ZN7rocprim17ROCPRIM_400000_NS6detail17trampoline_kernelINS0_14default_configENS1_33run_length_encode_config_selectorIijNS0_4plusIjEEEEZZNS1_33reduce_by_key_impl_wrapped_configILNS1_25lookback_scan_determinismE0ES3_S7_PKiNS0_17constant_iteratorIjlEEPiPlSF_S6_NS0_8equal_toIiEEEE10hipError_tPvRmT2_T3_mT4_T5_T6_T7_T8_P12ihipStream_tbENKUlT_T0_E_clISt17integral_constantIbLb0EESY_IbLb1EEEEDaSU_SV_EUlSU_E_NS1_11comp_targetILNS1_3genE5ELNS1_11target_archE942ELNS1_3gpuE9ELNS1_3repE0EEENS1_30default_config_static_selectorELNS0_4arch9wavefront6targetE1EEEvT1_,"axG",@progbits,_ZN7rocprim17ROCPRIM_400000_NS6detail17trampoline_kernelINS0_14default_configENS1_33run_length_encode_config_selectorIijNS0_4plusIjEEEEZZNS1_33reduce_by_key_impl_wrapped_configILNS1_25lookback_scan_determinismE0ES3_S7_PKiNS0_17constant_iteratorIjlEEPiPlSF_S6_NS0_8equal_toIiEEEE10hipError_tPvRmT2_T3_mT4_T5_T6_T7_T8_P12ihipStream_tbENKUlT_T0_E_clISt17integral_constantIbLb0EESY_IbLb1EEEEDaSU_SV_EUlSU_E_NS1_11comp_targetILNS1_3genE5ELNS1_11target_archE942ELNS1_3gpuE9ELNS1_3repE0EEENS1_30default_config_static_selectorELNS0_4arch9wavefront6targetE1EEEvT1_,comdat
.Lfunc_end470:
	.size	_ZN7rocprim17ROCPRIM_400000_NS6detail17trampoline_kernelINS0_14default_configENS1_33run_length_encode_config_selectorIijNS0_4plusIjEEEEZZNS1_33reduce_by_key_impl_wrapped_configILNS1_25lookback_scan_determinismE0ES3_S7_PKiNS0_17constant_iteratorIjlEEPiPlSF_S6_NS0_8equal_toIiEEEE10hipError_tPvRmT2_T3_mT4_T5_T6_T7_T8_P12ihipStream_tbENKUlT_T0_E_clISt17integral_constantIbLb0EESY_IbLb1EEEEDaSU_SV_EUlSU_E_NS1_11comp_targetILNS1_3genE5ELNS1_11target_archE942ELNS1_3gpuE9ELNS1_3repE0EEENS1_30default_config_static_selectorELNS0_4arch9wavefront6targetE1EEEvT1_, .Lfunc_end470-_ZN7rocprim17ROCPRIM_400000_NS6detail17trampoline_kernelINS0_14default_configENS1_33run_length_encode_config_selectorIijNS0_4plusIjEEEEZZNS1_33reduce_by_key_impl_wrapped_configILNS1_25lookback_scan_determinismE0ES3_S7_PKiNS0_17constant_iteratorIjlEEPiPlSF_S6_NS0_8equal_toIiEEEE10hipError_tPvRmT2_T3_mT4_T5_T6_T7_T8_P12ihipStream_tbENKUlT_T0_E_clISt17integral_constantIbLb0EESY_IbLb1EEEEDaSU_SV_EUlSU_E_NS1_11comp_targetILNS1_3genE5ELNS1_11target_archE942ELNS1_3gpuE9ELNS1_3repE0EEENS1_30default_config_static_selectorELNS0_4arch9wavefront6targetE1EEEvT1_
                                        ; -- End function
	.section	.AMDGPU.csdata,"",@progbits
; Kernel info:
; codeLenInByte = 0
; NumSgprs: 4
; NumVgprs: 0
; NumAgprs: 0
; TotalNumVgprs: 0
; ScratchSize: 0
; MemoryBound: 0
; FloatMode: 240
; IeeeMode: 1
; LDSByteSize: 0 bytes/workgroup (compile time only)
; SGPRBlocks: 0
; VGPRBlocks: 0
; NumSGPRsForWavesPerEU: 4
; NumVGPRsForWavesPerEU: 1
; AccumOffset: 4
; Occupancy: 8
; WaveLimiterHint : 0
; COMPUTE_PGM_RSRC2:SCRATCH_EN: 0
; COMPUTE_PGM_RSRC2:USER_SGPR: 6
; COMPUTE_PGM_RSRC2:TRAP_HANDLER: 0
; COMPUTE_PGM_RSRC2:TGID_X_EN: 1
; COMPUTE_PGM_RSRC2:TGID_Y_EN: 0
; COMPUTE_PGM_RSRC2:TGID_Z_EN: 0
; COMPUTE_PGM_RSRC2:TIDIG_COMP_CNT: 0
; COMPUTE_PGM_RSRC3_GFX90A:ACCUM_OFFSET: 0
; COMPUTE_PGM_RSRC3_GFX90A:TG_SPLIT: 0
	.section	.text._ZN7rocprim17ROCPRIM_400000_NS6detail17trampoline_kernelINS0_14default_configENS1_33run_length_encode_config_selectorIijNS0_4plusIjEEEEZZNS1_33reduce_by_key_impl_wrapped_configILNS1_25lookback_scan_determinismE0ES3_S7_PKiNS0_17constant_iteratorIjlEEPiPlSF_S6_NS0_8equal_toIiEEEE10hipError_tPvRmT2_T3_mT4_T5_T6_T7_T8_P12ihipStream_tbENKUlT_T0_E_clISt17integral_constantIbLb0EESY_IbLb1EEEEDaSU_SV_EUlSU_E_NS1_11comp_targetILNS1_3genE4ELNS1_11target_archE910ELNS1_3gpuE8ELNS1_3repE0EEENS1_30default_config_static_selectorELNS0_4arch9wavefront6targetE1EEEvT1_,"axG",@progbits,_ZN7rocprim17ROCPRIM_400000_NS6detail17trampoline_kernelINS0_14default_configENS1_33run_length_encode_config_selectorIijNS0_4plusIjEEEEZZNS1_33reduce_by_key_impl_wrapped_configILNS1_25lookback_scan_determinismE0ES3_S7_PKiNS0_17constant_iteratorIjlEEPiPlSF_S6_NS0_8equal_toIiEEEE10hipError_tPvRmT2_T3_mT4_T5_T6_T7_T8_P12ihipStream_tbENKUlT_T0_E_clISt17integral_constantIbLb0EESY_IbLb1EEEEDaSU_SV_EUlSU_E_NS1_11comp_targetILNS1_3genE4ELNS1_11target_archE910ELNS1_3gpuE8ELNS1_3repE0EEENS1_30default_config_static_selectorELNS0_4arch9wavefront6targetE1EEEvT1_,comdat
	.protected	_ZN7rocprim17ROCPRIM_400000_NS6detail17trampoline_kernelINS0_14default_configENS1_33run_length_encode_config_selectorIijNS0_4plusIjEEEEZZNS1_33reduce_by_key_impl_wrapped_configILNS1_25lookback_scan_determinismE0ES3_S7_PKiNS0_17constant_iteratorIjlEEPiPlSF_S6_NS0_8equal_toIiEEEE10hipError_tPvRmT2_T3_mT4_T5_T6_T7_T8_P12ihipStream_tbENKUlT_T0_E_clISt17integral_constantIbLb0EESY_IbLb1EEEEDaSU_SV_EUlSU_E_NS1_11comp_targetILNS1_3genE4ELNS1_11target_archE910ELNS1_3gpuE8ELNS1_3repE0EEENS1_30default_config_static_selectorELNS0_4arch9wavefront6targetE1EEEvT1_ ; -- Begin function _ZN7rocprim17ROCPRIM_400000_NS6detail17trampoline_kernelINS0_14default_configENS1_33run_length_encode_config_selectorIijNS0_4plusIjEEEEZZNS1_33reduce_by_key_impl_wrapped_configILNS1_25lookback_scan_determinismE0ES3_S7_PKiNS0_17constant_iteratorIjlEEPiPlSF_S6_NS0_8equal_toIiEEEE10hipError_tPvRmT2_T3_mT4_T5_T6_T7_T8_P12ihipStream_tbENKUlT_T0_E_clISt17integral_constantIbLb0EESY_IbLb1EEEEDaSU_SV_EUlSU_E_NS1_11comp_targetILNS1_3genE4ELNS1_11target_archE910ELNS1_3gpuE8ELNS1_3repE0EEENS1_30default_config_static_selectorELNS0_4arch9wavefront6targetE1EEEvT1_
	.globl	_ZN7rocprim17ROCPRIM_400000_NS6detail17trampoline_kernelINS0_14default_configENS1_33run_length_encode_config_selectorIijNS0_4plusIjEEEEZZNS1_33reduce_by_key_impl_wrapped_configILNS1_25lookback_scan_determinismE0ES3_S7_PKiNS0_17constant_iteratorIjlEEPiPlSF_S6_NS0_8equal_toIiEEEE10hipError_tPvRmT2_T3_mT4_T5_T6_T7_T8_P12ihipStream_tbENKUlT_T0_E_clISt17integral_constantIbLb0EESY_IbLb1EEEEDaSU_SV_EUlSU_E_NS1_11comp_targetILNS1_3genE4ELNS1_11target_archE910ELNS1_3gpuE8ELNS1_3repE0EEENS1_30default_config_static_selectorELNS0_4arch9wavefront6targetE1EEEvT1_
	.p2align	8
	.type	_ZN7rocprim17ROCPRIM_400000_NS6detail17trampoline_kernelINS0_14default_configENS1_33run_length_encode_config_selectorIijNS0_4plusIjEEEEZZNS1_33reduce_by_key_impl_wrapped_configILNS1_25lookback_scan_determinismE0ES3_S7_PKiNS0_17constant_iteratorIjlEEPiPlSF_S6_NS0_8equal_toIiEEEE10hipError_tPvRmT2_T3_mT4_T5_T6_T7_T8_P12ihipStream_tbENKUlT_T0_E_clISt17integral_constantIbLb0EESY_IbLb1EEEEDaSU_SV_EUlSU_E_NS1_11comp_targetILNS1_3genE4ELNS1_11target_archE910ELNS1_3gpuE8ELNS1_3repE0EEENS1_30default_config_static_selectorELNS0_4arch9wavefront6targetE1EEEvT1_,@function
_ZN7rocprim17ROCPRIM_400000_NS6detail17trampoline_kernelINS0_14default_configENS1_33run_length_encode_config_selectorIijNS0_4plusIjEEEEZZNS1_33reduce_by_key_impl_wrapped_configILNS1_25lookback_scan_determinismE0ES3_S7_PKiNS0_17constant_iteratorIjlEEPiPlSF_S6_NS0_8equal_toIiEEEE10hipError_tPvRmT2_T3_mT4_T5_T6_T7_T8_P12ihipStream_tbENKUlT_T0_E_clISt17integral_constantIbLb0EESY_IbLb1EEEEDaSU_SV_EUlSU_E_NS1_11comp_targetILNS1_3genE4ELNS1_11target_archE910ELNS1_3gpuE8ELNS1_3repE0EEENS1_30default_config_static_selectorELNS0_4arch9wavefront6targetE1EEEvT1_: ; @_ZN7rocprim17ROCPRIM_400000_NS6detail17trampoline_kernelINS0_14default_configENS1_33run_length_encode_config_selectorIijNS0_4plusIjEEEEZZNS1_33reduce_by_key_impl_wrapped_configILNS1_25lookback_scan_determinismE0ES3_S7_PKiNS0_17constant_iteratorIjlEEPiPlSF_S6_NS0_8equal_toIiEEEE10hipError_tPvRmT2_T3_mT4_T5_T6_T7_T8_P12ihipStream_tbENKUlT_T0_E_clISt17integral_constantIbLb0EESY_IbLb1EEEEDaSU_SV_EUlSU_E_NS1_11comp_targetILNS1_3genE4ELNS1_11target_archE910ELNS1_3gpuE8ELNS1_3repE0EEENS1_30default_config_static_selectorELNS0_4arch9wavefront6targetE1EEEvT1_
; %bb.0:
	s_load_dword s12, s[4:5], 0x10
	s_load_dwordx4 s[44:47], s[4:5], 0x20
	s_load_dwordx2 s[52:53], s[4:5], 0x30
	s_load_dwordx2 s[34:35], s[4:5], 0x70
	s_load_dwordx4 s[48:51], s[4:5], 0x60
	s_load_dwordx8 s[36:43], s[4:5], 0x40
	v_cmp_ne_u32_e64 s[2:3], 0, v0
	v_cmp_eq_u32_e64 s[0:1], 0, v0
	s_and_saveexec_b64 s[6:7], s[0:1]
	s_cbranch_execz .LBB471_4
; %bb.1:
	s_mov_b64 s[10:11], exec
	v_mbcnt_lo_u32_b32 v1, s10, 0
	v_mbcnt_hi_u32_b32 v1, s11, v1
	v_cmp_eq_u32_e32 vcc, 0, v1
                                        ; implicit-def: $vgpr2
	s_and_saveexec_b64 s[8:9], vcc
	s_cbranch_execz .LBB471_3
; %bb.2:
	s_load_dwordx2 s[14:15], s[4:5], 0x78
	s_bcnt1_i32_b64 s10, s[10:11]
	v_mov_b32_e32 v2, 0
	v_mov_b32_e32 v3, s10
	s_waitcnt lgkmcnt(0)
	global_atomic_add v2, v2, v3, s[14:15] glc
.LBB471_3:
	s_or_b64 exec, exec, s[8:9]
	s_waitcnt vmcnt(0)
	v_readfirstlane_b32 s8, v2
	v_add_u32_e32 v1, s8, v1
	v_mov_b32_e32 v2, 0
	ds_write_b32 v2, v1
.LBB471_4:
	s_or_b64 exec, exec, s[6:7]
	s_load_dwordx4 s[4:7], s[4:5], 0x0
	v_mov_b32_e32 v3, 0
	s_waitcnt lgkmcnt(0)
	s_barrier
	ds_read_b32 v1, v3
	s_mul_i32 s8, s40, s39
	s_mul_hi_u32 s9, s40, s38
	s_add_i32 s8, s9, s8
	s_mul_i32 s9, s41, s38
	s_add_i32 s8, s8, s9
	s_lshl_b64 s[6:7], s[6:7], 2
	s_add_u32 s4, s4, s6
	s_movk_i32 s6, 0xf00
	s_waitcnt lgkmcnt(0)
	v_mul_lo_u32 v2, v1, s6
	s_mul_i32 s9, s40, s38
	s_addc_u32 s5, s5, s7
	v_readfirstlane_b32 s56, v1
	v_lshlrev_b64 v[2:3], 2, v[2:3]
	v_add_co_u32_e32 v2, vcc, s4, v2
	s_add_u32 s4, s9, s56
	v_mov_b32_e32 v1, s5
	s_addc_u32 s5, s8, 0
	s_add_u32 s8, s42, -1
	s_addc_u32 s9, s43, -1
	s_cmp_eq_u64 s[4:5], s[8:9]
	v_addc_co_u32_e32 v3, vcc, v1, v3, vcc
	s_cselect_b64 s[40:41], -1, 0
	s_cmp_lg_u64 s[4:5], s[8:9]
	s_mov_b64 s[10:11], -1
	s_cselect_b64 s[6:7], -1, 0
	s_mul_i32 s33, s8, 0xfffff100
	s_and_b64 vcc, exec, s[40:41]
	s_barrier
	s_cbranch_vccnz .LBB471_6
; %bb.5:
	v_lshlrev_b32_e32 v1, 2, v0
	v_add_co_u32_e32 v6, vcc, v2, v1
	v_addc_co_u32_e32 v7, vcc, 0, v3, vcc
	v_add_co_u32_e32 v4, vcc, 0x1000, v6
	v_readfirstlane_b32 s8, v2
	v_readfirstlane_b32 s9, v3
	v_addc_co_u32_e32 v5, vcc, 0, v7, vcc
	s_nop 3
	global_load_dword v8, v1, s[8:9]
	global_load_dword v9, v1, s[8:9] offset:1024
	global_load_dword v10, v1, s[8:9] offset:2048
	global_load_dword v11, v1, s[8:9] offset:3072
	global_load_dword v12, v[4:5], off
	global_load_dword v13, v[4:5], off offset:1024
	global_load_dword v14, v[4:5], off offset:2048
	;; [unrolled: 1-line block ×3, first 2 shown]
	v_add_co_u32_e32 v4, vcc, 0x2000, v6
	v_addc_co_u32_e32 v5, vcc, 0, v7, vcc
	v_add_co_u32_e32 v6, vcc, 0x3000, v6
	v_addc_co_u32_e32 v7, vcc, 0, v7, vcc
	global_load_dword v16, v[4:5], off
	global_load_dword v17, v[4:5], off offset:1024
	global_load_dword v18, v[4:5], off offset:2048
	;; [unrolled: 1-line block ×3, first 2 shown]
	global_load_dword v20, v[6:7], off
	global_load_dword v21, v[6:7], off offset:1024
	global_load_dword v22, v[6:7], off offset:2048
	v_mad_u32_u24 v4, v0, 56, v1
	s_mov_b64 s[8:9], -1
	s_waitcnt vmcnt(13)
	ds_write2st64_b32 v1, v8, v9 offset1:4
	s_waitcnt vmcnt(11)
	ds_write2st64_b32 v1, v10, v11 offset0:8 offset1:12
	s_waitcnt vmcnt(9)
	ds_write2st64_b32 v1, v12, v13 offset0:16 offset1:20
	;; [unrolled: 2-line block ×6, first 2 shown]
	s_waitcnt vmcnt(0)
	ds_write_b32 v1, v22 offset:14336
	s_waitcnt lgkmcnt(0)
	s_barrier
	ds_read2_b32 v[20:21], v4 offset1:1
	ds_read2_b32 v[18:19], v4 offset0:2 offset1:3
	ds_read2_b32 v[16:17], v4 offset0:4 offset1:5
	ds_read2_b32 v[14:15], v4 offset0:6 offset1:7
	ds_read2_b32 v[12:13], v4 offset0:8 offset1:9
	ds_read2_b32 v[10:11], v4 offset0:10 offset1:11
	ds_read2_b32 v[8:9], v4 offset0:12 offset1:13
	ds_read_b32 v1, v4 offset:56
	s_waitcnt lgkmcnt(7)
	v_mov_b32_e32 v24, v20
	s_waitcnt lgkmcnt(6)
	v_mov_b32_e32 v25, v18
	;; [unrolled: 2-line block ×7, first 2 shown]
	s_add_i32 s33, s33, s48
	s_cbranch_execz .LBB471_7
	s_branch .LBB471_38
.LBB471_6:
	s_mov_b64 s[8:9], 0
                                        ; implicit-def: $vgpr1
                                        ; implicit-def: $vgpr8
                                        ; implicit-def: $vgpr10
                                        ; implicit-def: $vgpr12
                                        ; implicit-def: $vgpr14
                                        ; implicit-def: $vgpr16
                                        ; implicit-def: $vgpr18
                                        ; implicit-def: $vgpr20
                                        ; implicit-def: $vgpr4_vgpr5
                                        ; implicit-def: $vgpr6_vgpr7
                                        ; implicit-def: $vgpr24_vgpr25
                                        ; implicit-def: $vgpr22_vgpr23
	s_add_i32 s33, s33, s48
	s_andn2_b64 vcc, exec, s[10:11]
	s_cbranch_vccnz .LBB471_38
.LBB471_7:
	v_cmp_gt_u32_e32 vcc, s33, v0
                                        ; implicit-def: $vgpr1
	s_and_saveexec_b64 s[8:9], vcc
	s_cbranch_execz .LBB471_9
; %bb.8:
	s_waitcnt lgkmcnt(0)
	v_lshlrev_b32_e32 v1, 2, v0
	v_readfirstlane_b32 s10, v2
	v_readfirstlane_b32 s11, v3
	s_nop 4
	global_load_dword v1, v1, s[10:11]
.LBB471_9:
	s_or_b64 exec, exec, s[8:9]
	v_or_b32_e32 v4, 0x100, v0
	v_cmp_gt_u32_e32 vcc, s33, v4
                                        ; implicit-def: $vgpr4
	s_and_saveexec_b64 s[8:9], vcc
	s_cbranch_execz .LBB471_11
; %bb.10:
	v_lshlrev_b32_e32 v4, 2, v0
	v_readfirstlane_b32 s10, v2
	v_readfirstlane_b32 s11, v3
	s_nop 4
	global_load_dword v4, v4, s[10:11] offset:1024
.LBB471_11:
	s_or_b64 exec, exec, s[8:9]
	v_or_b32_e32 v5, 0x200, v0
	v_cmp_gt_u32_e32 vcc, s33, v5
                                        ; implicit-def: $vgpr5
	s_and_saveexec_b64 s[8:9], vcc
	s_cbranch_execz .LBB471_13
; %bb.12:
	v_lshlrev_b32_e32 v5, 2, v0
	v_readfirstlane_b32 s10, v2
	v_readfirstlane_b32 s11, v3
	s_nop 4
	global_load_dword v5, v5, s[10:11] offset:2048
.LBB471_13:
	s_or_b64 exec, exec, s[8:9]
	v_or_b32_e32 v6, 0x300, v0
	v_cmp_gt_u32_e32 vcc, s33, v6
                                        ; implicit-def: $vgpr6
	s_and_saveexec_b64 s[8:9], vcc
	s_cbranch_execz .LBB471_15
; %bb.14:
	v_lshlrev_b32_e32 v6, 2, v0
	v_readfirstlane_b32 s10, v2
	v_readfirstlane_b32 s11, v3
	s_nop 4
	global_load_dword v6, v6, s[10:11] offset:3072
.LBB471_15:
	s_or_b64 exec, exec, s[8:9]
	v_or_b32_e32 v8, 0x400, v0
	v_cmp_gt_u32_e32 vcc, s33, v8
                                        ; implicit-def: $vgpr7
	s_and_saveexec_b64 s[8:9], vcc
	s_cbranch_execz .LBB471_17
; %bb.16:
	v_lshlrev_b32_e32 v7, 2, v8
	v_readfirstlane_b32 s10, v2
	v_readfirstlane_b32 s11, v3
	s_nop 4
	global_load_dword v7, v7, s[10:11]
.LBB471_17:
	s_or_b64 exec, exec, s[8:9]
	v_or_b32_e32 v9, 0x500, v0
	v_cmp_gt_u32_e32 vcc, s33, v9
                                        ; implicit-def: $vgpr8
	s_and_saveexec_b64 s[8:9], vcc
	s_cbranch_execz .LBB471_19
; %bb.18:
	v_lshlrev_b32_e32 v8, 2, v9
	v_readfirstlane_b32 s10, v2
	v_readfirstlane_b32 s11, v3
	s_nop 4
	global_load_dword v8, v8, s[10:11]
.LBB471_19:
	s_or_b64 exec, exec, s[8:9]
	v_or_b32_e32 v10, 0x600, v0
	v_cmp_gt_u32_e32 vcc, s33, v10
                                        ; implicit-def: $vgpr9
	s_and_saveexec_b64 s[8:9], vcc
	s_cbranch_execz .LBB471_21
; %bb.20:
	v_lshlrev_b32_e32 v9, 2, v10
	v_readfirstlane_b32 s10, v2
	v_readfirstlane_b32 s11, v3
	s_nop 4
	global_load_dword v9, v9, s[10:11]
.LBB471_21:
	s_or_b64 exec, exec, s[8:9]
	v_or_b32_e32 v11, 0x700, v0
	v_cmp_gt_u32_e32 vcc, s33, v11
                                        ; implicit-def: $vgpr10
	s_and_saveexec_b64 s[8:9], vcc
	s_cbranch_execz .LBB471_23
; %bb.22:
	v_lshlrev_b32_e32 v10, 2, v11
	v_readfirstlane_b32 s10, v2
	v_readfirstlane_b32 s11, v3
	s_nop 4
	global_load_dword v10, v10, s[10:11]
.LBB471_23:
	s_or_b64 exec, exec, s[8:9]
	v_or_b32_e32 v12, 0x800, v0
	v_cmp_gt_u32_e32 vcc, s33, v12
                                        ; implicit-def: $vgpr11
	s_and_saveexec_b64 s[8:9], vcc
	s_cbranch_execz .LBB471_25
; %bb.24:
	v_lshlrev_b32_e32 v11, 2, v12
	v_readfirstlane_b32 s10, v2
	v_readfirstlane_b32 s11, v3
	s_nop 4
	global_load_dword v11, v11, s[10:11]
.LBB471_25:
	s_or_b64 exec, exec, s[8:9]
	v_or_b32_e32 v13, 0x900, v0
	v_cmp_gt_u32_e32 vcc, s33, v13
                                        ; implicit-def: $vgpr12
	s_and_saveexec_b64 s[8:9], vcc
	s_cbranch_execz .LBB471_27
; %bb.26:
	v_lshlrev_b32_e32 v12, 2, v13
	v_readfirstlane_b32 s10, v2
	v_readfirstlane_b32 s11, v3
	s_nop 4
	global_load_dword v12, v12, s[10:11]
.LBB471_27:
	s_or_b64 exec, exec, s[8:9]
	v_or_b32_e32 v14, 0xa00, v0
	v_cmp_gt_u32_e32 vcc, s33, v14
                                        ; implicit-def: $vgpr13
	s_and_saveexec_b64 s[8:9], vcc
	s_cbranch_execz .LBB471_29
; %bb.28:
	v_lshlrev_b32_e32 v13, 2, v14
	v_readfirstlane_b32 s10, v2
	v_readfirstlane_b32 s11, v3
	s_nop 4
	global_load_dword v13, v13, s[10:11]
.LBB471_29:
	s_or_b64 exec, exec, s[8:9]
	v_or_b32_e32 v15, 0xb00, v0
	v_cmp_gt_u32_e32 vcc, s33, v15
                                        ; implicit-def: $vgpr14
	s_and_saveexec_b64 s[8:9], vcc
	s_cbranch_execz .LBB471_31
; %bb.30:
	v_lshlrev_b32_e32 v14, 2, v15
	v_readfirstlane_b32 s10, v2
	v_readfirstlane_b32 s11, v3
	s_nop 4
	global_load_dword v14, v14, s[10:11]
.LBB471_31:
	s_or_b64 exec, exec, s[8:9]
	v_or_b32_e32 v16, 0xc00, v0
	v_cmp_gt_u32_e32 vcc, s33, v16
                                        ; implicit-def: $vgpr15
	s_and_saveexec_b64 s[8:9], vcc
	s_cbranch_execz .LBB471_33
; %bb.32:
	v_lshlrev_b32_e32 v15, 2, v16
	v_readfirstlane_b32 s10, v2
	v_readfirstlane_b32 s11, v3
	s_nop 4
	global_load_dword v15, v15, s[10:11]
.LBB471_33:
	s_or_b64 exec, exec, s[8:9]
	v_or_b32_e32 v17, 0xd00, v0
	v_cmp_gt_u32_e32 vcc, s33, v17
                                        ; implicit-def: $vgpr16
	s_and_saveexec_b64 s[8:9], vcc
	s_cbranch_execz .LBB471_35
; %bb.34:
	v_lshlrev_b32_e32 v16, 2, v17
	v_readfirstlane_b32 s10, v2
	v_readfirstlane_b32 s11, v3
	s_nop 4
	global_load_dword v16, v16, s[10:11]
.LBB471_35:
	s_or_b64 exec, exec, s[8:9]
	v_or_b32_e32 v18, 0xe00, v0
	v_cmp_gt_u32_e32 vcc, s33, v18
                                        ; implicit-def: $vgpr17
	s_and_saveexec_b64 s[8:9], vcc
	s_cbranch_execz .LBB471_37
; %bb.36:
	v_lshlrev_b32_e32 v17, 2, v18
	v_readfirstlane_b32 s10, v2
	v_readfirstlane_b32 s11, v3
	s_nop 4
	global_load_dword v17, v17, s[10:11]
.LBB471_37:
	s_or_b64 exec, exec, s[8:9]
	v_lshlrev_b32_e32 v18, 2, v0
	s_waitcnt vmcnt(0) lgkmcnt(0)
	ds_write2st64_b32 v18, v1, v4 offset1:4
	ds_write2st64_b32 v18, v5, v6 offset0:8 offset1:12
	ds_write2st64_b32 v18, v7, v8 offset0:16 offset1:20
	;; [unrolled: 1-line block ×6, first 2 shown]
	ds_write_b32 v18, v17 offset:14336
	v_mad_u32_u24 v1, v0, 56, v18
	s_waitcnt lgkmcnt(0)
	s_barrier
	ds_read2_b32 v[20:21], v1 offset1:1
	ds_read2_b32 v[18:19], v1 offset0:2 offset1:3
	ds_read2_b32 v[16:17], v1 offset0:4 offset1:5
	;; [unrolled: 1-line block ×6, first 2 shown]
	ds_read_b32 v1, v1 offset:56
	v_mad_u32_u24 v4, v0, 15, 14
	v_cmp_gt_u32_e64 s[8:9], s33, v4
	s_waitcnt lgkmcnt(7)
	v_mov_b32_e32 v24, v20
	s_waitcnt lgkmcnt(6)
	v_mov_b32_e32 v25, v18
	s_waitcnt lgkmcnt(5)
	v_mov_b32_e32 v6, v16
	s_waitcnt lgkmcnt(4)
	v_mov_b32_e32 v7, v14
	s_waitcnt lgkmcnt(3)
	v_mov_b32_e32 v4, v12
	s_waitcnt lgkmcnt(2)
	v_mov_b32_e32 v5, v10
	s_waitcnt lgkmcnt(1)
	v_mov_b32_e32 v22, v8
.LBB471_38:
	v_mov_b32_e32 v52, s12
                                        ; implicit-def: $vgpr53
	s_and_saveexec_b64 s[10:11], s[8:9]
; %bb.39:
	v_mov_b32_e32 v53, s12
; %bb.40:
	s_or_b64 exec, exec, s[10:11]
	s_cmp_eq_u64 s[4:5], 0
	s_cselect_b64 s[42:43], -1, 0
	s_cmp_lg_u64 s[4:5], 0
	s_mov_b64 s[54:55], 0
	s_cselect_b64 s[8:9], -1, 0
	s_and_b64 vcc, exec, s[6:7]
	s_waitcnt lgkmcnt(0)
	s_barrier
	s_cbranch_vccz .LBB471_46
; %bb.41:
	s_and_b64 vcc, exec, s[8:9]
	s_cbranch_vccz .LBB471_47
; %bb.42:
	global_load_dword v23, v[2:3], off offset:-4
	v_lshlrev_b32_e32 v26, 2, v0
	ds_write_b32 v26, v1
	s_waitcnt lgkmcnt(0)
	s_barrier
	s_and_saveexec_b64 s[6:7], s[2:3]
	s_cbranch_execz .LBB471_44
; %bb.43:
	s_waitcnt vmcnt(0)
	v_add_u32_e32 v23, -4, v26
	ds_read_b32 v23, v23
.LBB471_44:
	s_or_b64 exec, exec, s[6:7]
	v_cmp_ne_u32_e32 vcc, v24, v21
	v_cndmask_b32_e64 v67, 0, 1, vcc
	v_cmp_ne_u32_e32 vcc, v25, v21
	v_cndmask_b32_e64 v66, 0, 1, vcc
	;; [unrolled: 2-line block ×14, first 2 shown]
	s_waitcnt vmcnt(0) lgkmcnt(0)
	v_cmp_ne_u32_e64 s[6:7], v23, v20
	s_mov_b64 s[54:55], -1
.LBB471_45:
                                        ; implicit-def: $sgpr12
	s_branch .LBB471_59
.LBB471_46:
                                        ; implicit-def: $sgpr6_sgpr7
                                        ; implicit-def: $vgpr54
                                        ; implicit-def: $vgpr55
                                        ; implicit-def: $vgpr56
                                        ; implicit-def: $vgpr57
                                        ; implicit-def: $vgpr58
                                        ; implicit-def: $vgpr59
                                        ; implicit-def: $vgpr60
                                        ; implicit-def: $vgpr61
                                        ; implicit-def: $vgpr62
                                        ; implicit-def: $vgpr63
                                        ; implicit-def: $vgpr64
                                        ; implicit-def: $vgpr65
                                        ; implicit-def: $vgpr66
                                        ; implicit-def: $vgpr67
                                        ; implicit-def: $sgpr12
	s_cbranch_execnz .LBB471_51
	s_branch .LBB471_59
.LBB471_47:
                                        ; implicit-def: $sgpr6_sgpr7
                                        ; implicit-def: $vgpr54
                                        ; implicit-def: $vgpr55
                                        ; implicit-def: $vgpr56
                                        ; implicit-def: $vgpr57
                                        ; implicit-def: $vgpr58
                                        ; implicit-def: $vgpr59
                                        ; implicit-def: $vgpr60
                                        ; implicit-def: $vgpr61
                                        ; implicit-def: $vgpr62
                                        ; implicit-def: $vgpr63
                                        ; implicit-def: $vgpr64
                                        ; implicit-def: $vgpr65
                                        ; implicit-def: $vgpr66
                                        ; implicit-def: $vgpr67
	s_cbranch_execz .LBB471_45
; %bb.48:
	v_cmp_ne_u32_e32 vcc, v21, v24
	v_cndmask_b32_e64 v67, 0, 1, vcc
	v_cmp_ne_u32_e32 vcc, v21, v25
	v_cndmask_b32_e64 v66, 0, 1, vcc
	;; [unrolled: 2-line block ×13, first 2 shown]
	v_cmp_ne_u32_e32 vcc, v9, v1
	v_lshlrev_b32_e32 v23, 2, v0
	v_cndmask_b32_e64 v54, 0, 1, vcc
	ds_write_b32 v23, v1
	s_waitcnt lgkmcnt(0)
	s_barrier
	s_waitcnt lgkmcnt(0)
                                        ; implicit-def: $sgpr6_sgpr7
	s_and_saveexec_b64 s[10:11], s[2:3]
	s_xor_b64 s[10:11], exec, s[10:11]
	s_cbranch_execz .LBB471_50
; %bb.49:
	v_add_u32_e32 v4, -4, v23
	ds_read_b32 v4, v4
	s_or_b64 s[54:55], s[54:55], exec
	s_waitcnt lgkmcnt(0)
	v_cmp_ne_u32_e32 vcc, v4, v20
	s_and_b64 s[6:7], vcc, exec
.LBB471_50:
	s_or_b64 exec, exec, s[10:11]
	s_mov_b32 s12, 1
	s_branch .LBB471_59
.LBB471_51:
	s_mul_hi_u32 s6, s4, 0xfffff100
	s_mulk_i32 s5, 0xf100
	s_sub_i32 s6, s6, s4
	s_add_i32 s6, s6, s5
	s_mulk_i32 s4, 0xf100
	s_add_u32 s48, s4, s48
	s_addc_u32 s49, s6, s49
	s_and_b64 vcc, exec, s[8:9]
	v_cmp_ne_u32_e64 s[30:31], v9, v1
	v_cmp_ne_u32_e64 s[28:29], v8, v9
	;; [unrolled: 1-line block ×14, first 2 shown]
	v_mad_u32_u24 v4, v0, 15, 14
	v_mad_u32_u24 v44, v0, 15, 13
	;; [unrolled: 1-line block ×14, first 2 shown]
	s_cbranch_vccz .LBB471_56
; %bb.52:
	global_load_dword v46, v[2:3], off offset:-4
	v_mov_b32_e32 v5, 0
	v_cmp_gt_u64_e32 vcc, s[48:49], v[4:5]
	v_mov_b32_e32 v45, v5
	s_and_b64 s[30:31], vcc, s[30:31]
	v_cmp_gt_u64_e32 vcc, s[48:49], v[44:45]
	v_mov_b32_e32 v43, v5
	s_and_b64 s[28:29], vcc, s[28:29]
	;; [unrolled: 3-line block ×13, first 2 shown]
	v_cmp_gt_u64_e32 vcc, s[48:49], v[6:7]
	v_lshlrev_b32_e32 v3, 2, v0
	v_mul_u32_u24_e32 v2, 15, v0
	s_and_b64 s[4:5], vcc, s[4:5]
	ds_write_b32 v3, v1
	s_waitcnt lgkmcnt(0)
	s_barrier
	s_and_saveexec_b64 s[54:55], s[2:3]
	s_cbranch_execz .LBB471_54
; %bb.53:
	v_add_u32_e32 v3, -4, v3
	s_waitcnt vmcnt(0)
	ds_read_b32 v46, v3
.LBB471_54:
	s_or_b64 exec, exec, s[54:55]
	v_mov_b32_e32 v3, v5
	v_cndmask_b32_e64 v67, 0, 1, s[4:5]
	v_cmp_gt_u64_e32 vcc, s[48:49], v[2:3]
	s_waitcnt vmcnt(0) lgkmcnt(0)
	v_cmp_ne_u32_e64 s[4:5], v46, v20
	v_cndmask_b32_e64 v54, 0, 1, s[30:31]
	v_cndmask_b32_e64 v55, 0, 1, s[28:29]
	;; [unrolled: 1-line block ×13, first 2 shown]
	s_and_b64 s[6:7], vcc, s[4:5]
	s_mov_b64 s[54:55], -1
.LBB471_55:
                                        ; implicit-def: $sgpr12
	v_mov_b32_e32 v68, s12
	s_and_saveexec_b64 s[2:3], s[54:55]
	s_cbranch_execnz .LBB471_60
	s_branch .LBB471_61
.LBB471_56:
                                        ; implicit-def: $sgpr6_sgpr7
                                        ; implicit-def: $vgpr54
                                        ; implicit-def: $vgpr55
                                        ; implicit-def: $vgpr56
                                        ; implicit-def: $vgpr57
                                        ; implicit-def: $vgpr58
                                        ; implicit-def: $vgpr59
                                        ; implicit-def: $vgpr60
                                        ; implicit-def: $vgpr61
                                        ; implicit-def: $vgpr62
                                        ; implicit-def: $vgpr63
                                        ; implicit-def: $vgpr64
                                        ; implicit-def: $vgpr65
                                        ; implicit-def: $vgpr66
                                        ; implicit-def: $vgpr67
	s_cbranch_execz .LBB471_55
; %bb.57:
	v_mov_b32_e32 v5, 0
	v_cmp_gt_u64_e32 vcc, s[48:49], v[4:5]
	v_cmp_ne_u32_e64 s[4:5], v9, v1
	s_and_b64 s[4:5], vcc, s[4:5]
	v_mov_b32_e32 v45, v5
	v_cndmask_b32_e64 v54, 0, 1, s[4:5]
	v_cmp_gt_u64_e32 vcc, s[48:49], v[44:45]
	v_cmp_ne_u32_e64 s[4:5], v8, v9
	s_and_b64 s[4:5], vcc, s[4:5]
	v_mov_b32_e32 v43, v5
	v_cndmask_b32_e64 v55, 0, 1, s[4:5]
	;; [unrolled: 5-line block ×13, first 2 shown]
	v_cmp_gt_u64_e32 vcc, s[48:49], v[6:7]
	v_cmp_ne_u32_e64 s[4:5], v20, v21
	s_and_b64 s[4:5], vcc, s[4:5]
	v_lshlrev_b32_e32 v2, 2, v0
	s_mov_b32 s12, 1
	v_cndmask_b32_e64 v67, 0, 1, s[4:5]
	ds_write_b32 v2, v1
	s_waitcnt lgkmcnt(0)
	s_barrier
	s_waitcnt lgkmcnt(0)
                                        ; implicit-def: $sgpr6_sgpr7
	s_and_saveexec_b64 s[4:5], s[2:3]
	s_cbranch_execz .LBB471_152
; %bb.58:
	v_add_u32_e32 v2, -4, v2
	ds_read_b32 v2, v2
	v_mul_u32_u24_e32 v4, 15, v0
	v_cmp_gt_u64_e32 vcc, s[48:49], v[4:5]
	s_or_b64 s[54:55], s[54:55], exec
	s_waitcnt lgkmcnt(0)
	v_cmp_ne_u32_e64 s[2:3], v2, v20
	s_and_b64 s[2:3], vcc, s[2:3]
	s_and_b64 s[6:7], s[2:3], exec
	s_or_b64 exec, exec, s[4:5]
.LBB471_59:
	v_mov_b32_e32 v68, s12
	s_and_saveexec_b64 s[2:3], s[54:55]
.LBB471_60:
	v_cndmask_b32_e64 v68, 0, 1, s[6:7]
.LBB471_61:
	s_or_b64 exec, exec, s[2:3]
	s_cmp_eq_u64 s[38:39], 0
	v_add3_u32 v2, v67, v68, v66
	s_cselect_b64 s[38:39], -1, 0
	s_cmp_lg_u32 s56, 0
	v_cmp_eq_u32_e64 s[26:27], 0, v67
	v_cmp_eq_u32_e64 s[24:25], 0, v66
	;; [unrolled: 1-line block ×3, first 2 shown]
	v_add3_u32 v72, v2, v65, v64
	v_cmp_eq_u32_e64 s[20:21], 0, v64
	v_cmp_eq_u32_e64 s[18:19], 0, v63
	;; [unrolled: 1-line block ×10, first 2 shown]
	v_cmp_eq_u32_e32 vcc, 0, v54
	v_mbcnt_lo_u32_b32 v71, -1, 0
	v_lshrrev_b32_e32 v69, 6, v0
	v_or_b32_e32 v70, 63, v0
	s_cbranch_scc0 .LBB471_88
; %bb.62:
	v_cndmask_b32_e64 v2, 0, v52, s[26:27]
	v_add_u32_e32 v2, v2, v52
	v_cndmask_b32_e64 v2, 0, v2, s[24:25]
	v_add_u32_e32 v2, v2, v52
	;; [unrolled: 2-line block ×11, first 2 shown]
	v_cndmask_b32_e64 v2, 0, v2, s[4:5]
	v_add3_u32 v3, v72, v63, v62
	v_add_u32_e32 v2, v2, v52
	v_add3_u32 v3, v3, v61, v60
	v_cndmask_b32_e64 v2, 0, v2, s[2:3]
	v_add3_u32 v3, v3, v59, v58
	v_add_u32_e32 v2, v2, v52
	v_add3_u32 v3, v3, v57, v56
	v_cndmask_b32_e32 v2, 0, v2, vcc
	v_add3_u32 v3, v3, v55, v54
	v_add_u32_e32 v2, v2, v53
	v_mbcnt_hi_u32_b32 v25, -1, v71
	v_and_b32_e32 v4, 15, v25
	v_mov_b32_dpp v6, v2 row_shr:1 row_mask:0xf bank_mask:0xf
	v_cmp_eq_u32_e32 vcc, 0, v3
	v_mov_b32_dpp v5, v3 row_shr:1 row_mask:0xf bank_mask:0xf
	v_cndmask_b32_e32 v6, 0, v6, vcc
	v_cmp_eq_u32_e32 vcc, 0, v4
	v_cndmask_b32_e64 v5, v5, 0, vcc
	v_add_u32_e32 v3, v5, v3
	v_cndmask_b32_e64 v5, v6, 0, vcc
	v_add_u32_e32 v2, v5, v2
	v_cmp_eq_u32_e32 vcc, 0, v3
	v_mov_b32_dpp v5, v3 row_shr:2 row_mask:0xf bank_mask:0xf
	v_cmp_lt_u32_e64 s[28:29], 1, v4
	v_mov_b32_dpp v6, v2 row_shr:2 row_mask:0xf bank_mask:0xf
	v_cndmask_b32_e64 v5, 0, v5, s[28:29]
	s_and_b64 vcc, s[28:29], vcc
	v_cndmask_b32_e32 v6, 0, v6, vcc
	v_add_u32_e32 v3, v3, v5
	v_add_u32_e32 v2, v6, v2
	v_cmp_eq_u32_e32 vcc, 0, v3
	v_mov_b32_dpp v5, v3 row_shr:4 row_mask:0xf bank_mask:0xf
	v_cmp_lt_u32_e64 s[28:29], 3, v4
	v_mov_b32_dpp v6, v2 row_shr:4 row_mask:0xf bank_mask:0xf
	v_cndmask_b32_e64 v5, 0, v5, s[28:29]
	s_and_b64 vcc, s[28:29], vcc
	v_cndmask_b32_e32 v6, 0, v6, vcc
	v_add_u32_e32 v3, v5, v3
	v_add_u32_e32 v2, v2, v6
	v_cmp_eq_u32_e32 vcc, 0, v3
	v_cmp_lt_u32_e64 s[28:29], 7, v4
	v_mov_b32_dpp v5, v3 row_shr:8 row_mask:0xf bank_mask:0xf
	v_mov_b32_dpp v6, v2 row_shr:8 row_mask:0xf bank_mask:0xf
	s_and_b64 vcc, s[28:29], vcc
	v_cndmask_b32_e64 v4, 0, v5, s[28:29]
	v_cndmask_b32_e32 v5, 0, v6, vcc
	v_add_u32_e32 v2, v5, v2
	v_add_u32_e32 v3, v4, v3
	v_bfe_i32 v6, v25, 4, 1
	v_mov_b32_dpp v5, v2 row_bcast:15 row_mask:0xf bank_mask:0xf
	v_mov_b32_dpp v4, v3 row_bcast:15 row_mask:0xf bank_mask:0xf
	v_cmp_eq_u32_e32 vcc, 0, v3
	v_cndmask_b32_e32 v5, 0, v5, vcc
	v_and_b32_e32 v4, v6, v4
	v_add_u32_e32 v3, v4, v3
	v_and_b32_e32 v4, v6, v5
	v_add_u32_e32 v4, v4, v2
	v_mov_b32_dpp v2, v3 row_bcast:31 row_mask:0xf bank_mask:0xf
	v_cmp_eq_u32_e32 vcc, 0, v3
	v_cmp_lt_u32_e64 s[28:29], 31, v25
	v_mov_b32_dpp v5, v4 row_bcast:31 row_mask:0xf bank_mask:0xf
	v_cndmask_b32_e64 v2, 0, v2, s[28:29]
	s_and_b64 vcc, s[28:29], vcc
	v_add_u32_e32 v2, v2, v3
	v_cndmask_b32_e32 v3, 0, v5, vcc
	v_add_u32_e32 v3, v3, v4
	v_cmp_eq_u32_e32 vcc, v70, v0
	v_lshlrev_b32_e32 v4, 3, v69
	s_and_saveexec_b64 s[28:29], vcc
	s_cbranch_execz .LBB471_64
; %bb.63:
	ds_write_b64 v4, v[2:3] offset:2064
.LBB471_64:
	s_or_b64 exec, exec, s[28:29]
	v_cmp_gt_u32_e32 vcc, 4, v0
	s_waitcnt lgkmcnt(0)
	s_barrier
	s_and_saveexec_b64 s[30:31], vcc
	s_cbranch_execz .LBB471_66
; %bb.65:
	v_lshlrev_b32_e32 v5, 3, v0
	ds_read_b64 v[6:7], v5 offset:2064
	v_and_b32_e32 v22, 3, v25
	v_cmp_lt_u32_e64 s[28:29], 1, v22
	s_waitcnt lgkmcnt(0)
	v_mov_b32_dpp v24, v7 row_shr:1 row_mask:0xf bank_mask:0xf
	v_cmp_eq_u32_e32 vcc, 0, v6
	v_mov_b32_dpp v23, v6 row_shr:1 row_mask:0xf bank_mask:0xf
	v_cndmask_b32_e32 v24, 0, v24, vcc
	v_cmp_eq_u32_e32 vcc, 0, v22
	v_cndmask_b32_e64 v23, v23, 0, vcc
	v_add_u32_e32 v6, v23, v6
	v_cndmask_b32_e64 v23, v24, 0, vcc
	v_add_u32_e32 v7, v23, v7
	v_cmp_eq_u32_e32 vcc, 0, v6
	v_mov_b32_dpp v23, v6 row_shr:2 row_mask:0xf bank_mask:0xf
	v_mov_b32_dpp v24, v7 row_shr:2 row_mask:0xf bank_mask:0xf
	v_cndmask_b32_e64 v22, 0, v23, s[28:29]
	s_and_b64 vcc, s[28:29], vcc
	v_add_u32_e32 v6, v22, v6
	v_cndmask_b32_e32 v22, 0, v24, vcc
	v_add_u32_e32 v7, v22, v7
	ds_write_b64 v5, v[6:7] offset:2064
.LBB471_66:
	s_or_b64 exec, exec, s[30:31]
	v_cmp_gt_u32_e32 vcc, 64, v0
	v_cmp_lt_u32_e64 s[28:29], 63, v0
	v_mov_b32_e32 v22, 0
	v_mov_b32_e32 v23, 0
	s_waitcnt lgkmcnt(0)
	s_barrier
	s_and_saveexec_b64 s[30:31], s[28:29]
	s_cbranch_execz .LBB471_68
; %bb.67:
	ds_read_b64 v[22:23], v4 offset:2056
	v_cmp_eq_u32_e64 s[28:29], 0, v2
	s_waitcnt lgkmcnt(0)
	v_add_u32_e32 v4, v22, v2
	v_cndmask_b32_e64 v2, 0, v23, s[28:29]
	v_add_u32_e32 v3, v2, v3
	v_mov_b32_e32 v2, v4
.LBB471_68:
	s_or_b64 exec, exec, s[30:31]
	v_add_u32_e32 v4, -1, v25
	v_and_b32_e32 v5, 64, v25
	v_cmp_lt_i32_e64 s[28:29], v4, v5
	v_cndmask_b32_e64 v4, v4, v25, s[28:29]
	v_lshlrev_b32_e32 v4, 2, v4
	ds_bpermute_b32 v30, v4, v2
	ds_bpermute_b32 v31, v4, v3
	v_cmp_eq_u32_e64 s[28:29], 0, v25
	s_and_saveexec_b64 s[48:49], vcc
	s_cbranch_execz .LBB471_87
; %bb.69:
	v_mov_b32_e32 v7, 0
	ds_read_b64 v[2:3], v7 offset:2088
	s_waitcnt lgkmcnt(0)
	v_readfirstlane_b32 s57, v2
	v_readfirstlane_b32 s58, v3
	s_and_saveexec_b64 s[30:31], s[28:29]
	s_cbranch_execz .LBB471_71
; %bb.70:
	s_add_i32 s54, s56, 64
	s_mov_b32 s55, 0
	s_lshl_b64 s[60:61], s[54:55], 4
	s_add_u32 s60, s36, s60
	s_addc_u32 s61, s37, s61
	s_and_b32 s63, s58, 0xff000000
	s_mov_b32 s62, s55
	s_and_b32 s65, s58, 0xff0000
	s_mov_b32 s64, s55
	s_or_b64 s[62:63], s[64:65], s[62:63]
	s_and_b32 s65, s58, 0xff00
	s_or_b64 s[62:63], s[62:63], s[64:65]
	s_and_b32 s65, s58, 0xff
	s_or_b64 s[54:55], s[62:63], s[64:65]
	v_mov_b32_e32 v4, s57
	v_mov_b32_e32 v5, s55
	;; [unrolled: 1-line block ×3, first 2 shown]
	v_pk_mov_b32 v[2:3], s[60:61], s[60:61] op_sel:[0,1]
	;;#ASMSTART
	global_store_dwordx4 v[2:3], v[4:7] off	
s_waitcnt vmcnt(0)
	;;#ASMEND
.LBB471_71:
	s_or_b64 exec, exec, s[30:31]
	v_xad_u32 v24, v25, -1, s56
	v_add_u32_e32 v6, 64, v24
	v_lshlrev_b64 v[2:3], 4, v[6:7]
	v_mov_b32_e32 v4, s37
	v_add_co_u32_e32 v26, vcc, s36, v2
	v_addc_co_u32_e32 v27, vcc, v4, v3, vcc
	;;#ASMSTART
	global_load_dwordx4 v[2:5], v[26:27] off glc	
s_waitcnt vmcnt(0)
	;;#ASMEND
	v_and_b32_e32 v5, 0xff, v3
	v_and_b32_e32 v6, 0xff00, v3
	v_or3_b32 v5, 0, v5, v6
	v_or3_b32 v2, v2, 0, 0
	v_and_b32_e32 v6, 0xff000000, v3
	v_and_b32_e32 v3, 0xff0000, v3
	v_or3_b32 v3, v5, v3, v6
	v_or3_b32 v2, v2, 0, 0
	v_cmp_eq_u16_sdwa s[54:55], v4, v7 src0_sel:BYTE_0 src1_sel:DWORD
	s_and_saveexec_b64 s[30:31], s[54:55]
	s_cbranch_execz .LBB471_75
; %bb.72:
	s_mov_b64 s[54:55], 0
	v_mov_b32_e32 v6, 0
.LBB471_73:                             ; =>This Inner Loop Header: Depth=1
	;;#ASMSTART
	global_load_dwordx4 v[2:5], v[26:27] off glc	
s_waitcnt vmcnt(0)
	;;#ASMEND
	v_cmp_ne_u16_sdwa s[60:61], v4, v6 src0_sel:BYTE_0 src1_sel:DWORD
	s_or_b64 s[54:55], s[60:61], s[54:55]
	s_andn2_b64 exec, exec, s[54:55]
	s_cbranch_execnz .LBB471_73
; %bb.74:
	s_or_b64 exec, exec, s[54:55]
.LBB471_75:
	s_or_b64 exec, exec, s[30:31]
	v_mov_b32_e32 v32, 2
	v_cmp_eq_u16_sdwa s[30:31], v4, v32 src0_sel:BYTE_0 src1_sel:DWORD
	v_lshlrev_b64 v[26:27], v25, -1
	v_and_b32_e32 v5, s31, v27
	v_and_b32_e32 v33, 63, v25
	v_or_b32_e32 v5, 0x80000000, v5
	v_cmp_ne_u32_e32 vcc, 63, v33
	v_and_b32_e32 v6, s30, v26
	v_ffbl_b32_e32 v5, v5
	v_addc_co_u32_e32 v7, vcc, 0, v25, vcc
	v_add_u32_e32 v5, 32, v5
	v_ffbl_b32_e32 v6, v6
	v_lshlrev_b32_e32 v34, 2, v7
	v_min_u32_e32 v5, v6, v5
	ds_bpermute_b32 v6, v34, v3
	v_cmp_eq_u32_e32 vcc, 0, v2
	v_cmp_lt_u32_e64 s[30:31], v33, v5
	ds_bpermute_b32 v7, v34, v2
	s_and_b64 vcc, s[30:31], vcc
	s_waitcnt lgkmcnt(1)
	v_cndmask_b32_e32 v6, 0, v6, vcc
	v_cmp_gt_u32_e32 vcc, 62, v33
	v_add_u32_e32 v3, v6, v3
	v_cndmask_b32_e64 v6, 0, 1, vcc
	v_lshlrev_b32_e32 v6, 1, v6
	v_add_lshl_u32 v35, v6, v25, 2
	s_waitcnt lgkmcnt(0)
	v_cndmask_b32_e64 v7, 0, v7, s[30:31]
	ds_bpermute_b32 v6, v35, v3
	v_add_u32_e32 v2, v7, v2
	ds_bpermute_b32 v7, v35, v2
	v_add_u32_e32 v36, 2, v33
	v_cmp_eq_u32_e32 vcc, 0, v2
	s_waitcnt lgkmcnt(1)
	v_cndmask_b32_e32 v6, 0, v6, vcc
	v_cmp_gt_u32_e32 vcc, v36, v5
	v_cndmask_b32_e64 v6, v6, 0, vcc
	v_add_u32_e32 v3, v6, v3
	s_waitcnt lgkmcnt(0)
	v_cndmask_b32_e64 v6, v7, 0, vcc
	v_cmp_gt_u32_e32 vcc, 60, v33
	v_cndmask_b32_e64 v7, 0, 1, vcc
	v_lshlrev_b32_e32 v7, 2, v7
	v_add_lshl_u32 v37, v7, v25, 2
	ds_bpermute_b32 v7, v37, v3
	v_add_u32_e32 v2, v2, v6
	ds_bpermute_b32 v6, v37, v2
	v_add_u32_e32 v38, 4, v33
	v_cmp_eq_u32_e32 vcc, 0, v2
	s_waitcnt lgkmcnt(1)
	v_cndmask_b32_e32 v7, 0, v7, vcc
	v_cmp_gt_u32_e32 vcc, v38, v5
	v_cndmask_b32_e64 v7, v7, 0, vcc
	s_waitcnt lgkmcnt(0)
	v_cndmask_b32_e64 v6, v6, 0, vcc
	v_cmp_gt_u32_e32 vcc, 56, v33
	v_add_u32_e32 v3, v3, v7
	v_cndmask_b32_e64 v7, 0, 1, vcc
	v_lshlrev_b32_e32 v7, 3, v7
	v_add_lshl_u32 v39, v7, v25, 2
	ds_bpermute_b32 v7, v39, v3
	v_add_u32_e32 v2, v2, v6
	ds_bpermute_b32 v6, v39, v2
	v_add_u32_e32 v40, 8, v33
	v_cmp_eq_u32_e32 vcc, 0, v2
	s_waitcnt lgkmcnt(1)
	v_cndmask_b32_e32 v7, 0, v7, vcc
	v_cmp_gt_u32_e32 vcc, v40, v5
	v_cndmask_b32_e64 v7, v7, 0, vcc
	s_waitcnt lgkmcnt(0)
	v_cndmask_b32_e64 v6, v6, 0, vcc
	v_cmp_gt_u32_e32 vcc, 48, v33
	v_add_u32_e32 v3, v3, v7
	;; [unrolled: 16-line block ×3, first 2 shown]
	v_cndmask_b32_e64 v7, 0, 1, vcc
	v_lshlrev_b32_e32 v7, 5, v7
	v_add_lshl_u32 v43, v7, v25, 2
	ds_bpermute_b32 v7, v43, v3
	v_add_u32_e32 v2, v2, v6
	ds_bpermute_b32 v6, v43, v2
	v_add_u32_e32 v44, 32, v33
	v_cmp_eq_u32_e32 vcc, 0, v2
	s_waitcnt lgkmcnt(1)
	v_cndmask_b32_e32 v7, 0, v7, vcc
	v_cmp_gt_u32_e32 vcc, v44, v5
	v_cndmask_b32_e64 v5, v7, 0, vcc
	v_add_u32_e32 v3, v5, v3
	s_waitcnt lgkmcnt(0)
	v_cndmask_b32_e64 v5, v6, 0, vcc
	v_add_u32_e32 v2, v5, v2
	v_mov_b32_e32 v25, 0
	s_branch .LBB471_77
.LBB471_76:                             ;   in Loop: Header=BB471_77 Depth=1
	s_or_b64 exec, exec, s[30:31]
	v_cmp_eq_u16_sdwa s[30:31], v4, v32 src0_sel:BYTE_0 src1_sel:DWORD
	v_and_b32_e32 v5, s31, v27
	v_or_b32_e32 v5, 0x80000000, v5
	v_and_b32_e32 v28, s30, v26
	v_ffbl_b32_e32 v5, v5
	v_add_u32_e32 v5, 32, v5
	v_ffbl_b32_e32 v28, v28
	v_min_u32_e32 v5, v28, v5
	ds_bpermute_b32 v28, v34, v3
	v_cmp_eq_u32_e32 vcc, 0, v2
	v_cmp_lt_u32_e64 s[30:31], v33, v5
	ds_bpermute_b32 v29, v34, v2
	s_and_b64 vcc, s[30:31], vcc
	s_waitcnt lgkmcnt(1)
	v_cndmask_b32_e32 v28, 0, v28, vcc
	v_add_u32_e32 v3, v28, v3
	ds_bpermute_b32 v28, v35, v3
	s_waitcnt lgkmcnt(1)
	v_cndmask_b32_e64 v29, 0, v29, s[30:31]
	v_add_u32_e32 v2, v29, v2
	v_cmp_eq_u32_e32 vcc, 0, v2
	ds_bpermute_b32 v29, v35, v2
	s_waitcnt lgkmcnt(1)
	v_cndmask_b32_e32 v28, 0, v28, vcc
	v_cmp_gt_u32_e32 vcc, v36, v5
	v_cndmask_b32_e64 v28, v28, 0, vcc
	v_add_u32_e32 v3, v28, v3
	ds_bpermute_b32 v28, v37, v3
	s_waitcnt lgkmcnt(1)
	v_cndmask_b32_e64 v29, v29, 0, vcc
	v_add_u32_e32 v2, v2, v29
	v_cmp_eq_u32_e32 vcc, 0, v2
	ds_bpermute_b32 v29, v37, v2
	s_waitcnt lgkmcnt(1)
	v_cndmask_b32_e32 v28, 0, v28, vcc
	v_cmp_gt_u32_e32 vcc, v38, v5
	v_cndmask_b32_e64 v28, v28, 0, vcc
	v_add_u32_e32 v3, v3, v28
	ds_bpermute_b32 v28, v39, v3
	s_waitcnt lgkmcnt(1)
	v_cndmask_b32_e64 v29, v29, 0, vcc
	v_add_u32_e32 v2, v2, v29
	ds_bpermute_b32 v29, v39, v2
	v_cmp_eq_u32_e32 vcc, 0, v2
	s_waitcnt lgkmcnt(1)
	v_cndmask_b32_e32 v28, 0, v28, vcc
	v_cmp_gt_u32_e32 vcc, v40, v5
	v_cndmask_b32_e64 v28, v28, 0, vcc
	v_add_u32_e32 v3, v3, v28
	ds_bpermute_b32 v28, v41, v3
	s_waitcnt lgkmcnt(1)
	v_cndmask_b32_e64 v29, v29, 0, vcc
	v_add_u32_e32 v2, v2, v29
	ds_bpermute_b32 v29, v41, v2
	v_cmp_eq_u32_e32 vcc, 0, v2
	;; [unrolled: 11-line block ×3, first 2 shown]
	s_waitcnt lgkmcnt(1)
	v_cndmask_b32_e32 v28, 0, v28, vcc
	v_cmp_gt_u32_e32 vcc, v44, v5
	v_cndmask_b32_e64 v5, v28, 0, vcc
	v_add_u32_e32 v3, v5, v3
	s_waitcnt lgkmcnt(0)
	v_cndmask_b32_e64 v5, v29, 0, vcc
	v_cmp_eq_u32_e32 vcc, 0, v6
	v_cndmask_b32_e32 v3, 0, v3, vcc
	v_subrev_u32_e32 v24, 64, v24
	v_add3_u32 v2, v2, v6, v5
	v_add_u32_e32 v3, v3, v7
.LBB471_77:                             ; =>This Loop Header: Depth=1
                                        ;     Child Loop BB471_80 Depth 2
	v_cmp_ne_u16_sdwa s[30:31], v4, v32 src0_sel:BYTE_0 src1_sel:DWORD
	v_mov_b32_e32 v7, v3
	v_cndmask_b32_e64 v3, 0, 1, s[30:31]
	;;#ASMSTART
	;;#ASMEND
	v_cmp_ne_u32_e32 vcc, 0, v3
	s_cmp_lg_u64 vcc, exec
	v_mov_b32_e32 v6, v2
	s_cbranch_scc1 .LBB471_82
; %bb.78:                               ;   in Loop: Header=BB471_77 Depth=1
	v_lshlrev_b64 v[2:3], 4, v[24:25]
	v_mov_b32_e32 v4, s37
	v_add_co_u32_e32 v28, vcc, s36, v2
	v_addc_co_u32_e32 v29, vcc, v4, v3, vcc
	;;#ASMSTART
	global_load_dwordx4 v[2:5], v[28:29] off glc	
s_waitcnt vmcnt(0)
	;;#ASMEND
	v_and_b32_e32 v5, 0xff, v3
	v_and_b32_e32 v45, 0xff00, v3
	v_or3_b32 v5, 0, v5, v45
	v_or3_b32 v2, v2, 0, 0
	v_and_b32_e32 v45, 0xff000000, v3
	v_and_b32_e32 v3, 0xff0000, v3
	v_or3_b32 v3, v5, v3, v45
	v_or3_b32 v2, v2, 0, 0
	v_cmp_eq_u16_sdwa s[54:55], v4, v25 src0_sel:BYTE_0 src1_sel:DWORD
	s_and_saveexec_b64 s[30:31], s[54:55]
	s_cbranch_execz .LBB471_76
; %bb.79:                               ;   in Loop: Header=BB471_77 Depth=1
	s_mov_b64 s[54:55], 0
.LBB471_80:                             ;   Parent Loop BB471_77 Depth=1
                                        ; =>  This Inner Loop Header: Depth=2
	;;#ASMSTART
	global_load_dwordx4 v[2:5], v[28:29] off glc	
s_waitcnt vmcnt(0)
	;;#ASMEND
	v_cmp_ne_u16_sdwa s[60:61], v4, v25 src0_sel:BYTE_0 src1_sel:DWORD
	s_or_b64 s[54:55], s[60:61], s[54:55]
	s_andn2_b64 exec, exec, s[54:55]
	s_cbranch_execnz .LBB471_80
; %bb.81:                               ;   in Loop: Header=BB471_77 Depth=1
	s_or_b64 exec, exec, s[54:55]
	s_branch .LBB471_76
.LBB471_82:                             ;   in Loop: Header=BB471_77 Depth=1
                                        ; implicit-def: $vgpr3
                                        ; implicit-def: $vgpr2
                                        ; implicit-def: $vgpr4
	s_cbranch_execz .LBB471_77
; %bb.83:
	s_and_saveexec_b64 s[30:31], s[28:29]
	s_cbranch_execz .LBB471_85
; %bb.84:
	s_cmp_eq_u32 s57, 0
	s_cselect_b64 vcc, -1, 0
	s_mov_b32 s55, 0
	v_cndmask_b32_e32 v2, 0, v7, vcc
	s_add_i32 s54, s56, 64
	v_add_u32_e32 v2, s58, v2
	s_lshl_b64 s[54:55], s[54:55], 4
	s_add_u32 s54, s36, s54
	v_and_b32_e32 v3, 0xff000000, v2
	v_and_b32_e32 v4, 0xff0000, v2
	s_addc_u32 s55, s37, s55
	v_or_b32_e32 v3, v4, v3
	v_and_b32_e32 v4, 0xff00, v2
	v_and_b32_e32 v2, 0xff, v2
	v_add_u32_e32 v24, s57, v6
	v_mov_b32_e32 v27, 0
	v_or3_b32 v25, v3, v4, v2
	v_mov_b32_e32 v26, 2
	v_pk_mov_b32 v[2:3], s[54:55], s[54:55] op_sel:[0,1]
	;;#ASMSTART
	global_store_dwordx4 v[2:3], v[24:27] off	
s_waitcnt vmcnt(0)
	;;#ASMEND
	v_mov_b32_e32 v4, s57
	v_mov_b32_e32 v5, s58
	ds_write_b128 v27, v[4:7] offset:2048
.LBB471_85:
	s_or_b64 exec, exec, s[30:31]
	s_and_b64 exec, exec, s[0:1]
	s_cbranch_execz .LBB471_87
; %bb.86:
	v_mov_b32_e32 v2, 0
	ds_write_b64 v2, v[6:7] offset:2088
.LBB471_87:
	s_or_b64 exec, exec, s[48:49]
	v_mov_b32_e32 v4, 0
	s_waitcnt lgkmcnt(0)
	s_barrier
	ds_read_b64 v[2:3], v4 offset:2088
	v_cndmask_b32_e64 v6, v30, v22, s[28:29]
	v_cmp_eq_u32_e32 vcc, 0, v6
	v_cndmask_b32_e64 v5, v31, v23, s[28:29]
	s_waitcnt lgkmcnt(0)
	v_cndmask_b32_e32 v7, 0, v3, vcc
	v_add_u32_e32 v5, v7, v5
	v_cndmask_b32_e64 v51, v5, v3, s[0:1]
	v_cndmask_b32_e64 v3, v6, 0, s[0:1]
	v_cmp_eq_u32_e32 vcc, 0, v68
	v_add_u32_e32 v50, v2, v3
	v_cndmask_b32_e32 v2, 0, v51, vcc
	v_add_u32_e32 v49, v2, v52
	v_cndmask_b32_e64 v2, 0, v49, s[26:27]
	v_add_u32_e32 v47, v2, v52
	v_cndmask_b32_e64 v2, 0, v47, s[24:25]
	;; [unrolled: 2-line block ×8, first 2 shown]
	v_add_u32_e32 v48, v50, v68
	v_add_u32_e32 v33, v2, v52
	v_add_u32_e32 v46, v48, v67
	v_cndmask_b32_e64 v2, 0, v33, s[10:11]
	v_add_u32_e32 v44, v46, v66
	v_add_u32_e32 v31, v2, v52
	v_add_u32_e32 v42, v44, v65
	v_cndmask_b32_e64 v2, 0, v31, s[8:9]
	;; [unrolled: 4-line block ×3, first 2 shown]
	v_add_u32_e32 v36, v38, v62
	v_add_u32_e32 v27, v2, v52
	s_barrier
	ds_read_b128 v[2:5], v4 offset:2048
	v_add_u32_e32 v34, v36, v61
	v_add_u32_e32 v32, v34, v60
	;; [unrolled: 1-line block ×4, first 2 shown]
	v_cndmask_b32_e64 v6, 0, v27, s[4:5]
	v_add_u32_e32 v26, v28, v57
	v_add_u32_e32 v23, v6, v52
	s_waitcnt lgkmcnt(0)
	v_cmp_eq_u32_e32 vcc, 0, v2
	v_add_u32_e32 v22, v26, v56
	v_cndmask_b32_e64 v6, 0, v23, s[2:3]
	v_cndmask_b32_e32 v5, 0, v5, vcc
	v_add_u32_e32 v24, v22, v55
	v_add_u32_e32 v25, v6, v52
	;; [unrolled: 1-line block ×3, first 2 shown]
	s_branch .LBB471_100
.LBB471_88:
                                        ; implicit-def: $vgpr2
                                        ; implicit-def: $vgpr6
                                        ; implicit-def: $vgpr24_vgpr25
                                        ; implicit-def: $vgpr22_vgpr23
                                        ; implicit-def: $vgpr26_vgpr27
                                        ; implicit-def: $vgpr28_vgpr29
                                        ; implicit-def: $vgpr50_vgpr51
                                        ; implicit-def: $vgpr48_vgpr49
                                        ; implicit-def: $vgpr46_vgpr47
                                        ; implicit-def: $vgpr44_vgpr45
                                        ; implicit-def: $vgpr42_vgpr43
                                        ; implicit-def: $vgpr40_vgpr41
                                        ; implicit-def: $vgpr38_vgpr39
                                        ; implicit-def: $vgpr36_vgpr37
                                        ; implicit-def: $vgpr34_vgpr35
                                        ; implicit-def: $vgpr32_vgpr33
                                        ; implicit-def: $vgpr30_vgpr31
	s_cbranch_execz .LBB471_100
; %bb.89:
	s_and_b64 s[2:3], s[38:39], exec
	s_cselect_b32 s3, 0, s35
	s_cselect_b32 s2, 0, s34
	s_cmp_eq_u64 s[2:3], 0
	v_mov_b32_e32 v6, v52
	s_cbranch_scc1 .LBB471_91
; %bb.90:
	v_mov_b32_e32 v2, 0
	global_load_dword v6, v2, s[2:3]
.LBB471_91:
	v_cmp_eq_u32_e64 s[2:3], 0, v67
	v_cndmask_b32_e64 v2, 0, v52, s[2:3]
	v_add_u32_e32 v2, v2, v52
	v_cmp_eq_u32_e64 s[4:5], 0, v66
	v_cndmask_b32_e64 v2, 0, v2, s[4:5]
	v_add_u32_e32 v2, v2, v52
	;; [unrolled: 3-line block ×11, first 2 shown]
	v_cmp_eq_u32_e64 s[24:25], 0, v56
	v_cndmask_b32_e64 v2, 0, v2, s[24:25]
	v_add3_u32 v3, v72, v63, v62
	v_add_u32_e32 v2, v2, v52
	v_cmp_eq_u32_e32 vcc, 0, v55
	v_add3_u32 v3, v3, v61, v60
	v_cndmask_b32_e32 v2, 0, v2, vcc
	v_add3_u32 v3, v3, v59, v58
	v_add_u32_e32 v2, v2, v52
	v_cmp_eq_u32_e64 s[26:27], 0, v54
	v_add3_u32 v3, v3, v57, v56
	v_cndmask_b32_e64 v2, 0, v2, s[26:27]
	v_add3_u32 v3, v3, v55, v54
	v_add_u32_e32 v2, v2, v53
	v_mbcnt_hi_u32_b32 v7, -1, v71
	v_and_b32_e32 v4, 15, v7
	v_mov_b32_dpp v22, v2 row_shr:1 row_mask:0xf bank_mask:0xf
	v_cmp_eq_u32_e64 s[26:27], 0, v3
	v_mov_b32_dpp v5, v3 row_shr:1 row_mask:0xf bank_mask:0xf
	v_cndmask_b32_e64 v22, 0, v22, s[26:27]
	v_cmp_eq_u32_e64 s[26:27], 0, v4
	v_cndmask_b32_e64 v5, v5, 0, s[26:27]
	v_add_u32_e32 v3, v5, v3
	v_cndmask_b32_e64 v5, v22, 0, s[26:27]
	v_add_u32_e32 v2, v5, v2
	v_cmp_eq_u32_e64 s[26:27], 0, v3
	v_mov_b32_dpp v5, v3 row_shr:2 row_mask:0xf bank_mask:0xf
	v_cmp_lt_u32_e64 s[28:29], 1, v4
	v_mov_b32_dpp v22, v2 row_shr:2 row_mask:0xf bank_mask:0xf
	v_cndmask_b32_e64 v5, 0, v5, s[28:29]
	s_and_b64 s[26:27], s[28:29], s[26:27]
	v_cndmask_b32_e64 v22, 0, v22, s[26:27]
	v_add_u32_e32 v3, v3, v5
	v_add_u32_e32 v2, v22, v2
	v_cmp_eq_u32_e64 s[26:27], 0, v3
	v_mov_b32_dpp v5, v3 row_shr:4 row_mask:0xf bank_mask:0xf
	v_cmp_lt_u32_e64 s[28:29], 3, v4
	v_mov_b32_dpp v22, v2 row_shr:4 row_mask:0xf bank_mask:0xf
	v_cndmask_b32_e64 v5, 0, v5, s[28:29]
	s_and_b64 s[26:27], s[28:29], s[26:27]
	v_cndmask_b32_e64 v22, 0, v22, s[26:27]
	v_add_u32_e32 v3, v5, v3
	v_add_u32_e32 v2, v2, v22
	v_cmp_eq_u32_e64 s[26:27], 0, v3
	v_cmp_lt_u32_e64 s[28:29], 7, v4
	v_mov_b32_dpp v5, v3 row_shr:8 row_mask:0xf bank_mask:0xf
	v_mov_b32_dpp v22, v2 row_shr:8 row_mask:0xf bank_mask:0xf
	s_and_b64 s[26:27], s[28:29], s[26:27]
	v_cndmask_b32_e64 v4, 0, v5, s[28:29]
	v_cndmask_b32_e64 v5, 0, v22, s[26:27]
	v_add_u32_e32 v2, v5, v2
	v_add_u32_e32 v3, v4, v3
	v_bfe_i32 v22, v7, 4, 1
	v_mov_b32_dpp v5, v2 row_bcast:15 row_mask:0xf bank_mask:0xf
	v_mov_b32_dpp v4, v3 row_bcast:15 row_mask:0xf bank_mask:0xf
	v_cmp_eq_u32_e64 s[26:27], 0, v3
	v_cndmask_b32_e64 v5, 0, v5, s[26:27]
	v_and_b32_e32 v4, v22, v4
	v_add_u32_e32 v3, v4, v3
	v_and_b32_e32 v4, v22, v5
	v_add_u32_e32 v4, v4, v2
	v_mov_b32_dpp v2, v3 row_bcast:31 row_mask:0xf bank_mask:0xf
	v_cmp_eq_u32_e64 s[26:27], 0, v3
	v_cmp_lt_u32_e64 s[28:29], 31, v7
	v_mov_b32_dpp v5, v4 row_bcast:31 row_mask:0xf bank_mask:0xf
	v_cndmask_b32_e64 v2, 0, v2, s[28:29]
	s_and_b64 s[26:27], s[28:29], s[26:27]
	v_add_u32_e32 v2, v2, v3
	v_cndmask_b32_e64 v3, 0, v5, s[26:27]
	v_add_u32_e32 v3, v3, v4
	v_cmp_eq_u32_e64 s[26:27], v70, v0
	v_lshlrev_b32_e32 v5, 3, v69
	s_and_saveexec_b64 s[28:29], s[26:27]
	s_cbranch_execz .LBB471_93
; %bb.92:
	ds_write_b64 v5, v[2:3] offset:2064
.LBB471_93:
	s_or_b64 exec, exec, s[28:29]
	v_cmp_gt_u32_e64 s[26:27], 4, v0
	s_waitcnt lgkmcnt(0)
	s_barrier
	s_and_saveexec_b64 s[30:31], s[26:27]
	s_cbranch_execz .LBB471_95
; %bb.94:
	v_lshlrev_b32_e32 v4, 3, v0
	ds_read_b64 v[22:23], v4 offset:2064
	v_and_b32_e32 v24, 3, v7
	v_cmp_lt_u32_e64 s[28:29], 1, v24
	s_waitcnt lgkmcnt(0)
	v_mov_b32_dpp v26, v23 row_shr:1 row_mask:0xf bank_mask:0xf
	v_cmp_eq_u32_e64 s[26:27], 0, v22
	v_mov_b32_dpp v25, v22 row_shr:1 row_mask:0xf bank_mask:0xf
	v_cndmask_b32_e64 v26, 0, v26, s[26:27]
	v_cmp_eq_u32_e64 s[26:27], 0, v24
	v_cndmask_b32_e64 v25, v25, 0, s[26:27]
	v_add_u32_e32 v22, v25, v22
	v_cndmask_b32_e64 v25, v26, 0, s[26:27]
	v_add_u32_e32 v23, v25, v23
	v_cmp_eq_u32_e64 s[26:27], 0, v22
	v_mov_b32_dpp v25, v22 row_shr:2 row_mask:0xf bank_mask:0xf
	v_mov_b32_dpp v26, v23 row_shr:2 row_mask:0xf bank_mask:0xf
	v_cndmask_b32_e64 v24, 0, v25, s[28:29]
	s_and_b64 s[26:27], s[28:29], s[26:27]
	v_add_u32_e32 v22, v24, v22
	v_cndmask_b32_e64 v24, 0, v26, s[26:27]
	v_add_u32_e32 v23, v24, v23
	ds_write_b64 v4, v[22:23] offset:2064
.LBB471_95:
	s_or_b64 exec, exec, s[30:31]
	v_cmp_lt_u32_e64 s[26:27], 63, v0
	v_mov_b32_e32 v23, 0
	v_mov_b32_e32 v4, 0
	s_waitcnt vmcnt(0)
	v_mov_b32_e32 v22, v6
	s_waitcnt lgkmcnt(0)
	s_barrier
	s_and_saveexec_b64 s[28:29], s[26:27]
	s_cbranch_execz .LBB471_97
; %bb.96:
	ds_read_b64 v[4:5], v5 offset:2056
	s_waitcnt lgkmcnt(0)
	v_cmp_eq_u32_e64 s[26:27], 0, v4
	v_cndmask_b32_e64 v22, 0, v6, s[26:27]
	v_add_u32_e32 v22, v22, v5
.LBB471_97:
	s_or_b64 exec, exec, s[28:29]
	v_cmp_eq_u32_e64 s[26:27], 0, v2
	v_add_u32_e32 v5, v4, v2
	v_cndmask_b32_e64 v2, 0, v22, s[26:27]
	v_add_u32_e32 v2, v2, v3
	v_add_u32_e32 v3, -1, v7
	v_and_b32_e32 v24, 64, v7
	v_cmp_lt_i32_e64 s[26:27], v3, v24
	v_cndmask_b32_e64 v3, v3, v7, s[26:27]
	v_lshlrev_b32_e32 v3, 2, v3
	ds_bpermute_b32 v2, v3, v2
	ds_bpermute_b32 v5, v3, v5
	v_cmp_eq_u32_e64 s[26:27], 0, v7
	s_waitcnt lgkmcnt(1)
	v_cndmask_b32_e64 v2, v2, v22, s[26:27]
	s_waitcnt lgkmcnt(0)
	v_cndmask_b32_e64 v3, v5, v4, s[26:27]
	v_cndmask_b32_e64 v51, v2, v6, s[0:1]
	v_cmp_eq_u32_e64 s[26:27], 0, v68
	v_cndmask_b32_e64 v2, 0, v51, s[26:27]
	v_add_u32_e32 v49, v2, v52
	v_cndmask_b32_e64 v2, 0, v49, s[2:3]
	v_add_u32_e32 v47, v2, v52
	;; [unrolled: 2-line block ×8, first 2 shown]
	v_cndmask_b32_e64 v50, v3, 0, s[0:1]
	v_cndmask_b32_e64 v2, 0, v35, s[16:17]
	v_add_u32_e32 v48, v50, v68
	v_add_u32_e32 v33, v2, v52
	v_add_u32_e32 v46, v48, v67
	v_cndmask_b32_e64 v2, 0, v33, s[18:19]
	v_add_u32_e32 v44, v46, v66
	v_add_u32_e32 v31, v2, v52
	v_add_u32_e32 v42, v44, v65
	;; [unrolled: 4-line block ×3, first 2 shown]
	v_cndmask_b32_e64 v2, 0, v29, s[22:23]
	v_add_u32_e32 v36, v38, v62
	v_add_u32_e32 v27, v2, v52
	ds_read_b64 v[2:3], v23 offset:2088
	v_add_u32_e32 v34, v36, v61
	v_add_u32_e32 v32, v34, v60
	;; [unrolled: 1-line block ×3, first 2 shown]
	v_cndmask_b32_e64 v4, 0, v27, s[24:25]
	v_add_u32_e32 v28, v30, v58
	v_add_u32_e32 v23, v4, v52
	;; [unrolled: 1-line block ×3, first 2 shown]
	v_cndmask_b32_e32 v4, 0, v23, vcc
	s_waitcnt lgkmcnt(0)
	v_cmp_eq_u32_e32 vcc, 0, v2
	v_add_u32_e32 v22, v26, v56
	v_add_u32_e32 v25, v4, v52
	v_cndmask_b32_e32 v4, 0, v6, vcc
	v_add_u32_e32 v24, v22, v55
	v_add_u32_e32 v6, v4, v3
	s_and_saveexec_b64 s[2:3], s[0:1]
	s_cbranch_execz .LBB471_99
; %bb.98:
	s_add_u32 s4, s36, 0x400
	v_and_b32_e32 v3, 0xff000000, v6
	v_and_b32_e32 v4, 0xff0000, v6
	s_addc_u32 s5, s37, 0
	v_or_b32_e32 v3, v4, v3
	v_and_b32_e32 v4, 0xff00, v6
	v_and_b32_e32 v7, 0xff, v6
	v_mov_b32_e32 v5, 0
	v_or3_b32 v3, v3, v4, v7
	v_mov_b32_e32 v4, 2
	v_pk_mov_b32 v[52:53], s[4:5], s[4:5] op_sel:[0,1]
	;;#ASMSTART
	global_store_dwordx4 v[52:53], v[2:5] off	
s_waitcnt vmcnt(0)
	;;#ASMEND
.LBB471_99:
	s_or_b64 exec, exec, s[2:3]
	v_mov_b32_e32 v4, 0
.LBB471_100:
	s_and_b64 s[2:3], s[38:39], exec
	s_cselect_b32 s3, 0, s51
	s_cselect_b32 s2, 0, s50
	s_cmp_eq_u64 s[2:3], 0
	v_pk_mov_b32 v[52:53], 0, 0
	s_barrier
	s_cbranch_scc1 .LBB471_102
; %bb.101:
	v_mov_b32_e32 v3, 0
	global_load_dwordx2 v[52:53], v3, s[2:3]
.LBB471_102:
	s_waitcnt vmcnt(0)
	v_lshlrev_b64 v[70:71], 2, v[52:53]
	v_mov_b32_e32 v3, s45
	v_add_co_u32_e32 v7, vcc, s44, v70
	v_mov_b32_e32 v5, 0
	v_addc_co_u32_e32 v69, vcc, v3, v71, vcc
	v_lshlrev_b64 v[70:71], 2, v[4:5]
	v_add_co_u32_e32 v3, vcc, v7, v70
	v_addc_co_u32_e32 v7, vcc, v69, v71, vcc
	v_cmp_eq_u32_e32 vcc, 0, v68
	v_cndmask_b32_e64 v69, 1, 2, vcc
	v_cmp_eq_u32_e32 vcc, 0, v67
	v_cndmask_b32_e64 v70, 1, 2, vcc
	v_cmp_eq_u32_e32 vcc, 0, v66
	v_and_b32_e32 v69, v70, v69
	v_cndmask_b32_e64 v70, 1, 2, vcc
	v_cmp_eq_u32_e32 vcc, 0, v65
	v_and_b32_e32 v69, v69, v70
	;; [unrolled: 3-line block ×13, first 2 shown]
	v_cndmask_b32_e64 v70, 1, 2, vcc
	s_movk_i32 s34, 0x100
	v_and_b32_e32 v69, v69, v70
	v_cmp_gt_u32_e32 vcc, s34, v2
	v_cmp_ne_u32_e64 s[30:31], 0, v68
	v_cmp_ne_u32_e64 s[28:29], 0, v67
	;; [unrolled: 1-line block ×15, first 2 shown]
	s_mov_b64 s[36:37], -1
	v_cmp_gt_i16_e64 s[34:35], 2, v69
	s_cbranch_vccz .LBB471_109
; %bb.103:
	s_and_saveexec_b64 s[36:37], s[34:35]
	s_cbranch_execz .LBB471_108
; %bb.104:
	v_cmp_ne_u16_e32 vcc, 1, v69
	s_mov_b64 s[38:39], 0
	s_and_saveexec_b64 s[34:35], vcc
	s_xor_b64 s[34:35], exec, s[34:35]
	s_cbranch_execnz .LBB471_153
; %bb.105:
	s_andn2_saveexec_b64 s[34:35], s[34:35]
	s_cbranch_execnz .LBB471_169
.LBB471_106:
	s_or_b64 exec, exec, s[34:35]
	s_and_b64 exec, exec, s[38:39]
	s_cbranch_execz .LBB471_108
.LBB471_107:
	v_sub_u32_e32 v70, v24, v4
	v_mov_b32_e32 v71, 0
	v_lshlrev_b64 v[70:71], 2, v[70:71]
	v_add_co_u32_e32 v70, vcc, v3, v70
	v_addc_co_u32_e32 v71, vcc, v7, v71, vcc
	global_store_dword v[70:71], v1, off
.LBB471_108:
	s_or_b64 exec, exec, s[36:37]
	s_mov_b64 s[36:37], 0
.LBB471_109:
	s_and_b64 vcc, exec, s[36:37]
	s_cbranch_vccz .LBB471_131
; %bb.110:
	v_cmp_gt_i16_e32 vcc, 2, v69
	s_and_saveexec_b64 s[34:35], vcc
	s_cbranch_execz .LBB471_115
; %bb.111:
	v_cmp_ne_u16_e32 vcc, 1, v69
	s_mov_b64 s[38:39], 0
	s_and_saveexec_b64 s[36:37], vcc
	s_xor_b64 s[36:37], exec, s[36:37]
	s_cbranch_execnz .LBB471_170
; %bb.112:
	s_andn2_saveexec_b64 s[2:3], s[36:37]
	s_cbranch_execnz .LBB471_186
.LBB471_113:
	s_or_b64 exec, exec, s[2:3]
	s_and_b64 exec, exec, s[38:39]
	s_cbranch_execz .LBB471_115
.LBB471_114:
	v_sub_u32_e32 v8, v24, v4
	v_lshlrev_b32_e32 v8, 2, v8
	ds_write_b32 v8, v1
.LBB471_115:
	s_or_b64 exec, exec, s[34:35]
	v_cmp_lt_u32_e32 vcc, v0, v2
	s_waitcnt lgkmcnt(0)
	s_barrier
	s_and_saveexec_b64 s[4:5], vcc
	s_cbranch_execz .LBB471_130
; %bb.116:
	v_xad_u32 v1, v0, -1, v2
	s_movk_i32 s2, 0x1700
	v_cmp_gt_u32_e64 s[6:7], s2, v1
	s_movk_i32 s2, 0x16ff
	v_cmp_lt_u32_e32 vcc, s2, v1
	v_mov_b32_e32 v8, v0
	s_and_saveexec_b64 s[8:9], vcc
	s_cbranch_execz .LBB471_127
; %bb.117:
	v_sub_u32_e32 v8, v0, v2
	v_or_b32_e32 v8, 0xff, v8
	v_cmp_ge_u32_e32 vcc, v8, v0
	s_mov_b64 s[2:3], -1
	v_mov_b32_e32 v8, v0
	s_and_saveexec_b64 s[10:11], vcc
	s_cbranch_execz .LBB471_126
; %bb.118:
	v_lshrrev_b32_e32 v12, 8, v1
	v_add_u32_e32 v8, -1, v12
	v_or_b32_e32 v1, 0x100, v0
	v_lshrrev_b32_e32 v9, 1, v8
	v_add_u32_e32 v13, 1, v9
	v_cmp_lt_u32_e32 vcc, 13, v8
	v_mov_b32_e32 v16, 0
	v_pk_mov_b32 v[8:9], v[0:1], v[0:1] op_sel:[0,1]
	s_and_saveexec_b64 s[12:13], vcc
	s_cbranch_execz .LBB471_122
; %bb.119:
	v_and_b32_e32 v14, -8, v13
	v_lshlrev_b32_e32 v15, 2, v0
	s_mov_b32 s16, 0
	s_mov_b64 s[14:15], 0
	v_mov_b32_e32 v11, 0
	v_pk_mov_b32 v[8:9], v[0:1], v[0:1] op_sel:[0,1]
.LBB471_120:                            ; =>This Inner Loop Header: Depth=1
	v_mov_b32_e32 v10, v8
	v_add_u32_e32 v14, -8, v14
	v_lshlrev_b64 v[94:95], 2, v[10:11]
	v_mov_b32_e32 v10, v9
	ds_read2st64_b32 v[18:19], v15 offset1:4
	s_add_i32 s16, s16, 16
	v_cmp_eq_u32_e32 vcc, 0, v14
	v_lshlrev_b64 v[98:99], 2, v[10:11]
	v_add_u32_e32 v10, 0x200, v8
	s_or_b64 s[14:15], vcc, s[14:15]
	v_add_co_u32_e32 v98, vcc, v3, v98
	v_add_u32_e32 v16, 0x200, v9
	ds_read2st64_b32 v[20:21], v15 offset0:8 offset1:12
	v_mov_b32_e32 v17, v11
	ds_read2st64_b32 v[72:73], v15 offset0:16 offset1:20
	v_add_co_u32_e64 v94, s[2:3], v3, v94
	v_addc_co_u32_e32 v99, vcc, v7, v99, vcc
	v_lshlrev_b64 v[100:101], 2, v[10:11]
	v_lshlrev_b64 v[96:97], 2, v[16:17]
	v_addc_co_u32_e64 v95, s[2:3], v7, v95, s[2:3]
	v_add_u32_e32 v10, 0x400, v8
	v_add_co_u32_e32 v100, vcc, v3, v100
	v_add_u32_e32 v70, 0x400, v9
	v_mov_b32_e32 v71, v11
	ds_read2st64_b32 v[76:77], v15 offset0:24 offset1:28
	v_add_co_u32_e64 v96, s[2:3], v3, v96
	v_addc_co_u32_e32 v101, vcc, v7, v101, vcc
	v_lshlrev_b64 v[102:103], 2, v[10:11]
	ds_read2st64_b32 v[80:81], v15 offset0:32 offset1:36
	ds_read2st64_b32 v[84:85], v15 offset0:40 offset1:44
	;; [unrolled: 1-line block ×4, first 2 shown]
	v_lshlrev_b64 v[70:71], 2, v[70:71]
	v_addc_co_u32_e64 v97, s[2:3], v7, v97, s[2:3]
	v_add_u32_e32 v10, 0x600, v8
	s_waitcnt lgkmcnt(7)
	global_store_dword v[94:95], v18, off
	global_store_dword v[98:99], v19, off
	s_waitcnt lgkmcnt(6)
	global_store_dword v[100:101], v20, off
	global_store_dword v[96:97], v21, off
	v_add_co_u32_e32 v18, vcc, v3, v102
	v_add_u32_e32 v74, 0x600, v9
	v_mov_b32_e32 v75, v11
	v_add_co_u32_e64 v70, s[2:3], v3, v70
	v_addc_co_u32_e32 v19, vcc, v7, v103, vcc
	v_lshlrev_b64 v[20:21], 2, v[10:11]
	v_lshlrev_b64 v[74:75], 2, v[74:75]
	v_addc_co_u32_e64 v71, s[2:3], v7, v71, s[2:3]
	v_add_u32_e32 v10, 0x800, v8
	s_waitcnt lgkmcnt(5)
	global_store_dword v[18:19], v72, off
	global_store_dword v[70:71], v73, off
	v_add_co_u32_e32 v18, vcc, v3, v20
	v_add_u32_e32 v78, 0x800, v9
	v_mov_b32_e32 v79, v11
	v_add_co_u32_e64 v74, s[2:3], v3, v74
	v_addc_co_u32_e32 v19, vcc, v7, v21, vcc
	v_lshlrev_b64 v[20:21], 2, v[10:11]
	v_lshlrev_b64 v[78:79], 2, v[78:79]
	v_addc_co_u32_e64 v75, s[2:3], v7, v75, s[2:3]
	v_add_u32_e32 v10, 0xa00, v8
	;; [unrolled: 12-line block ×4, first 2 shown]
	s_waitcnt lgkmcnt(2)
	global_store_dword v[18:19], v84, off
	global_store_dword v[82:83], v85, off
	v_add_co_u32_e32 v18, vcc, v3, v20
	v_add_u32_e32 v90, 0xe00, v9
	v_mov_b32_e32 v91, v11
	v_add_co_u32_e64 v86, s[2:3], v3, v86
	v_addc_co_u32_e32 v19, vcc, v7, v21, vcc
	v_lshlrev_b64 v[20:21], 2, v[10:11]
	v_lshlrev_b64 v[90:91], 2, v[90:91]
	v_addc_co_u32_e64 v87, s[2:3], v7, v87, s[2:3]
	s_waitcnt lgkmcnt(1)
	global_store_dword v[18:19], v88, off
	global_store_dword v[86:87], v89, off
	v_add_co_u32_e32 v18, vcc, v3, v20
	v_add_u32_e32 v15, 0x4000, v15
	v_add_u32_e32 v9, 0x1000, v9
	v_mov_b32_e32 v16, s16
	v_add_co_u32_e64 v90, s[2:3], v3, v90
	v_add_u32_e32 v8, 0x1000, v8
	v_addc_co_u32_e32 v19, vcc, v7, v21, vcc
	v_addc_co_u32_e64 v91, s[2:3], v7, v91, s[2:3]
	s_waitcnt lgkmcnt(0)
	global_store_dword v[18:19], v92, off
	global_store_dword v[90:91], v93, off
	s_andn2_b64 exec, exec, s[14:15]
	s_cbranch_execnz .LBB471_120
; %bb.121:
	s_or_b64 exec, exec, s[14:15]
.LBB471_122:
	s_or_b64 exec, exec, s[12:13]
	v_and_b32_e32 v1, 7, v13
	v_cmp_ne_u32_e32 vcc, 0, v1
	s_and_saveexec_b64 s[12:13], vcc
	s_cbranch_execz .LBB471_125
; %bb.123:
	v_lshlrev_b32_e32 v10, 2, v0
	v_lshl_or_b32 v13, v16, 10, v10
	s_mov_b64 s[14:15], 0
	v_mov_b32_e32 v11, 0
.LBB471_124:                            ; =>This Inner Loop Header: Depth=1
	ds_read2st64_b32 v[14:15], v13 offset1:4
	v_mov_b32_e32 v10, v8
	v_add_u32_e32 v1, -1, v1
	v_lshlrev_b64 v[16:17], 2, v[10:11]
	v_mov_b32_e32 v10, v9
	v_cmp_eq_u32_e32 vcc, 0, v1
	v_add_co_u32_e64 v16, s[2:3], v3, v16
	v_lshlrev_b64 v[18:19], 2, v[10:11]
	v_add_u32_e32 v8, 0x200, v8
	v_add_u32_e32 v13, 0x800, v13
	;; [unrolled: 1-line block ×3, first 2 shown]
	v_addc_co_u32_e64 v17, s[2:3], v7, v17, s[2:3]
	s_or_b64 s[14:15], vcc, s[14:15]
	v_add_co_u32_e32 v18, vcc, v3, v18
	v_addc_co_u32_e32 v19, vcc, v7, v19, vcc
	s_waitcnt lgkmcnt(0)
	global_store_dword v[16:17], v14, off
	global_store_dword v[18:19], v15, off
	s_andn2_b64 exec, exec, s[14:15]
	s_cbranch_execnz .LBB471_124
.LBB471_125:
	s_or_b64 exec, exec, s[12:13]
	v_add_u32_e32 v1, 1, v12
	v_and_b32_e32 v9, 0x1fffffe, v1
	v_cmp_ne_u32_e32 vcc, v1, v9
	v_lshl_or_b32 v8, v9, 8, v0
	s_orn2_b64 s[2:3], vcc, exec
.LBB471_126:
	s_or_b64 exec, exec, s[10:11]
	s_andn2_b64 s[6:7], s[6:7], exec
	s_and_b64 s[2:3], s[2:3], exec
	s_or_b64 s[6:7], s[6:7], s[2:3]
.LBB471_127:
	s_or_b64 exec, exec, s[8:9]
	s_and_b64 exec, exec, s[6:7]
	s_cbranch_execz .LBB471_130
; %bb.128:
	v_lshlrev_b32_e32 v1, 2, v8
	s_mov_b64 s[2:3], 0
	v_mov_b32_e32 v9, 0
.LBB471_129:                            ; =>This Inner Loop Header: Depth=1
	ds_read_b32 v12, v1
	v_lshlrev_b64 v[10:11], 2, v[8:9]
	v_add_co_u32_e32 v10, vcc, v3, v10
	v_add_u32_e32 v8, 0x100, v8
	v_addc_co_u32_e32 v11, vcc, v7, v11, vcc
	v_cmp_ge_u32_e32 vcc, v8, v2
	v_add_u32_e32 v1, 0x400, v1
	s_or_b64 s[2:3], vcc, s[2:3]
	s_waitcnt lgkmcnt(0)
	global_store_dword v[10:11], v12, off
	s_andn2_b64 exec, exec, s[2:3]
	s_cbranch_execnz .LBB471_129
.LBB471_130:
	s_or_b64 exec, exec, s[4:5]
.LBB471_131:
	s_cmpk_lg_i32 s33, 0xf00
	s_cselect_b64 s[2:3], -1, 0
	v_cndmask_b32_e64 v11, 0, 1, s[42:43]
	s_and_b64 s[2:3], s[2:3], s[40:41]
	v_sub_u32_e32 v1, v2, v11
	v_cndmask_b32_e64 v3, 0, 1, s[2:3]
	s_and_b64 s[0:1], s[0:1], s[42:43]
	v_add_u32_e32 v1, v1, v3
	v_cndmask_b32_e64 v3, v68, 0, s[0:1]
	s_mul_hi_u32 s0, s33, 0x88888889
	s_lshr_b32 s0, s0, 3
	v_mad_i32_i24 v7, v0, -15, s33
	v_cmp_eq_u32_e32 vcc, s0, v0
	v_cmp_ne_u32_e64 s[0:1], 0, v7
	v_cndmask_b32_e64 v8, 1, v3, s[0:1]
	v_cmp_ne_u32_e64 s[0:1], 1, v7
	v_cndmask_b32_e64 v9, 1, v67, s[0:1]
	;; [unrolled: 2-line block ×14, first 2 shown]
	v_cmp_ne_u32_e64 s[0:1], 14, v7
	s_and_b64 vcc, vcc, s[40:41]
	v_cndmask_b32_e64 v7, 1, v54, s[0:1]
	v_cndmask_b32_e32 v20, v57, v20, vcc
	v_cndmask_b32_e32 v19, v58, v19, vcc
	;; [unrolled: 1-line block ×4, first 2 shown]
	v_lshlrev_b64 v[8:9], 3, v[52:53]
	v_cndmask_b32_e32 v54, v54, v7, vcc
	v_cndmask_b32_e32 v55, v55, v68, vcc
	;; [unrolled: 1-line block ×11, first 2 shown]
	v_mov_b32_e32 v3, s47
	v_add_co_u32_e32 v7, vcc, s46, v8
	v_addc_co_u32_e32 v3, vcc, v3, v9, vcc
	v_lshlrev_b64 v[8:9], 3, v[4:5]
	v_add_co_u32_e32 v5, vcc, v7, v8
	v_addc_co_u32_e32 v10, vcc, v3, v9, vcc
	v_lshlrev_b32_e32 v3, 3, v11
	v_add_co_u32_e32 v3, vcc, v3, v5
	v_addc_co_u32_e32 v7, vcc, 0, v10, vcc
	v_add_co_u32_e32 v3, vcc, -8, v3
	v_addc_co_u32_e32 v7, vcc, -1, v7, vcc
	v_cmp_eq_u32_e32 vcc, 0, v58
	v_cndmask_b32_e64 v9, 1, 2, vcc
	v_cmp_eq_u32_e32 vcc, 0, v57
	v_add_u32_e32 v8, v4, v11
	v_cndmask_b32_e64 v11, 1, 2, vcc
	v_cmp_eq_u32_e32 vcc, 0, v56
	v_and_b32_e32 v9, v11, v9
	v_cndmask_b32_e64 v11, 1, 2, vcc
	v_cmp_eq_u32_e32 vcc, 0, v12
	v_and_b32_e32 v9, v9, v11
	;; [unrolled: 3-line block ×13, first 2 shown]
	v_cndmask_b32_e64 v11, 1, 2, vcc
	s_movk_i32 s30, 0x100
	v_and_b32_e32 v9, v9, v11
	v_cmp_gt_u32_e32 vcc, s30, v1
	v_cmp_ne_u32_e64 s[28:29], 0, v58
	v_cmp_ne_u32_e64 s[26:27], 0, v57
	;; [unrolled: 1-line block ×15, first 2 shown]
	s_mov_b64 s[34:35], -1
	v_cmp_gt_i16_e64 s[30:31], 2, v9
	s_barrier
	s_cbranch_vccz .LBB471_138
; %bb.132:
	s_and_saveexec_b64 s[34:35], s[30:31]
	s_cbranch_execz .LBB471_137
; %bb.133:
	v_cmp_ne_u16_e32 vcc, 1, v9
	s_mov_b64 s[36:37], 0
	s_and_saveexec_b64 s[30:31], vcc
	s_xor_b64 s[30:31], exec, s[30:31]
	s_cbranch_execnz .LBB471_187
; %bb.134:
	s_andn2_saveexec_b64 s[30:31], s[30:31]
	s_cbranch_execnz .LBB471_203
.LBB471_135:
	s_or_b64 exec, exec, s[30:31]
	s_and_b64 exec, exec, s[36:37]
	s_cbranch_execz .LBB471_137
.LBB471_136:
	v_mov_b32_e32 v13, 0
	v_sub_u32_e32 v14, v24, v8
	v_mov_b32_e32 v15, v13
	v_lshlrev_b64 v[14:15], 3, v[14:15]
	v_add_co_u32_e32 v14, vcc, v3, v14
	v_mov_b32_e32 v12, v25
	v_addc_co_u32_e32 v15, vcc, v7, v15, vcc
	global_store_dwordx2 v[14:15], v[12:13], off
.LBB471_137:
	s_or_b64 exec, exec, s[34:35]
	s_mov_b64 s[34:35], 0
.LBB471_138:
	s_and_b64 vcc, exec, s[34:35]
	s_cbranch_vccz .LBB471_148
; %bb.139:
	v_cmp_gt_i16_e32 vcc, 2, v9
	s_and_saveexec_b64 s[30:31], vcc
	s_cbranch_execz .LBB471_144
; %bb.140:
	v_cmp_ne_u16_e32 vcc, 1, v9
	s_mov_b64 s[36:37], 0
	s_and_saveexec_b64 s[34:35], vcc
	s_xor_b64 s[34:35], exec, s[34:35]
	s_cbranch_execnz .LBB471_204
; %bb.141:
	s_andn2_saveexec_b64 s[0:1], s[34:35]
	s_cbranch_execnz .LBB471_220
.LBB471_142:
	s_or_b64 exec, exec, s[0:1]
	s_and_b64 exec, exec, s[36:37]
	s_cbranch_execz .LBB471_144
.LBB471_143:
	v_sub_u32_e32 v8, v24, v8
	v_lshlrev_b32_e32 v8, 2, v8
	ds_write_b32 v8, v25
.LBB471_144:
	s_or_b64 exec, exec, s[30:31]
	v_cmp_lt_u32_e32 vcc, v0, v1
	s_waitcnt lgkmcnt(0)
	s_barrier
	s_and_saveexec_b64 s[0:1], vcc
	s_cbranch_execz .LBB471_147
; %bb.145:
	v_lshlrev_b32_e32 v11, 2, v0
	s_mov_b64 s[2:3], 0
	v_mov_b32_e32 v9, 0
	v_mov_b32_e32 v8, v0
.LBB471_146:                            ; =>This Inner Loop Header: Depth=1
	ds_read_b32 v12, v11
	v_lshlrev_b64 v[14:15], 3, v[8:9]
	v_add_co_u32_e32 v14, vcc, v3, v14
	v_add_u32_e32 v8, 0x100, v8
	v_addc_co_u32_e32 v15, vcc, v7, v15, vcc
	v_cmp_ge_u32_e32 vcc, v8, v1
	v_mov_b32_e32 v13, v9
	v_add_u32_e32 v11, 0x400, v11
	s_or_b64 s[2:3], vcc, s[2:3]
	s_waitcnt lgkmcnt(0)
	global_store_dwordx2 v[14:15], v[12:13], off
	s_andn2_b64 exec, exec, s[2:3]
	s_cbranch_execnz .LBB471_146
.LBB471_147:
	s_or_b64 exec, exec, s[0:1]
.LBB471_148:
	s_movk_i32 s0, 0xff
	v_cmp_eq_u32_e32 vcc, s0, v0
	s_and_b64 s[0:1], vcc, s[40:41]
	s_and_saveexec_b64 s[2:3], s[0:1]
	s_cbranch_execz .LBB471_151
; %bb.149:
	v_add_co_u32_e32 v0, vcc, v2, v4
	v_addc_co_u32_e64 v1, s[0:1], 0, 0, vcc
	v_add_co_u32_e32 v0, vcc, v0, v52
	v_mov_b32_e32 v3, 0
	v_addc_co_u32_e32 v1, vcc, v1, v53, vcc
	s_cmpk_lg_i32 s33, 0xf00
	global_store_dwordx2 v3, v[0:1], s[52:53]
	s_cbranch_scc1 .LBB471_151
; %bb.150:
	v_lshlrev_b64 v[0:1], 3, v[2:3]
	v_add_co_u32_e32 v0, vcc, v5, v0
	v_mov_b32_e32 v7, v3
	v_addc_co_u32_e32 v1, vcc, v10, v1, vcc
	global_store_dwordx2 v[0:1], v[6:7], off offset:-8
.LBB471_151:
	s_endpgm
.LBB471_152:
	s_or_b64 exec, exec, s[4:5]
	v_mov_b32_e32 v68, s12
	s_and_saveexec_b64 s[2:3], s[54:55]
	s_cbranch_execnz .LBB471_60
	s_branch .LBB471_61
.LBB471_153:
	s_and_saveexec_b64 s[38:39], s[30:31]
	s_cbranch_execnz .LBB471_221
; %bb.154:
	s_or_b64 exec, exec, s[38:39]
	s_and_saveexec_b64 s[38:39], s[28:29]
	s_cbranch_execnz .LBB471_222
.LBB471_155:
	s_or_b64 exec, exec, s[38:39]
	s_and_saveexec_b64 s[38:39], s[26:27]
	s_cbranch_execnz .LBB471_223
.LBB471_156:
	s_or_b64 exec, exec, s[38:39]
	s_and_saveexec_b64 s[38:39], s[24:25]
	s_cbranch_execnz .LBB471_224
.LBB471_157:
	s_or_b64 exec, exec, s[38:39]
	s_and_saveexec_b64 s[38:39], s[22:23]
	s_cbranch_execnz .LBB471_225
.LBB471_158:
	s_or_b64 exec, exec, s[38:39]
	s_and_saveexec_b64 s[38:39], s[20:21]
	s_cbranch_execnz .LBB471_226
.LBB471_159:
	s_or_b64 exec, exec, s[38:39]
	s_and_saveexec_b64 s[38:39], s[18:19]
	s_cbranch_execnz .LBB471_227
.LBB471_160:
	s_or_b64 exec, exec, s[38:39]
	s_and_saveexec_b64 s[38:39], s[16:17]
	s_cbranch_execnz .LBB471_228
.LBB471_161:
	s_or_b64 exec, exec, s[38:39]
	s_and_saveexec_b64 s[38:39], s[14:15]
	s_cbranch_execnz .LBB471_229
.LBB471_162:
	s_or_b64 exec, exec, s[38:39]
	s_and_saveexec_b64 s[38:39], s[12:13]
	s_cbranch_execnz .LBB471_230
.LBB471_163:
	s_or_b64 exec, exec, s[38:39]
	s_and_saveexec_b64 s[38:39], s[10:11]
	s_cbranch_execnz .LBB471_231
.LBB471_164:
	s_or_b64 exec, exec, s[38:39]
	s_and_saveexec_b64 s[38:39], s[8:9]
	s_cbranch_execnz .LBB471_232
.LBB471_165:
	s_or_b64 exec, exec, s[38:39]
	s_and_saveexec_b64 s[38:39], s[6:7]
	s_cbranch_execnz .LBB471_233
.LBB471_166:
	s_or_b64 exec, exec, s[38:39]
	s_and_saveexec_b64 s[38:39], s[4:5]
	s_cbranch_execz .LBB471_168
.LBB471_167:
	v_sub_u32_e32 v70, v22, v4
	v_mov_b32_e32 v71, 0
	v_lshlrev_b64 v[70:71], 2, v[70:71]
	v_add_co_u32_e32 v70, vcc, v3, v70
	v_addc_co_u32_e32 v71, vcc, v7, v71, vcc
	global_store_dword v[70:71], v9, off
.LBB471_168:
	s_or_b64 exec, exec, s[38:39]
	s_and_b64 s[38:39], s[2:3], exec
	s_andn2_saveexec_b64 s[34:35], s[34:35]
	s_cbranch_execz .LBB471_106
.LBB471_169:
	v_sub_u32_e32 v70, v50, v4
	v_mov_b32_e32 v71, 0
	v_lshlrev_b64 v[72:73], 2, v[70:71]
	v_add_co_u32_e32 v72, vcc, v3, v72
	v_addc_co_u32_e32 v73, vcc, v7, v73, vcc
	v_sub_u32_e32 v70, v48, v4
	global_store_dword v[72:73], v20, off
	v_lshlrev_b64 v[72:73], 2, v[70:71]
	v_add_co_u32_e32 v72, vcc, v3, v72
	v_addc_co_u32_e32 v73, vcc, v7, v73, vcc
	v_sub_u32_e32 v70, v46, v4
	global_store_dword v[72:73], v21, off
	;; [unrolled: 5-line block ×12, first 2 shown]
	v_lshlrev_b64 v[72:73], 2, v[70:71]
	v_add_co_u32_e32 v72, vcc, v3, v72
	v_sub_u32_e32 v70, v22, v4
	v_addc_co_u32_e32 v73, vcc, v7, v73, vcc
	v_lshlrev_b64 v[70:71], 2, v[70:71]
	v_add_co_u32_e32 v70, vcc, v3, v70
	v_addc_co_u32_e32 v71, vcc, v7, v71, vcc
	s_or_b64 s[38:39], s[38:39], exec
	global_store_dword v[72:73], v8, off
	global_store_dword v[70:71], v9, off
	s_or_b64 exec, exec, s[34:35]
	s_and_b64 exec, exec, s[38:39]
	s_cbranch_execnz .LBB471_107
	s_branch .LBB471_108
.LBB471_170:
	s_and_saveexec_b64 s[38:39], s[30:31]
	s_cbranch_execnz .LBB471_234
; %bb.171:
	s_or_b64 exec, exec, s[38:39]
	s_and_saveexec_b64 s[30:31], s[28:29]
	s_cbranch_execnz .LBB471_235
.LBB471_172:
	s_or_b64 exec, exec, s[30:31]
	s_and_saveexec_b64 s[28:29], s[26:27]
	s_cbranch_execnz .LBB471_236
.LBB471_173:
	s_or_b64 exec, exec, s[28:29]
	s_and_saveexec_b64 s[26:27], s[24:25]
	s_cbranch_execnz .LBB471_237
.LBB471_174:
	s_or_b64 exec, exec, s[26:27]
	s_and_saveexec_b64 s[24:25], s[22:23]
	s_cbranch_execnz .LBB471_238
.LBB471_175:
	s_or_b64 exec, exec, s[24:25]
	s_and_saveexec_b64 s[22:23], s[20:21]
	s_cbranch_execnz .LBB471_239
.LBB471_176:
	s_or_b64 exec, exec, s[22:23]
	s_and_saveexec_b64 s[20:21], s[18:19]
	s_cbranch_execnz .LBB471_240
.LBB471_177:
	s_or_b64 exec, exec, s[20:21]
	s_and_saveexec_b64 s[18:19], s[16:17]
	s_cbranch_execnz .LBB471_241
.LBB471_178:
	s_or_b64 exec, exec, s[18:19]
	s_and_saveexec_b64 s[16:17], s[14:15]
	s_cbranch_execnz .LBB471_242
.LBB471_179:
	s_or_b64 exec, exec, s[16:17]
	s_and_saveexec_b64 s[14:15], s[12:13]
	s_cbranch_execnz .LBB471_243
.LBB471_180:
	s_or_b64 exec, exec, s[14:15]
	s_and_saveexec_b64 s[12:13], s[10:11]
	s_cbranch_execnz .LBB471_244
.LBB471_181:
	s_or_b64 exec, exec, s[12:13]
	s_and_saveexec_b64 s[10:11], s[8:9]
	s_cbranch_execnz .LBB471_245
.LBB471_182:
	s_or_b64 exec, exec, s[10:11]
	s_and_saveexec_b64 s[8:9], s[6:7]
	s_cbranch_execnz .LBB471_246
.LBB471_183:
	s_or_b64 exec, exec, s[8:9]
	s_and_saveexec_b64 s[6:7], s[4:5]
	s_cbranch_execz .LBB471_185
.LBB471_184:
	v_sub_u32_e32 v8, v22, v4
	v_lshlrev_b32_e32 v8, 2, v8
	ds_write_b32 v8, v9
.LBB471_185:
	s_or_b64 exec, exec, s[6:7]
	s_and_b64 s[38:39], s[2:3], exec
                                        ; implicit-def: $vgpr9
                                        ; implicit-def: $vgpr11
                                        ; implicit-def: $vgpr13
                                        ; implicit-def: $vgpr15
                                        ; implicit-def: $vgpr17
                                        ; implicit-def: $vgpr19
                                        ; implicit-def: $vgpr21
	s_andn2_saveexec_b64 s[2:3], s[36:37]
	s_cbranch_execz .LBB471_113
.LBB471_186:
	v_sub_u32_e32 v69, v50, v4
	v_lshlrev_b32_e32 v69, 2, v69
	ds_write_b32 v69, v20
	v_sub_u32_e32 v20, v48, v4
	v_lshlrev_b32_e32 v20, 2, v20
	ds_write_b32 v20, v21
	;; [unrolled: 3-line block ×13, first 2 shown]
	v_sub_u32_e32 v8, v22, v4
	v_lshlrev_b32_e32 v8, 2, v8
	s_or_b64 s[38:39], s[38:39], exec
	ds_write_b32 v8, v9
	s_or_b64 exec, exec, s[2:3]
	s_and_b64 exec, exec, s[38:39]
	s_cbranch_execnz .LBB471_114
	s_branch .LBB471_115
.LBB471_187:
	s_and_saveexec_b64 s[36:37], s[28:29]
	s_cbranch_execnz .LBB471_247
; %bb.188:
	s_or_b64 exec, exec, s[36:37]
	s_and_saveexec_b64 s[36:37], s[26:27]
	s_cbranch_execnz .LBB471_248
.LBB471_189:
	s_or_b64 exec, exec, s[36:37]
	s_and_saveexec_b64 s[36:37], s[24:25]
	s_cbranch_execnz .LBB471_249
.LBB471_190:
	s_or_b64 exec, exec, s[36:37]
	s_and_saveexec_b64 s[36:37], s[22:23]
	s_cbranch_execnz .LBB471_250
.LBB471_191:
	s_or_b64 exec, exec, s[36:37]
	s_and_saveexec_b64 s[36:37], s[20:21]
	s_cbranch_execnz .LBB471_251
.LBB471_192:
	s_or_b64 exec, exec, s[36:37]
	s_and_saveexec_b64 s[36:37], s[18:19]
	s_cbranch_execnz .LBB471_252
.LBB471_193:
	s_or_b64 exec, exec, s[36:37]
	s_and_saveexec_b64 s[36:37], s[16:17]
	s_cbranch_execnz .LBB471_253
.LBB471_194:
	s_or_b64 exec, exec, s[36:37]
	s_and_saveexec_b64 s[36:37], s[14:15]
	s_cbranch_execnz .LBB471_254
.LBB471_195:
	s_or_b64 exec, exec, s[36:37]
	s_and_saveexec_b64 s[36:37], s[12:13]
	s_cbranch_execnz .LBB471_255
.LBB471_196:
	s_or_b64 exec, exec, s[36:37]
	s_and_saveexec_b64 s[36:37], s[10:11]
	s_cbranch_execnz .LBB471_256
.LBB471_197:
	s_or_b64 exec, exec, s[36:37]
	s_and_saveexec_b64 s[36:37], s[8:9]
	s_cbranch_execnz .LBB471_257
.LBB471_198:
	s_or_b64 exec, exec, s[36:37]
	s_and_saveexec_b64 s[36:37], s[6:7]
	s_cbranch_execnz .LBB471_258
.LBB471_199:
	s_or_b64 exec, exec, s[36:37]
	s_and_saveexec_b64 s[36:37], s[4:5]
	s_cbranch_execnz .LBB471_259
.LBB471_200:
	s_or_b64 exec, exec, s[36:37]
	s_and_saveexec_b64 s[36:37], s[2:3]
	s_cbranch_execz .LBB471_202
.LBB471_201:
	v_sub_u32_e32 v12, v22, v8
	v_mov_b32_e32 v13, 0
	v_lshlrev_b64 v[14:15], 3, v[12:13]
	v_add_co_u32_e32 v14, vcc, v3, v14
	v_addc_co_u32_e32 v15, vcc, v7, v15, vcc
	v_mov_b32_e32 v12, v23
	global_store_dwordx2 v[14:15], v[12:13], off
.LBB471_202:
	s_or_b64 exec, exec, s[36:37]
	s_and_b64 s[36:37], s[0:1], exec
	s_andn2_saveexec_b64 s[30:31], s[30:31]
	s_cbranch_execz .LBB471_135
.LBB471_203:
	v_mov_b32_e32 v13, 0
	v_sub_u32_e32 v14, v50, v8
	v_mov_b32_e32 v15, v13
	v_lshlrev_b64 v[14:15], 3, v[14:15]
	v_add_co_u32_e32 v14, vcc, v3, v14
	v_mov_b32_e32 v12, v51
	v_addc_co_u32_e32 v15, vcc, v7, v15, vcc
	global_store_dwordx2 v[14:15], v[12:13], off
	v_sub_u32_e32 v14, v48, v8
	v_mov_b32_e32 v15, v13
	v_lshlrev_b64 v[14:15], 3, v[14:15]
	v_add_co_u32_e32 v14, vcc, v3, v14
	v_mov_b32_e32 v12, v49
	v_addc_co_u32_e32 v15, vcc, v7, v15, vcc
	global_store_dwordx2 v[14:15], v[12:13], off
	;; [unrolled: 7-line block ×13, first 2 shown]
	v_sub_u32_e32 v14, v22, v8
	v_mov_b32_e32 v15, v13
	v_lshlrev_b64 v[14:15], 3, v[14:15]
	v_add_co_u32_e32 v14, vcc, v3, v14
	v_mov_b32_e32 v12, v23
	v_addc_co_u32_e32 v15, vcc, v7, v15, vcc
	s_or_b64 s[36:37], s[36:37], exec
	global_store_dwordx2 v[14:15], v[12:13], off
	s_or_b64 exec, exec, s[30:31]
	s_and_b64 exec, exec, s[36:37]
	s_cbranch_execnz .LBB471_136
	s_branch .LBB471_137
.LBB471_204:
	s_and_saveexec_b64 s[36:37], s[28:29]
	s_cbranch_execnz .LBB471_260
; %bb.205:
	s_or_b64 exec, exec, s[36:37]
	s_and_saveexec_b64 s[28:29], s[26:27]
	s_cbranch_execnz .LBB471_261
.LBB471_206:
	s_or_b64 exec, exec, s[28:29]
	s_and_saveexec_b64 s[26:27], s[24:25]
	s_cbranch_execnz .LBB471_262
.LBB471_207:
	s_or_b64 exec, exec, s[26:27]
	s_and_saveexec_b64 s[24:25], s[22:23]
	s_cbranch_execnz .LBB471_263
.LBB471_208:
	s_or_b64 exec, exec, s[24:25]
	s_and_saveexec_b64 s[22:23], s[20:21]
	s_cbranch_execnz .LBB471_264
.LBB471_209:
	s_or_b64 exec, exec, s[22:23]
	s_and_saveexec_b64 s[20:21], s[18:19]
	s_cbranch_execnz .LBB471_265
.LBB471_210:
	s_or_b64 exec, exec, s[20:21]
	s_and_saveexec_b64 s[18:19], s[16:17]
	s_cbranch_execnz .LBB471_266
.LBB471_211:
	s_or_b64 exec, exec, s[18:19]
	s_and_saveexec_b64 s[16:17], s[14:15]
	s_cbranch_execnz .LBB471_267
.LBB471_212:
	s_or_b64 exec, exec, s[16:17]
	s_and_saveexec_b64 s[14:15], s[12:13]
	s_cbranch_execnz .LBB471_268
.LBB471_213:
	s_or_b64 exec, exec, s[14:15]
	s_and_saveexec_b64 s[12:13], s[10:11]
	s_cbranch_execnz .LBB471_269
.LBB471_214:
	s_or_b64 exec, exec, s[12:13]
	s_and_saveexec_b64 s[10:11], s[8:9]
	s_cbranch_execnz .LBB471_270
.LBB471_215:
	s_or_b64 exec, exec, s[10:11]
	s_and_saveexec_b64 s[8:9], s[6:7]
	s_cbranch_execnz .LBB471_271
.LBB471_216:
	s_or_b64 exec, exec, s[8:9]
	s_and_saveexec_b64 s[6:7], s[4:5]
	s_cbranch_execnz .LBB471_272
.LBB471_217:
	s_or_b64 exec, exec, s[6:7]
	s_and_saveexec_b64 s[4:5], s[2:3]
	s_cbranch_execz .LBB471_219
.LBB471_218:
	v_sub_u32_e32 v9, v22, v8
	v_lshlrev_b32_e32 v9, 2, v9
	ds_write_b32 v9, v23
.LBB471_219:
	s_or_b64 exec, exec, s[4:5]
	s_and_b64 s[36:37], s[0:1], exec
                                        ; implicit-def: $vgpr22_vgpr23
                                        ; implicit-def: $vgpr26_vgpr27
                                        ; implicit-def: $vgpr28_vgpr29
                                        ; implicit-def: $vgpr50_vgpr51
                                        ; implicit-def: $vgpr48_vgpr49
                                        ; implicit-def: $vgpr46_vgpr47
                                        ; implicit-def: $vgpr44_vgpr45
                                        ; implicit-def: $vgpr42_vgpr43
                                        ; implicit-def: $vgpr40_vgpr41
                                        ; implicit-def: $vgpr38_vgpr39
                                        ; implicit-def: $vgpr36_vgpr37
                                        ; implicit-def: $vgpr34_vgpr35
                                        ; implicit-def: $vgpr32_vgpr33
                                        ; implicit-def: $vgpr30_vgpr31
	s_andn2_saveexec_b64 s[0:1], s[34:35]
	s_cbranch_execz .LBB471_142
.LBB471_220:
	v_sub_u32_e32 v9, v50, v8
	v_lshlrev_b32_e32 v9, 2, v9
	ds_write_b32 v9, v51
	v_sub_u32_e32 v9, v48, v8
	v_lshlrev_b32_e32 v9, 2, v9
	ds_write_b32 v9, v49
	;; [unrolled: 3-line block ×13, first 2 shown]
	v_sub_u32_e32 v9, v22, v8
	v_lshlrev_b32_e32 v9, 2, v9
	s_or_b64 s[36:37], s[36:37], exec
	ds_write_b32 v9, v23
	s_or_b64 exec, exec, s[0:1]
	s_and_b64 exec, exec, s[36:37]
	s_cbranch_execnz .LBB471_143
	s_branch .LBB471_144
.LBB471_221:
	v_sub_u32_e32 v70, v50, v4
	v_mov_b32_e32 v71, 0
	v_lshlrev_b64 v[70:71], 2, v[70:71]
	v_add_co_u32_e32 v70, vcc, v3, v70
	v_addc_co_u32_e32 v71, vcc, v7, v71, vcc
	global_store_dword v[70:71], v20, off
	s_or_b64 exec, exec, s[38:39]
	s_and_saveexec_b64 s[38:39], s[28:29]
	s_cbranch_execz .LBB471_155
.LBB471_222:
	v_sub_u32_e32 v70, v48, v4
	v_mov_b32_e32 v71, 0
	v_lshlrev_b64 v[70:71], 2, v[70:71]
	v_add_co_u32_e32 v70, vcc, v3, v70
	v_addc_co_u32_e32 v71, vcc, v7, v71, vcc
	global_store_dword v[70:71], v21, off
	s_or_b64 exec, exec, s[38:39]
	s_and_saveexec_b64 s[38:39], s[26:27]
	s_cbranch_execz .LBB471_156
.LBB471_223:
	v_sub_u32_e32 v70, v46, v4
	v_mov_b32_e32 v71, 0
	v_lshlrev_b64 v[70:71], 2, v[70:71]
	v_add_co_u32_e32 v70, vcc, v3, v70
	v_addc_co_u32_e32 v71, vcc, v7, v71, vcc
	global_store_dword v[70:71], v18, off
	s_or_b64 exec, exec, s[38:39]
	s_and_saveexec_b64 s[38:39], s[24:25]
	s_cbranch_execz .LBB471_157
.LBB471_224:
	v_sub_u32_e32 v70, v44, v4
	v_mov_b32_e32 v71, 0
	v_lshlrev_b64 v[70:71], 2, v[70:71]
	v_add_co_u32_e32 v70, vcc, v3, v70
	v_addc_co_u32_e32 v71, vcc, v7, v71, vcc
	global_store_dword v[70:71], v19, off
	s_or_b64 exec, exec, s[38:39]
	s_and_saveexec_b64 s[38:39], s[22:23]
	s_cbranch_execz .LBB471_158
.LBB471_225:
	v_sub_u32_e32 v70, v42, v4
	v_mov_b32_e32 v71, 0
	v_lshlrev_b64 v[70:71], 2, v[70:71]
	v_add_co_u32_e32 v70, vcc, v3, v70
	v_addc_co_u32_e32 v71, vcc, v7, v71, vcc
	global_store_dword v[70:71], v16, off
	s_or_b64 exec, exec, s[38:39]
	s_and_saveexec_b64 s[38:39], s[20:21]
	s_cbranch_execz .LBB471_159
.LBB471_226:
	v_sub_u32_e32 v70, v40, v4
	v_mov_b32_e32 v71, 0
	v_lshlrev_b64 v[70:71], 2, v[70:71]
	v_add_co_u32_e32 v70, vcc, v3, v70
	v_addc_co_u32_e32 v71, vcc, v7, v71, vcc
	global_store_dword v[70:71], v17, off
	s_or_b64 exec, exec, s[38:39]
	s_and_saveexec_b64 s[38:39], s[18:19]
	s_cbranch_execz .LBB471_160
.LBB471_227:
	v_sub_u32_e32 v70, v38, v4
	v_mov_b32_e32 v71, 0
	v_lshlrev_b64 v[70:71], 2, v[70:71]
	v_add_co_u32_e32 v70, vcc, v3, v70
	v_addc_co_u32_e32 v71, vcc, v7, v71, vcc
	global_store_dword v[70:71], v14, off
	s_or_b64 exec, exec, s[38:39]
	s_and_saveexec_b64 s[38:39], s[16:17]
	s_cbranch_execz .LBB471_161
.LBB471_228:
	v_sub_u32_e32 v70, v36, v4
	v_mov_b32_e32 v71, 0
	v_lshlrev_b64 v[70:71], 2, v[70:71]
	v_add_co_u32_e32 v70, vcc, v3, v70
	v_addc_co_u32_e32 v71, vcc, v7, v71, vcc
	global_store_dword v[70:71], v15, off
	s_or_b64 exec, exec, s[38:39]
	s_and_saveexec_b64 s[38:39], s[14:15]
	s_cbranch_execz .LBB471_162
.LBB471_229:
	v_sub_u32_e32 v70, v34, v4
	v_mov_b32_e32 v71, 0
	v_lshlrev_b64 v[70:71], 2, v[70:71]
	v_add_co_u32_e32 v70, vcc, v3, v70
	v_addc_co_u32_e32 v71, vcc, v7, v71, vcc
	global_store_dword v[70:71], v12, off
	s_or_b64 exec, exec, s[38:39]
	s_and_saveexec_b64 s[38:39], s[12:13]
	s_cbranch_execz .LBB471_163
.LBB471_230:
	v_sub_u32_e32 v70, v32, v4
	v_mov_b32_e32 v71, 0
	v_lshlrev_b64 v[70:71], 2, v[70:71]
	v_add_co_u32_e32 v70, vcc, v3, v70
	v_addc_co_u32_e32 v71, vcc, v7, v71, vcc
	global_store_dword v[70:71], v13, off
	s_or_b64 exec, exec, s[38:39]
	s_and_saveexec_b64 s[38:39], s[10:11]
	s_cbranch_execz .LBB471_164
.LBB471_231:
	v_sub_u32_e32 v70, v30, v4
	v_mov_b32_e32 v71, 0
	v_lshlrev_b64 v[70:71], 2, v[70:71]
	v_add_co_u32_e32 v70, vcc, v3, v70
	v_addc_co_u32_e32 v71, vcc, v7, v71, vcc
	global_store_dword v[70:71], v10, off
	s_or_b64 exec, exec, s[38:39]
	s_and_saveexec_b64 s[38:39], s[8:9]
	s_cbranch_execz .LBB471_165
.LBB471_232:
	v_sub_u32_e32 v70, v28, v4
	v_mov_b32_e32 v71, 0
	v_lshlrev_b64 v[70:71], 2, v[70:71]
	v_add_co_u32_e32 v70, vcc, v3, v70
	v_addc_co_u32_e32 v71, vcc, v7, v71, vcc
	global_store_dword v[70:71], v11, off
	s_or_b64 exec, exec, s[38:39]
	s_and_saveexec_b64 s[38:39], s[6:7]
	s_cbranch_execz .LBB471_166
.LBB471_233:
	v_sub_u32_e32 v70, v26, v4
	v_mov_b32_e32 v71, 0
	v_lshlrev_b64 v[70:71], 2, v[70:71]
	v_add_co_u32_e32 v70, vcc, v3, v70
	v_addc_co_u32_e32 v71, vcc, v7, v71, vcc
	global_store_dword v[70:71], v8, off
	s_or_b64 exec, exec, s[38:39]
	s_and_saveexec_b64 s[38:39], s[4:5]
	s_cbranch_execnz .LBB471_167
	s_branch .LBB471_168
.LBB471_234:
	v_sub_u32_e32 v69, v50, v4
	v_lshlrev_b32_e32 v69, 2, v69
	ds_write_b32 v69, v20
	s_or_b64 exec, exec, s[38:39]
	s_and_saveexec_b64 s[30:31], s[28:29]
	s_cbranch_execz .LBB471_172
.LBB471_235:
	v_sub_u32_e32 v20, v48, v4
	v_lshlrev_b32_e32 v20, 2, v20
	ds_write_b32 v20, v21
	s_or_b64 exec, exec, s[30:31]
	s_and_saveexec_b64 s[28:29], s[26:27]
	s_cbranch_execz .LBB471_173
.LBB471_236:
	v_sub_u32_e32 v20, v46, v4
	v_lshlrev_b32_e32 v20, 2, v20
	ds_write_b32 v20, v18
	s_or_b64 exec, exec, s[28:29]
	s_and_saveexec_b64 s[26:27], s[24:25]
	s_cbranch_execz .LBB471_174
.LBB471_237:
	v_sub_u32_e32 v18, v44, v4
	v_lshlrev_b32_e32 v18, 2, v18
	ds_write_b32 v18, v19
	s_or_b64 exec, exec, s[26:27]
	s_and_saveexec_b64 s[24:25], s[22:23]
	s_cbranch_execz .LBB471_175
.LBB471_238:
	v_sub_u32_e32 v18, v42, v4
	v_lshlrev_b32_e32 v18, 2, v18
	ds_write_b32 v18, v16
	s_or_b64 exec, exec, s[24:25]
	s_and_saveexec_b64 s[22:23], s[20:21]
	s_cbranch_execz .LBB471_176
.LBB471_239:
	v_sub_u32_e32 v16, v40, v4
	v_lshlrev_b32_e32 v16, 2, v16
	ds_write_b32 v16, v17
	s_or_b64 exec, exec, s[22:23]
	s_and_saveexec_b64 s[20:21], s[18:19]
	s_cbranch_execz .LBB471_177
.LBB471_240:
	v_sub_u32_e32 v16, v38, v4
	v_lshlrev_b32_e32 v16, 2, v16
	ds_write_b32 v16, v14
	s_or_b64 exec, exec, s[20:21]
	s_and_saveexec_b64 s[18:19], s[16:17]
	s_cbranch_execz .LBB471_178
.LBB471_241:
	v_sub_u32_e32 v14, v36, v4
	v_lshlrev_b32_e32 v14, 2, v14
	ds_write_b32 v14, v15
	s_or_b64 exec, exec, s[18:19]
	s_and_saveexec_b64 s[16:17], s[14:15]
	s_cbranch_execz .LBB471_179
.LBB471_242:
	v_sub_u32_e32 v14, v34, v4
	v_lshlrev_b32_e32 v14, 2, v14
	ds_write_b32 v14, v12
	s_or_b64 exec, exec, s[16:17]
	s_and_saveexec_b64 s[14:15], s[12:13]
	s_cbranch_execz .LBB471_180
.LBB471_243:
	v_sub_u32_e32 v12, v32, v4
	v_lshlrev_b32_e32 v12, 2, v12
	ds_write_b32 v12, v13
	s_or_b64 exec, exec, s[14:15]
	s_and_saveexec_b64 s[12:13], s[10:11]
	s_cbranch_execz .LBB471_181
.LBB471_244:
	v_sub_u32_e32 v12, v30, v4
	v_lshlrev_b32_e32 v12, 2, v12
	ds_write_b32 v12, v10
	s_or_b64 exec, exec, s[12:13]
	s_and_saveexec_b64 s[10:11], s[8:9]
	s_cbranch_execz .LBB471_182
.LBB471_245:
	v_sub_u32_e32 v10, v28, v4
	v_lshlrev_b32_e32 v10, 2, v10
	ds_write_b32 v10, v11
	s_or_b64 exec, exec, s[10:11]
	s_and_saveexec_b64 s[8:9], s[6:7]
	s_cbranch_execz .LBB471_183
.LBB471_246:
	v_sub_u32_e32 v10, v26, v4
	v_lshlrev_b32_e32 v10, 2, v10
	ds_write_b32 v10, v8
	s_or_b64 exec, exec, s[8:9]
	s_and_saveexec_b64 s[6:7], s[4:5]
	s_cbranch_execnz .LBB471_184
	s_branch .LBB471_185
.LBB471_247:
	v_sub_u32_e32 v12, v50, v8
	v_mov_b32_e32 v13, 0
	v_lshlrev_b64 v[14:15], 3, v[12:13]
	v_add_co_u32_e32 v14, vcc, v3, v14
	v_addc_co_u32_e32 v15, vcc, v7, v15, vcc
	v_mov_b32_e32 v12, v51
	global_store_dwordx2 v[14:15], v[12:13], off
	s_or_b64 exec, exec, s[36:37]
	s_and_saveexec_b64 s[36:37], s[26:27]
	s_cbranch_execz .LBB471_189
.LBB471_248:
	v_sub_u32_e32 v12, v48, v8
	v_mov_b32_e32 v13, 0
	v_lshlrev_b64 v[14:15], 3, v[12:13]
	v_add_co_u32_e32 v14, vcc, v3, v14
	v_addc_co_u32_e32 v15, vcc, v7, v15, vcc
	v_mov_b32_e32 v12, v49
	global_store_dwordx2 v[14:15], v[12:13], off
	s_or_b64 exec, exec, s[36:37]
	s_and_saveexec_b64 s[36:37], s[24:25]
	s_cbranch_execz .LBB471_190
.LBB471_249:
	v_sub_u32_e32 v12, v46, v8
	v_mov_b32_e32 v13, 0
	v_lshlrev_b64 v[14:15], 3, v[12:13]
	v_add_co_u32_e32 v14, vcc, v3, v14
	v_addc_co_u32_e32 v15, vcc, v7, v15, vcc
	v_mov_b32_e32 v12, v47
	global_store_dwordx2 v[14:15], v[12:13], off
	s_or_b64 exec, exec, s[36:37]
	s_and_saveexec_b64 s[36:37], s[22:23]
	s_cbranch_execz .LBB471_191
.LBB471_250:
	v_sub_u32_e32 v12, v44, v8
	v_mov_b32_e32 v13, 0
	v_lshlrev_b64 v[14:15], 3, v[12:13]
	v_add_co_u32_e32 v14, vcc, v3, v14
	v_addc_co_u32_e32 v15, vcc, v7, v15, vcc
	v_mov_b32_e32 v12, v45
	global_store_dwordx2 v[14:15], v[12:13], off
	s_or_b64 exec, exec, s[36:37]
	s_and_saveexec_b64 s[36:37], s[20:21]
	s_cbranch_execz .LBB471_192
.LBB471_251:
	v_sub_u32_e32 v12, v42, v8
	v_mov_b32_e32 v13, 0
	v_lshlrev_b64 v[14:15], 3, v[12:13]
	v_add_co_u32_e32 v14, vcc, v3, v14
	v_addc_co_u32_e32 v15, vcc, v7, v15, vcc
	v_mov_b32_e32 v12, v43
	global_store_dwordx2 v[14:15], v[12:13], off
	s_or_b64 exec, exec, s[36:37]
	s_and_saveexec_b64 s[36:37], s[18:19]
	s_cbranch_execz .LBB471_193
.LBB471_252:
	v_sub_u32_e32 v12, v40, v8
	v_mov_b32_e32 v13, 0
	v_lshlrev_b64 v[14:15], 3, v[12:13]
	v_add_co_u32_e32 v14, vcc, v3, v14
	v_addc_co_u32_e32 v15, vcc, v7, v15, vcc
	v_mov_b32_e32 v12, v41
	global_store_dwordx2 v[14:15], v[12:13], off
	s_or_b64 exec, exec, s[36:37]
	s_and_saveexec_b64 s[36:37], s[16:17]
	s_cbranch_execz .LBB471_194
.LBB471_253:
	v_sub_u32_e32 v12, v38, v8
	v_mov_b32_e32 v13, 0
	v_lshlrev_b64 v[14:15], 3, v[12:13]
	v_add_co_u32_e32 v14, vcc, v3, v14
	v_addc_co_u32_e32 v15, vcc, v7, v15, vcc
	v_mov_b32_e32 v12, v39
	global_store_dwordx2 v[14:15], v[12:13], off
	s_or_b64 exec, exec, s[36:37]
	s_and_saveexec_b64 s[36:37], s[14:15]
	s_cbranch_execz .LBB471_195
.LBB471_254:
	v_sub_u32_e32 v12, v36, v8
	v_mov_b32_e32 v13, 0
	v_lshlrev_b64 v[14:15], 3, v[12:13]
	v_add_co_u32_e32 v14, vcc, v3, v14
	v_addc_co_u32_e32 v15, vcc, v7, v15, vcc
	v_mov_b32_e32 v12, v37
	global_store_dwordx2 v[14:15], v[12:13], off
	s_or_b64 exec, exec, s[36:37]
	s_and_saveexec_b64 s[36:37], s[12:13]
	s_cbranch_execz .LBB471_196
.LBB471_255:
	v_sub_u32_e32 v12, v34, v8
	v_mov_b32_e32 v13, 0
	v_lshlrev_b64 v[14:15], 3, v[12:13]
	v_add_co_u32_e32 v14, vcc, v3, v14
	v_addc_co_u32_e32 v15, vcc, v7, v15, vcc
	v_mov_b32_e32 v12, v35
	global_store_dwordx2 v[14:15], v[12:13], off
	s_or_b64 exec, exec, s[36:37]
	s_and_saveexec_b64 s[36:37], s[10:11]
	s_cbranch_execz .LBB471_197
.LBB471_256:
	v_sub_u32_e32 v12, v32, v8
	v_mov_b32_e32 v13, 0
	v_lshlrev_b64 v[14:15], 3, v[12:13]
	v_add_co_u32_e32 v14, vcc, v3, v14
	v_addc_co_u32_e32 v15, vcc, v7, v15, vcc
	v_mov_b32_e32 v12, v33
	global_store_dwordx2 v[14:15], v[12:13], off
	s_or_b64 exec, exec, s[36:37]
	s_and_saveexec_b64 s[36:37], s[8:9]
	s_cbranch_execz .LBB471_198
.LBB471_257:
	v_sub_u32_e32 v12, v30, v8
	v_mov_b32_e32 v13, 0
	v_lshlrev_b64 v[14:15], 3, v[12:13]
	v_add_co_u32_e32 v14, vcc, v3, v14
	v_addc_co_u32_e32 v15, vcc, v7, v15, vcc
	v_mov_b32_e32 v12, v31
	global_store_dwordx2 v[14:15], v[12:13], off
	s_or_b64 exec, exec, s[36:37]
	s_and_saveexec_b64 s[36:37], s[6:7]
	s_cbranch_execz .LBB471_199
.LBB471_258:
	v_sub_u32_e32 v12, v28, v8
	v_mov_b32_e32 v13, 0
	v_lshlrev_b64 v[14:15], 3, v[12:13]
	v_add_co_u32_e32 v14, vcc, v3, v14
	v_addc_co_u32_e32 v15, vcc, v7, v15, vcc
	v_mov_b32_e32 v12, v29
	global_store_dwordx2 v[14:15], v[12:13], off
	s_or_b64 exec, exec, s[36:37]
	s_and_saveexec_b64 s[36:37], s[4:5]
	s_cbranch_execz .LBB471_200
.LBB471_259:
	v_sub_u32_e32 v12, v26, v8
	v_mov_b32_e32 v13, 0
	v_lshlrev_b64 v[14:15], 3, v[12:13]
	v_add_co_u32_e32 v14, vcc, v3, v14
	v_addc_co_u32_e32 v15, vcc, v7, v15, vcc
	v_mov_b32_e32 v12, v27
	global_store_dwordx2 v[14:15], v[12:13], off
	s_or_b64 exec, exec, s[36:37]
	s_and_saveexec_b64 s[36:37], s[2:3]
	s_cbranch_execnz .LBB471_201
	s_branch .LBB471_202
.LBB471_260:
	v_sub_u32_e32 v9, v50, v8
	v_lshlrev_b32_e32 v9, 2, v9
	ds_write_b32 v9, v51
	s_or_b64 exec, exec, s[36:37]
	s_and_saveexec_b64 s[28:29], s[26:27]
	s_cbranch_execz .LBB471_206
.LBB471_261:
	v_sub_u32_e32 v9, v48, v8
	v_lshlrev_b32_e32 v9, 2, v9
	ds_write_b32 v9, v49
	s_or_b64 exec, exec, s[28:29]
	s_and_saveexec_b64 s[26:27], s[24:25]
	s_cbranch_execz .LBB471_207
.LBB471_262:
	v_sub_u32_e32 v9, v46, v8
	v_lshlrev_b32_e32 v9, 2, v9
	ds_write_b32 v9, v47
	s_or_b64 exec, exec, s[26:27]
	s_and_saveexec_b64 s[24:25], s[22:23]
	s_cbranch_execz .LBB471_208
.LBB471_263:
	v_sub_u32_e32 v9, v44, v8
	v_lshlrev_b32_e32 v9, 2, v9
	ds_write_b32 v9, v45
	s_or_b64 exec, exec, s[24:25]
	s_and_saveexec_b64 s[22:23], s[20:21]
	s_cbranch_execz .LBB471_209
.LBB471_264:
	v_sub_u32_e32 v9, v42, v8
	v_lshlrev_b32_e32 v9, 2, v9
	ds_write_b32 v9, v43
	s_or_b64 exec, exec, s[22:23]
	s_and_saveexec_b64 s[20:21], s[18:19]
	s_cbranch_execz .LBB471_210
.LBB471_265:
	v_sub_u32_e32 v9, v40, v8
	v_lshlrev_b32_e32 v9, 2, v9
	ds_write_b32 v9, v41
	s_or_b64 exec, exec, s[20:21]
	s_and_saveexec_b64 s[18:19], s[16:17]
	s_cbranch_execz .LBB471_211
.LBB471_266:
	v_sub_u32_e32 v9, v38, v8
	v_lshlrev_b32_e32 v9, 2, v9
	ds_write_b32 v9, v39
	s_or_b64 exec, exec, s[18:19]
	s_and_saveexec_b64 s[16:17], s[14:15]
	s_cbranch_execz .LBB471_212
.LBB471_267:
	v_sub_u32_e32 v9, v36, v8
	v_lshlrev_b32_e32 v9, 2, v9
	ds_write_b32 v9, v37
	s_or_b64 exec, exec, s[16:17]
	s_and_saveexec_b64 s[14:15], s[12:13]
	s_cbranch_execz .LBB471_213
.LBB471_268:
	v_sub_u32_e32 v9, v34, v8
	v_lshlrev_b32_e32 v9, 2, v9
	ds_write_b32 v9, v35
	s_or_b64 exec, exec, s[14:15]
	s_and_saveexec_b64 s[12:13], s[10:11]
	s_cbranch_execz .LBB471_214
.LBB471_269:
	v_sub_u32_e32 v9, v32, v8
	v_lshlrev_b32_e32 v9, 2, v9
	ds_write_b32 v9, v33
	s_or_b64 exec, exec, s[12:13]
	s_and_saveexec_b64 s[10:11], s[8:9]
	s_cbranch_execz .LBB471_215
.LBB471_270:
	v_sub_u32_e32 v9, v30, v8
	v_lshlrev_b32_e32 v9, 2, v9
	ds_write_b32 v9, v31
	s_or_b64 exec, exec, s[10:11]
	s_and_saveexec_b64 s[8:9], s[6:7]
	s_cbranch_execz .LBB471_216
.LBB471_271:
	v_sub_u32_e32 v9, v28, v8
	v_lshlrev_b32_e32 v9, 2, v9
	ds_write_b32 v9, v29
	s_or_b64 exec, exec, s[8:9]
	s_and_saveexec_b64 s[6:7], s[4:5]
	s_cbranch_execz .LBB471_217
.LBB471_272:
	v_sub_u32_e32 v9, v26, v8
	v_lshlrev_b32_e32 v9, 2, v9
	ds_write_b32 v9, v27
	s_or_b64 exec, exec, s[6:7]
	s_and_saveexec_b64 s[4:5], s[2:3]
	s_cbranch_execnz .LBB471_218
	s_branch .LBB471_219
	.section	.rodata,"a",@progbits
	.p2align	6, 0x0
	.amdhsa_kernel _ZN7rocprim17ROCPRIM_400000_NS6detail17trampoline_kernelINS0_14default_configENS1_33run_length_encode_config_selectorIijNS0_4plusIjEEEEZZNS1_33reduce_by_key_impl_wrapped_configILNS1_25lookback_scan_determinismE0ES3_S7_PKiNS0_17constant_iteratorIjlEEPiPlSF_S6_NS0_8equal_toIiEEEE10hipError_tPvRmT2_T3_mT4_T5_T6_T7_T8_P12ihipStream_tbENKUlT_T0_E_clISt17integral_constantIbLb0EESY_IbLb1EEEEDaSU_SV_EUlSU_E_NS1_11comp_targetILNS1_3genE4ELNS1_11target_archE910ELNS1_3gpuE8ELNS1_3repE0EEENS1_30default_config_static_selectorELNS0_4arch9wavefront6targetE1EEEvT1_
		.amdhsa_group_segment_fixed_size 15360
		.amdhsa_private_segment_fixed_size 0
		.amdhsa_kernarg_size 128
		.amdhsa_user_sgpr_count 6
		.amdhsa_user_sgpr_private_segment_buffer 1
		.amdhsa_user_sgpr_dispatch_ptr 0
		.amdhsa_user_sgpr_queue_ptr 0
		.amdhsa_user_sgpr_kernarg_segment_ptr 1
		.amdhsa_user_sgpr_dispatch_id 0
		.amdhsa_user_sgpr_flat_scratch_init 0
		.amdhsa_user_sgpr_kernarg_preload_length 0
		.amdhsa_user_sgpr_kernarg_preload_offset 0
		.amdhsa_user_sgpr_private_segment_size 0
		.amdhsa_uses_dynamic_stack 0
		.amdhsa_system_sgpr_private_segment_wavefront_offset 0
		.amdhsa_system_sgpr_workgroup_id_x 1
		.amdhsa_system_sgpr_workgroup_id_y 0
		.amdhsa_system_sgpr_workgroup_id_z 0
		.amdhsa_system_sgpr_workgroup_info 0
		.amdhsa_system_vgpr_workitem_id 0
		.amdhsa_next_free_vgpr 104
		.amdhsa_next_free_sgpr 66
		.amdhsa_accum_offset 104
		.amdhsa_reserve_vcc 1
		.amdhsa_reserve_flat_scratch 0
		.amdhsa_float_round_mode_32 0
		.amdhsa_float_round_mode_16_64 0
		.amdhsa_float_denorm_mode_32 3
		.amdhsa_float_denorm_mode_16_64 3
		.amdhsa_dx10_clamp 1
		.amdhsa_ieee_mode 1
		.amdhsa_fp16_overflow 0
		.amdhsa_tg_split 0
		.amdhsa_exception_fp_ieee_invalid_op 0
		.amdhsa_exception_fp_denorm_src 0
		.amdhsa_exception_fp_ieee_div_zero 0
		.amdhsa_exception_fp_ieee_overflow 0
		.amdhsa_exception_fp_ieee_underflow 0
		.amdhsa_exception_fp_ieee_inexact 0
		.amdhsa_exception_int_div_zero 0
	.end_amdhsa_kernel
	.section	.text._ZN7rocprim17ROCPRIM_400000_NS6detail17trampoline_kernelINS0_14default_configENS1_33run_length_encode_config_selectorIijNS0_4plusIjEEEEZZNS1_33reduce_by_key_impl_wrapped_configILNS1_25lookback_scan_determinismE0ES3_S7_PKiNS0_17constant_iteratorIjlEEPiPlSF_S6_NS0_8equal_toIiEEEE10hipError_tPvRmT2_T3_mT4_T5_T6_T7_T8_P12ihipStream_tbENKUlT_T0_E_clISt17integral_constantIbLb0EESY_IbLb1EEEEDaSU_SV_EUlSU_E_NS1_11comp_targetILNS1_3genE4ELNS1_11target_archE910ELNS1_3gpuE8ELNS1_3repE0EEENS1_30default_config_static_selectorELNS0_4arch9wavefront6targetE1EEEvT1_,"axG",@progbits,_ZN7rocprim17ROCPRIM_400000_NS6detail17trampoline_kernelINS0_14default_configENS1_33run_length_encode_config_selectorIijNS0_4plusIjEEEEZZNS1_33reduce_by_key_impl_wrapped_configILNS1_25lookback_scan_determinismE0ES3_S7_PKiNS0_17constant_iteratorIjlEEPiPlSF_S6_NS0_8equal_toIiEEEE10hipError_tPvRmT2_T3_mT4_T5_T6_T7_T8_P12ihipStream_tbENKUlT_T0_E_clISt17integral_constantIbLb0EESY_IbLb1EEEEDaSU_SV_EUlSU_E_NS1_11comp_targetILNS1_3genE4ELNS1_11target_archE910ELNS1_3gpuE8ELNS1_3repE0EEENS1_30default_config_static_selectorELNS0_4arch9wavefront6targetE1EEEvT1_,comdat
.Lfunc_end471:
	.size	_ZN7rocprim17ROCPRIM_400000_NS6detail17trampoline_kernelINS0_14default_configENS1_33run_length_encode_config_selectorIijNS0_4plusIjEEEEZZNS1_33reduce_by_key_impl_wrapped_configILNS1_25lookback_scan_determinismE0ES3_S7_PKiNS0_17constant_iteratorIjlEEPiPlSF_S6_NS0_8equal_toIiEEEE10hipError_tPvRmT2_T3_mT4_T5_T6_T7_T8_P12ihipStream_tbENKUlT_T0_E_clISt17integral_constantIbLb0EESY_IbLb1EEEEDaSU_SV_EUlSU_E_NS1_11comp_targetILNS1_3genE4ELNS1_11target_archE910ELNS1_3gpuE8ELNS1_3repE0EEENS1_30default_config_static_selectorELNS0_4arch9wavefront6targetE1EEEvT1_, .Lfunc_end471-_ZN7rocprim17ROCPRIM_400000_NS6detail17trampoline_kernelINS0_14default_configENS1_33run_length_encode_config_selectorIijNS0_4plusIjEEEEZZNS1_33reduce_by_key_impl_wrapped_configILNS1_25lookback_scan_determinismE0ES3_S7_PKiNS0_17constant_iteratorIjlEEPiPlSF_S6_NS0_8equal_toIiEEEE10hipError_tPvRmT2_T3_mT4_T5_T6_T7_T8_P12ihipStream_tbENKUlT_T0_E_clISt17integral_constantIbLb0EESY_IbLb1EEEEDaSU_SV_EUlSU_E_NS1_11comp_targetILNS1_3genE4ELNS1_11target_archE910ELNS1_3gpuE8ELNS1_3repE0EEENS1_30default_config_static_selectorELNS0_4arch9wavefront6targetE1EEEvT1_
                                        ; -- End function
	.section	.AMDGPU.csdata,"",@progbits
; Kernel info:
; codeLenInByte = 15200
; NumSgprs: 70
; NumVgprs: 104
; NumAgprs: 0
; TotalNumVgprs: 104
; ScratchSize: 0
; MemoryBound: 0
; FloatMode: 240
; IeeeMode: 1
; LDSByteSize: 15360 bytes/workgroup (compile time only)
; SGPRBlocks: 8
; VGPRBlocks: 12
; NumSGPRsForWavesPerEU: 70
; NumVGPRsForWavesPerEU: 104
; AccumOffset: 104
; Occupancy: 4
; WaveLimiterHint : 1
; COMPUTE_PGM_RSRC2:SCRATCH_EN: 0
; COMPUTE_PGM_RSRC2:USER_SGPR: 6
; COMPUTE_PGM_RSRC2:TRAP_HANDLER: 0
; COMPUTE_PGM_RSRC2:TGID_X_EN: 1
; COMPUTE_PGM_RSRC2:TGID_Y_EN: 0
; COMPUTE_PGM_RSRC2:TGID_Z_EN: 0
; COMPUTE_PGM_RSRC2:TIDIG_COMP_CNT: 0
; COMPUTE_PGM_RSRC3_GFX90A:ACCUM_OFFSET: 25
; COMPUTE_PGM_RSRC3_GFX90A:TG_SPLIT: 0
	.section	.text._ZN7rocprim17ROCPRIM_400000_NS6detail17trampoline_kernelINS0_14default_configENS1_33run_length_encode_config_selectorIijNS0_4plusIjEEEEZZNS1_33reduce_by_key_impl_wrapped_configILNS1_25lookback_scan_determinismE0ES3_S7_PKiNS0_17constant_iteratorIjlEEPiPlSF_S6_NS0_8equal_toIiEEEE10hipError_tPvRmT2_T3_mT4_T5_T6_T7_T8_P12ihipStream_tbENKUlT_T0_E_clISt17integral_constantIbLb0EESY_IbLb1EEEEDaSU_SV_EUlSU_E_NS1_11comp_targetILNS1_3genE3ELNS1_11target_archE908ELNS1_3gpuE7ELNS1_3repE0EEENS1_30default_config_static_selectorELNS0_4arch9wavefront6targetE1EEEvT1_,"axG",@progbits,_ZN7rocprim17ROCPRIM_400000_NS6detail17trampoline_kernelINS0_14default_configENS1_33run_length_encode_config_selectorIijNS0_4plusIjEEEEZZNS1_33reduce_by_key_impl_wrapped_configILNS1_25lookback_scan_determinismE0ES3_S7_PKiNS0_17constant_iteratorIjlEEPiPlSF_S6_NS0_8equal_toIiEEEE10hipError_tPvRmT2_T3_mT4_T5_T6_T7_T8_P12ihipStream_tbENKUlT_T0_E_clISt17integral_constantIbLb0EESY_IbLb1EEEEDaSU_SV_EUlSU_E_NS1_11comp_targetILNS1_3genE3ELNS1_11target_archE908ELNS1_3gpuE7ELNS1_3repE0EEENS1_30default_config_static_selectorELNS0_4arch9wavefront6targetE1EEEvT1_,comdat
	.protected	_ZN7rocprim17ROCPRIM_400000_NS6detail17trampoline_kernelINS0_14default_configENS1_33run_length_encode_config_selectorIijNS0_4plusIjEEEEZZNS1_33reduce_by_key_impl_wrapped_configILNS1_25lookback_scan_determinismE0ES3_S7_PKiNS0_17constant_iteratorIjlEEPiPlSF_S6_NS0_8equal_toIiEEEE10hipError_tPvRmT2_T3_mT4_T5_T6_T7_T8_P12ihipStream_tbENKUlT_T0_E_clISt17integral_constantIbLb0EESY_IbLb1EEEEDaSU_SV_EUlSU_E_NS1_11comp_targetILNS1_3genE3ELNS1_11target_archE908ELNS1_3gpuE7ELNS1_3repE0EEENS1_30default_config_static_selectorELNS0_4arch9wavefront6targetE1EEEvT1_ ; -- Begin function _ZN7rocprim17ROCPRIM_400000_NS6detail17trampoline_kernelINS0_14default_configENS1_33run_length_encode_config_selectorIijNS0_4plusIjEEEEZZNS1_33reduce_by_key_impl_wrapped_configILNS1_25lookback_scan_determinismE0ES3_S7_PKiNS0_17constant_iteratorIjlEEPiPlSF_S6_NS0_8equal_toIiEEEE10hipError_tPvRmT2_T3_mT4_T5_T6_T7_T8_P12ihipStream_tbENKUlT_T0_E_clISt17integral_constantIbLb0EESY_IbLb1EEEEDaSU_SV_EUlSU_E_NS1_11comp_targetILNS1_3genE3ELNS1_11target_archE908ELNS1_3gpuE7ELNS1_3repE0EEENS1_30default_config_static_selectorELNS0_4arch9wavefront6targetE1EEEvT1_
	.globl	_ZN7rocprim17ROCPRIM_400000_NS6detail17trampoline_kernelINS0_14default_configENS1_33run_length_encode_config_selectorIijNS0_4plusIjEEEEZZNS1_33reduce_by_key_impl_wrapped_configILNS1_25lookback_scan_determinismE0ES3_S7_PKiNS0_17constant_iteratorIjlEEPiPlSF_S6_NS0_8equal_toIiEEEE10hipError_tPvRmT2_T3_mT4_T5_T6_T7_T8_P12ihipStream_tbENKUlT_T0_E_clISt17integral_constantIbLb0EESY_IbLb1EEEEDaSU_SV_EUlSU_E_NS1_11comp_targetILNS1_3genE3ELNS1_11target_archE908ELNS1_3gpuE7ELNS1_3repE0EEENS1_30default_config_static_selectorELNS0_4arch9wavefront6targetE1EEEvT1_
	.p2align	8
	.type	_ZN7rocprim17ROCPRIM_400000_NS6detail17trampoline_kernelINS0_14default_configENS1_33run_length_encode_config_selectorIijNS0_4plusIjEEEEZZNS1_33reduce_by_key_impl_wrapped_configILNS1_25lookback_scan_determinismE0ES3_S7_PKiNS0_17constant_iteratorIjlEEPiPlSF_S6_NS0_8equal_toIiEEEE10hipError_tPvRmT2_T3_mT4_T5_T6_T7_T8_P12ihipStream_tbENKUlT_T0_E_clISt17integral_constantIbLb0EESY_IbLb1EEEEDaSU_SV_EUlSU_E_NS1_11comp_targetILNS1_3genE3ELNS1_11target_archE908ELNS1_3gpuE7ELNS1_3repE0EEENS1_30default_config_static_selectorELNS0_4arch9wavefront6targetE1EEEvT1_,@function
_ZN7rocprim17ROCPRIM_400000_NS6detail17trampoline_kernelINS0_14default_configENS1_33run_length_encode_config_selectorIijNS0_4plusIjEEEEZZNS1_33reduce_by_key_impl_wrapped_configILNS1_25lookback_scan_determinismE0ES3_S7_PKiNS0_17constant_iteratorIjlEEPiPlSF_S6_NS0_8equal_toIiEEEE10hipError_tPvRmT2_T3_mT4_T5_T6_T7_T8_P12ihipStream_tbENKUlT_T0_E_clISt17integral_constantIbLb0EESY_IbLb1EEEEDaSU_SV_EUlSU_E_NS1_11comp_targetILNS1_3genE3ELNS1_11target_archE908ELNS1_3gpuE7ELNS1_3repE0EEENS1_30default_config_static_selectorELNS0_4arch9wavefront6targetE1EEEvT1_: ; @_ZN7rocprim17ROCPRIM_400000_NS6detail17trampoline_kernelINS0_14default_configENS1_33run_length_encode_config_selectorIijNS0_4plusIjEEEEZZNS1_33reduce_by_key_impl_wrapped_configILNS1_25lookback_scan_determinismE0ES3_S7_PKiNS0_17constant_iteratorIjlEEPiPlSF_S6_NS0_8equal_toIiEEEE10hipError_tPvRmT2_T3_mT4_T5_T6_T7_T8_P12ihipStream_tbENKUlT_T0_E_clISt17integral_constantIbLb0EESY_IbLb1EEEEDaSU_SV_EUlSU_E_NS1_11comp_targetILNS1_3genE3ELNS1_11target_archE908ELNS1_3gpuE7ELNS1_3repE0EEENS1_30default_config_static_selectorELNS0_4arch9wavefront6targetE1EEEvT1_
; %bb.0:
	.section	.rodata,"a",@progbits
	.p2align	6, 0x0
	.amdhsa_kernel _ZN7rocprim17ROCPRIM_400000_NS6detail17trampoline_kernelINS0_14default_configENS1_33run_length_encode_config_selectorIijNS0_4plusIjEEEEZZNS1_33reduce_by_key_impl_wrapped_configILNS1_25lookback_scan_determinismE0ES3_S7_PKiNS0_17constant_iteratorIjlEEPiPlSF_S6_NS0_8equal_toIiEEEE10hipError_tPvRmT2_T3_mT4_T5_T6_T7_T8_P12ihipStream_tbENKUlT_T0_E_clISt17integral_constantIbLb0EESY_IbLb1EEEEDaSU_SV_EUlSU_E_NS1_11comp_targetILNS1_3genE3ELNS1_11target_archE908ELNS1_3gpuE7ELNS1_3repE0EEENS1_30default_config_static_selectorELNS0_4arch9wavefront6targetE1EEEvT1_
		.amdhsa_group_segment_fixed_size 0
		.amdhsa_private_segment_fixed_size 0
		.amdhsa_kernarg_size 128
		.amdhsa_user_sgpr_count 6
		.amdhsa_user_sgpr_private_segment_buffer 1
		.amdhsa_user_sgpr_dispatch_ptr 0
		.amdhsa_user_sgpr_queue_ptr 0
		.amdhsa_user_sgpr_kernarg_segment_ptr 1
		.amdhsa_user_sgpr_dispatch_id 0
		.amdhsa_user_sgpr_flat_scratch_init 0
		.amdhsa_user_sgpr_kernarg_preload_length 0
		.amdhsa_user_sgpr_kernarg_preload_offset 0
		.amdhsa_user_sgpr_private_segment_size 0
		.amdhsa_uses_dynamic_stack 0
		.amdhsa_system_sgpr_private_segment_wavefront_offset 0
		.amdhsa_system_sgpr_workgroup_id_x 1
		.amdhsa_system_sgpr_workgroup_id_y 0
		.amdhsa_system_sgpr_workgroup_id_z 0
		.amdhsa_system_sgpr_workgroup_info 0
		.amdhsa_system_vgpr_workitem_id 0
		.amdhsa_next_free_vgpr 1
		.amdhsa_next_free_sgpr 0
		.amdhsa_accum_offset 4
		.amdhsa_reserve_vcc 0
		.amdhsa_reserve_flat_scratch 0
		.amdhsa_float_round_mode_32 0
		.amdhsa_float_round_mode_16_64 0
		.amdhsa_float_denorm_mode_32 3
		.amdhsa_float_denorm_mode_16_64 3
		.amdhsa_dx10_clamp 1
		.amdhsa_ieee_mode 1
		.amdhsa_fp16_overflow 0
		.amdhsa_tg_split 0
		.amdhsa_exception_fp_ieee_invalid_op 0
		.amdhsa_exception_fp_denorm_src 0
		.amdhsa_exception_fp_ieee_div_zero 0
		.amdhsa_exception_fp_ieee_overflow 0
		.amdhsa_exception_fp_ieee_underflow 0
		.amdhsa_exception_fp_ieee_inexact 0
		.amdhsa_exception_int_div_zero 0
	.end_amdhsa_kernel
	.section	.text._ZN7rocprim17ROCPRIM_400000_NS6detail17trampoline_kernelINS0_14default_configENS1_33run_length_encode_config_selectorIijNS0_4plusIjEEEEZZNS1_33reduce_by_key_impl_wrapped_configILNS1_25lookback_scan_determinismE0ES3_S7_PKiNS0_17constant_iteratorIjlEEPiPlSF_S6_NS0_8equal_toIiEEEE10hipError_tPvRmT2_T3_mT4_T5_T6_T7_T8_P12ihipStream_tbENKUlT_T0_E_clISt17integral_constantIbLb0EESY_IbLb1EEEEDaSU_SV_EUlSU_E_NS1_11comp_targetILNS1_3genE3ELNS1_11target_archE908ELNS1_3gpuE7ELNS1_3repE0EEENS1_30default_config_static_selectorELNS0_4arch9wavefront6targetE1EEEvT1_,"axG",@progbits,_ZN7rocprim17ROCPRIM_400000_NS6detail17trampoline_kernelINS0_14default_configENS1_33run_length_encode_config_selectorIijNS0_4plusIjEEEEZZNS1_33reduce_by_key_impl_wrapped_configILNS1_25lookback_scan_determinismE0ES3_S7_PKiNS0_17constant_iteratorIjlEEPiPlSF_S6_NS0_8equal_toIiEEEE10hipError_tPvRmT2_T3_mT4_T5_T6_T7_T8_P12ihipStream_tbENKUlT_T0_E_clISt17integral_constantIbLb0EESY_IbLb1EEEEDaSU_SV_EUlSU_E_NS1_11comp_targetILNS1_3genE3ELNS1_11target_archE908ELNS1_3gpuE7ELNS1_3repE0EEENS1_30default_config_static_selectorELNS0_4arch9wavefront6targetE1EEEvT1_,comdat
.Lfunc_end472:
	.size	_ZN7rocprim17ROCPRIM_400000_NS6detail17trampoline_kernelINS0_14default_configENS1_33run_length_encode_config_selectorIijNS0_4plusIjEEEEZZNS1_33reduce_by_key_impl_wrapped_configILNS1_25lookback_scan_determinismE0ES3_S7_PKiNS0_17constant_iteratorIjlEEPiPlSF_S6_NS0_8equal_toIiEEEE10hipError_tPvRmT2_T3_mT4_T5_T6_T7_T8_P12ihipStream_tbENKUlT_T0_E_clISt17integral_constantIbLb0EESY_IbLb1EEEEDaSU_SV_EUlSU_E_NS1_11comp_targetILNS1_3genE3ELNS1_11target_archE908ELNS1_3gpuE7ELNS1_3repE0EEENS1_30default_config_static_selectorELNS0_4arch9wavefront6targetE1EEEvT1_, .Lfunc_end472-_ZN7rocprim17ROCPRIM_400000_NS6detail17trampoline_kernelINS0_14default_configENS1_33run_length_encode_config_selectorIijNS0_4plusIjEEEEZZNS1_33reduce_by_key_impl_wrapped_configILNS1_25lookback_scan_determinismE0ES3_S7_PKiNS0_17constant_iteratorIjlEEPiPlSF_S6_NS0_8equal_toIiEEEE10hipError_tPvRmT2_T3_mT4_T5_T6_T7_T8_P12ihipStream_tbENKUlT_T0_E_clISt17integral_constantIbLb0EESY_IbLb1EEEEDaSU_SV_EUlSU_E_NS1_11comp_targetILNS1_3genE3ELNS1_11target_archE908ELNS1_3gpuE7ELNS1_3repE0EEENS1_30default_config_static_selectorELNS0_4arch9wavefront6targetE1EEEvT1_
                                        ; -- End function
	.section	.AMDGPU.csdata,"",@progbits
; Kernel info:
; codeLenInByte = 0
; NumSgprs: 4
; NumVgprs: 0
; NumAgprs: 0
; TotalNumVgprs: 0
; ScratchSize: 0
; MemoryBound: 0
; FloatMode: 240
; IeeeMode: 1
; LDSByteSize: 0 bytes/workgroup (compile time only)
; SGPRBlocks: 0
; VGPRBlocks: 0
; NumSGPRsForWavesPerEU: 4
; NumVGPRsForWavesPerEU: 1
; AccumOffset: 4
; Occupancy: 8
; WaveLimiterHint : 0
; COMPUTE_PGM_RSRC2:SCRATCH_EN: 0
; COMPUTE_PGM_RSRC2:USER_SGPR: 6
; COMPUTE_PGM_RSRC2:TRAP_HANDLER: 0
; COMPUTE_PGM_RSRC2:TGID_X_EN: 1
; COMPUTE_PGM_RSRC2:TGID_Y_EN: 0
; COMPUTE_PGM_RSRC2:TGID_Z_EN: 0
; COMPUTE_PGM_RSRC2:TIDIG_COMP_CNT: 0
; COMPUTE_PGM_RSRC3_GFX90A:ACCUM_OFFSET: 0
; COMPUTE_PGM_RSRC3_GFX90A:TG_SPLIT: 0
	.section	.text._ZN7rocprim17ROCPRIM_400000_NS6detail17trampoline_kernelINS0_14default_configENS1_33run_length_encode_config_selectorIijNS0_4plusIjEEEEZZNS1_33reduce_by_key_impl_wrapped_configILNS1_25lookback_scan_determinismE0ES3_S7_PKiNS0_17constant_iteratorIjlEEPiPlSF_S6_NS0_8equal_toIiEEEE10hipError_tPvRmT2_T3_mT4_T5_T6_T7_T8_P12ihipStream_tbENKUlT_T0_E_clISt17integral_constantIbLb0EESY_IbLb1EEEEDaSU_SV_EUlSU_E_NS1_11comp_targetILNS1_3genE2ELNS1_11target_archE906ELNS1_3gpuE6ELNS1_3repE0EEENS1_30default_config_static_selectorELNS0_4arch9wavefront6targetE1EEEvT1_,"axG",@progbits,_ZN7rocprim17ROCPRIM_400000_NS6detail17trampoline_kernelINS0_14default_configENS1_33run_length_encode_config_selectorIijNS0_4plusIjEEEEZZNS1_33reduce_by_key_impl_wrapped_configILNS1_25lookback_scan_determinismE0ES3_S7_PKiNS0_17constant_iteratorIjlEEPiPlSF_S6_NS0_8equal_toIiEEEE10hipError_tPvRmT2_T3_mT4_T5_T6_T7_T8_P12ihipStream_tbENKUlT_T0_E_clISt17integral_constantIbLb0EESY_IbLb1EEEEDaSU_SV_EUlSU_E_NS1_11comp_targetILNS1_3genE2ELNS1_11target_archE906ELNS1_3gpuE6ELNS1_3repE0EEENS1_30default_config_static_selectorELNS0_4arch9wavefront6targetE1EEEvT1_,comdat
	.protected	_ZN7rocprim17ROCPRIM_400000_NS6detail17trampoline_kernelINS0_14default_configENS1_33run_length_encode_config_selectorIijNS0_4plusIjEEEEZZNS1_33reduce_by_key_impl_wrapped_configILNS1_25lookback_scan_determinismE0ES3_S7_PKiNS0_17constant_iteratorIjlEEPiPlSF_S6_NS0_8equal_toIiEEEE10hipError_tPvRmT2_T3_mT4_T5_T6_T7_T8_P12ihipStream_tbENKUlT_T0_E_clISt17integral_constantIbLb0EESY_IbLb1EEEEDaSU_SV_EUlSU_E_NS1_11comp_targetILNS1_3genE2ELNS1_11target_archE906ELNS1_3gpuE6ELNS1_3repE0EEENS1_30default_config_static_selectorELNS0_4arch9wavefront6targetE1EEEvT1_ ; -- Begin function _ZN7rocprim17ROCPRIM_400000_NS6detail17trampoline_kernelINS0_14default_configENS1_33run_length_encode_config_selectorIijNS0_4plusIjEEEEZZNS1_33reduce_by_key_impl_wrapped_configILNS1_25lookback_scan_determinismE0ES3_S7_PKiNS0_17constant_iteratorIjlEEPiPlSF_S6_NS0_8equal_toIiEEEE10hipError_tPvRmT2_T3_mT4_T5_T6_T7_T8_P12ihipStream_tbENKUlT_T0_E_clISt17integral_constantIbLb0EESY_IbLb1EEEEDaSU_SV_EUlSU_E_NS1_11comp_targetILNS1_3genE2ELNS1_11target_archE906ELNS1_3gpuE6ELNS1_3repE0EEENS1_30default_config_static_selectorELNS0_4arch9wavefront6targetE1EEEvT1_
	.globl	_ZN7rocprim17ROCPRIM_400000_NS6detail17trampoline_kernelINS0_14default_configENS1_33run_length_encode_config_selectorIijNS0_4plusIjEEEEZZNS1_33reduce_by_key_impl_wrapped_configILNS1_25lookback_scan_determinismE0ES3_S7_PKiNS0_17constant_iteratorIjlEEPiPlSF_S6_NS0_8equal_toIiEEEE10hipError_tPvRmT2_T3_mT4_T5_T6_T7_T8_P12ihipStream_tbENKUlT_T0_E_clISt17integral_constantIbLb0EESY_IbLb1EEEEDaSU_SV_EUlSU_E_NS1_11comp_targetILNS1_3genE2ELNS1_11target_archE906ELNS1_3gpuE6ELNS1_3repE0EEENS1_30default_config_static_selectorELNS0_4arch9wavefront6targetE1EEEvT1_
	.p2align	8
	.type	_ZN7rocprim17ROCPRIM_400000_NS6detail17trampoline_kernelINS0_14default_configENS1_33run_length_encode_config_selectorIijNS0_4plusIjEEEEZZNS1_33reduce_by_key_impl_wrapped_configILNS1_25lookback_scan_determinismE0ES3_S7_PKiNS0_17constant_iteratorIjlEEPiPlSF_S6_NS0_8equal_toIiEEEE10hipError_tPvRmT2_T3_mT4_T5_T6_T7_T8_P12ihipStream_tbENKUlT_T0_E_clISt17integral_constantIbLb0EESY_IbLb1EEEEDaSU_SV_EUlSU_E_NS1_11comp_targetILNS1_3genE2ELNS1_11target_archE906ELNS1_3gpuE6ELNS1_3repE0EEENS1_30default_config_static_selectorELNS0_4arch9wavefront6targetE1EEEvT1_,@function
_ZN7rocprim17ROCPRIM_400000_NS6detail17trampoline_kernelINS0_14default_configENS1_33run_length_encode_config_selectorIijNS0_4plusIjEEEEZZNS1_33reduce_by_key_impl_wrapped_configILNS1_25lookback_scan_determinismE0ES3_S7_PKiNS0_17constant_iteratorIjlEEPiPlSF_S6_NS0_8equal_toIiEEEE10hipError_tPvRmT2_T3_mT4_T5_T6_T7_T8_P12ihipStream_tbENKUlT_T0_E_clISt17integral_constantIbLb0EESY_IbLb1EEEEDaSU_SV_EUlSU_E_NS1_11comp_targetILNS1_3genE2ELNS1_11target_archE906ELNS1_3gpuE6ELNS1_3repE0EEENS1_30default_config_static_selectorELNS0_4arch9wavefront6targetE1EEEvT1_: ; @_ZN7rocprim17ROCPRIM_400000_NS6detail17trampoline_kernelINS0_14default_configENS1_33run_length_encode_config_selectorIijNS0_4plusIjEEEEZZNS1_33reduce_by_key_impl_wrapped_configILNS1_25lookback_scan_determinismE0ES3_S7_PKiNS0_17constant_iteratorIjlEEPiPlSF_S6_NS0_8equal_toIiEEEE10hipError_tPvRmT2_T3_mT4_T5_T6_T7_T8_P12ihipStream_tbENKUlT_T0_E_clISt17integral_constantIbLb0EESY_IbLb1EEEEDaSU_SV_EUlSU_E_NS1_11comp_targetILNS1_3genE2ELNS1_11target_archE906ELNS1_3gpuE6ELNS1_3repE0EEENS1_30default_config_static_selectorELNS0_4arch9wavefront6targetE1EEEvT1_
; %bb.0:
	.section	.rodata,"a",@progbits
	.p2align	6, 0x0
	.amdhsa_kernel _ZN7rocprim17ROCPRIM_400000_NS6detail17trampoline_kernelINS0_14default_configENS1_33run_length_encode_config_selectorIijNS0_4plusIjEEEEZZNS1_33reduce_by_key_impl_wrapped_configILNS1_25lookback_scan_determinismE0ES3_S7_PKiNS0_17constant_iteratorIjlEEPiPlSF_S6_NS0_8equal_toIiEEEE10hipError_tPvRmT2_T3_mT4_T5_T6_T7_T8_P12ihipStream_tbENKUlT_T0_E_clISt17integral_constantIbLb0EESY_IbLb1EEEEDaSU_SV_EUlSU_E_NS1_11comp_targetILNS1_3genE2ELNS1_11target_archE906ELNS1_3gpuE6ELNS1_3repE0EEENS1_30default_config_static_selectorELNS0_4arch9wavefront6targetE1EEEvT1_
		.amdhsa_group_segment_fixed_size 0
		.amdhsa_private_segment_fixed_size 0
		.amdhsa_kernarg_size 128
		.amdhsa_user_sgpr_count 6
		.amdhsa_user_sgpr_private_segment_buffer 1
		.amdhsa_user_sgpr_dispatch_ptr 0
		.amdhsa_user_sgpr_queue_ptr 0
		.amdhsa_user_sgpr_kernarg_segment_ptr 1
		.amdhsa_user_sgpr_dispatch_id 0
		.amdhsa_user_sgpr_flat_scratch_init 0
		.amdhsa_user_sgpr_kernarg_preload_length 0
		.amdhsa_user_sgpr_kernarg_preload_offset 0
		.amdhsa_user_sgpr_private_segment_size 0
		.amdhsa_uses_dynamic_stack 0
		.amdhsa_system_sgpr_private_segment_wavefront_offset 0
		.amdhsa_system_sgpr_workgroup_id_x 1
		.amdhsa_system_sgpr_workgroup_id_y 0
		.amdhsa_system_sgpr_workgroup_id_z 0
		.amdhsa_system_sgpr_workgroup_info 0
		.amdhsa_system_vgpr_workitem_id 0
		.amdhsa_next_free_vgpr 1
		.amdhsa_next_free_sgpr 0
		.amdhsa_accum_offset 4
		.amdhsa_reserve_vcc 0
		.amdhsa_reserve_flat_scratch 0
		.amdhsa_float_round_mode_32 0
		.amdhsa_float_round_mode_16_64 0
		.amdhsa_float_denorm_mode_32 3
		.amdhsa_float_denorm_mode_16_64 3
		.amdhsa_dx10_clamp 1
		.amdhsa_ieee_mode 1
		.amdhsa_fp16_overflow 0
		.amdhsa_tg_split 0
		.amdhsa_exception_fp_ieee_invalid_op 0
		.amdhsa_exception_fp_denorm_src 0
		.amdhsa_exception_fp_ieee_div_zero 0
		.amdhsa_exception_fp_ieee_overflow 0
		.amdhsa_exception_fp_ieee_underflow 0
		.amdhsa_exception_fp_ieee_inexact 0
		.amdhsa_exception_int_div_zero 0
	.end_amdhsa_kernel
	.section	.text._ZN7rocprim17ROCPRIM_400000_NS6detail17trampoline_kernelINS0_14default_configENS1_33run_length_encode_config_selectorIijNS0_4plusIjEEEEZZNS1_33reduce_by_key_impl_wrapped_configILNS1_25lookback_scan_determinismE0ES3_S7_PKiNS0_17constant_iteratorIjlEEPiPlSF_S6_NS0_8equal_toIiEEEE10hipError_tPvRmT2_T3_mT4_T5_T6_T7_T8_P12ihipStream_tbENKUlT_T0_E_clISt17integral_constantIbLb0EESY_IbLb1EEEEDaSU_SV_EUlSU_E_NS1_11comp_targetILNS1_3genE2ELNS1_11target_archE906ELNS1_3gpuE6ELNS1_3repE0EEENS1_30default_config_static_selectorELNS0_4arch9wavefront6targetE1EEEvT1_,"axG",@progbits,_ZN7rocprim17ROCPRIM_400000_NS6detail17trampoline_kernelINS0_14default_configENS1_33run_length_encode_config_selectorIijNS0_4plusIjEEEEZZNS1_33reduce_by_key_impl_wrapped_configILNS1_25lookback_scan_determinismE0ES3_S7_PKiNS0_17constant_iteratorIjlEEPiPlSF_S6_NS0_8equal_toIiEEEE10hipError_tPvRmT2_T3_mT4_T5_T6_T7_T8_P12ihipStream_tbENKUlT_T0_E_clISt17integral_constantIbLb0EESY_IbLb1EEEEDaSU_SV_EUlSU_E_NS1_11comp_targetILNS1_3genE2ELNS1_11target_archE906ELNS1_3gpuE6ELNS1_3repE0EEENS1_30default_config_static_selectorELNS0_4arch9wavefront6targetE1EEEvT1_,comdat
.Lfunc_end473:
	.size	_ZN7rocprim17ROCPRIM_400000_NS6detail17trampoline_kernelINS0_14default_configENS1_33run_length_encode_config_selectorIijNS0_4plusIjEEEEZZNS1_33reduce_by_key_impl_wrapped_configILNS1_25lookback_scan_determinismE0ES3_S7_PKiNS0_17constant_iteratorIjlEEPiPlSF_S6_NS0_8equal_toIiEEEE10hipError_tPvRmT2_T3_mT4_T5_T6_T7_T8_P12ihipStream_tbENKUlT_T0_E_clISt17integral_constantIbLb0EESY_IbLb1EEEEDaSU_SV_EUlSU_E_NS1_11comp_targetILNS1_3genE2ELNS1_11target_archE906ELNS1_3gpuE6ELNS1_3repE0EEENS1_30default_config_static_selectorELNS0_4arch9wavefront6targetE1EEEvT1_, .Lfunc_end473-_ZN7rocprim17ROCPRIM_400000_NS6detail17trampoline_kernelINS0_14default_configENS1_33run_length_encode_config_selectorIijNS0_4plusIjEEEEZZNS1_33reduce_by_key_impl_wrapped_configILNS1_25lookback_scan_determinismE0ES3_S7_PKiNS0_17constant_iteratorIjlEEPiPlSF_S6_NS0_8equal_toIiEEEE10hipError_tPvRmT2_T3_mT4_T5_T6_T7_T8_P12ihipStream_tbENKUlT_T0_E_clISt17integral_constantIbLb0EESY_IbLb1EEEEDaSU_SV_EUlSU_E_NS1_11comp_targetILNS1_3genE2ELNS1_11target_archE906ELNS1_3gpuE6ELNS1_3repE0EEENS1_30default_config_static_selectorELNS0_4arch9wavefront6targetE1EEEvT1_
                                        ; -- End function
	.section	.AMDGPU.csdata,"",@progbits
; Kernel info:
; codeLenInByte = 0
; NumSgprs: 4
; NumVgprs: 0
; NumAgprs: 0
; TotalNumVgprs: 0
; ScratchSize: 0
; MemoryBound: 0
; FloatMode: 240
; IeeeMode: 1
; LDSByteSize: 0 bytes/workgroup (compile time only)
; SGPRBlocks: 0
; VGPRBlocks: 0
; NumSGPRsForWavesPerEU: 4
; NumVGPRsForWavesPerEU: 1
; AccumOffset: 4
; Occupancy: 8
; WaveLimiterHint : 0
; COMPUTE_PGM_RSRC2:SCRATCH_EN: 0
; COMPUTE_PGM_RSRC2:USER_SGPR: 6
; COMPUTE_PGM_RSRC2:TRAP_HANDLER: 0
; COMPUTE_PGM_RSRC2:TGID_X_EN: 1
; COMPUTE_PGM_RSRC2:TGID_Y_EN: 0
; COMPUTE_PGM_RSRC2:TGID_Z_EN: 0
; COMPUTE_PGM_RSRC2:TIDIG_COMP_CNT: 0
; COMPUTE_PGM_RSRC3_GFX90A:ACCUM_OFFSET: 0
; COMPUTE_PGM_RSRC3_GFX90A:TG_SPLIT: 0
	.section	.text._ZN7rocprim17ROCPRIM_400000_NS6detail17trampoline_kernelINS0_14default_configENS1_33run_length_encode_config_selectorIijNS0_4plusIjEEEEZZNS1_33reduce_by_key_impl_wrapped_configILNS1_25lookback_scan_determinismE0ES3_S7_PKiNS0_17constant_iteratorIjlEEPiPlSF_S6_NS0_8equal_toIiEEEE10hipError_tPvRmT2_T3_mT4_T5_T6_T7_T8_P12ihipStream_tbENKUlT_T0_E_clISt17integral_constantIbLb0EESY_IbLb1EEEEDaSU_SV_EUlSU_E_NS1_11comp_targetILNS1_3genE10ELNS1_11target_archE1201ELNS1_3gpuE5ELNS1_3repE0EEENS1_30default_config_static_selectorELNS0_4arch9wavefront6targetE1EEEvT1_,"axG",@progbits,_ZN7rocprim17ROCPRIM_400000_NS6detail17trampoline_kernelINS0_14default_configENS1_33run_length_encode_config_selectorIijNS0_4plusIjEEEEZZNS1_33reduce_by_key_impl_wrapped_configILNS1_25lookback_scan_determinismE0ES3_S7_PKiNS0_17constant_iteratorIjlEEPiPlSF_S6_NS0_8equal_toIiEEEE10hipError_tPvRmT2_T3_mT4_T5_T6_T7_T8_P12ihipStream_tbENKUlT_T0_E_clISt17integral_constantIbLb0EESY_IbLb1EEEEDaSU_SV_EUlSU_E_NS1_11comp_targetILNS1_3genE10ELNS1_11target_archE1201ELNS1_3gpuE5ELNS1_3repE0EEENS1_30default_config_static_selectorELNS0_4arch9wavefront6targetE1EEEvT1_,comdat
	.protected	_ZN7rocprim17ROCPRIM_400000_NS6detail17trampoline_kernelINS0_14default_configENS1_33run_length_encode_config_selectorIijNS0_4plusIjEEEEZZNS1_33reduce_by_key_impl_wrapped_configILNS1_25lookback_scan_determinismE0ES3_S7_PKiNS0_17constant_iteratorIjlEEPiPlSF_S6_NS0_8equal_toIiEEEE10hipError_tPvRmT2_T3_mT4_T5_T6_T7_T8_P12ihipStream_tbENKUlT_T0_E_clISt17integral_constantIbLb0EESY_IbLb1EEEEDaSU_SV_EUlSU_E_NS1_11comp_targetILNS1_3genE10ELNS1_11target_archE1201ELNS1_3gpuE5ELNS1_3repE0EEENS1_30default_config_static_selectorELNS0_4arch9wavefront6targetE1EEEvT1_ ; -- Begin function _ZN7rocprim17ROCPRIM_400000_NS6detail17trampoline_kernelINS0_14default_configENS1_33run_length_encode_config_selectorIijNS0_4plusIjEEEEZZNS1_33reduce_by_key_impl_wrapped_configILNS1_25lookback_scan_determinismE0ES3_S7_PKiNS0_17constant_iteratorIjlEEPiPlSF_S6_NS0_8equal_toIiEEEE10hipError_tPvRmT2_T3_mT4_T5_T6_T7_T8_P12ihipStream_tbENKUlT_T0_E_clISt17integral_constantIbLb0EESY_IbLb1EEEEDaSU_SV_EUlSU_E_NS1_11comp_targetILNS1_3genE10ELNS1_11target_archE1201ELNS1_3gpuE5ELNS1_3repE0EEENS1_30default_config_static_selectorELNS0_4arch9wavefront6targetE1EEEvT1_
	.globl	_ZN7rocprim17ROCPRIM_400000_NS6detail17trampoline_kernelINS0_14default_configENS1_33run_length_encode_config_selectorIijNS0_4plusIjEEEEZZNS1_33reduce_by_key_impl_wrapped_configILNS1_25lookback_scan_determinismE0ES3_S7_PKiNS0_17constant_iteratorIjlEEPiPlSF_S6_NS0_8equal_toIiEEEE10hipError_tPvRmT2_T3_mT4_T5_T6_T7_T8_P12ihipStream_tbENKUlT_T0_E_clISt17integral_constantIbLb0EESY_IbLb1EEEEDaSU_SV_EUlSU_E_NS1_11comp_targetILNS1_3genE10ELNS1_11target_archE1201ELNS1_3gpuE5ELNS1_3repE0EEENS1_30default_config_static_selectorELNS0_4arch9wavefront6targetE1EEEvT1_
	.p2align	8
	.type	_ZN7rocprim17ROCPRIM_400000_NS6detail17trampoline_kernelINS0_14default_configENS1_33run_length_encode_config_selectorIijNS0_4plusIjEEEEZZNS1_33reduce_by_key_impl_wrapped_configILNS1_25lookback_scan_determinismE0ES3_S7_PKiNS0_17constant_iteratorIjlEEPiPlSF_S6_NS0_8equal_toIiEEEE10hipError_tPvRmT2_T3_mT4_T5_T6_T7_T8_P12ihipStream_tbENKUlT_T0_E_clISt17integral_constantIbLb0EESY_IbLb1EEEEDaSU_SV_EUlSU_E_NS1_11comp_targetILNS1_3genE10ELNS1_11target_archE1201ELNS1_3gpuE5ELNS1_3repE0EEENS1_30default_config_static_selectorELNS0_4arch9wavefront6targetE1EEEvT1_,@function
_ZN7rocprim17ROCPRIM_400000_NS6detail17trampoline_kernelINS0_14default_configENS1_33run_length_encode_config_selectorIijNS0_4plusIjEEEEZZNS1_33reduce_by_key_impl_wrapped_configILNS1_25lookback_scan_determinismE0ES3_S7_PKiNS0_17constant_iteratorIjlEEPiPlSF_S6_NS0_8equal_toIiEEEE10hipError_tPvRmT2_T3_mT4_T5_T6_T7_T8_P12ihipStream_tbENKUlT_T0_E_clISt17integral_constantIbLb0EESY_IbLb1EEEEDaSU_SV_EUlSU_E_NS1_11comp_targetILNS1_3genE10ELNS1_11target_archE1201ELNS1_3gpuE5ELNS1_3repE0EEENS1_30default_config_static_selectorELNS0_4arch9wavefront6targetE1EEEvT1_: ; @_ZN7rocprim17ROCPRIM_400000_NS6detail17trampoline_kernelINS0_14default_configENS1_33run_length_encode_config_selectorIijNS0_4plusIjEEEEZZNS1_33reduce_by_key_impl_wrapped_configILNS1_25lookback_scan_determinismE0ES3_S7_PKiNS0_17constant_iteratorIjlEEPiPlSF_S6_NS0_8equal_toIiEEEE10hipError_tPvRmT2_T3_mT4_T5_T6_T7_T8_P12ihipStream_tbENKUlT_T0_E_clISt17integral_constantIbLb0EESY_IbLb1EEEEDaSU_SV_EUlSU_E_NS1_11comp_targetILNS1_3genE10ELNS1_11target_archE1201ELNS1_3gpuE5ELNS1_3repE0EEENS1_30default_config_static_selectorELNS0_4arch9wavefront6targetE1EEEvT1_
; %bb.0:
	.section	.rodata,"a",@progbits
	.p2align	6, 0x0
	.amdhsa_kernel _ZN7rocprim17ROCPRIM_400000_NS6detail17trampoline_kernelINS0_14default_configENS1_33run_length_encode_config_selectorIijNS0_4plusIjEEEEZZNS1_33reduce_by_key_impl_wrapped_configILNS1_25lookback_scan_determinismE0ES3_S7_PKiNS0_17constant_iteratorIjlEEPiPlSF_S6_NS0_8equal_toIiEEEE10hipError_tPvRmT2_T3_mT4_T5_T6_T7_T8_P12ihipStream_tbENKUlT_T0_E_clISt17integral_constantIbLb0EESY_IbLb1EEEEDaSU_SV_EUlSU_E_NS1_11comp_targetILNS1_3genE10ELNS1_11target_archE1201ELNS1_3gpuE5ELNS1_3repE0EEENS1_30default_config_static_selectorELNS0_4arch9wavefront6targetE1EEEvT1_
		.amdhsa_group_segment_fixed_size 0
		.amdhsa_private_segment_fixed_size 0
		.amdhsa_kernarg_size 128
		.amdhsa_user_sgpr_count 6
		.amdhsa_user_sgpr_private_segment_buffer 1
		.amdhsa_user_sgpr_dispatch_ptr 0
		.amdhsa_user_sgpr_queue_ptr 0
		.amdhsa_user_sgpr_kernarg_segment_ptr 1
		.amdhsa_user_sgpr_dispatch_id 0
		.amdhsa_user_sgpr_flat_scratch_init 0
		.amdhsa_user_sgpr_kernarg_preload_length 0
		.amdhsa_user_sgpr_kernarg_preload_offset 0
		.amdhsa_user_sgpr_private_segment_size 0
		.amdhsa_uses_dynamic_stack 0
		.amdhsa_system_sgpr_private_segment_wavefront_offset 0
		.amdhsa_system_sgpr_workgroup_id_x 1
		.amdhsa_system_sgpr_workgroup_id_y 0
		.amdhsa_system_sgpr_workgroup_id_z 0
		.amdhsa_system_sgpr_workgroup_info 0
		.amdhsa_system_vgpr_workitem_id 0
		.amdhsa_next_free_vgpr 1
		.amdhsa_next_free_sgpr 0
		.amdhsa_accum_offset 4
		.amdhsa_reserve_vcc 0
		.amdhsa_reserve_flat_scratch 0
		.amdhsa_float_round_mode_32 0
		.amdhsa_float_round_mode_16_64 0
		.amdhsa_float_denorm_mode_32 3
		.amdhsa_float_denorm_mode_16_64 3
		.amdhsa_dx10_clamp 1
		.amdhsa_ieee_mode 1
		.amdhsa_fp16_overflow 0
		.amdhsa_tg_split 0
		.amdhsa_exception_fp_ieee_invalid_op 0
		.amdhsa_exception_fp_denorm_src 0
		.amdhsa_exception_fp_ieee_div_zero 0
		.amdhsa_exception_fp_ieee_overflow 0
		.amdhsa_exception_fp_ieee_underflow 0
		.amdhsa_exception_fp_ieee_inexact 0
		.amdhsa_exception_int_div_zero 0
	.end_amdhsa_kernel
	.section	.text._ZN7rocprim17ROCPRIM_400000_NS6detail17trampoline_kernelINS0_14default_configENS1_33run_length_encode_config_selectorIijNS0_4plusIjEEEEZZNS1_33reduce_by_key_impl_wrapped_configILNS1_25lookback_scan_determinismE0ES3_S7_PKiNS0_17constant_iteratorIjlEEPiPlSF_S6_NS0_8equal_toIiEEEE10hipError_tPvRmT2_T3_mT4_T5_T6_T7_T8_P12ihipStream_tbENKUlT_T0_E_clISt17integral_constantIbLb0EESY_IbLb1EEEEDaSU_SV_EUlSU_E_NS1_11comp_targetILNS1_3genE10ELNS1_11target_archE1201ELNS1_3gpuE5ELNS1_3repE0EEENS1_30default_config_static_selectorELNS0_4arch9wavefront6targetE1EEEvT1_,"axG",@progbits,_ZN7rocprim17ROCPRIM_400000_NS6detail17trampoline_kernelINS0_14default_configENS1_33run_length_encode_config_selectorIijNS0_4plusIjEEEEZZNS1_33reduce_by_key_impl_wrapped_configILNS1_25lookback_scan_determinismE0ES3_S7_PKiNS0_17constant_iteratorIjlEEPiPlSF_S6_NS0_8equal_toIiEEEE10hipError_tPvRmT2_T3_mT4_T5_T6_T7_T8_P12ihipStream_tbENKUlT_T0_E_clISt17integral_constantIbLb0EESY_IbLb1EEEEDaSU_SV_EUlSU_E_NS1_11comp_targetILNS1_3genE10ELNS1_11target_archE1201ELNS1_3gpuE5ELNS1_3repE0EEENS1_30default_config_static_selectorELNS0_4arch9wavefront6targetE1EEEvT1_,comdat
.Lfunc_end474:
	.size	_ZN7rocprim17ROCPRIM_400000_NS6detail17trampoline_kernelINS0_14default_configENS1_33run_length_encode_config_selectorIijNS0_4plusIjEEEEZZNS1_33reduce_by_key_impl_wrapped_configILNS1_25lookback_scan_determinismE0ES3_S7_PKiNS0_17constant_iteratorIjlEEPiPlSF_S6_NS0_8equal_toIiEEEE10hipError_tPvRmT2_T3_mT4_T5_T6_T7_T8_P12ihipStream_tbENKUlT_T0_E_clISt17integral_constantIbLb0EESY_IbLb1EEEEDaSU_SV_EUlSU_E_NS1_11comp_targetILNS1_3genE10ELNS1_11target_archE1201ELNS1_3gpuE5ELNS1_3repE0EEENS1_30default_config_static_selectorELNS0_4arch9wavefront6targetE1EEEvT1_, .Lfunc_end474-_ZN7rocprim17ROCPRIM_400000_NS6detail17trampoline_kernelINS0_14default_configENS1_33run_length_encode_config_selectorIijNS0_4plusIjEEEEZZNS1_33reduce_by_key_impl_wrapped_configILNS1_25lookback_scan_determinismE0ES3_S7_PKiNS0_17constant_iteratorIjlEEPiPlSF_S6_NS0_8equal_toIiEEEE10hipError_tPvRmT2_T3_mT4_T5_T6_T7_T8_P12ihipStream_tbENKUlT_T0_E_clISt17integral_constantIbLb0EESY_IbLb1EEEEDaSU_SV_EUlSU_E_NS1_11comp_targetILNS1_3genE10ELNS1_11target_archE1201ELNS1_3gpuE5ELNS1_3repE0EEENS1_30default_config_static_selectorELNS0_4arch9wavefront6targetE1EEEvT1_
                                        ; -- End function
	.section	.AMDGPU.csdata,"",@progbits
; Kernel info:
; codeLenInByte = 0
; NumSgprs: 4
; NumVgprs: 0
; NumAgprs: 0
; TotalNumVgprs: 0
; ScratchSize: 0
; MemoryBound: 0
; FloatMode: 240
; IeeeMode: 1
; LDSByteSize: 0 bytes/workgroup (compile time only)
; SGPRBlocks: 0
; VGPRBlocks: 0
; NumSGPRsForWavesPerEU: 4
; NumVGPRsForWavesPerEU: 1
; AccumOffset: 4
; Occupancy: 8
; WaveLimiterHint : 0
; COMPUTE_PGM_RSRC2:SCRATCH_EN: 0
; COMPUTE_PGM_RSRC2:USER_SGPR: 6
; COMPUTE_PGM_RSRC2:TRAP_HANDLER: 0
; COMPUTE_PGM_RSRC2:TGID_X_EN: 1
; COMPUTE_PGM_RSRC2:TGID_Y_EN: 0
; COMPUTE_PGM_RSRC2:TGID_Z_EN: 0
; COMPUTE_PGM_RSRC2:TIDIG_COMP_CNT: 0
; COMPUTE_PGM_RSRC3_GFX90A:ACCUM_OFFSET: 0
; COMPUTE_PGM_RSRC3_GFX90A:TG_SPLIT: 0
	.section	.text._ZN7rocprim17ROCPRIM_400000_NS6detail17trampoline_kernelINS0_14default_configENS1_33run_length_encode_config_selectorIijNS0_4plusIjEEEEZZNS1_33reduce_by_key_impl_wrapped_configILNS1_25lookback_scan_determinismE0ES3_S7_PKiNS0_17constant_iteratorIjlEEPiPlSF_S6_NS0_8equal_toIiEEEE10hipError_tPvRmT2_T3_mT4_T5_T6_T7_T8_P12ihipStream_tbENKUlT_T0_E_clISt17integral_constantIbLb0EESY_IbLb1EEEEDaSU_SV_EUlSU_E_NS1_11comp_targetILNS1_3genE10ELNS1_11target_archE1200ELNS1_3gpuE4ELNS1_3repE0EEENS1_30default_config_static_selectorELNS0_4arch9wavefront6targetE1EEEvT1_,"axG",@progbits,_ZN7rocprim17ROCPRIM_400000_NS6detail17trampoline_kernelINS0_14default_configENS1_33run_length_encode_config_selectorIijNS0_4plusIjEEEEZZNS1_33reduce_by_key_impl_wrapped_configILNS1_25lookback_scan_determinismE0ES3_S7_PKiNS0_17constant_iteratorIjlEEPiPlSF_S6_NS0_8equal_toIiEEEE10hipError_tPvRmT2_T3_mT4_T5_T6_T7_T8_P12ihipStream_tbENKUlT_T0_E_clISt17integral_constantIbLb0EESY_IbLb1EEEEDaSU_SV_EUlSU_E_NS1_11comp_targetILNS1_3genE10ELNS1_11target_archE1200ELNS1_3gpuE4ELNS1_3repE0EEENS1_30default_config_static_selectorELNS0_4arch9wavefront6targetE1EEEvT1_,comdat
	.protected	_ZN7rocprim17ROCPRIM_400000_NS6detail17trampoline_kernelINS0_14default_configENS1_33run_length_encode_config_selectorIijNS0_4plusIjEEEEZZNS1_33reduce_by_key_impl_wrapped_configILNS1_25lookback_scan_determinismE0ES3_S7_PKiNS0_17constant_iteratorIjlEEPiPlSF_S6_NS0_8equal_toIiEEEE10hipError_tPvRmT2_T3_mT4_T5_T6_T7_T8_P12ihipStream_tbENKUlT_T0_E_clISt17integral_constantIbLb0EESY_IbLb1EEEEDaSU_SV_EUlSU_E_NS1_11comp_targetILNS1_3genE10ELNS1_11target_archE1200ELNS1_3gpuE4ELNS1_3repE0EEENS1_30default_config_static_selectorELNS0_4arch9wavefront6targetE1EEEvT1_ ; -- Begin function _ZN7rocprim17ROCPRIM_400000_NS6detail17trampoline_kernelINS0_14default_configENS1_33run_length_encode_config_selectorIijNS0_4plusIjEEEEZZNS1_33reduce_by_key_impl_wrapped_configILNS1_25lookback_scan_determinismE0ES3_S7_PKiNS0_17constant_iteratorIjlEEPiPlSF_S6_NS0_8equal_toIiEEEE10hipError_tPvRmT2_T3_mT4_T5_T6_T7_T8_P12ihipStream_tbENKUlT_T0_E_clISt17integral_constantIbLb0EESY_IbLb1EEEEDaSU_SV_EUlSU_E_NS1_11comp_targetILNS1_3genE10ELNS1_11target_archE1200ELNS1_3gpuE4ELNS1_3repE0EEENS1_30default_config_static_selectorELNS0_4arch9wavefront6targetE1EEEvT1_
	.globl	_ZN7rocprim17ROCPRIM_400000_NS6detail17trampoline_kernelINS0_14default_configENS1_33run_length_encode_config_selectorIijNS0_4plusIjEEEEZZNS1_33reduce_by_key_impl_wrapped_configILNS1_25lookback_scan_determinismE0ES3_S7_PKiNS0_17constant_iteratorIjlEEPiPlSF_S6_NS0_8equal_toIiEEEE10hipError_tPvRmT2_T3_mT4_T5_T6_T7_T8_P12ihipStream_tbENKUlT_T0_E_clISt17integral_constantIbLb0EESY_IbLb1EEEEDaSU_SV_EUlSU_E_NS1_11comp_targetILNS1_3genE10ELNS1_11target_archE1200ELNS1_3gpuE4ELNS1_3repE0EEENS1_30default_config_static_selectorELNS0_4arch9wavefront6targetE1EEEvT1_
	.p2align	8
	.type	_ZN7rocprim17ROCPRIM_400000_NS6detail17trampoline_kernelINS0_14default_configENS1_33run_length_encode_config_selectorIijNS0_4plusIjEEEEZZNS1_33reduce_by_key_impl_wrapped_configILNS1_25lookback_scan_determinismE0ES3_S7_PKiNS0_17constant_iteratorIjlEEPiPlSF_S6_NS0_8equal_toIiEEEE10hipError_tPvRmT2_T3_mT4_T5_T6_T7_T8_P12ihipStream_tbENKUlT_T0_E_clISt17integral_constantIbLb0EESY_IbLb1EEEEDaSU_SV_EUlSU_E_NS1_11comp_targetILNS1_3genE10ELNS1_11target_archE1200ELNS1_3gpuE4ELNS1_3repE0EEENS1_30default_config_static_selectorELNS0_4arch9wavefront6targetE1EEEvT1_,@function
_ZN7rocprim17ROCPRIM_400000_NS6detail17trampoline_kernelINS0_14default_configENS1_33run_length_encode_config_selectorIijNS0_4plusIjEEEEZZNS1_33reduce_by_key_impl_wrapped_configILNS1_25lookback_scan_determinismE0ES3_S7_PKiNS0_17constant_iteratorIjlEEPiPlSF_S6_NS0_8equal_toIiEEEE10hipError_tPvRmT2_T3_mT4_T5_T6_T7_T8_P12ihipStream_tbENKUlT_T0_E_clISt17integral_constantIbLb0EESY_IbLb1EEEEDaSU_SV_EUlSU_E_NS1_11comp_targetILNS1_3genE10ELNS1_11target_archE1200ELNS1_3gpuE4ELNS1_3repE0EEENS1_30default_config_static_selectorELNS0_4arch9wavefront6targetE1EEEvT1_: ; @_ZN7rocprim17ROCPRIM_400000_NS6detail17trampoline_kernelINS0_14default_configENS1_33run_length_encode_config_selectorIijNS0_4plusIjEEEEZZNS1_33reduce_by_key_impl_wrapped_configILNS1_25lookback_scan_determinismE0ES3_S7_PKiNS0_17constant_iteratorIjlEEPiPlSF_S6_NS0_8equal_toIiEEEE10hipError_tPvRmT2_T3_mT4_T5_T6_T7_T8_P12ihipStream_tbENKUlT_T0_E_clISt17integral_constantIbLb0EESY_IbLb1EEEEDaSU_SV_EUlSU_E_NS1_11comp_targetILNS1_3genE10ELNS1_11target_archE1200ELNS1_3gpuE4ELNS1_3repE0EEENS1_30default_config_static_selectorELNS0_4arch9wavefront6targetE1EEEvT1_
; %bb.0:
	.section	.rodata,"a",@progbits
	.p2align	6, 0x0
	.amdhsa_kernel _ZN7rocprim17ROCPRIM_400000_NS6detail17trampoline_kernelINS0_14default_configENS1_33run_length_encode_config_selectorIijNS0_4plusIjEEEEZZNS1_33reduce_by_key_impl_wrapped_configILNS1_25lookback_scan_determinismE0ES3_S7_PKiNS0_17constant_iteratorIjlEEPiPlSF_S6_NS0_8equal_toIiEEEE10hipError_tPvRmT2_T3_mT4_T5_T6_T7_T8_P12ihipStream_tbENKUlT_T0_E_clISt17integral_constantIbLb0EESY_IbLb1EEEEDaSU_SV_EUlSU_E_NS1_11comp_targetILNS1_3genE10ELNS1_11target_archE1200ELNS1_3gpuE4ELNS1_3repE0EEENS1_30default_config_static_selectorELNS0_4arch9wavefront6targetE1EEEvT1_
		.amdhsa_group_segment_fixed_size 0
		.amdhsa_private_segment_fixed_size 0
		.amdhsa_kernarg_size 128
		.amdhsa_user_sgpr_count 6
		.amdhsa_user_sgpr_private_segment_buffer 1
		.amdhsa_user_sgpr_dispatch_ptr 0
		.amdhsa_user_sgpr_queue_ptr 0
		.amdhsa_user_sgpr_kernarg_segment_ptr 1
		.amdhsa_user_sgpr_dispatch_id 0
		.amdhsa_user_sgpr_flat_scratch_init 0
		.amdhsa_user_sgpr_kernarg_preload_length 0
		.amdhsa_user_sgpr_kernarg_preload_offset 0
		.amdhsa_user_sgpr_private_segment_size 0
		.amdhsa_uses_dynamic_stack 0
		.amdhsa_system_sgpr_private_segment_wavefront_offset 0
		.amdhsa_system_sgpr_workgroup_id_x 1
		.amdhsa_system_sgpr_workgroup_id_y 0
		.amdhsa_system_sgpr_workgroup_id_z 0
		.amdhsa_system_sgpr_workgroup_info 0
		.amdhsa_system_vgpr_workitem_id 0
		.amdhsa_next_free_vgpr 1
		.amdhsa_next_free_sgpr 0
		.amdhsa_accum_offset 4
		.amdhsa_reserve_vcc 0
		.amdhsa_reserve_flat_scratch 0
		.amdhsa_float_round_mode_32 0
		.amdhsa_float_round_mode_16_64 0
		.amdhsa_float_denorm_mode_32 3
		.amdhsa_float_denorm_mode_16_64 3
		.amdhsa_dx10_clamp 1
		.amdhsa_ieee_mode 1
		.amdhsa_fp16_overflow 0
		.amdhsa_tg_split 0
		.amdhsa_exception_fp_ieee_invalid_op 0
		.amdhsa_exception_fp_denorm_src 0
		.amdhsa_exception_fp_ieee_div_zero 0
		.amdhsa_exception_fp_ieee_overflow 0
		.amdhsa_exception_fp_ieee_underflow 0
		.amdhsa_exception_fp_ieee_inexact 0
		.amdhsa_exception_int_div_zero 0
	.end_amdhsa_kernel
	.section	.text._ZN7rocprim17ROCPRIM_400000_NS6detail17trampoline_kernelINS0_14default_configENS1_33run_length_encode_config_selectorIijNS0_4plusIjEEEEZZNS1_33reduce_by_key_impl_wrapped_configILNS1_25lookback_scan_determinismE0ES3_S7_PKiNS0_17constant_iteratorIjlEEPiPlSF_S6_NS0_8equal_toIiEEEE10hipError_tPvRmT2_T3_mT4_T5_T6_T7_T8_P12ihipStream_tbENKUlT_T0_E_clISt17integral_constantIbLb0EESY_IbLb1EEEEDaSU_SV_EUlSU_E_NS1_11comp_targetILNS1_3genE10ELNS1_11target_archE1200ELNS1_3gpuE4ELNS1_3repE0EEENS1_30default_config_static_selectorELNS0_4arch9wavefront6targetE1EEEvT1_,"axG",@progbits,_ZN7rocprim17ROCPRIM_400000_NS6detail17trampoline_kernelINS0_14default_configENS1_33run_length_encode_config_selectorIijNS0_4plusIjEEEEZZNS1_33reduce_by_key_impl_wrapped_configILNS1_25lookback_scan_determinismE0ES3_S7_PKiNS0_17constant_iteratorIjlEEPiPlSF_S6_NS0_8equal_toIiEEEE10hipError_tPvRmT2_T3_mT4_T5_T6_T7_T8_P12ihipStream_tbENKUlT_T0_E_clISt17integral_constantIbLb0EESY_IbLb1EEEEDaSU_SV_EUlSU_E_NS1_11comp_targetILNS1_3genE10ELNS1_11target_archE1200ELNS1_3gpuE4ELNS1_3repE0EEENS1_30default_config_static_selectorELNS0_4arch9wavefront6targetE1EEEvT1_,comdat
.Lfunc_end475:
	.size	_ZN7rocprim17ROCPRIM_400000_NS6detail17trampoline_kernelINS0_14default_configENS1_33run_length_encode_config_selectorIijNS0_4plusIjEEEEZZNS1_33reduce_by_key_impl_wrapped_configILNS1_25lookback_scan_determinismE0ES3_S7_PKiNS0_17constant_iteratorIjlEEPiPlSF_S6_NS0_8equal_toIiEEEE10hipError_tPvRmT2_T3_mT4_T5_T6_T7_T8_P12ihipStream_tbENKUlT_T0_E_clISt17integral_constantIbLb0EESY_IbLb1EEEEDaSU_SV_EUlSU_E_NS1_11comp_targetILNS1_3genE10ELNS1_11target_archE1200ELNS1_3gpuE4ELNS1_3repE0EEENS1_30default_config_static_selectorELNS0_4arch9wavefront6targetE1EEEvT1_, .Lfunc_end475-_ZN7rocprim17ROCPRIM_400000_NS6detail17trampoline_kernelINS0_14default_configENS1_33run_length_encode_config_selectorIijNS0_4plusIjEEEEZZNS1_33reduce_by_key_impl_wrapped_configILNS1_25lookback_scan_determinismE0ES3_S7_PKiNS0_17constant_iteratorIjlEEPiPlSF_S6_NS0_8equal_toIiEEEE10hipError_tPvRmT2_T3_mT4_T5_T6_T7_T8_P12ihipStream_tbENKUlT_T0_E_clISt17integral_constantIbLb0EESY_IbLb1EEEEDaSU_SV_EUlSU_E_NS1_11comp_targetILNS1_3genE10ELNS1_11target_archE1200ELNS1_3gpuE4ELNS1_3repE0EEENS1_30default_config_static_selectorELNS0_4arch9wavefront6targetE1EEEvT1_
                                        ; -- End function
	.section	.AMDGPU.csdata,"",@progbits
; Kernel info:
; codeLenInByte = 0
; NumSgprs: 4
; NumVgprs: 0
; NumAgprs: 0
; TotalNumVgprs: 0
; ScratchSize: 0
; MemoryBound: 0
; FloatMode: 240
; IeeeMode: 1
; LDSByteSize: 0 bytes/workgroup (compile time only)
; SGPRBlocks: 0
; VGPRBlocks: 0
; NumSGPRsForWavesPerEU: 4
; NumVGPRsForWavesPerEU: 1
; AccumOffset: 4
; Occupancy: 8
; WaveLimiterHint : 0
; COMPUTE_PGM_RSRC2:SCRATCH_EN: 0
; COMPUTE_PGM_RSRC2:USER_SGPR: 6
; COMPUTE_PGM_RSRC2:TRAP_HANDLER: 0
; COMPUTE_PGM_RSRC2:TGID_X_EN: 1
; COMPUTE_PGM_RSRC2:TGID_Y_EN: 0
; COMPUTE_PGM_RSRC2:TGID_Z_EN: 0
; COMPUTE_PGM_RSRC2:TIDIG_COMP_CNT: 0
; COMPUTE_PGM_RSRC3_GFX90A:ACCUM_OFFSET: 0
; COMPUTE_PGM_RSRC3_GFX90A:TG_SPLIT: 0
	.section	.text._ZN7rocprim17ROCPRIM_400000_NS6detail17trampoline_kernelINS0_14default_configENS1_33run_length_encode_config_selectorIijNS0_4plusIjEEEEZZNS1_33reduce_by_key_impl_wrapped_configILNS1_25lookback_scan_determinismE0ES3_S7_PKiNS0_17constant_iteratorIjlEEPiPlSF_S6_NS0_8equal_toIiEEEE10hipError_tPvRmT2_T3_mT4_T5_T6_T7_T8_P12ihipStream_tbENKUlT_T0_E_clISt17integral_constantIbLb0EESY_IbLb1EEEEDaSU_SV_EUlSU_E_NS1_11comp_targetILNS1_3genE9ELNS1_11target_archE1100ELNS1_3gpuE3ELNS1_3repE0EEENS1_30default_config_static_selectorELNS0_4arch9wavefront6targetE1EEEvT1_,"axG",@progbits,_ZN7rocprim17ROCPRIM_400000_NS6detail17trampoline_kernelINS0_14default_configENS1_33run_length_encode_config_selectorIijNS0_4plusIjEEEEZZNS1_33reduce_by_key_impl_wrapped_configILNS1_25lookback_scan_determinismE0ES3_S7_PKiNS0_17constant_iteratorIjlEEPiPlSF_S6_NS0_8equal_toIiEEEE10hipError_tPvRmT2_T3_mT4_T5_T6_T7_T8_P12ihipStream_tbENKUlT_T0_E_clISt17integral_constantIbLb0EESY_IbLb1EEEEDaSU_SV_EUlSU_E_NS1_11comp_targetILNS1_3genE9ELNS1_11target_archE1100ELNS1_3gpuE3ELNS1_3repE0EEENS1_30default_config_static_selectorELNS0_4arch9wavefront6targetE1EEEvT1_,comdat
	.protected	_ZN7rocprim17ROCPRIM_400000_NS6detail17trampoline_kernelINS0_14default_configENS1_33run_length_encode_config_selectorIijNS0_4plusIjEEEEZZNS1_33reduce_by_key_impl_wrapped_configILNS1_25lookback_scan_determinismE0ES3_S7_PKiNS0_17constant_iteratorIjlEEPiPlSF_S6_NS0_8equal_toIiEEEE10hipError_tPvRmT2_T3_mT4_T5_T6_T7_T8_P12ihipStream_tbENKUlT_T0_E_clISt17integral_constantIbLb0EESY_IbLb1EEEEDaSU_SV_EUlSU_E_NS1_11comp_targetILNS1_3genE9ELNS1_11target_archE1100ELNS1_3gpuE3ELNS1_3repE0EEENS1_30default_config_static_selectorELNS0_4arch9wavefront6targetE1EEEvT1_ ; -- Begin function _ZN7rocprim17ROCPRIM_400000_NS6detail17trampoline_kernelINS0_14default_configENS1_33run_length_encode_config_selectorIijNS0_4plusIjEEEEZZNS1_33reduce_by_key_impl_wrapped_configILNS1_25lookback_scan_determinismE0ES3_S7_PKiNS0_17constant_iteratorIjlEEPiPlSF_S6_NS0_8equal_toIiEEEE10hipError_tPvRmT2_T3_mT4_T5_T6_T7_T8_P12ihipStream_tbENKUlT_T0_E_clISt17integral_constantIbLb0EESY_IbLb1EEEEDaSU_SV_EUlSU_E_NS1_11comp_targetILNS1_3genE9ELNS1_11target_archE1100ELNS1_3gpuE3ELNS1_3repE0EEENS1_30default_config_static_selectorELNS0_4arch9wavefront6targetE1EEEvT1_
	.globl	_ZN7rocprim17ROCPRIM_400000_NS6detail17trampoline_kernelINS0_14default_configENS1_33run_length_encode_config_selectorIijNS0_4plusIjEEEEZZNS1_33reduce_by_key_impl_wrapped_configILNS1_25lookback_scan_determinismE0ES3_S7_PKiNS0_17constant_iteratorIjlEEPiPlSF_S6_NS0_8equal_toIiEEEE10hipError_tPvRmT2_T3_mT4_T5_T6_T7_T8_P12ihipStream_tbENKUlT_T0_E_clISt17integral_constantIbLb0EESY_IbLb1EEEEDaSU_SV_EUlSU_E_NS1_11comp_targetILNS1_3genE9ELNS1_11target_archE1100ELNS1_3gpuE3ELNS1_3repE0EEENS1_30default_config_static_selectorELNS0_4arch9wavefront6targetE1EEEvT1_
	.p2align	8
	.type	_ZN7rocprim17ROCPRIM_400000_NS6detail17trampoline_kernelINS0_14default_configENS1_33run_length_encode_config_selectorIijNS0_4plusIjEEEEZZNS1_33reduce_by_key_impl_wrapped_configILNS1_25lookback_scan_determinismE0ES3_S7_PKiNS0_17constant_iteratorIjlEEPiPlSF_S6_NS0_8equal_toIiEEEE10hipError_tPvRmT2_T3_mT4_T5_T6_T7_T8_P12ihipStream_tbENKUlT_T0_E_clISt17integral_constantIbLb0EESY_IbLb1EEEEDaSU_SV_EUlSU_E_NS1_11comp_targetILNS1_3genE9ELNS1_11target_archE1100ELNS1_3gpuE3ELNS1_3repE0EEENS1_30default_config_static_selectorELNS0_4arch9wavefront6targetE1EEEvT1_,@function
_ZN7rocprim17ROCPRIM_400000_NS6detail17trampoline_kernelINS0_14default_configENS1_33run_length_encode_config_selectorIijNS0_4plusIjEEEEZZNS1_33reduce_by_key_impl_wrapped_configILNS1_25lookback_scan_determinismE0ES3_S7_PKiNS0_17constant_iteratorIjlEEPiPlSF_S6_NS0_8equal_toIiEEEE10hipError_tPvRmT2_T3_mT4_T5_T6_T7_T8_P12ihipStream_tbENKUlT_T0_E_clISt17integral_constantIbLb0EESY_IbLb1EEEEDaSU_SV_EUlSU_E_NS1_11comp_targetILNS1_3genE9ELNS1_11target_archE1100ELNS1_3gpuE3ELNS1_3repE0EEENS1_30default_config_static_selectorELNS0_4arch9wavefront6targetE1EEEvT1_: ; @_ZN7rocprim17ROCPRIM_400000_NS6detail17trampoline_kernelINS0_14default_configENS1_33run_length_encode_config_selectorIijNS0_4plusIjEEEEZZNS1_33reduce_by_key_impl_wrapped_configILNS1_25lookback_scan_determinismE0ES3_S7_PKiNS0_17constant_iteratorIjlEEPiPlSF_S6_NS0_8equal_toIiEEEE10hipError_tPvRmT2_T3_mT4_T5_T6_T7_T8_P12ihipStream_tbENKUlT_T0_E_clISt17integral_constantIbLb0EESY_IbLb1EEEEDaSU_SV_EUlSU_E_NS1_11comp_targetILNS1_3genE9ELNS1_11target_archE1100ELNS1_3gpuE3ELNS1_3repE0EEENS1_30default_config_static_selectorELNS0_4arch9wavefront6targetE1EEEvT1_
; %bb.0:
	.section	.rodata,"a",@progbits
	.p2align	6, 0x0
	.amdhsa_kernel _ZN7rocprim17ROCPRIM_400000_NS6detail17trampoline_kernelINS0_14default_configENS1_33run_length_encode_config_selectorIijNS0_4plusIjEEEEZZNS1_33reduce_by_key_impl_wrapped_configILNS1_25lookback_scan_determinismE0ES3_S7_PKiNS0_17constant_iteratorIjlEEPiPlSF_S6_NS0_8equal_toIiEEEE10hipError_tPvRmT2_T3_mT4_T5_T6_T7_T8_P12ihipStream_tbENKUlT_T0_E_clISt17integral_constantIbLb0EESY_IbLb1EEEEDaSU_SV_EUlSU_E_NS1_11comp_targetILNS1_3genE9ELNS1_11target_archE1100ELNS1_3gpuE3ELNS1_3repE0EEENS1_30default_config_static_selectorELNS0_4arch9wavefront6targetE1EEEvT1_
		.amdhsa_group_segment_fixed_size 0
		.amdhsa_private_segment_fixed_size 0
		.amdhsa_kernarg_size 128
		.amdhsa_user_sgpr_count 6
		.amdhsa_user_sgpr_private_segment_buffer 1
		.amdhsa_user_sgpr_dispatch_ptr 0
		.amdhsa_user_sgpr_queue_ptr 0
		.amdhsa_user_sgpr_kernarg_segment_ptr 1
		.amdhsa_user_sgpr_dispatch_id 0
		.amdhsa_user_sgpr_flat_scratch_init 0
		.amdhsa_user_sgpr_kernarg_preload_length 0
		.amdhsa_user_sgpr_kernarg_preload_offset 0
		.amdhsa_user_sgpr_private_segment_size 0
		.amdhsa_uses_dynamic_stack 0
		.amdhsa_system_sgpr_private_segment_wavefront_offset 0
		.amdhsa_system_sgpr_workgroup_id_x 1
		.amdhsa_system_sgpr_workgroup_id_y 0
		.amdhsa_system_sgpr_workgroup_id_z 0
		.amdhsa_system_sgpr_workgroup_info 0
		.amdhsa_system_vgpr_workitem_id 0
		.amdhsa_next_free_vgpr 1
		.amdhsa_next_free_sgpr 0
		.amdhsa_accum_offset 4
		.amdhsa_reserve_vcc 0
		.amdhsa_reserve_flat_scratch 0
		.amdhsa_float_round_mode_32 0
		.amdhsa_float_round_mode_16_64 0
		.amdhsa_float_denorm_mode_32 3
		.amdhsa_float_denorm_mode_16_64 3
		.amdhsa_dx10_clamp 1
		.amdhsa_ieee_mode 1
		.amdhsa_fp16_overflow 0
		.amdhsa_tg_split 0
		.amdhsa_exception_fp_ieee_invalid_op 0
		.amdhsa_exception_fp_denorm_src 0
		.amdhsa_exception_fp_ieee_div_zero 0
		.amdhsa_exception_fp_ieee_overflow 0
		.amdhsa_exception_fp_ieee_underflow 0
		.amdhsa_exception_fp_ieee_inexact 0
		.amdhsa_exception_int_div_zero 0
	.end_amdhsa_kernel
	.section	.text._ZN7rocprim17ROCPRIM_400000_NS6detail17trampoline_kernelINS0_14default_configENS1_33run_length_encode_config_selectorIijNS0_4plusIjEEEEZZNS1_33reduce_by_key_impl_wrapped_configILNS1_25lookback_scan_determinismE0ES3_S7_PKiNS0_17constant_iteratorIjlEEPiPlSF_S6_NS0_8equal_toIiEEEE10hipError_tPvRmT2_T3_mT4_T5_T6_T7_T8_P12ihipStream_tbENKUlT_T0_E_clISt17integral_constantIbLb0EESY_IbLb1EEEEDaSU_SV_EUlSU_E_NS1_11comp_targetILNS1_3genE9ELNS1_11target_archE1100ELNS1_3gpuE3ELNS1_3repE0EEENS1_30default_config_static_selectorELNS0_4arch9wavefront6targetE1EEEvT1_,"axG",@progbits,_ZN7rocprim17ROCPRIM_400000_NS6detail17trampoline_kernelINS0_14default_configENS1_33run_length_encode_config_selectorIijNS0_4plusIjEEEEZZNS1_33reduce_by_key_impl_wrapped_configILNS1_25lookback_scan_determinismE0ES3_S7_PKiNS0_17constant_iteratorIjlEEPiPlSF_S6_NS0_8equal_toIiEEEE10hipError_tPvRmT2_T3_mT4_T5_T6_T7_T8_P12ihipStream_tbENKUlT_T0_E_clISt17integral_constantIbLb0EESY_IbLb1EEEEDaSU_SV_EUlSU_E_NS1_11comp_targetILNS1_3genE9ELNS1_11target_archE1100ELNS1_3gpuE3ELNS1_3repE0EEENS1_30default_config_static_selectorELNS0_4arch9wavefront6targetE1EEEvT1_,comdat
.Lfunc_end476:
	.size	_ZN7rocprim17ROCPRIM_400000_NS6detail17trampoline_kernelINS0_14default_configENS1_33run_length_encode_config_selectorIijNS0_4plusIjEEEEZZNS1_33reduce_by_key_impl_wrapped_configILNS1_25lookback_scan_determinismE0ES3_S7_PKiNS0_17constant_iteratorIjlEEPiPlSF_S6_NS0_8equal_toIiEEEE10hipError_tPvRmT2_T3_mT4_T5_T6_T7_T8_P12ihipStream_tbENKUlT_T0_E_clISt17integral_constantIbLb0EESY_IbLb1EEEEDaSU_SV_EUlSU_E_NS1_11comp_targetILNS1_3genE9ELNS1_11target_archE1100ELNS1_3gpuE3ELNS1_3repE0EEENS1_30default_config_static_selectorELNS0_4arch9wavefront6targetE1EEEvT1_, .Lfunc_end476-_ZN7rocprim17ROCPRIM_400000_NS6detail17trampoline_kernelINS0_14default_configENS1_33run_length_encode_config_selectorIijNS0_4plusIjEEEEZZNS1_33reduce_by_key_impl_wrapped_configILNS1_25lookback_scan_determinismE0ES3_S7_PKiNS0_17constant_iteratorIjlEEPiPlSF_S6_NS0_8equal_toIiEEEE10hipError_tPvRmT2_T3_mT4_T5_T6_T7_T8_P12ihipStream_tbENKUlT_T0_E_clISt17integral_constantIbLb0EESY_IbLb1EEEEDaSU_SV_EUlSU_E_NS1_11comp_targetILNS1_3genE9ELNS1_11target_archE1100ELNS1_3gpuE3ELNS1_3repE0EEENS1_30default_config_static_selectorELNS0_4arch9wavefront6targetE1EEEvT1_
                                        ; -- End function
	.section	.AMDGPU.csdata,"",@progbits
; Kernel info:
; codeLenInByte = 0
; NumSgprs: 4
; NumVgprs: 0
; NumAgprs: 0
; TotalNumVgprs: 0
; ScratchSize: 0
; MemoryBound: 0
; FloatMode: 240
; IeeeMode: 1
; LDSByteSize: 0 bytes/workgroup (compile time only)
; SGPRBlocks: 0
; VGPRBlocks: 0
; NumSGPRsForWavesPerEU: 4
; NumVGPRsForWavesPerEU: 1
; AccumOffset: 4
; Occupancy: 8
; WaveLimiterHint : 0
; COMPUTE_PGM_RSRC2:SCRATCH_EN: 0
; COMPUTE_PGM_RSRC2:USER_SGPR: 6
; COMPUTE_PGM_RSRC2:TRAP_HANDLER: 0
; COMPUTE_PGM_RSRC2:TGID_X_EN: 1
; COMPUTE_PGM_RSRC2:TGID_Y_EN: 0
; COMPUTE_PGM_RSRC2:TGID_Z_EN: 0
; COMPUTE_PGM_RSRC2:TIDIG_COMP_CNT: 0
; COMPUTE_PGM_RSRC3_GFX90A:ACCUM_OFFSET: 0
; COMPUTE_PGM_RSRC3_GFX90A:TG_SPLIT: 0
	.section	.text._ZN7rocprim17ROCPRIM_400000_NS6detail17trampoline_kernelINS0_14default_configENS1_33run_length_encode_config_selectorIijNS0_4plusIjEEEEZZNS1_33reduce_by_key_impl_wrapped_configILNS1_25lookback_scan_determinismE0ES3_S7_PKiNS0_17constant_iteratorIjlEEPiPlSF_S6_NS0_8equal_toIiEEEE10hipError_tPvRmT2_T3_mT4_T5_T6_T7_T8_P12ihipStream_tbENKUlT_T0_E_clISt17integral_constantIbLb0EESY_IbLb1EEEEDaSU_SV_EUlSU_E_NS1_11comp_targetILNS1_3genE8ELNS1_11target_archE1030ELNS1_3gpuE2ELNS1_3repE0EEENS1_30default_config_static_selectorELNS0_4arch9wavefront6targetE1EEEvT1_,"axG",@progbits,_ZN7rocprim17ROCPRIM_400000_NS6detail17trampoline_kernelINS0_14default_configENS1_33run_length_encode_config_selectorIijNS0_4plusIjEEEEZZNS1_33reduce_by_key_impl_wrapped_configILNS1_25lookback_scan_determinismE0ES3_S7_PKiNS0_17constant_iteratorIjlEEPiPlSF_S6_NS0_8equal_toIiEEEE10hipError_tPvRmT2_T3_mT4_T5_T6_T7_T8_P12ihipStream_tbENKUlT_T0_E_clISt17integral_constantIbLb0EESY_IbLb1EEEEDaSU_SV_EUlSU_E_NS1_11comp_targetILNS1_3genE8ELNS1_11target_archE1030ELNS1_3gpuE2ELNS1_3repE0EEENS1_30default_config_static_selectorELNS0_4arch9wavefront6targetE1EEEvT1_,comdat
	.protected	_ZN7rocprim17ROCPRIM_400000_NS6detail17trampoline_kernelINS0_14default_configENS1_33run_length_encode_config_selectorIijNS0_4plusIjEEEEZZNS1_33reduce_by_key_impl_wrapped_configILNS1_25lookback_scan_determinismE0ES3_S7_PKiNS0_17constant_iteratorIjlEEPiPlSF_S6_NS0_8equal_toIiEEEE10hipError_tPvRmT2_T3_mT4_T5_T6_T7_T8_P12ihipStream_tbENKUlT_T0_E_clISt17integral_constantIbLb0EESY_IbLb1EEEEDaSU_SV_EUlSU_E_NS1_11comp_targetILNS1_3genE8ELNS1_11target_archE1030ELNS1_3gpuE2ELNS1_3repE0EEENS1_30default_config_static_selectorELNS0_4arch9wavefront6targetE1EEEvT1_ ; -- Begin function _ZN7rocprim17ROCPRIM_400000_NS6detail17trampoline_kernelINS0_14default_configENS1_33run_length_encode_config_selectorIijNS0_4plusIjEEEEZZNS1_33reduce_by_key_impl_wrapped_configILNS1_25lookback_scan_determinismE0ES3_S7_PKiNS0_17constant_iteratorIjlEEPiPlSF_S6_NS0_8equal_toIiEEEE10hipError_tPvRmT2_T3_mT4_T5_T6_T7_T8_P12ihipStream_tbENKUlT_T0_E_clISt17integral_constantIbLb0EESY_IbLb1EEEEDaSU_SV_EUlSU_E_NS1_11comp_targetILNS1_3genE8ELNS1_11target_archE1030ELNS1_3gpuE2ELNS1_3repE0EEENS1_30default_config_static_selectorELNS0_4arch9wavefront6targetE1EEEvT1_
	.globl	_ZN7rocprim17ROCPRIM_400000_NS6detail17trampoline_kernelINS0_14default_configENS1_33run_length_encode_config_selectorIijNS0_4plusIjEEEEZZNS1_33reduce_by_key_impl_wrapped_configILNS1_25lookback_scan_determinismE0ES3_S7_PKiNS0_17constant_iteratorIjlEEPiPlSF_S6_NS0_8equal_toIiEEEE10hipError_tPvRmT2_T3_mT4_T5_T6_T7_T8_P12ihipStream_tbENKUlT_T0_E_clISt17integral_constantIbLb0EESY_IbLb1EEEEDaSU_SV_EUlSU_E_NS1_11comp_targetILNS1_3genE8ELNS1_11target_archE1030ELNS1_3gpuE2ELNS1_3repE0EEENS1_30default_config_static_selectorELNS0_4arch9wavefront6targetE1EEEvT1_
	.p2align	8
	.type	_ZN7rocprim17ROCPRIM_400000_NS6detail17trampoline_kernelINS0_14default_configENS1_33run_length_encode_config_selectorIijNS0_4plusIjEEEEZZNS1_33reduce_by_key_impl_wrapped_configILNS1_25lookback_scan_determinismE0ES3_S7_PKiNS0_17constant_iteratorIjlEEPiPlSF_S6_NS0_8equal_toIiEEEE10hipError_tPvRmT2_T3_mT4_T5_T6_T7_T8_P12ihipStream_tbENKUlT_T0_E_clISt17integral_constantIbLb0EESY_IbLb1EEEEDaSU_SV_EUlSU_E_NS1_11comp_targetILNS1_3genE8ELNS1_11target_archE1030ELNS1_3gpuE2ELNS1_3repE0EEENS1_30default_config_static_selectorELNS0_4arch9wavefront6targetE1EEEvT1_,@function
_ZN7rocprim17ROCPRIM_400000_NS6detail17trampoline_kernelINS0_14default_configENS1_33run_length_encode_config_selectorIijNS0_4plusIjEEEEZZNS1_33reduce_by_key_impl_wrapped_configILNS1_25lookback_scan_determinismE0ES3_S7_PKiNS0_17constant_iteratorIjlEEPiPlSF_S6_NS0_8equal_toIiEEEE10hipError_tPvRmT2_T3_mT4_T5_T6_T7_T8_P12ihipStream_tbENKUlT_T0_E_clISt17integral_constantIbLb0EESY_IbLb1EEEEDaSU_SV_EUlSU_E_NS1_11comp_targetILNS1_3genE8ELNS1_11target_archE1030ELNS1_3gpuE2ELNS1_3repE0EEENS1_30default_config_static_selectorELNS0_4arch9wavefront6targetE1EEEvT1_: ; @_ZN7rocprim17ROCPRIM_400000_NS6detail17trampoline_kernelINS0_14default_configENS1_33run_length_encode_config_selectorIijNS0_4plusIjEEEEZZNS1_33reduce_by_key_impl_wrapped_configILNS1_25lookback_scan_determinismE0ES3_S7_PKiNS0_17constant_iteratorIjlEEPiPlSF_S6_NS0_8equal_toIiEEEE10hipError_tPvRmT2_T3_mT4_T5_T6_T7_T8_P12ihipStream_tbENKUlT_T0_E_clISt17integral_constantIbLb0EESY_IbLb1EEEEDaSU_SV_EUlSU_E_NS1_11comp_targetILNS1_3genE8ELNS1_11target_archE1030ELNS1_3gpuE2ELNS1_3repE0EEENS1_30default_config_static_selectorELNS0_4arch9wavefront6targetE1EEEvT1_
; %bb.0:
	.section	.rodata,"a",@progbits
	.p2align	6, 0x0
	.amdhsa_kernel _ZN7rocprim17ROCPRIM_400000_NS6detail17trampoline_kernelINS0_14default_configENS1_33run_length_encode_config_selectorIijNS0_4plusIjEEEEZZNS1_33reduce_by_key_impl_wrapped_configILNS1_25lookback_scan_determinismE0ES3_S7_PKiNS0_17constant_iteratorIjlEEPiPlSF_S6_NS0_8equal_toIiEEEE10hipError_tPvRmT2_T3_mT4_T5_T6_T7_T8_P12ihipStream_tbENKUlT_T0_E_clISt17integral_constantIbLb0EESY_IbLb1EEEEDaSU_SV_EUlSU_E_NS1_11comp_targetILNS1_3genE8ELNS1_11target_archE1030ELNS1_3gpuE2ELNS1_3repE0EEENS1_30default_config_static_selectorELNS0_4arch9wavefront6targetE1EEEvT1_
		.amdhsa_group_segment_fixed_size 0
		.amdhsa_private_segment_fixed_size 0
		.amdhsa_kernarg_size 128
		.amdhsa_user_sgpr_count 6
		.amdhsa_user_sgpr_private_segment_buffer 1
		.amdhsa_user_sgpr_dispatch_ptr 0
		.amdhsa_user_sgpr_queue_ptr 0
		.amdhsa_user_sgpr_kernarg_segment_ptr 1
		.amdhsa_user_sgpr_dispatch_id 0
		.amdhsa_user_sgpr_flat_scratch_init 0
		.amdhsa_user_sgpr_kernarg_preload_length 0
		.amdhsa_user_sgpr_kernarg_preload_offset 0
		.amdhsa_user_sgpr_private_segment_size 0
		.amdhsa_uses_dynamic_stack 0
		.amdhsa_system_sgpr_private_segment_wavefront_offset 0
		.amdhsa_system_sgpr_workgroup_id_x 1
		.amdhsa_system_sgpr_workgroup_id_y 0
		.amdhsa_system_sgpr_workgroup_id_z 0
		.amdhsa_system_sgpr_workgroup_info 0
		.amdhsa_system_vgpr_workitem_id 0
		.amdhsa_next_free_vgpr 1
		.amdhsa_next_free_sgpr 0
		.amdhsa_accum_offset 4
		.amdhsa_reserve_vcc 0
		.amdhsa_reserve_flat_scratch 0
		.amdhsa_float_round_mode_32 0
		.amdhsa_float_round_mode_16_64 0
		.amdhsa_float_denorm_mode_32 3
		.amdhsa_float_denorm_mode_16_64 3
		.amdhsa_dx10_clamp 1
		.amdhsa_ieee_mode 1
		.amdhsa_fp16_overflow 0
		.amdhsa_tg_split 0
		.amdhsa_exception_fp_ieee_invalid_op 0
		.amdhsa_exception_fp_denorm_src 0
		.amdhsa_exception_fp_ieee_div_zero 0
		.amdhsa_exception_fp_ieee_overflow 0
		.amdhsa_exception_fp_ieee_underflow 0
		.amdhsa_exception_fp_ieee_inexact 0
		.amdhsa_exception_int_div_zero 0
	.end_amdhsa_kernel
	.section	.text._ZN7rocprim17ROCPRIM_400000_NS6detail17trampoline_kernelINS0_14default_configENS1_33run_length_encode_config_selectorIijNS0_4plusIjEEEEZZNS1_33reduce_by_key_impl_wrapped_configILNS1_25lookback_scan_determinismE0ES3_S7_PKiNS0_17constant_iteratorIjlEEPiPlSF_S6_NS0_8equal_toIiEEEE10hipError_tPvRmT2_T3_mT4_T5_T6_T7_T8_P12ihipStream_tbENKUlT_T0_E_clISt17integral_constantIbLb0EESY_IbLb1EEEEDaSU_SV_EUlSU_E_NS1_11comp_targetILNS1_3genE8ELNS1_11target_archE1030ELNS1_3gpuE2ELNS1_3repE0EEENS1_30default_config_static_selectorELNS0_4arch9wavefront6targetE1EEEvT1_,"axG",@progbits,_ZN7rocprim17ROCPRIM_400000_NS6detail17trampoline_kernelINS0_14default_configENS1_33run_length_encode_config_selectorIijNS0_4plusIjEEEEZZNS1_33reduce_by_key_impl_wrapped_configILNS1_25lookback_scan_determinismE0ES3_S7_PKiNS0_17constant_iteratorIjlEEPiPlSF_S6_NS0_8equal_toIiEEEE10hipError_tPvRmT2_T3_mT4_T5_T6_T7_T8_P12ihipStream_tbENKUlT_T0_E_clISt17integral_constantIbLb0EESY_IbLb1EEEEDaSU_SV_EUlSU_E_NS1_11comp_targetILNS1_3genE8ELNS1_11target_archE1030ELNS1_3gpuE2ELNS1_3repE0EEENS1_30default_config_static_selectorELNS0_4arch9wavefront6targetE1EEEvT1_,comdat
.Lfunc_end477:
	.size	_ZN7rocprim17ROCPRIM_400000_NS6detail17trampoline_kernelINS0_14default_configENS1_33run_length_encode_config_selectorIijNS0_4plusIjEEEEZZNS1_33reduce_by_key_impl_wrapped_configILNS1_25lookback_scan_determinismE0ES3_S7_PKiNS0_17constant_iteratorIjlEEPiPlSF_S6_NS0_8equal_toIiEEEE10hipError_tPvRmT2_T3_mT4_T5_T6_T7_T8_P12ihipStream_tbENKUlT_T0_E_clISt17integral_constantIbLb0EESY_IbLb1EEEEDaSU_SV_EUlSU_E_NS1_11comp_targetILNS1_3genE8ELNS1_11target_archE1030ELNS1_3gpuE2ELNS1_3repE0EEENS1_30default_config_static_selectorELNS0_4arch9wavefront6targetE1EEEvT1_, .Lfunc_end477-_ZN7rocprim17ROCPRIM_400000_NS6detail17trampoline_kernelINS0_14default_configENS1_33run_length_encode_config_selectorIijNS0_4plusIjEEEEZZNS1_33reduce_by_key_impl_wrapped_configILNS1_25lookback_scan_determinismE0ES3_S7_PKiNS0_17constant_iteratorIjlEEPiPlSF_S6_NS0_8equal_toIiEEEE10hipError_tPvRmT2_T3_mT4_T5_T6_T7_T8_P12ihipStream_tbENKUlT_T0_E_clISt17integral_constantIbLb0EESY_IbLb1EEEEDaSU_SV_EUlSU_E_NS1_11comp_targetILNS1_3genE8ELNS1_11target_archE1030ELNS1_3gpuE2ELNS1_3repE0EEENS1_30default_config_static_selectorELNS0_4arch9wavefront6targetE1EEEvT1_
                                        ; -- End function
	.section	.AMDGPU.csdata,"",@progbits
; Kernel info:
; codeLenInByte = 0
; NumSgprs: 4
; NumVgprs: 0
; NumAgprs: 0
; TotalNumVgprs: 0
; ScratchSize: 0
; MemoryBound: 0
; FloatMode: 240
; IeeeMode: 1
; LDSByteSize: 0 bytes/workgroup (compile time only)
; SGPRBlocks: 0
; VGPRBlocks: 0
; NumSGPRsForWavesPerEU: 4
; NumVGPRsForWavesPerEU: 1
; AccumOffset: 4
; Occupancy: 8
; WaveLimiterHint : 0
; COMPUTE_PGM_RSRC2:SCRATCH_EN: 0
; COMPUTE_PGM_RSRC2:USER_SGPR: 6
; COMPUTE_PGM_RSRC2:TRAP_HANDLER: 0
; COMPUTE_PGM_RSRC2:TGID_X_EN: 1
; COMPUTE_PGM_RSRC2:TGID_Y_EN: 0
; COMPUTE_PGM_RSRC2:TGID_Z_EN: 0
; COMPUTE_PGM_RSRC2:TIDIG_COMP_CNT: 0
; COMPUTE_PGM_RSRC3_GFX90A:ACCUM_OFFSET: 0
; COMPUTE_PGM_RSRC3_GFX90A:TG_SPLIT: 0
	.section	.text._ZN2at6native8internal12_GLOBAL__N_126adjacent_difference_kernelIPKlEEvlT_Pi,"axG",@progbits,_ZN2at6native8internal12_GLOBAL__N_126adjacent_difference_kernelIPKlEEvlT_Pi,comdat
	.globl	_ZN2at6native8internal12_GLOBAL__N_126adjacent_difference_kernelIPKlEEvlT_Pi ; -- Begin function _ZN2at6native8internal12_GLOBAL__N_126adjacent_difference_kernelIPKlEEvlT_Pi
	.p2align	8
	.type	_ZN2at6native8internal12_GLOBAL__N_126adjacent_difference_kernelIPKlEEvlT_Pi,@function
_ZN2at6native8internal12_GLOBAL__N_126adjacent_difference_kernelIPKlEEvlT_Pi: ; @_ZN2at6native8internal12_GLOBAL__N_126adjacent_difference_kernelIPKlEEvlT_Pi
; %bb.0:
	s_load_dword s7, s[4:5], 0x24
	s_load_dwordx4 s[0:3], s[4:5], 0x0
	s_add_u32 s10, s4, 24
	s_addc_u32 s11, s5, 0
	v_mov_b32_e32 v1, 0
	s_waitcnt lgkmcnt(0)
	s_and_b32 s7, s7, 0xffff
	v_mov_b32_e32 v2, s6
	v_mad_u64_u32 v[4:5], s[8:9], s7, v2, v[0:1]
	v_cmp_gt_i64_e32 vcc, s[0:1], v[4:5]
	s_and_saveexec_b64 s[8:9], vcc
	s_cbranch_execz .LBB478_5
; %bb.1:
	s_load_dword s12, s[10:11], 0x0
	s_load_dwordx2 s[8:9], s[4:5], 0x10
	s_mul_hi_u32 s13, s7, s6
	s_mul_i32 s10, s7, s6
	s_mov_b32 s6, 0
	s_waitcnt lgkmcnt(0)
	s_mul_i32 s11, s12, s7
	v_mov_b32_e32 v2, v1
	v_mov_b32_e32 v3, v4
	s_mov_b64 s[4:5], 0
	v_mov_b32_e32 v6, s9
	v_mov_b32_e32 v7, s6
	;; [unrolled: 1-line block ×4, first 2 shown]
	v_pk_mov_b32 v[4:5], v[0:1], v[0:1] op_sel:[0,1]
	s_branch .LBB478_3
.LBB478_2:                              ;   in Loop: Header=BB478_3 Depth=1
	s_or_b64 exec, exec, s[6:7]
	v_ashrrev_i64 v[10:11], 30, v[2:3]
	v_add_co_u32_e32 v10, vcc, s8, v10
	v_addc_co_u32_e32 v11, vcc, v6, v11, vcc
	v_add_co_u32_e32 v4, vcc, s11, v4
	v_addc_co_u32_e32 v5, vcc, v5, v7, vcc
	global_store_dword v[10:11], v0, off
	v_add_co_u32_e32 v10, vcc, s10, v4
	v_addc_co_u32_e32 v11, vcc, v8, v5, vcc
	v_cmp_le_i64_e32 vcc, s[0:1], v[10:11]
	s_or_b64 s[4:5], vcc, s[4:5]
	v_add_co_u32_e32 v2, vcc, 0, v2
	v_addc_co_u32_e32 v3, vcc, v3, v9, vcc
	s_andn2_b64 exec, exec, s[4:5]
	s_cbranch_execz .LBB478_5
.LBB478_3:                              ; =>This Inner Loop Header: Depth=1
	v_add_u32_e32 v0, s10, v4
	v_cmp_lt_i32_e32 vcc, 0, v0
	v_mov_b32_e32 v0, 0
	s_and_saveexec_b64 s[6:7], vcc
	s_cbranch_execz .LBB478_2
; %bb.4:                                ;   in Loop: Header=BB478_3 Depth=1
	v_add_u32_e32 v12, s10, v4
	v_and_b32_e32 v0, 0x7fffffff, v12
	v_lshlrev_b64 v[10:11], 3, v[0:1]
	v_mov_b32_e32 v14, s3
	v_add_co_u32_e32 v10, vcc, s2, v10
	v_add_u32_e32 v0, -1, v12
	v_addc_co_u32_e32 v11, vcc, v14, v11, vcc
	v_lshlrev_b64 v[12:13], 3, v[0:1]
	v_add_co_u32_e32 v12, vcc, s2, v12
	v_addc_co_u32_e32 v13, vcc, v14, v13, vcc
	global_load_dwordx2 v[14:15], v[10:11], off
	global_load_dwordx2 v[16:17], v[12:13], off
	s_waitcnt vmcnt(0)
	v_cmp_ne_u64_e32 vcc, v[14:15], v[16:17]
	v_cndmask_b32_e64 v0, 0, 1, vcc
	s_branch .LBB478_2
.LBB478_5:
	s_endpgm
	.section	.rodata,"a",@progbits
	.p2align	6, 0x0
	.amdhsa_kernel _ZN2at6native8internal12_GLOBAL__N_126adjacent_difference_kernelIPKlEEvlT_Pi
		.amdhsa_group_segment_fixed_size 0
		.amdhsa_private_segment_fixed_size 0
		.amdhsa_kernarg_size 280
		.amdhsa_user_sgpr_count 6
		.amdhsa_user_sgpr_private_segment_buffer 1
		.amdhsa_user_sgpr_dispatch_ptr 0
		.amdhsa_user_sgpr_queue_ptr 0
		.amdhsa_user_sgpr_kernarg_segment_ptr 1
		.amdhsa_user_sgpr_dispatch_id 0
		.amdhsa_user_sgpr_flat_scratch_init 0
		.amdhsa_user_sgpr_kernarg_preload_length 0
		.amdhsa_user_sgpr_kernarg_preload_offset 0
		.amdhsa_user_sgpr_private_segment_size 0
		.amdhsa_uses_dynamic_stack 0
		.amdhsa_system_sgpr_private_segment_wavefront_offset 0
		.amdhsa_system_sgpr_workgroup_id_x 1
		.amdhsa_system_sgpr_workgroup_id_y 0
		.amdhsa_system_sgpr_workgroup_id_z 0
		.amdhsa_system_sgpr_workgroup_info 0
		.amdhsa_system_vgpr_workitem_id 0
		.amdhsa_next_free_vgpr 18
		.amdhsa_next_free_sgpr 14
		.amdhsa_accum_offset 20
		.amdhsa_reserve_vcc 1
		.amdhsa_reserve_flat_scratch 0
		.amdhsa_float_round_mode_32 0
		.amdhsa_float_round_mode_16_64 0
		.amdhsa_float_denorm_mode_32 3
		.amdhsa_float_denorm_mode_16_64 3
		.amdhsa_dx10_clamp 1
		.amdhsa_ieee_mode 1
		.amdhsa_fp16_overflow 0
		.amdhsa_tg_split 0
		.amdhsa_exception_fp_ieee_invalid_op 0
		.amdhsa_exception_fp_denorm_src 0
		.amdhsa_exception_fp_ieee_div_zero 0
		.amdhsa_exception_fp_ieee_overflow 0
		.amdhsa_exception_fp_ieee_underflow 0
		.amdhsa_exception_fp_ieee_inexact 0
		.amdhsa_exception_int_div_zero 0
	.end_amdhsa_kernel
	.section	.text._ZN2at6native8internal12_GLOBAL__N_126adjacent_difference_kernelIPKlEEvlT_Pi,"axG",@progbits,_ZN2at6native8internal12_GLOBAL__N_126adjacent_difference_kernelIPKlEEvlT_Pi,comdat
.Lfunc_end478:
	.size	_ZN2at6native8internal12_GLOBAL__N_126adjacent_difference_kernelIPKlEEvlT_Pi, .Lfunc_end478-_ZN2at6native8internal12_GLOBAL__N_126adjacent_difference_kernelIPKlEEvlT_Pi
                                        ; -- End function
	.section	.AMDGPU.csdata,"",@progbits
; Kernel info:
; codeLenInByte = 320
; NumSgprs: 18
; NumVgprs: 18
; NumAgprs: 0
; TotalNumVgprs: 18
; ScratchSize: 0
; MemoryBound: 0
; FloatMode: 240
; IeeeMode: 1
; LDSByteSize: 0 bytes/workgroup (compile time only)
; SGPRBlocks: 2
; VGPRBlocks: 2
; NumSGPRsForWavesPerEU: 18
; NumVGPRsForWavesPerEU: 18
; AccumOffset: 20
; Occupancy: 8
; WaveLimiterHint : 0
; COMPUTE_PGM_RSRC2:SCRATCH_EN: 0
; COMPUTE_PGM_RSRC2:USER_SGPR: 6
; COMPUTE_PGM_RSRC2:TRAP_HANDLER: 0
; COMPUTE_PGM_RSRC2:TGID_X_EN: 1
; COMPUTE_PGM_RSRC2:TGID_Y_EN: 0
; COMPUTE_PGM_RSRC2:TGID_Z_EN: 0
; COMPUTE_PGM_RSRC2:TIDIG_COMP_CNT: 0
; COMPUTE_PGM_RSRC3_GFX90A:ACCUM_OFFSET: 4
; COMPUTE_PGM_RSRC3_GFX90A:TG_SPLIT: 0
	.section	.text._ZN7rocprim17ROCPRIM_400000_NS6detail17trampoline_kernelINS0_14default_configENS1_25partition_config_selectorILNS1_17partition_subalgoE8ElNS0_10empty_typeEbEEZZNS1_14partition_implILS5_8ELb0ES3_jPKlPS6_PKS6_NS0_5tupleIJPlS6_EEENSE_IJSB_SB_EEENS0_18inequality_wrapperIN6hipcub16HIPCUB_304000_NS8EqualityEEESF_JS6_EEE10hipError_tPvRmT3_T4_T5_T6_T7_T9_mT8_P12ihipStream_tbDpT10_ENKUlT_T0_E_clISt17integral_constantIbLb0EES16_EEDaS11_S12_EUlS11_E_NS1_11comp_targetILNS1_3genE0ELNS1_11target_archE4294967295ELNS1_3gpuE0ELNS1_3repE0EEENS1_30default_config_static_selectorELNS0_4arch9wavefront6targetE1EEEvT1_,"axG",@progbits,_ZN7rocprim17ROCPRIM_400000_NS6detail17trampoline_kernelINS0_14default_configENS1_25partition_config_selectorILNS1_17partition_subalgoE8ElNS0_10empty_typeEbEEZZNS1_14partition_implILS5_8ELb0ES3_jPKlPS6_PKS6_NS0_5tupleIJPlS6_EEENSE_IJSB_SB_EEENS0_18inequality_wrapperIN6hipcub16HIPCUB_304000_NS8EqualityEEESF_JS6_EEE10hipError_tPvRmT3_T4_T5_T6_T7_T9_mT8_P12ihipStream_tbDpT10_ENKUlT_T0_E_clISt17integral_constantIbLb0EES16_EEDaS11_S12_EUlS11_E_NS1_11comp_targetILNS1_3genE0ELNS1_11target_archE4294967295ELNS1_3gpuE0ELNS1_3repE0EEENS1_30default_config_static_selectorELNS0_4arch9wavefront6targetE1EEEvT1_,comdat
	.protected	_ZN7rocprim17ROCPRIM_400000_NS6detail17trampoline_kernelINS0_14default_configENS1_25partition_config_selectorILNS1_17partition_subalgoE8ElNS0_10empty_typeEbEEZZNS1_14partition_implILS5_8ELb0ES3_jPKlPS6_PKS6_NS0_5tupleIJPlS6_EEENSE_IJSB_SB_EEENS0_18inequality_wrapperIN6hipcub16HIPCUB_304000_NS8EqualityEEESF_JS6_EEE10hipError_tPvRmT3_T4_T5_T6_T7_T9_mT8_P12ihipStream_tbDpT10_ENKUlT_T0_E_clISt17integral_constantIbLb0EES16_EEDaS11_S12_EUlS11_E_NS1_11comp_targetILNS1_3genE0ELNS1_11target_archE4294967295ELNS1_3gpuE0ELNS1_3repE0EEENS1_30default_config_static_selectorELNS0_4arch9wavefront6targetE1EEEvT1_ ; -- Begin function _ZN7rocprim17ROCPRIM_400000_NS6detail17trampoline_kernelINS0_14default_configENS1_25partition_config_selectorILNS1_17partition_subalgoE8ElNS0_10empty_typeEbEEZZNS1_14partition_implILS5_8ELb0ES3_jPKlPS6_PKS6_NS0_5tupleIJPlS6_EEENSE_IJSB_SB_EEENS0_18inequality_wrapperIN6hipcub16HIPCUB_304000_NS8EqualityEEESF_JS6_EEE10hipError_tPvRmT3_T4_T5_T6_T7_T9_mT8_P12ihipStream_tbDpT10_ENKUlT_T0_E_clISt17integral_constantIbLb0EES16_EEDaS11_S12_EUlS11_E_NS1_11comp_targetILNS1_3genE0ELNS1_11target_archE4294967295ELNS1_3gpuE0ELNS1_3repE0EEENS1_30default_config_static_selectorELNS0_4arch9wavefront6targetE1EEEvT1_
	.globl	_ZN7rocprim17ROCPRIM_400000_NS6detail17trampoline_kernelINS0_14default_configENS1_25partition_config_selectorILNS1_17partition_subalgoE8ElNS0_10empty_typeEbEEZZNS1_14partition_implILS5_8ELb0ES3_jPKlPS6_PKS6_NS0_5tupleIJPlS6_EEENSE_IJSB_SB_EEENS0_18inequality_wrapperIN6hipcub16HIPCUB_304000_NS8EqualityEEESF_JS6_EEE10hipError_tPvRmT3_T4_T5_T6_T7_T9_mT8_P12ihipStream_tbDpT10_ENKUlT_T0_E_clISt17integral_constantIbLb0EES16_EEDaS11_S12_EUlS11_E_NS1_11comp_targetILNS1_3genE0ELNS1_11target_archE4294967295ELNS1_3gpuE0ELNS1_3repE0EEENS1_30default_config_static_selectorELNS0_4arch9wavefront6targetE1EEEvT1_
	.p2align	8
	.type	_ZN7rocprim17ROCPRIM_400000_NS6detail17trampoline_kernelINS0_14default_configENS1_25partition_config_selectorILNS1_17partition_subalgoE8ElNS0_10empty_typeEbEEZZNS1_14partition_implILS5_8ELb0ES3_jPKlPS6_PKS6_NS0_5tupleIJPlS6_EEENSE_IJSB_SB_EEENS0_18inequality_wrapperIN6hipcub16HIPCUB_304000_NS8EqualityEEESF_JS6_EEE10hipError_tPvRmT3_T4_T5_T6_T7_T9_mT8_P12ihipStream_tbDpT10_ENKUlT_T0_E_clISt17integral_constantIbLb0EES16_EEDaS11_S12_EUlS11_E_NS1_11comp_targetILNS1_3genE0ELNS1_11target_archE4294967295ELNS1_3gpuE0ELNS1_3repE0EEENS1_30default_config_static_selectorELNS0_4arch9wavefront6targetE1EEEvT1_,@function
_ZN7rocprim17ROCPRIM_400000_NS6detail17trampoline_kernelINS0_14default_configENS1_25partition_config_selectorILNS1_17partition_subalgoE8ElNS0_10empty_typeEbEEZZNS1_14partition_implILS5_8ELb0ES3_jPKlPS6_PKS6_NS0_5tupleIJPlS6_EEENSE_IJSB_SB_EEENS0_18inequality_wrapperIN6hipcub16HIPCUB_304000_NS8EqualityEEESF_JS6_EEE10hipError_tPvRmT3_T4_T5_T6_T7_T9_mT8_P12ihipStream_tbDpT10_ENKUlT_T0_E_clISt17integral_constantIbLb0EES16_EEDaS11_S12_EUlS11_E_NS1_11comp_targetILNS1_3genE0ELNS1_11target_archE4294967295ELNS1_3gpuE0ELNS1_3repE0EEENS1_30default_config_static_selectorELNS0_4arch9wavefront6targetE1EEEvT1_: ; @_ZN7rocprim17ROCPRIM_400000_NS6detail17trampoline_kernelINS0_14default_configENS1_25partition_config_selectorILNS1_17partition_subalgoE8ElNS0_10empty_typeEbEEZZNS1_14partition_implILS5_8ELb0ES3_jPKlPS6_PKS6_NS0_5tupleIJPlS6_EEENSE_IJSB_SB_EEENS0_18inequality_wrapperIN6hipcub16HIPCUB_304000_NS8EqualityEEESF_JS6_EEE10hipError_tPvRmT3_T4_T5_T6_T7_T9_mT8_P12ihipStream_tbDpT10_ENKUlT_T0_E_clISt17integral_constantIbLb0EES16_EEDaS11_S12_EUlS11_E_NS1_11comp_targetILNS1_3genE0ELNS1_11target_archE4294967295ELNS1_3gpuE0ELNS1_3repE0EEENS1_30default_config_static_selectorELNS0_4arch9wavefront6targetE1EEEvT1_
; %bb.0:
	.section	.rodata,"a",@progbits
	.p2align	6, 0x0
	.amdhsa_kernel _ZN7rocprim17ROCPRIM_400000_NS6detail17trampoline_kernelINS0_14default_configENS1_25partition_config_selectorILNS1_17partition_subalgoE8ElNS0_10empty_typeEbEEZZNS1_14partition_implILS5_8ELb0ES3_jPKlPS6_PKS6_NS0_5tupleIJPlS6_EEENSE_IJSB_SB_EEENS0_18inequality_wrapperIN6hipcub16HIPCUB_304000_NS8EqualityEEESF_JS6_EEE10hipError_tPvRmT3_T4_T5_T6_T7_T9_mT8_P12ihipStream_tbDpT10_ENKUlT_T0_E_clISt17integral_constantIbLb0EES16_EEDaS11_S12_EUlS11_E_NS1_11comp_targetILNS1_3genE0ELNS1_11target_archE4294967295ELNS1_3gpuE0ELNS1_3repE0EEENS1_30default_config_static_selectorELNS0_4arch9wavefront6targetE1EEEvT1_
		.amdhsa_group_segment_fixed_size 0
		.amdhsa_private_segment_fixed_size 0
		.amdhsa_kernarg_size 112
		.amdhsa_user_sgpr_count 6
		.amdhsa_user_sgpr_private_segment_buffer 1
		.amdhsa_user_sgpr_dispatch_ptr 0
		.amdhsa_user_sgpr_queue_ptr 0
		.amdhsa_user_sgpr_kernarg_segment_ptr 1
		.amdhsa_user_sgpr_dispatch_id 0
		.amdhsa_user_sgpr_flat_scratch_init 0
		.amdhsa_user_sgpr_kernarg_preload_length 0
		.amdhsa_user_sgpr_kernarg_preload_offset 0
		.amdhsa_user_sgpr_private_segment_size 0
		.amdhsa_uses_dynamic_stack 0
		.amdhsa_system_sgpr_private_segment_wavefront_offset 0
		.amdhsa_system_sgpr_workgroup_id_x 1
		.amdhsa_system_sgpr_workgroup_id_y 0
		.amdhsa_system_sgpr_workgroup_id_z 0
		.amdhsa_system_sgpr_workgroup_info 0
		.amdhsa_system_vgpr_workitem_id 0
		.amdhsa_next_free_vgpr 1
		.amdhsa_next_free_sgpr 0
		.amdhsa_accum_offset 4
		.amdhsa_reserve_vcc 0
		.amdhsa_reserve_flat_scratch 0
		.amdhsa_float_round_mode_32 0
		.amdhsa_float_round_mode_16_64 0
		.amdhsa_float_denorm_mode_32 3
		.amdhsa_float_denorm_mode_16_64 3
		.amdhsa_dx10_clamp 1
		.amdhsa_ieee_mode 1
		.amdhsa_fp16_overflow 0
		.amdhsa_tg_split 0
		.amdhsa_exception_fp_ieee_invalid_op 0
		.amdhsa_exception_fp_denorm_src 0
		.amdhsa_exception_fp_ieee_div_zero 0
		.amdhsa_exception_fp_ieee_overflow 0
		.amdhsa_exception_fp_ieee_underflow 0
		.amdhsa_exception_fp_ieee_inexact 0
		.amdhsa_exception_int_div_zero 0
	.end_amdhsa_kernel
	.section	.text._ZN7rocprim17ROCPRIM_400000_NS6detail17trampoline_kernelINS0_14default_configENS1_25partition_config_selectorILNS1_17partition_subalgoE8ElNS0_10empty_typeEbEEZZNS1_14partition_implILS5_8ELb0ES3_jPKlPS6_PKS6_NS0_5tupleIJPlS6_EEENSE_IJSB_SB_EEENS0_18inequality_wrapperIN6hipcub16HIPCUB_304000_NS8EqualityEEESF_JS6_EEE10hipError_tPvRmT3_T4_T5_T6_T7_T9_mT8_P12ihipStream_tbDpT10_ENKUlT_T0_E_clISt17integral_constantIbLb0EES16_EEDaS11_S12_EUlS11_E_NS1_11comp_targetILNS1_3genE0ELNS1_11target_archE4294967295ELNS1_3gpuE0ELNS1_3repE0EEENS1_30default_config_static_selectorELNS0_4arch9wavefront6targetE1EEEvT1_,"axG",@progbits,_ZN7rocprim17ROCPRIM_400000_NS6detail17trampoline_kernelINS0_14default_configENS1_25partition_config_selectorILNS1_17partition_subalgoE8ElNS0_10empty_typeEbEEZZNS1_14partition_implILS5_8ELb0ES3_jPKlPS6_PKS6_NS0_5tupleIJPlS6_EEENSE_IJSB_SB_EEENS0_18inequality_wrapperIN6hipcub16HIPCUB_304000_NS8EqualityEEESF_JS6_EEE10hipError_tPvRmT3_T4_T5_T6_T7_T9_mT8_P12ihipStream_tbDpT10_ENKUlT_T0_E_clISt17integral_constantIbLb0EES16_EEDaS11_S12_EUlS11_E_NS1_11comp_targetILNS1_3genE0ELNS1_11target_archE4294967295ELNS1_3gpuE0ELNS1_3repE0EEENS1_30default_config_static_selectorELNS0_4arch9wavefront6targetE1EEEvT1_,comdat
.Lfunc_end479:
	.size	_ZN7rocprim17ROCPRIM_400000_NS6detail17trampoline_kernelINS0_14default_configENS1_25partition_config_selectorILNS1_17partition_subalgoE8ElNS0_10empty_typeEbEEZZNS1_14partition_implILS5_8ELb0ES3_jPKlPS6_PKS6_NS0_5tupleIJPlS6_EEENSE_IJSB_SB_EEENS0_18inequality_wrapperIN6hipcub16HIPCUB_304000_NS8EqualityEEESF_JS6_EEE10hipError_tPvRmT3_T4_T5_T6_T7_T9_mT8_P12ihipStream_tbDpT10_ENKUlT_T0_E_clISt17integral_constantIbLb0EES16_EEDaS11_S12_EUlS11_E_NS1_11comp_targetILNS1_3genE0ELNS1_11target_archE4294967295ELNS1_3gpuE0ELNS1_3repE0EEENS1_30default_config_static_selectorELNS0_4arch9wavefront6targetE1EEEvT1_, .Lfunc_end479-_ZN7rocprim17ROCPRIM_400000_NS6detail17trampoline_kernelINS0_14default_configENS1_25partition_config_selectorILNS1_17partition_subalgoE8ElNS0_10empty_typeEbEEZZNS1_14partition_implILS5_8ELb0ES3_jPKlPS6_PKS6_NS0_5tupleIJPlS6_EEENSE_IJSB_SB_EEENS0_18inequality_wrapperIN6hipcub16HIPCUB_304000_NS8EqualityEEESF_JS6_EEE10hipError_tPvRmT3_T4_T5_T6_T7_T9_mT8_P12ihipStream_tbDpT10_ENKUlT_T0_E_clISt17integral_constantIbLb0EES16_EEDaS11_S12_EUlS11_E_NS1_11comp_targetILNS1_3genE0ELNS1_11target_archE4294967295ELNS1_3gpuE0ELNS1_3repE0EEENS1_30default_config_static_selectorELNS0_4arch9wavefront6targetE1EEEvT1_
                                        ; -- End function
	.section	.AMDGPU.csdata,"",@progbits
; Kernel info:
; codeLenInByte = 0
; NumSgprs: 4
; NumVgprs: 0
; NumAgprs: 0
; TotalNumVgprs: 0
; ScratchSize: 0
; MemoryBound: 0
; FloatMode: 240
; IeeeMode: 1
; LDSByteSize: 0 bytes/workgroup (compile time only)
; SGPRBlocks: 0
; VGPRBlocks: 0
; NumSGPRsForWavesPerEU: 4
; NumVGPRsForWavesPerEU: 1
; AccumOffset: 4
; Occupancy: 8
; WaveLimiterHint : 0
; COMPUTE_PGM_RSRC2:SCRATCH_EN: 0
; COMPUTE_PGM_RSRC2:USER_SGPR: 6
; COMPUTE_PGM_RSRC2:TRAP_HANDLER: 0
; COMPUTE_PGM_RSRC2:TGID_X_EN: 1
; COMPUTE_PGM_RSRC2:TGID_Y_EN: 0
; COMPUTE_PGM_RSRC2:TGID_Z_EN: 0
; COMPUTE_PGM_RSRC2:TIDIG_COMP_CNT: 0
; COMPUTE_PGM_RSRC3_GFX90A:ACCUM_OFFSET: 0
; COMPUTE_PGM_RSRC3_GFX90A:TG_SPLIT: 0
	.section	.text._ZN7rocprim17ROCPRIM_400000_NS6detail17trampoline_kernelINS0_14default_configENS1_25partition_config_selectorILNS1_17partition_subalgoE8ElNS0_10empty_typeEbEEZZNS1_14partition_implILS5_8ELb0ES3_jPKlPS6_PKS6_NS0_5tupleIJPlS6_EEENSE_IJSB_SB_EEENS0_18inequality_wrapperIN6hipcub16HIPCUB_304000_NS8EqualityEEESF_JS6_EEE10hipError_tPvRmT3_T4_T5_T6_T7_T9_mT8_P12ihipStream_tbDpT10_ENKUlT_T0_E_clISt17integral_constantIbLb0EES16_EEDaS11_S12_EUlS11_E_NS1_11comp_targetILNS1_3genE5ELNS1_11target_archE942ELNS1_3gpuE9ELNS1_3repE0EEENS1_30default_config_static_selectorELNS0_4arch9wavefront6targetE1EEEvT1_,"axG",@progbits,_ZN7rocprim17ROCPRIM_400000_NS6detail17trampoline_kernelINS0_14default_configENS1_25partition_config_selectorILNS1_17partition_subalgoE8ElNS0_10empty_typeEbEEZZNS1_14partition_implILS5_8ELb0ES3_jPKlPS6_PKS6_NS0_5tupleIJPlS6_EEENSE_IJSB_SB_EEENS0_18inequality_wrapperIN6hipcub16HIPCUB_304000_NS8EqualityEEESF_JS6_EEE10hipError_tPvRmT3_T4_T5_T6_T7_T9_mT8_P12ihipStream_tbDpT10_ENKUlT_T0_E_clISt17integral_constantIbLb0EES16_EEDaS11_S12_EUlS11_E_NS1_11comp_targetILNS1_3genE5ELNS1_11target_archE942ELNS1_3gpuE9ELNS1_3repE0EEENS1_30default_config_static_selectorELNS0_4arch9wavefront6targetE1EEEvT1_,comdat
	.protected	_ZN7rocprim17ROCPRIM_400000_NS6detail17trampoline_kernelINS0_14default_configENS1_25partition_config_selectorILNS1_17partition_subalgoE8ElNS0_10empty_typeEbEEZZNS1_14partition_implILS5_8ELb0ES3_jPKlPS6_PKS6_NS0_5tupleIJPlS6_EEENSE_IJSB_SB_EEENS0_18inequality_wrapperIN6hipcub16HIPCUB_304000_NS8EqualityEEESF_JS6_EEE10hipError_tPvRmT3_T4_T5_T6_T7_T9_mT8_P12ihipStream_tbDpT10_ENKUlT_T0_E_clISt17integral_constantIbLb0EES16_EEDaS11_S12_EUlS11_E_NS1_11comp_targetILNS1_3genE5ELNS1_11target_archE942ELNS1_3gpuE9ELNS1_3repE0EEENS1_30default_config_static_selectorELNS0_4arch9wavefront6targetE1EEEvT1_ ; -- Begin function _ZN7rocprim17ROCPRIM_400000_NS6detail17trampoline_kernelINS0_14default_configENS1_25partition_config_selectorILNS1_17partition_subalgoE8ElNS0_10empty_typeEbEEZZNS1_14partition_implILS5_8ELb0ES3_jPKlPS6_PKS6_NS0_5tupleIJPlS6_EEENSE_IJSB_SB_EEENS0_18inequality_wrapperIN6hipcub16HIPCUB_304000_NS8EqualityEEESF_JS6_EEE10hipError_tPvRmT3_T4_T5_T6_T7_T9_mT8_P12ihipStream_tbDpT10_ENKUlT_T0_E_clISt17integral_constantIbLb0EES16_EEDaS11_S12_EUlS11_E_NS1_11comp_targetILNS1_3genE5ELNS1_11target_archE942ELNS1_3gpuE9ELNS1_3repE0EEENS1_30default_config_static_selectorELNS0_4arch9wavefront6targetE1EEEvT1_
	.globl	_ZN7rocprim17ROCPRIM_400000_NS6detail17trampoline_kernelINS0_14default_configENS1_25partition_config_selectorILNS1_17partition_subalgoE8ElNS0_10empty_typeEbEEZZNS1_14partition_implILS5_8ELb0ES3_jPKlPS6_PKS6_NS0_5tupleIJPlS6_EEENSE_IJSB_SB_EEENS0_18inequality_wrapperIN6hipcub16HIPCUB_304000_NS8EqualityEEESF_JS6_EEE10hipError_tPvRmT3_T4_T5_T6_T7_T9_mT8_P12ihipStream_tbDpT10_ENKUlT_T0_E_clISt17integral_constantIbLb0EES16_EEDaS11_S12_EUlS11_E_NS1_11comp_targetILNS1_3genE5ELNS1_11target_archE942ELNS1_3gpuE9ELNS1_3repE0EEENS1_30default_config_static_selectorELNS0_4arch9wavefront6targetE1EEEvT1_
	.p2align	8
	.type	_ZN7rocprim17ROCPRIM_400000_NS6detail17trampoline_kernelINS0_14default_configENS1_25partition_config_selectorILNS1_17partition_subalgoE8ElNS0_10empty_typeEbEEZZNS1_14partition_implILS5_8ELb0ES3_jPKlPS6_PKS6_NS0_5tupleIJPlS6_EEENSE_IJSB_SB_EEENS0_18inequality_wrapperIN6hipcub16HIPCUB_304000_NS8EqualityEEESF_JS6_EEE10hipError_tPvRmT3_T4_T5_T6_T7_T9_mT8_P12ihipStream_tbDpT10_ENKUlT_T0_E_clISt17integral_constantIbLb0EES16_EEDaS11_S12_EUlS11_E_NS1_11comp_targetILNS1_3genE5ELNS1_11target_archE942ELNS1_3gpuE9ELNS1_3repE0EEENS1_30default_config_static_selectorELNS0_4arch9wavefront6targetE1EEEvT1_,@function
_ZN7rocprim17ROCPRIM_400000_NS6detail17trampoline_kernelINS0_14default_configENS1_25partition_config_selectorILNS1_17partition_subalgoE8ElNS0_10empty_typeEbEEZZNS1_14partition_implILS5_8ELb0ES3_jPKlPS6_PKS6_NS0_5tupleIJPlS6_EEENSE_IJSB_SB_EEENS0_18inequality_wrapperIN6hipcub16HIPCUB_304000_NS8EqualityEEESF_JS6_EEE10hipError_tPvRmT3_T4_T5_T6_T7_T9_mT8_P12ihipStream_tbDpT10_ENKUlT_T0_E_clISt17integral_constantIbLb0EES16_EEDaS11_S12_EUlS11_E_NS1_11comp_targetILNS1_3genE5ELNS1_11target_archE942ELNS1_3gpuE9ELNS1_3repE0EEENS1_30default_config_static_selectorELNS0_4arch9wavefront6targetE1EEEvT1_: ; @_ZN7rocprim17ROCPRIM_400000_NS6detail17trampoline_kernelINS0_14default_configENS1_25partition_config_selectorILNS1_17partition_subalgoE8ElNS0_10empty_typeEbEEZZNS1_14partition_implILS5_8ELb0ES3_jPKlPS6_PKS6_NS0_5tupleIJPlS6_EEENSE_IJSB_SB_EEENS0_18inequality_wrapperIN6hipcub16HIPCUB_304000_NS8EqualityEEESF_JS6_EEE10hipError_tPvRmT3_T4_T5_T6_T7_T9_mT8_P12ihipStream_tbDpT10_ENKUlT_T0_E_clISt17integral_constantIbLb0EES16_EEDaS11_S12_EUlS11_E_NS1_11comp_targetILNS1_3genE5ELNS1_11target_archE942ELNS1_3gpuE9ELNS1_3repE0EEENS1_30default_config_static_selectorELNS0_4arch9wavefront6targetE1EEEvT1_
; %bb.0:
	.section	.rodata,"a",@progbits
	.p2align	6, 0x0
	.amdhsa_kernel _ZN7rocprim17ROCPRIM_400000_NS6detail17trampoline_kernelINS0_14default_configENS1_25partition_config_selectorILNS1_17partition_subalgoE8ElNS0_10empty_typeEbEEZZNS1_14partition_implILS5_8ELb0ES3_jPKlPS6_PKS6_NS0_5tupleIJPlS6_EEENSE_IJSB_SB_EEENS0_18inequality_wrapperIN6hipcub16HIPCUB_304000_NS8EqualityEEESF_JS6_EEE10hipError_tPvRmT3_T4_T5_T6_T7_T9_mT8_P12ihipStream_tbDpT10_ENKUlT_T0_E_clISt17integral_constantIbLb0EES16_EEDaS11_S12_EUlS11_E_NS1_11comp_targetILNS1_3genE5ELNS1_11target_archE942ELNS1_3gpuE9ELNS1_3repE0EEENS1_30default_config_static_selectorELNS0_4arch9wavefront6targetE1EEEvT1_
		.amdhsa_group_segment_fixed_size 0
		.amdhsa_private_segment_fixed_size 0
		.amdhsa_kernarg_size 112
		.amdhsa_user_sgpr_count 6
		.amdhsa_user_sgpr_private_segment_buffer 1
		.amdhsa_user_sgpr_dispatch_ptr 0
		.amdhsa_user_sgpr_queue_ptr 0
		.amdhsa_user_sgpr_kernarg_segment_ptr 1
		.amdhsa_user_sgpr_dispatch_id 0
		.amdhsa_user_sgpr_flat_scratch_init 0
		.amdhsa_user_sgpr_kernarg_preload_length 0
		.amdhsa_user_sgpr_kernarg_preload_offset 0
		.amdhsa_user_sgpr_private_segment_size 0
		.amdhsa_uses_dynamic_stack 0
		.amdhsa_system_sgpr_private_segment_wavefront_offset 0
		.amdhsa_system_sgpr_workgroup_id_x 1
		.amdhsa_system_sgpr_workgroup_id_y 0
		.amdhsa_system_sgpr_workgroup_id_z 0
		.amdhsa_system_sgpr_workgroup_info 0
		.amdhsa_system_vgpr_workitem_id 0
		.amdhsa_next_free_vgpr 1
		.amdhsa_next_free_sgpr 0
		.amdhsa_accum_offset 4
		.amdhsa_reserve_vcc 0
		.amdhsa_reserve_flat_scratch 0
		.amdhsa_float_round_mode_32 0
		.amdhsa_float_round_mode_16_64 0
		.amdhsa_float_denorm_mode_32 3
		.amdhsa_float_denorm_mode_16_64 3
		.amdhsa_dx10_clamp 1
		.amdhsa_ieee_mode 1
		.amdhsa_fp16_overflow 0
		.amdhsa_tg_split 0
		.amdhsa_exception_fp_ieee_invalid_op 0
		.amdhsa_exception_fp_denorm_src 0
		.amdhsa_exception_fp_ieee_div_zero 0
		.amdhsa_exception_fp_ieee_overflow 0
		.amdhsa_exception_fp_ieee_underflow 0
		.amdhsa_exception_fp_ieee_inexact 0
		.amdhsa_exception_int_div_zero 0
	.end_amdhsa_kernel
	.section	.text._ZN7rocprim17ROCPRIM_400000_NS6detail17trampoline_kernelINS0_14default_configENS1_25partition_config_selectorILNS1_17partition_subalgoE8ElNS0_10empty_typeEbEEZZNS1_14partition_implILS5_8ELb0ES3_jPKlPS6_PKS6_NS0_5tupleIJPlS6_EEENSE_IJSB_SB_EEENS0_18inequality_wrapperIN6hipcub16HIPCUB_304000_NS8EqualityEEESF_JS6_EEE10hipError_tPvRmT3_T4_T5_T6_T7_T9_mT8_P12ihipStream_tbDpT10_ENKUlT_T0_E_clISt17integral_constantIbLb0EES16_EEDaS11_S12_EUlS11_E_NS1_11comp_targetILNS1_3genE5ELNS1_11target_archE942ELNS1_3gpuE9ELNS1_3repE0EEENS1_30default_config_static_selectorELNS0_4arch9wavefront6targetE1EEEvT1_,"axG",@progbits,_ZN7rocprim17ROCPRIM_400000_NS6detail17trampoline_kernelINS0_14default_configENS1_25partition_config_selectorILNS1_17partition_subalgoE8ElNS0_10empty_typeEbEEZZNS1_14partition_implILS5_8ELb0ES3_jPKlPS6_PKS6_NS0_5tupleIJPlS6_EEENSE_IJSB_SB_EEENS0_18inequality_wrapperIN6hipcub16HIPCUB_304000_NS8EqualityEEESF_JS6_EEE10hipError_tPvRmT3_T4_T5_T6_T7_T9_mT8_P12ihipStream_tbDpT10_ENKUlT_T0_E_clISt17integral_constantIbLb0EES16_EEDaS11_S12_EUlS11_E_NS1_11comp_targetILNS1_3genE5ELNS1_11target_archE942ELNS1_3gpuE9ELNS1_3repE0EEENS1_30default_config_static_selectorELNS0_4arch9wavefront6targetE1EEEvT1_,comdat
.Lfunc_end480:
	.size	_ZN7rocprim17ROCPRIM_400000_NS6detail17trampoline_kernelINS0_14default_configENS1_25partition_config_selectorILNS1_17partition_subalgoE8ElNS0_10empty_typeEbEEZZNS1_14partition_implILS5_8ELb0ES3_jPKlPS6_PKS6_NS0_5tupleIJPlS6_EEENSE_IJSB_SB_EEENS0_18inequality_wrapperIN6hipcub16HIPCUB_304000_NS8EqualityEEESF_JS6_EEE10hipError_tPvRmT3_T4_T5_T6_T7_T9_mT8_P12ihipStream_tbDpT10_ENKUlT_T0_E_clISt17integral_constantIbLb0EES16_EEDaS11_S12_EUlS11_E_NS1_11comp_targetILNS1_3genE5ELNS1_11target_archE942ELNS1_3gpuE9ELNS1_3repE0EEENS1_30default_config_static_selectorELNS0_4arch9wavefront6targetE1EEEvT1_, .Lfunc_end480-_ZN7rocprim17ROCPRIM_400000_NS6detail17trampoline_kernelINS0_14default_configENS1_25partition_config_selectorILNS1_17partition_subalgoE8ElNS0_10empty_typeEbEEZZNS1_14partition_implILS5_8ELb0ES3_jPKlPS6_PKS6_NS0_5tupleIJPlS6_EEENSE_IJSB_SB_EEENS0_18inequality_wrapperIN6hipcub16HIPCUB_304000_NS8EqualityEEESF_JS6_EEE10hipError_tPvRmT3_T4_T5_T6_T7_T9_mT8_P12ihipStream_tbDpT10_ENKUlT_T0_E_clISt17integral_constantIbLb0EES16_EEDaS11_S12_EUlS11_E_NS1_11comp_targetILNS1_3genE5ELNS1_11target_archE942ELNS1_3gpuE9ELNS1_3repE0EEENS1_30default_config_static_selectorELNS0_4arch9wavefront6targetE1EEEvT1_
                                        ; -- End function
	.section	.AMDGPU.csdata,"",@progbits
; Kernel info:
; codeLenInByte = 0
; NumSgprs: 4
; NumVgprs: 0
; NumAgprs: 0
; TotalNumVgprs: 0
; ScratchSize: 0
; MemoryBound: 0
; FloatMode: 240
; IeeeMode: 1
; LDSByteSize: 0 bytes/workgroup (compile time only)
; SGPRBlocks: 0
; VGPRBlocks: 0
; NumSGPRsForWavesPerEU: 4
; NumVGPRsForWavesPerEU: 1
; AccumOffset: 4
; Occupancy: 8
; WaveLimiterHint : 0
; COMPUTE_PGM_RSRC2:SCRATCH_EN: 0
; COMPUTE_PGM_RSRC2:USER_SGPR: 6
; COMPUTE_PGM_RSRC2:TRAP_HANDLER: 0
; COMPUTE_PGM_RSRC2:TGID_X_EN: 1
; COMPUTE_PGM_RSRC2:TGID_Y_EN: 0
; COMPUTE_PGM_RSRC2:TGID_Z_EN: 0
; COMPUTE_PGM_RSRC2:TIDIG_COMP_CNT: 0
; COMPUTE_PGM_RSRC3_GFX90A:ACCUM_OFFSET: 0
; COMPUTE_PGM_RSRC3_GFX90A:TG_SPLIT: 0
	.section	.text._ZN7rocprim17ROCPRIM_400000_NS6detail17trampoline_kernelINS0_14default_configENS1_25partition_config_selectorILNS1_17partition_subalgoE8ElNS0_10empty_typeEbEEZZNS1_14partition_implILS5_8ELb0ES3_jPKlPS6_PKS6_NS0_5tupleIJPlS6_EEENSE_IJSB_SB_EEENS0_18inequality_wrapperIN6hipcub16HIPCUB_304000_NS8EqualityEEESF_JS6_EEE10hipError_tPvRmT3_T4_T5_T6_T7_T9_mT8_P12ihipStream_tbDpT10_ENKUlT_T0_E_clISt17integral_constantIbLb0EES16_EEDaS11_S12_EUlS11_E_NS1_11comp_targetILNS1_3genE4ELNS1_11target_archE910ELNS1_3gpuE8ELNS1_3repE0EEENS1_30default_config_static_selectorELNS0_4arch9wavefront6targetE1EEEvT1_,"axG",@progbits,_ZN7rocprim17ROCPRIM_400000_NS6detail17trampoline_kernelINS0_14default_configENS1_25partition_config_selectorILNS1_17partition_subalgoE8ElNS0_10empty_typeEbEEZZNS1_14partition_implILS5_8ELb0ES3_jPKlPS6_PKS6_NS0_5tupleIJPlS6_EEENSE_IJSB_SB_EEENS0_18inequality_wrapperIN6hipcub16HIPCUB_304000_NS8EqualityEEESF_JS6_EEE10hipError_tPvRmT3_T4_T5_T6_T7_T9_mT8_P12ihipStream_tbDpT10_ENKUlT_T0_E_clISt17integral_constantIbLb0EES16_EEDaS11_S12_EUlS11_E_NS1_11comp_targetILNS1_3genE4ELNS1_11target_archE910ELNS1_3gpuE8ELNS1_3repE0EEENS1_30default_config_static_selectorELNS0_4arch9wavefront6targetE1EEEvT1_,comdat
	.protected	_ZN7rocprim17ROCPRIM_400000_NS6detail17trampoline_kernelINS0_14default_configENS1_25partition_config_selectorILNS1_17partition_subalgoE8ElNS0_10empty_typeEbEEZZNS1_14partition_implILS5_8ELb0ES3_jPKlPS6_PKS6_NS0_5tupleIJPlS6_EEENSE_IJSB_SB_EEENS0_18inequality_wrapperIN6hipcub16HIPCUB_304000_NS8EqualityEEESF_JS6_EEE10hipError_tPvRmT3_T4_T5_T6_T7_T9_mT8_P12ihipStream_tbDpT10_ENKUlT_T0_E_clISt17integral_constantIbLb0EES16_EEDaS11_S12_EUlS11_E_NS1_11comp_targetILNS1_3genE4ELNS1_11target_archE910ELNS1_3gpuE8ELNS1_3repE0EEENS1_30default_config_static_selectorELNS0_4arch9wavefront6targetE1EEEvT1_ ; -- Begin function _ZN7rocprim17ROCPRIM_400000_NS6detail17trampoline_kernelINS0_14default_configENS1_25partition_config_selectorILNS1_17partition_subalgoE8ElNS0_10empty_typeEbEEZZNS1_14partition_implILS5_8ELb0ES3_jPKlPS6_PKS6_NS0_5tupleIJPlS6_EEENSE_IJSB_SB_EEENS0_18inequality_wrapperIN6hipcub16HIPCUB_304000_NS8EqualityEEESF_JS6_EEE10hipError_tPvRmT3_T4_T5_T6_T7_T9_mT8_P12ihipStream_tbDpT10_ENKUlT_T0_E_clISt17integral_constantIbLb0EES16_EEDaS11_S12_EUlS11_E_NS1_11comp_targetILNS1_3genE4ELNS1_11target_archE910ELNS1_3gpuE8ELNS1_3repE0EEENS1_30default_config_static_selectorELNS0_4arch9wavefront6targetE1EEEvT1_
	.globl	_ZN7rocprim17ROCPRIM_400000_NS6detail17trampoline_kernelINS0_14default_configENS1_25partition_config_selectorILNS1_17partition_subalgoE8ElNS0_10empty_typeEbEEZZNS1_14partition_implILS5_8ELb0ES3_jPKlPS6_PKS6_NS0_5tupleIJPlS6_EEENSE_IJSB_SB_EEENS0_18inequality_wrapperIN6hipcub16HIPCUB_304000_NS8EqualityEEESF_JS6_EEE10hipError_tPvRmT3_T4_T5_T6_T7_T9_mT8_P12ihipStream_tbDpT10_ENKUlT_T0_E_clISt17integral_constantIbLb0EES16_EEDaS11_S12_EUlS11_E_NS1_11comp_targetILNS1_3genE4ELNS1_11target_archE910ELNS1_3gpuE8ELNS1_3repE0EEENS1_30default_config_static_selectorELNS0_4arch9wavefront6targetE1EEEvT1_
	.p2align	8
	.type	_ZN7rocprim17ROCPRIM_400000_NS6detail17trampoline_kernelINS0_14default_configENS1_25partition_config_selectorILNS1_17partition_subalgoE8ElNS0_10empty_typeEbEEZZNS1_14partition_implILS5_8ELb0ES3_jPKlPS6_PKS6_NS0_5tupleIJPlS6_EEENSE_IJSB_SB_EEENS0_18inequality_wrapperIN6hipcub16HIPCUB_304000_NS8EqualityEEESF_JS6_EEE10hipError_tPvRmT3_T4_T5_T6_T7_T9_mT8_P12ihipStream_tbDpT10_ENKUlT_T0_E_clISt17integral_constantIbLb0EES16_EEDaS11_S12_EUlS11_E_NS1_11comp_targetILNS1_3genE4ELNS1_11target_archE910ELNS1_3gpuE8ELNS1_3repE0EEENS1_30default_config_static_selectorELNS0_4arch9wavefront6targetE1EEEvT1_,@function
_ZN7rocprim17ROCPRIM_400000_NS6detail17trampoline_kernelINS0_14default_configENS1_25partition_config_selectorILNS1_17partition_subalgoE8ElNS0_10empty_typeEbEEZZNS1_14partition_implILS5_8ELb0ES3_jPKlPS6_PKS6_NS0_5tupleIJPlS6_EEENSE_IJSB_SB_EEENS0_18inequality_wrapperIN6hipcub16HIPCUB_304000_NS8EqualityEEESF_JS6_EEE10hipError_tPvRmT3_T4_T5_T6_T7_T9_mT8_P12ihipStream_tbDpT10_ENKUlT_T0_E_clISt17integral_constantIbLb0EES16_EEDaS11_S12_EUlS11_E_NS1_11comp_targetILNS1_3genE4ELNS1_11target_archE910ELNS1_3gpuE8ELNS1_3repE0EEENS1_30default_config_static_selectorELNS0_4arch9wavefront6targetE1EEEvT1_: ; @_ZN7rocprim17ROCPRIM_400000_NS6detail17trampoline_kernelINS0_14default_configENS1_25partition_config_selectorILNS1_17partition_subalgoE8ElNS0_10empty_typeEbEEZZNS1_14partition_implILS5_8ELb0ES3_jPKlPS6_PKS6_NS0_5tupleIJPlS6_EEENSE_IJSB_SB_EEENS0_18inequality_wrapperIN6hipcub16HIPCUB_304000_NS8EqualityEEESF_JS6_EEE10hipError_tPvRmT3_T4_T5_T6_T7_T9_mT8_P12ihipStream_tbDpT10_ENKUlT_T0_E_clISt17integral_constantIbLb0EES16_EEDaS11_S12_EUlS11_E_NS1_11comp_targetILNS1_3genE4ELNS1_11target_archE910ELNS1_3gpuE8ELNS1_3repE0EEENS1_30default_config_static_selectorELNS0_4arch9wavefront6targetE1EEEvT1_
; %bb.0:
	s_load_dwordx2 s[8:9], s[4:5], 0x50
	s_load_dwordx4 s[0:3], s[4:5], 0x8
	s_load_dwordx4 s[20:23], s[4:5], 0x40
	s_load_dword s7, s[4:5], 0x68
	s_waitcnt lgkmcnt(0)
	v_mov_b32_e32 v3, s9
	s_lshl_b64 s[10:11], s[2:3], 3
	s_add_u32 s10, s0, s10
	s_mul_i32 s9, s7, 0x500
	s_addc_u32 s11, s1, s11
	s_add_i32 s1, s9, s2
	s_add_i32 s12, s7, -1
	s_sub_i32 s7, s8, s1
	v_mov_b32_e32 v2, s8
	s_add_u32 s8, s2, s9
	s_addc_u32 s9, s3, 0
	s_cmp_eq_u32 s6, s12
	s_load_dwordx2 s[22:23], s[22:23], 0x0
	v_cmp_ge_u64_e32 vcc, s[8:9], v[2:3]
	s_cselect_b64 s[24:25], -1, 0
	s_mul_i32 s0, s6, 0x500
	s_mov_b32 s1, 0
	s_and_b64 s[12:13], s[24:25], vcc
	s_xor_b64 s[26:27], s[12:13], -1
	s_lshl_b64 s[0:1], s[0:1], 3
	s_add_u32 s0, s10, s0
	s_mov_b64 s[8:9], -1
	s_addc_u32 s1, s11, s1
	s_and_b64 vcc, exec, s[26:27]
	s_cbranch_vccz .LBB481_2
; %bb.1:
	v_lshlrev_b32_e32 v1, 3, v0
	v_mov_b32_e32 v2, s1
	v_add_co_u32_e32 v12, vcc, s0, v1
	v_addc_co_u32_e32 v13, vcc, 0, v2, vcc
	v_add_co_u32_e32 v2, vcc, 0x1000, v12
	v_addc_co_u32_e32 v3, vcc, 0, v13, vcc
	global_load_dwordx2 v[4:5], v1, s[0:1]
	global_load_dwordx2 v[6:7], v1, s[0:1] offset:2048
	global_load_dwordx2 v[8:9], v[2:3], off
	global_load_dwordx2 v[10:11], v[2:3], off offset:2048
	v_add_co_u32_e32 v2, vcc, 0x2000, v12
	v_addc_co_u32_e32 v3, vcc, 0, v13, vcc
	global_load_dwordx2 v[2:3], v[2:3], off
	s_mov_b64 s[8:9], 0
	s_waitcnt vmcnt(3)
	ds_write2st64_b64 v1, v[4:5], v[6:7] offset1:4
	s_waitcnt vmcnt(1)
	ds_write2st64_b64 v1, v[8:9], v[10:11] offset0:8 offset1:12
	s_waitcnt vmcnt(0)
	ds_write_b64 v1, v[2:3] offset:8192
	s_waitcnt lgkmcnt(0)
	s_barrier
.LBB481_2:
	s_andn2_b64 vcc, exec, s[8:9]
	s_addk_i32 s7, 0x500
	s_cbranch_vccnz .LBB481_14
; %bb.3:
	v_cmp_gt_u32_e32 vcc, s7, v0
                                        ; implicit-def: $vgpr2_vgpr3_vgpr4_vgpr5_vgpr6_vgpr7_vgpr8_vgpr9_vgpr10_vgpr11_vgpr12_vgpr13_vgpr14_vgpr15_vgpr16_vgpr17
	s_and_saveexec_b64 s[8:9], vcc
	s_cbranch_execz .LBB481_5
; %bb.4:
	v_lshlrev_b32_e32 v1, 3, v0
	global_load_dwordx2 v[2:3], v1, s[0:1]
.LBB481_5:
	s_or_b64 exec, exec, s[8:9]
	v_or_b32_e32 v1, 0x100, v0
	v_cmp_gt_u32_e32 vcc, s7, v1
	s_and_saveexec_b64 s[8:9], vcc
	s_cbranch_execz .LBB481_7
; %bb.6:
	v_lshlrev_b32_e32 v1, 3, v0
	global_load_dwordx2 v[4:5], v1, s[0:1] offset:2048
.LBB481_7:
	s_or_b64 exec, exec, s[8:9]
	v_or_b32_e32 v1, 0x200, v0
	v_cmp_gt_u32_e32 vcc, s7, v1
	s_and_saveexec_b64 s[8:9], vcc
	s_cbranch_execz .LBB481_9
; %bb.8:
	v_lshlrev_b32_e32 v1, 3, v1
	global_load_dwordx2 v[6:7], v1, s[0:1]
.LBB481_9:
	s_or_b64 exec, exec, s[8:9]
	v_or_b32_e32 v1, 0x300, v0
	v_cmp_gt_u32_e32 vcc, s7, v1
	s_and_saveexec_b64 s[8:9], vcc
	s_cbranch_execz .LBB481_11
; %bb.10:
	v_lshlrev_b32_e32 v1, 3, v1
	global_load_dwordx2 v[8:9], v1, s[0:1]
.LBB481_11:
	s_or_b64 exec, exec, s[8:9]
	v_or_b32_e32 v1, 0x400, v0
	v_cmp_gt_u32_e32 vcc, s7, v1
	s_and_saveexec_b64 s[8:9], vcc
	s_cbranch_execz .LBB481_13
; %bb.12:
	v_lshlrev_b32_e32 v1, 3, v1
	global_load_dwordx2 v[10:11], v1, s[0:1]
.LBB481_13:
	s_or_b64 exec, exec, s[8:9]
	v_lshlrev_b32_e32 v1, 3, v0
	s_waitcnt vmcnt(0)
	ds_write2st64_b64 v1, v[2:3], v[4:5] offset1:4
	ds_write2st64_b64 v1, v[6:7], v[8:9] offset0:8 offset1:12
	ds_write_b64 v1, v[10:11] offset:8192
	s_waitcnt lgkmcnt(0)
	s_barrier
.LBB481_14:
	v_mul_u32_u24_e32 v16, 5, v0
	v_lshlrev_b32_e32 v1, 3, v16
	s_waitcnt lgkmcnt(0)
	ds_read2_b64 v[6:9], v1 offset1:1
	ds_read2_b64 v[2:5], v1 offset0:2 offset1:3
	ds_read_b64 v[10:11], v1 offset:32
	s_cmp_lg_u32 s6, 0
	s_cselect_b64 s[16:17], -1, 0
	s_cmp_lg_u64 s[2:3], 0
	s_cselect_b64 s[2:3], -1, 0
	s_or_b64 s[2:3], s[16:17], s[2:3]
	v_mad_u32_u24 v19, v0, 5, 1
	v_mad_u32_u24 v17, v0, 5, 2
	;; [unrolled: 1-line block ×4, first 2 shown]
	s_mov_b64 s[14:15], 0
	s_and_b64 vcc, exec, s[2:3]
	s_waitcnt lgkmcnt(0)
	s_barrier
	s_cbranch_vccz .LBB481_19
; %bb.15:
	s_add_u32 s0, s0, -8
	s_addc_u32 s1, s1, -1
	s_load_dwordx2 s[2:3], s[0:1], 0x0
	v_lshlrev_b32_e32 v12, 3, v0
	s_and_b64 vcc, exec, s[26:27]
	ds_write_b64 v12, v[10:11]
	s_cbranch_vccz .LBB481_20
; %bb.16:
	v_cmp_ne_u32_e32 vcc, 0, v0
	s_waitcnt lgkmcnt(0)
	v_pk_mov_b32 v[14:15], s[2:3], s[2:3] op_sel:[0,1]
	s_barrier
	s_and_saveexec_b64 s[0:1], vcc
	s_cbranch_execz .LBB481_18
; %bb.17:
	v_add_u32_e32 v13, -8, v12
	ds_read_b64 v[14:15], v13
.LBB481_18:
	s_or_b64 exec, exec, s[0:1]
	v_cmp_ne_u64_e32 vcc, v[4:5], v[10:11]
	v_cndmask_b32_e64 v13, 0, 1, vcc
	v_cmp_ne_u64_e32 vcc, v[2:3], v[4:5]
	v_cndmask_b32_e64 v21, 0, 1, vcc
	;; [unrolled: 2-line block ×4, first 2 shown]
	s_waitcnt lgkmcnt(0)
	v_cmp_ne_u64_e64 s[0:1], v[14:15], v[6:7]
	v_lshlrev_b16_e32 v14, 8, v21
	v_or_b32_sdwa v14, v22, v14 dst_sel:WORD_1 dst_unused:UNUSED_PAD src0_sel:DWORD src1_sel:DWORD
	v_lshlrev_b16_e32 v15, 8, v23
	v_or_b32_e32 v14, v15, v14
	s_branch .LBB481_24
.LBB481_19:
                                        ; implicit-def: $sgpr0_sgpr1
                                        ; implicit-def: $vgpr13
                                        ; implicit-def: $vgpr14
	s_branch .LBB481_25
.LBB481_20:
                                        ; implicit-def: $sgpr0_sgpr1
                                        ; implicit-def: $vgpr13
                                        ; implicit-def: $vgpr14
	s_cbranch_execz .LBB481_24
; %bb.21:
	v_cmp_ne_u32_e32 vcc, 0, v0
	s_waitcnt lgkmcnt(0)
	v_pk_mov_b32 v[14:15], s[2:3], s[2:3] op_sel:[0,1]
	s_barrier
	s_and_saveexec_b64 s[0:1], vcc
	s_cbranch_execz .LBB481_23
; %bb.22:
	v_add_u32_e32 v12, -8, v12
	ds_read_b64 v[14:15], v12
.LBB481_23:
	s_or_b64 exec, exec, s[0:1]
	v_cmp_gt_u32_e32 vcc, s7, v18
	v_cmp_ne_u64_e64 s[0:1], v[4:5], v[10:11]
	s_and_b64 s[0:1], vcc, s[0:1]
	v_cndmask_b32_e64 v13, 0, 1, s[0:1]
	v_cmp_gt_u32_e32 vcc, s7, v20
	v_cmp_ne_u64_e64 s[0:1], v[2:3], v[4:5]
	s_and_b64 s[0:1], vcc, s[0:1]
	v_cndmask_b32_e64 v12, 0, 1, s[0:1]
	;; [unrolled: 4-line block ×4, first 2 shown]
	v_lshlrev_b16_e32 v12, 8, v12
	v_cmp_gt_u32_e32 vcc, s7, v16
	s_waitcnt lgkmcnt(0)
	v_cmp_ne_u64_e64 s[0:1], v[14:15], v[6:7]
	v_or_b32_sdwa v12, v21, v12 dst_sel:WORD_1 dst_unused:UNUSED_PAD src0_sel:DWORD src1_sel:DWORD
	v_lshlrev_b16_e32 v14, 8, v22
	s_and_b64 s[0:1], vcc, s[0:1]
	v_or_b32_e32 v14, v14, v12
.LBB481_24:
	s_waitcnt lgkmcnt(0)
	s_mov_b64 s[14:15], -1
	s_cbranch_execnz .LBB481_33
.LBB481_25:
	v_lshlrev_b32_e32 v12, 5, v0
	v_sub_u32_e32 v15, v1, v12
	s_and_b64 vcc, exec, s[26:27]
	v_cmp_ne_u64_e64 s[0:1], v[4:5], v[10:11]
	v_cmp_ne_u64_e64 s[2:3], v[2:3], v[4:5]
	;; [unrolled: 1-line block ×4, first 2 shown]
	ds_write_b64 v15, v[10:11]
	s_cbranch_vccz .LBB481_29
; %bb.26:
	v_cndmask_b32_e64 v12, 0, 1, s[2:3]
	v_cndmask_b32_e64 v13, 0, 1, s[10:11]
	;; [unrolled: 1-line block ×3, first 2 shown]
	v_lshlrev_b16_e32 v12, 8, v12
	v_or_b32_sdwa v12, v13, v12 dst_sel:WORD_1 dst_unused:UNUSED_PAD src0_sel:DWORD src1_sel:DWORD
	v_lshlrev_b16_e32 v13, 8, v14
	v_or_b32_e32 v13, 1, v13
	v_or_b32_sdwa v12, v13, v12 dst_sel:DWORD dst_unused:UNUSED_PAD src0_sel:WORD_0 src1_sel:DWORD
	v_cndmask_b32_e64 v13, 0, 1, s[0:1]
	v_cmp_ne_u32_e32 vcc, 0, v0
	s_waitcnt lgkmcnt(0)
	s_barrier
	s_waitcnt lgkmcnt(0)
                                        ; implicit-def: $sgpr0_sgpr1
                                        ; implicit-def: $vgpr14
	s_and_saveexec_b64 s[2:3], vcc
	s_xor_b64 s[2:3], exec, s[2:3]
	s_cbranch_execz .LBB481_28
; %bb.27:
	v_add_u32_e32 v14, -8, v15
	ds_read_b64 v[22:23], v14
	s_mov_b32 s0, 0x3020104
	v_perm_b32 v14, v12, v12, s0
	s_or_b64 s[14:15], s[14:15], exec
	s_waitcnt lgkmcnt(0)
	v_cmp_ne_u64_e32 vcc, v[22:23], v[6:7]
	s_and_b64 s[0:1], vcc, exec
.LBB481_28:
	s_or_b64 exec, exec, s[2:3]
	s_branch .LBB481_33
.LBB481_29:
                                        ; implicit-def: $sgpr0_sgpr1
                                        ; implicit-def: $vgpr13
                                        ; implicit-def: $vgpr14
	s_cbranch_execz .LBB481_33
; %bb.30:
	v_cmp_gt_u32_e64 s[2:3], s7, v20
	v_cmp_ne_u64_e64 s[8:9], v[2:3], v[4:5]
	s_and_b64 s[2:3], s[2:3], s[8:9]
	v_cndmask_b32_e64 v12, 0, 1, s[2:3]
	v_cmp_gt_u32_e64 s[2:3], s7, v17
	v_cmp_ne_u64_e64 s[8:9], v[8:9], v[2:3]
	s_and_b64 s[2:3], s[2:3], s[8:9]
	v_cndmask_b32_e64 v13, 0, 1, s[2:3]
	;; [unrolled: 4-line block ×3, first 2 shown]
	v_lshlrev_b16_e32 v12, 8, v12
	v_cmp_gt_u32_e32 vcc, s7, v18
	v_cmp_ne_u64_e64 s[0:1], v[4:5], v[10:11]
	v_or_b32_sdwa v12, v13, v12 dst_sel:WORD_1 dst_unused:UNUSED_PAD src0_sel:DWORD src1_sel:DWORD
	v_lshlrev_b16_e32 v13, 8, v14
	v_or_b32_e32 v13, 1, v13
	s_and_b64 s[0:1], vcc, s[0:1]
	v_or_b32_sdwa v12, v13, v12 dst_sel:DWORD dst_unused:UNUSED_PAD src0_sel:WORD_0 src1_sel:DWORD
	v_cndmask_b32_e64 v13, 0, 1, s[0:1]
	v_cmp_ne_u32_e32 vcc, 0, v0
	s_waitcnt lgkmcnt(0)
	s_barrier
	s_waitcnt lgkmcnt(0)
                                        ; implicit-def: $sgpr0_sgpr1
                                        ; implicit-def: $vgpr14
	s_and_saveexec_b64 s[2:3], vcc
	s_cbranch_execz .LBB481_32
; %bb.31:
	v_add_u32_e32 v14, -8, v15
	ds_read_b64 v[22:23], v14
	s_mov_b32 s0, 0x3020104
	v_cmp_gt_u32_e32 vcc, s7, v16
	v_perm_b32 v14, v12, v12, s0
	s_or_b64 s[14:15], s[14:15], exec
	s_waitcnt lgkmcnt(0)
	v_cmp_ne_u64_e64 s[0:1], v[22:23], v[6:7]
	s_and_b64 s[0:1], vcc, s[0:1]
	s_and_b64 s[0:1], s[0:1], exec
.LBB481_32:
	s_or_b64 exec, exec, s[2:3]
.LBB481_33:
	s_and_saveexec_b64 s[2:3], s[14:15]
	s_cbranch_execz .LBB481_35
; %bb.34:
	v_cndmask_b32_e64 v12, 0, 1, s[0:1]
	v_lshrrev_b32_e32 v15, 24, v14
	s_movk_i32 s0, 0xff
	v_lshlrev_b16_e32 v15, 8, v15
	v_and_b32_sdwa v21, v14, s0 dst_sel:DWORD dst_unused:UNUSED_PAD src0_sel:WORD_1 src1_sel:DWORD
	v_or_b32_sdwa v15, v21, v15 dst_sel:WORD_1 dst_unused:UNUSED_PAD src0_sel:DWORD src1_sel:DWORD
	v_mov_b32_e32 v21, 8
	v_lshrrev_b32_sdwa v14, v21, v14 dst_sel:BYTE_1 dst_unused:UNUSED_PAD src0_sel:DWORD src1_sel:DWORD
	v_or_b32_e32 v12, v12, v14
	s_mov_b32 s0, 0xffff
	v_or_b32_sdwa v12, v12, v15 dst_sel:DWORD dst_unused:UNUSED_PAD src0_sel:WORD_0 src1_sel:DWORD
	v_and_b32_sdwa v13, s0, v13 dst_sel:DWORD dst_unused:UNUSED_PAD src0_sel:DWORD src1_sel:BYTE_0
.LBB481_35:
	s_or_b64 exec, exec, s[2:3]
	s_load_dwordx2 s[28:29], s[4:5], 0x60
	s_andn2_b64 vcc, exec, s[12:13]
	s_cbranch_vccnz .LBB481_37
; %bb.36:
	v_cmp_gt_u32_e32 vcc, s7, v16
	v_cndmask_b32_e32 v14, 0, v12, vcc
	v_and_b32_e32 v14, 0xffff00ff, v14
	v_cmp_gt_u32_e64 s[0:1], s7, v19
	v_cndmask_b32_e64 v14, v14, v12, s[0:1]
	v_lshrrev_b32_e32 v15, 24, v14
	s_mov_b32 s2, 0x40c0100
	v_perm_b32 v14, v15, v14, s2
	v_cmp_gt_u32_e64 s[2:3], s7, v17
	v_cmp_gt_u32_e64 s[8:9], s7, v20
	v_cndmask_b32_e64 v14, v14, v12, s[2:3]
	s_or_b64 s[2:3], s[8:9], s[2:3]
	s_or_b64 s[0:1], s[2:3], s[0:1]
	s_or_b64 vcc, s[0:1], vcc
	v_and_b32_e32 v14, 0xffffff, v14
	v_cndmask_b32_e32 v15, 0, v13, vcc
	v_cndmask_b32_e64 v14, v14, v12, s[8:9]
	v_and_b32_e32 v15, 0xffffff00, v15
	v_cmp_gt_u32_e32 vcc, s7, v18
	v_cndmask_b32_e32 v12, v14, v12, vcc
	v_cndmask_b32_e32 v13, v15, v13, vcc
	s_mov_b32 s0, 0x3020104
	v_and_b32_e32 v13, 0xff, v13
	v_perm_b32 v12, v12, v12, s0
.LBB481_37:
	v_and_b32_e32 v25, 0xff, v12
	v_bfe_u32 v27, v12, 8, 8
	v_bfe_u32 v28, v12, 16, 8
	v_alignbit_b32 v14, v13, v12, 24
	v_and_b32_e32 v29, 0xff, v14
	v_and_b32_e32 v14, 0xff, v13
	v_add3_u32 v15, v27, v25, v28
	v_add3_u32 v32, v15, v29, v14
	v_mbcnt_lo_u32_b32 v14, -1, 0
	v_mbcnt_hi_u32_b32 v30, -1, v14
	v_and_b32_e32 v14, 15, v30
	v_cmp_eq_u32_e64 s[14:15], 0, v14
	v_cmp_lt_u32_e64 s[12:13], 1, v14
	v_cmp_lt_u32_e64 s[10:11], 3, v14
	;; [unrolled: 1-line block ×3, first 2 shown]
	v_and_b32_e32 v14, 16, v30
	v_cmp_eq_u32_e64 s[18:19], 0, v14
	v_or_b32_e32 v14, 63, v0
	v_cmp_lt_u32_e64 s[0:1], 31, v30
	v_lshrrev_b32_e32 v31, 6, v0
	v_cmp_eq_u32_e64 s[2:3], v14, v0
	s_and_b64 vcc, exec, s[16:17]
	s_waitcnt lgkmcnt(0)
	s_barrier
	s_cbranch_vccz .LBB481_64
; %bb.38:
	v_mov_b32_dpp v14, v32 row_shr:1 row_mask:0xf bank_mask:0xf
	v_cndmask_b32_e64 v14, v14, 0, s[14:15]
	v_add_u32_e32 v14, v14, v32
	s_nop 1
	v_mov_b32_dpp v15, v14 row_shr:2 row_mask:0xf bank_mask:0xf
	v_cndmask_b32_e64 v15, 0, v15, s[12:13]
	v_add_u32_e32 v14, v14, v15
	s_nop 1
	;; [unrolled: 4-line block ×4, first 2 shown]
	v_mov_b32_dpp v15, v14 row_bcast:15 row_mask:0xf bank_mask:0xf
	v_cndmask_b32_e64 v15, v15, 0, s[18:19]
	v_add_u32_e32 v14, v14, v15
	s_nop 1
	v_mov_b32_dpp v15, v14 row_bcast:31 row_mask:0xf bank_mask:0xf
	v_cndmask_b32_e64 v15, 0, v15, s[0:1]
	v_add_u32_e32 v14, v14, v15
	s_and_saveexec_b64 s[16:17], s[2:3]
	s_cbranch_execz .LBB481_40
; %bb.39:
	v_lshlrev_b32_e32 v15, 2, v31
	ds_write_b32 v15, v14
.LBB481_40:
	s_or_b64 exec, exec, s[16:17]
	v_cmp_gt_u32_e32 vcc, 4, v0
	s_waitcnt lgkmcnt(0)
	s_barrier
	s_and_saveexec_b64 s[16:17], vcc
	s_cbranch_execz .LBB481_42
; %bb.41:
	v_lshlrev_b32_e32 v15, 2, v0
	ds_read_b32 v16, v15
	v_and_b32_e32 v17, 3, v30
	v_cmp_ne_u32_e32 vcc, 0, v17
	s_waitcnt lgkmcnt(0)
	v_mov_b32_dpp v18, v16 row_shr:1 row_mask:0xf bank_mask:0xf
	v_cndmask_b32_e32 v18, 0, v18, vcc
	v_add_u32_e32 v16, v18, v16
	v_cmp_lt_u32_e32 vcc, 1, v17
	s_nop 0
	v_mov_b32_dpp v18, v16 row_shr:2 row_mask:0xf bank_mask:0xf
	v_cndmask_b32_e32 v17, 0, v18, vcc
	v_add_u32_e32 v16, v16, v17
	ds_write_b32 v15, v16
.LBB481_42:
	s_or_b64 exec, exec, s[16:17]
	v_cmp_gt_u32_e32 vcc, 64, v0
	v_cmp_lt_u32_e64 s[16:17], 63, v0
	s_waitcnt lgkmcnt(0)
	s_barrier
	s_waitcnt lgkmcnt(0)
                                        ; implicit-def: $vgpr24
	s_and_saveexec_b64 s[30:31], s[16:17]
	s_cbranch_execz .LBB481_44
; %bb.43:
	v_lshl_add_u32 v15, v31, 2, -4
	ds_read_b32 v24, v15
	s_waitcnt lgkmcnt(0)
	v_add_u32_e32 v14, v24, v14
.LBB481_44:
	s_or_b64 exec, exec, s[30:31]
	v_add_u32_e32 v15, -1, v30
	v_and_b32_e32 v16, 64, v30
	v_cmp_lt_i32_e64 s[16:17], v15, v16
	v_cndmask_b32_e64 v15, v15, v30, s[16:17]
	v_lshlrev_b32_e32 v15, 2, v15
	ds_bpermute_b32 v26, v15, v14
	v_cmp_eq_u32_e64 s[16:17], 0, v30
	s_and_saveexec_b64 s[30:31], vcc
	s_cbranch_execz .LBB481_63
; %bb.45:
	v_mov_b32_e32 v21, 0
	ds_read_b32 v14, v21 offset:12
	s_and_saveexec_b64 s[34:35], s[16:17]
	s_cbranch_execz .LBB481_47
; %bb.46:
	s_add_i32 s36, s6, 64
	s_mov_b32 s37, 0
	s_lshl_b64 s[36:37], s[36:37], 3
	s_add_u32 s36, s28, s36
	v_mov_b32_e32 v15, 1
	s_addc_u32 s37, s29, s37
	s_waitcnt lgkmcnt(0)
	global_store_dwordx2 v21, v[14:15], s[36:37]
.LBB481_47:
	s_or_b64 exec, exec, s[34:35]
	v_xad_u32 v16, v30, -1, s6
	v_add_u32_e32 v20, 64, v16
	v_lshlrev_b64 v[18:19], 3, v[20:21]
	v_mov_b32_e32 v15, s29
	v_add_co_u32_e32 v22, vcc, s28, v18
	v_addc_co_u32_e32 v23, vcc, v15, v19, vcc
	global_load_dwordx2 v[18:19], v[22:23], off glc
	s_waitcnt vmcnt(0)
	v_cmp_eq_u16_sdwa s[36:37], v19, v21 src0_sel:BYTE_0 src1_sel:DWORD
	s_and_saveexec_b64 s[34:35], s[36:37]
	s_cbranch_execz .LBB481_51
; %bb.48:
	s_mov_b64 s[36:37], 0
	v_mov_b32_e32 v15, 0
.LBB481_49:                             ; =>This Inner Loop Header: Depth=1
	global_load_dwordx2 v[18:19], v[22:23], off glc
	s_waitcnt vmcnt(0)
	v_cmp_ne_u16_sdwa s[38:39], v19, v15 src0_sel:BYTE_0 src1_sel:DWORD
	s_or_b64 s[36:37], s[38:39], s[36:37]
	s_andn2_b64 exec, exec, s[36:37]
	s_cbranch_execnz .LBB481_49
; %bb.50:
	s_or_b64 exec, exec, s[36:37]
.LBB481_51:
	s_or_b64 exec, exec, s[34:35]
	v_and_b32_e32 v34, 63, v30
	v_mov_b32_e32 v33, 2
	v_cmp_ne_u32_e32 vcc, 63, v34
	v_cmp_eq_u16_sdwa s[34:35], v19, v33 src0_sel:BYTE_0 src1_sel:DWORD
	v_lshlrev_b64 v[20:21], v30, -1
	v_addc_co_u32_e32 v22, vcc, 0, v30, vcc
	v_and_b32_e32 v15, s35, v21
	v_lshlrev_b32_e32 v35, 2, v22
	v_or_b32_e32 v15, 0x80000000, v15
	ds_bpermute_b32 v22, v35, v18
	v_and_b32_e32 v17, s34, v20
	v_ffbl_b32_e32 v15, v15
	v_add_u32_e32 v15, 32, v15
	v_ffbl_b32_e32 v17, v17
	v_min_u32_e32 v15, v17, v15
	v_cmp_lt_u32_e32 vcc, v34, v15
	s_waitcnt lgkmcnt(0)
	v_cndmask_b32_e32 v17, 0, v22, vcc
	v_cmp_gt_u32_e32 vcc, 62, v34
	v_add_u32_e32 v17, v17, v18
	v_cndmask_b32_e64 v18, 0, 1, vcc
	v_lshlrev_b32_e32 v18, 1, v18
	v_add_lshl_u32 v36, v18, v30, 2
	ds_bpermute_b32 v18, v36, v17
	v_add_u32_e32 v37, 2, v34
	v_cmp_le_u32_e32 vcc, v37, v15
	v_add_u32_e32 v39, 4, v34
	v_add_u32_e32 v41, 8, v34
	s_waitcnt lgkmcnt(0)
	v_cndmask_b32_e32 v18, 0, v18, vcc
	v_cmp_gt_u32_e32 vcc, 60, v34
	v_add_u32_e32 v17, v17, v18
	v_cndmask_b32_e64 v18, 0, 1, vcc
	v_lshlrev_b32_e32 v18, 2, v18
	v_add_lshl_u32 v38, v18, v30, 2
	ds_bpermute_b32 v18, v38, v17
	v_cmp_le_u32_e32 vcc, v39, v15
	v_add_u32_e32 v43, 16, v34
	v_add_u32_e32 v45, 32, v34
	s_waitcnt lgkmcnt(0)
	v_cndmask_b32_e32 v18, 0, v18, vcc
	v_cmp_gt_u32_e32 vcc, 56, v34
	v_add_u32_e32 v17, v17, v18
	v_cndmask_b32_e64 v18, 0, 1, vcc
	v_lshlrev_b32_e32 v18, 3, v18
	v_add_lshl_u32 v40, v18, v30, 2
	ds_bpermute_b32 v18, v40, v17
	v_cmp_le_u32_e32 vcc, v41, v15
	s_waitcnt lgkmcnt(0)
	v_cndmask_b32_e32 v18, 0, v18, vcc
	v_cmp_gt_u32_e32 vcc, 48, v34
	v_add_u32_e32 v17, v17, v18
	v_cndmask_b32_e64 v18, 0, 1, vcc
	v_lshlrev_b32_e32 v18, 4, v18
	v_add_lshl_u32 v42, v18, v30, 2
	ds_bpermute_b32 v18, v42, v17
	v_cmp_le_u32_e32 vcc, v43, v15
	;; [unrolled: 9-line block ×3, first 2 shown]
	s_waitcnt lgkmcnt(0)
	v_cndmask_b32_e32 v15, 0, v18, vcc
	v_add_u32_e32 v18, v17, v15
	v_mov_b32_e32 v17, 0
	s_branch .LBB481_53
.LBB481_52:                             ;   in Loop: Header=BB481_53 Depth=1
	s_or_b64 exec, exec, s[34:35]
	v_cmp_eq_u16_sdwa s[34:35], v19, v33 src0_sel:BYTE_0 src1_sel:DWORD
	v_and_b32_e32 v22, s35, v21
	v_or_b32_e32 v22, 0x80000000, v22
	ds_bpermute_b32 v46, v35, v18
	v_and_b32_e32 v23, s34, v20
	v_ffbl_b32_e32 v22, v22
	v_add_u32_e32 v22, 32, v22
	v_ffbl_b32_e32 v23, v23
	v_min_u32_e32 v22, v23, v22
	v_cmp_lt_u32_e32 vcc, v34, v22
	s_waitcnt lgkmcnt(0)
	v_cndmask_b32_e32 v23, 0, v46, vcc
	v_add_u32_e32 v18, v23, v18
	ds_bpermute_b32 v23, v36, v18
	v_cmp_le_u32_e32 vcc, v37, v22
	v_subrev_u32_e32 v16, 64, v16
	s_waitcnt lgkmcnt(0)
	v_cndmask_b32_e32 v23, 0, v23, vcc
	v_add_u32_e32 v18, v18, v23
	ds_bpermute_b32 v23, v38, v18
	v_cmp_le_u32_e32 vcc, v39, v22
	s_waitcnt lgkmcnt(0)
	v_cndmask_b32_e32 v23, 0, v23, vcc
	v_add_u32_e32 v18, v18, v23
	ds_bpermute_b32 v23, v40, v18
	v_cmp_le_u32_e32 vcc, v41, v22
	s_waitcnt lgkmcnt(0)
	v_cndmask_b32_e32 v23, 0, v23, vcc
	v_add_u32_e32 v18, v18, v23
	ds_bpermute_b32 v23, v42, v18
	v_cmp_le_u32_e32 vcc, v43, v22
	s_waitcnt lgkmcnt(0)
	v_cndmask_b32_e32 v23, 0, v23, vcc
	v_add_u32_e32 v18, v18, v23
	ds_bpermute_b32 v23, v44, v18
	v_cmp_le_u32_e32 vcc, v45, v22
	s_waitcnt lgkmcnt(0)
	v_cndmask_b32_e32 v22, 0, v23, vcc
	v_add3_u32 v18, v22, v15, v18
.LBB481_53:                             ; =>This Loop Header: Depth=1
                                        ;     Child Loop BB481_56 Depth 2
	v_cmp_ne_u16_sdwa s[34:35], v19, v33 src0_sel:BYTE_0 src1_sel:DWORD
	v_cndmask_b32_e64 v15, 0, 1, s[34:35]
	;;#ASMSTART
	;;#ASMEND
	v_cmp_ne_u32_e32 vcc, 0, v15
	s_cmp_lg_u64 vcc, exec
	v_mov_b32_e32 v15, v18
	s_cbranch_scc1 .LBB481_58
; %bb.54:                               ;   in Loop: Header=BB481_53 Depth=1
	v_lshlrev_b64 v[18:19], 3, v[16:17]
	v_mov_b32_e32 v23, s29
	v_add_co_u32_e32 v22, vcc, s28, v18
	v_addc_co_u32_e32 v23, vcc, v23, v19, vcc
	global_load_dwordx2 v[18:19], v[22:23], off glc
	s_waitcnt vmcnt(0)
	v_cmp_eq_u16_sdwa s[36:37], v19, v17 src0_sel:BYTE_0 src1_sel:DWORD
	s_and_saveexec_b64 s[34:35], s[36:37]
	s_cbranch_execz .LBB481_52
; %bb.55:                               ;   in Loop: Header=BB481_53 Depth=1
	s_mov_b64 s[36:37], 0
.LBB481_56:                             ;   Parent Loop BB481_53 Depth=1
                                        ; =>  This Inner Loop Header: Depth=2
	global_load_dwordx2 v[18:19], v[22:23], off glc
	s_waitcnt vmcnt(0)
	v_cmp_ne_u16_sdwa s[38:39], v19, v17 src0_sel:BYTE_0 src1_sel:DWORD
	s_or_b64 s[36:37], s[38:39], s[36:37]
	s_andn2_b64 exec, exec, s[36:37]
	s_cbranch_execnz .LBB481_56
; %bb.57:                               ;   in Loop: Header=BB481_53 Depth=1
	s_or_b64 exec, exec, s[36:37]
	s_branch .LBB481_52
.LBB481_58:                             ;   in Loop: Header=BB481_53 Depth=1
                                        ; implicit-def: $vgpr18
                                        ; implicit-def: $vgpr19
	s_cbranch_execz .LBB481_53
; %bb.59:
	s_and_saveexec_b64 s[34:35], s[16:17]
	s_cbranch_execz .LBB481_61
; %bb.60:
	s_add_i32 s6, s6, 64
	s_mov_b32 s7, 0
	s_lshl_b64 s[6:7], s[6:7], 3
	s_add_u32 s6, s28, s6
	v_add_u32_e32 v16, v15, v14
	v_mov_b32_e32 v17, 2
	s_addc_u32 s7, s29, s7
	v_mov_b32_e32 v18, 0
	global_store_dwordx2 v18, v[16:17], s[6:7]
	ds_write_b64 v18, v[14:15] offset:10240
.LBB481_61:
	s_or_b64 exec, exec, s[34:35]
	v_cmp_eq_u32_e32 vcc, 0, v0
	s_and_b64 exec, exec, vcc
	s_cbranch_execz .LBB481_63
; %bb.62:
	v_mov_b32_e32 v14, 0
	ds_write_b32 v14, v15 offset:12
.LBB481_63:
	s_or_b64 exec, exec, s[30:31]
	v_mov_b32_e32 v14, 0
	s_waitcnt lgkmcnt(0)
	s_barrier
	ds_read_b32 v15, v14 offset:12
	v_cndmask_b32_e64 v16, v26, v24, s[16:17]
	v_cmp_ne_u32_e32 vcc, 0, v0
	v_cndmask_b32_e32 v16, 0, v16, vcc
	s_waitcnt lgkmcnt(0)
	v_add_u32_e32 v26, v15, v16
	s_barrier
	ds_read_b64 v[14:15], v14 offset:10240
	v_add_u32_e32 v24, v26, v25
	v_add_u32_e32 v22, v24, v27
	;; [unrolled: 1-line block ×4, first 2 shown]
	s_load_dwordx2 s[4:5], s[4:5], 0x28
	v_lshrrev_b64 v[16:17], 24, v[12:13]
	s_branch .LBB481_74
.LBB481_64:
                                        ; implicit-def: $vgpr15
                                        ; implicit-def: $vgpr18
                                        ; implicit-def: $vgpr20
                                        ; implicit-def: $vgpr22
                                        ; implicit-def: $vgpr24
                                        ; implicit-def: $vgpr26
	s_load_dwordx2 s[4:5], s[4:5], 0x28
	v_lshrrev_b64 v[16:17], 24, v[12:13]
	s_cbranch_execz .LBB481_74
; %bb.65:
	s_waitcnt lgkmcnt(0)
	v_mov_b32_dpp v14, v32 row_shr:1 row_mask:0xf bank_mask:0xf
	v_cndmask_b32_e64 v14, v14, 0, s[14:15]
	v_add_u32_e32 v14, v14, v32
	s_nop 1
	v_mov_b32_dpp v15, v14 row_shr:2 row_mask:0xf bank_mask:0xf
	v_cndmask_b32_e64 v15, 0, v15, s[12:13]
	v_add_u32_e32 v14, v14, v15
	s_nop 1
	;; [unrolled: 4-line block ×4, first 2 shown]
	v_mov_b32_dpp v15, v14 row_bcast:15 row_mask:0xf bank_mask:0xf
	v_cndmask_b32_e64 v15, v15, 0, s[18:19]
	v_add_u32_e32 v14, v14, v15
	s_nop 1
	v_mov_b32_dpp v15, v14 row_bcast:31 row_mask:0xf bank_mask:0xf
	v_cndmask_b32_e64 v15, 0, v15, s[0:1]
	v_add_u32_e32 v14, v14, v15
	s_and_saveexec_b64 s[0:1], s[2:3]
	s_cbranch_execz .LBB481_67
; %bb.66:
	v_lshlrev_b32_e32 v15, 2, v31
	ds_write_b32 v15, v14
.LBB481_67:
	s_or_b64 exec, exec, s[0:1]
	v_cmp_gt_u32_e32 vcc, 4, v0
	s_waitcnt lgkmcnt(0)
	s_barrier
	s_and_saveexec_b64 s[0:1], vcc
	s_cbranch_execz .LBB481_69
; %bb.68:
	s_movk_i32 s2, 0xffdc
	v_mad_i32_i24 v1, v0, s2, v1
	ds_read_b32 v15, v1
	v_and_b32_e32 v17, 3, v30
	v_cmp_ne_u32_e32 vcc, 0, v17
	s_waitcnt lgkmcnt(0)
	v_mov_b32_dpp v18, v15 row_shr:1 row_mask:0xf bank_mask:0xf
	v_cndmask_b32_e32 v18, 0, v18, vcc
	v_add_u32_e32 v15, v18, v15
	v_cmp_lt_u32_e32 vcc, 1, v17
	s_nop 0
	v_mov_b32_dpp v18, v15 row_shr:2 row_mask:0xf bank_mask:0xf
	v_cndmask_b32_e32 v17, 0, v18, vcc
	v_add_u32_e32 v15, v15, v17
	ds_write_b32 v1, v15
.LBB481_69:
	s_or_b64 exec, exec, s[0:1]
	v_cmp_lt_u32_e32 vcc, 63, v0
	v_mov_b32_e32 v15, 0
	v_mov_b32_e32 v1, 0
	s_waitcnt lgkmcnt(0)
	s_barrier
	s_and_saveexec_b64 s[0:1], vcc
	s_cbranch_execz .LBB481_71
; %bb.70:
	v_lshl_add_u32 v1, v31, 2, -4
	ds_read_b32 v1, v1
.LBB481_71:
	s_or_b64 exec, exec, s[0:1]
	v_add_u32_e32 v17, -1, v30
	v_and_b32_e32 v18, 64, v30
	v_cmp_lt_i32_e32 vcc, v17, v18
	v_cndmask_b32_e32 v17, v17, v30, vcc
	s_waitcnt lgkmcnt(0)
	v_add_u32_e32 v14, v1, v14
	v_lshlrev_b32_e32 v17, 2, v17
	ds_bpermute_b32 v17, v17, v14
	ds_read_b32 v14, v15 offset:12
	v_cmp_eq_u32_e32 vcc, 0, v0
	s_and_saveexec_b64 s[0:1], vcc
	s_cbranch_execz .LBB481_73
; %bb.72:
	v_mov_b32_e32 v18, 0
	v_mov_b32_e32 v15, 2
	s_waitcnt lgkmcnt(0)
	global_store_dwordx2 v18, v[14:15], s[28:29] offset:512
.LBB481_73:
	s_or_b64 exec, exec, s[0:1]
	v_cmp_eq_u32_e64 s[0:1], 0, v30
	s_waitcnt lgkmcnt(1)
	v_cndmask_b32_e64 v1, v17, v1, s[0:1]
	v_cndmask_b32_e64 v26, v1, 0, vcc
	v_add_u32_e32 v24, v26, v25
	v_add_u32_e32 v22, v24, v27
	;; [unrolled: 1-line block ×3, first 2 shown]
	v_mov_b32_e32 v15, 0
	v_add_u32_e32 v18, v20, v29
	s_waitcnt lgkmcnt(0)
	s_barrier
.LBB481_74:
	s_movk_i32 s0, 0x101
	s_waitcnt lgkmcnt(0)
	v_cmp_gt_u32_e32 vcc, s0, v14
	v_lshrrev_b32_e32 v1, 8, v12
	s_mov_b64 s[0:1], -1
	s_cbranch_vccnz .LBB481_78
; %bb.75:
	s_and_b64 vcc, exec, s[0:1]
	s_cbranch_vccnz .LBB481_94
.LBB481_76:
	v_cmp_eq_u32_e32 vcc, 0, v0
	s_and_b64 s[0:1], vcc, s[24:25]
	s_and_saveexec_b64 s[2:3], s[0:1]
	s_cbranch_execnz .LBB481_108
.LBB481_77:
	s_endpgm
.LBB481_78:
	v_add_u32_e32 v17, v15, v14
	v_cmp_lt_u32_e32 vcc, v26, v17
	s_or_b64 s[2:3], s[26:27], vcc
	s_and_saveexec_b64 s[0:1], s[2:3]
	s_cbranch_execz .LBB481_81
; %bb.79:
	v_and_b32_e32 v19, 1, v12
	v_cmp_eq_u32_e32 vcc, 1, v19
	s_and_b64 exec, exec, vcc
	s_cbranch_execz .LBB481_81
; %bb.80:
	s_lshl_b64 s[2:3], s[22:23], 3
	s_add_u32 s2, s4, s2
	v_mov_b32_e32 v27, 0
	s_addc_u32 s3, s5, s3
	v_lshlrev_b64 v[28:29], 3, v[26:27]
	v_mov_b32_e32 v19, s3
	v_add_co_u32_e32 v28, vcc, s2, v28
	v_addc_co_u32_e32 v29, vcc, v19, v29, vcc
	global_store_dwordx2 v[28:29], v[6:7], off
.LBB481_81:
	s_or_b64 exec, exec, s[0:1]
	v_cmp_lt_u32_e32 vcc, v24, v17
	s_or_b64 s[2:3], s[26:27], vcc
	s_and_saveexec_b64 s[0:1], s[2:3]
	s_cbranch_execz .LBB481_84
; %bb.82:
	v_and_b32_e32 v19, 1, v1
	v_cmp_eq_u32_e32 vcc, 1, v19
	s_and_b64 exec, exec, vcc
	s_cbranch_execz .LBB481_84
; %bb.83:
	s_lshl_b64 s[2:3], s[22:23], 3
	s_add_u32 s2, s4, s2
	v_mov_b32_e32 v25, 0
	s_addc_u32 s3, s5, s3
	v_lshlrev_b64 v[28:29], 3, v[24:25]
	v_mov_b32_e32 v19, s3
	v_add_co_u32_e32 v28, vcc, s2, v28
	v_addc_co_u32_e32 v29, vcc, v19, v29, vcc
	global_store_dwordx2 v[28:29], v[8:9], off
.LBB481_84:
	s_or_b64 exec, exec, s[0:1]
	v_cmp_lt_u32_e32 vcc, v22, v17
	s_or_b64 s[2:3], s[26:27], vcc
	s_and_saveexec_b64 s[0:1], s[2:3]
	s_cbranch_execz .LBB481_87
; %bb.85:
	v_mov_b32_e32 v19, 1
	v_and_b32_sdwa v19, v19, v12 dst_sel:DWORD dst_unused:UNUSED_PAD src0_sel:DWORD src1_sel:WORD_1
	v_cmp_eq_u32_e32 vcc, 1, v19
	s_and_b64 exec, exec, vcc
	s_cbranch_execz .LBB481_87
; %bb.86:
	s_lshl_b64 s[2:3], s[22:23], 3
	s_add_u32 s2, s4, s2
	v_mov_b32_e32 v23, 0
	s_addc_u32 s3, s5, s3
	v_lshlrev_b64 v[28:29], 3, v[22:23]
	v_mov_b32_e32 v19, s3
	v_add_co_u32_e32 v28, vcc, s2, v28
	v_addc_co_u32_e32 v29, vcc, v19, v29, vcc
	global_store_dwordx2 v[28:29], v[2:3], off
.LBB481_87:
	s_or_b64 exec, exec, s[0:1]
	v_cmp_lt_u32_e32 vcc, v20, v17
	s_or_b64 s[2:3], s[26:27], vcc
	s_and_saveexec_b64 s[0:1], s[2:3]
	s_cbranch_execz .LBB481_90
; %bb.88:
	v_and_b32_e32 v19, 1, v16
	v_cmp_eq_u32_e32 vcc, 1, v19
	s_and_b64 exec, exec, vcc
	s_cbranch_execz .LBB481_90
; %bb.89:
	s_lshl_b64 s[2:3], s[22:23], 3
	s_add_u32 s2, s4, s2
	v_mov_b32_e32 v21, 0
	s_addc_u32 s3, s5, s3
	v_lshlrev_b64 v[28:29], 3, v[20:21]
	v_mov_b32_e32 v19, s3
	v_add_co_u32_e32 v28, vcc, s2, v28
	v_addc_co_u32_e32 v29, vcc, v19, v29, vcc
	global_store_dwordx2 v[28:29], v[4:5], off
.LBB481_90:
	s_or_b64 exec, exec, s[0:1]
	v_cmp_lt_u32_e32 vcc, v18, v17
	s_or_b64 s[2:3], s[26:27], vcc
	s_and_saveexec_b64 s[0:1], s[2:3]
	s_cbranch_execz .LBB481_93
; %bb.91:
	v_and_b32_e32 v17, 1, v13
	v_cmp_eq_u32_e32 vcc, 1, v17
	s_and_b64 exec, exec, vcc
	s_cbranch_execz .LBB481_93
; %bb.92:
	s_lshl_b64 s[2:3], s[22:23], 3
	s_add_u32 s2, s4, s2
	v_mov_b32_e32 v19, 0
	s_addc_u32 s3, s5, s3
	v_lshlrev_b64 v[28:29], 3, v[18:19]
	v_mov_b32_e32 v17, s3
	v_add_co_u32_e32 v28, vcc, s2, v28
	v_addc_co_u32_e32 v29, vcc, v17, v29, vcc
	global_store_dwordx2 v[28:29], v[10:11], off
.LBB481_93:
	s_or_b64 exec, exec, s[0:1]
	s_branch .LBB481_76
.LBB481_94:
	v_and_b32_e32 v17, 1, v12
	v_cmp_eq_u32_e32 vcc, 1, v17
	s_and_saveexec_b64 s[0:1], vcc
	s_cbranch_execz .LBB481_96
; %bb.95:
	v_sub_u32_e32 v17, v26, v15
	v_lshlrev_b32_e32 v17, 3, v17
	ds_write_b64 v17, v[6:7]
.LBB481_96:
	s_or_b64 exec, exec, s[0:1]
	v_and_b32_e32 v1, 1, v1
	v_cmp_eq_u32_e32 vcc, 1, v1
	s_and_saveexec_b64 s[0:1], vcc
	s_cbranch_execz .LBB481_98
; %bb.97:
	v_sub_u32_e32 v1, v24, v15
	v_lshlrev_b32_e32 v1, 3, v1
	ds_write_b64 v1, v[8:9]
.LBB481_98:
	s_or_b64 exec, exec, s[0:1]
	v_mov_b32_e32 v1, 1
	v_and_b32_sdwa v1, v1, v12 dst_sel:DWORD dst_unused:UNUSED_PAD src0_sel:DWORD src1_sel:WORD_1
	v_cmp_eq_u32_e32 vcc, 1, v1
	s_and_saveexec_b64 s[0:1], vcc
	s_cbranch_execz .LBB481_100
; %bb.99:
	v_sub_u32_e32 v1, v22, v15
	v_lshlrev_b32_e32 v1, 3, v1
	ds_write_b64 v1, v[2:3]
.LBB481_100:
	s_or_b64 exec, exec, s[0:1]
	v_and_b32_e32 v1, 1, v16
	v_cmp_eq_u32_e32 vcc, 1, v1
	s_and_saveexec_b64 s[0:1], vcc
	s_cbranch_execz .LBB481_102
; %bb.101:
	v_sub_u32_e32 v1, v20, v15
	v_lshlrev_b32_e32 v1, 3, v1
	ds_write_b64 v1, v[4:5]
.LBB481_102:
	s_or_b64 exec, exec, s[0:1]
	v_and_b32_e32 v1, 1, v13
	v_cmp_eq_u32_e32 vcc, 1, v1
	s_and_saveexec_b64 s[0:1], vcc
	s_cbranch_execz .LBB481_104
; %bb.103:
	v_sub_u32_e32 v1, v18, v15
	v_lshlrev_b32_e32 v1, 3, v1
	ds_write_b64 v1, v[10:11]
.LBB481_104:
	s_or_b64 exec, exec, s[0:1]
	v_cmp_lt_u32_e32 vcc, v0, v14
	s_waitcnt lgkmcnt(0)
	s_barrier
	s_and_saveexec_b64 s[0:1], vcc
	s_cbranch_execz .LBB481_107
; %bb.105:
	v_mov_b32_e32 v3, 0
	v_mov_b32_e32 v2, v15
	v_lshlrev_b64 v[4:5], 3, v[2:3]
	v_mov_b32_e32 v1, s5
	v_add_co_u32_e32 v2, vcc, s4, v4
	v_addc_co_u32_e32 v4, vcc, v1, v5, vcc
	s_lshl_b64 s[2:3], s[22:23], 3
	v_mov_b32_e32 v5, s3
	v_add_co_u32_e32 v1, vcc, s2, v2
	v_addc_co_u32_e32 v4, vcc, v4, v5, vcc
	v_lshlrev_b32_e32 v5, 3, v0
	s_mov_b64 s[2:3], 0
	v_mov_b32_e32 v2, v0
.LBB481_106:                            ; =>This Inner Loop Header: Depth=1
	ds_read_b64 v[6:7], v5
	v_lshlrev_b64 v[8:9], 3, v[2:3]
	v_add_co_u32_e32 v8, vcc, v1, v8
	v_add_u32_e32 v2, 0x100, v2
	v_addc_co_u32_e32 v9, vcc, v4, v9, vcc
	v_cmp_ge_u32_e32 vcc, v2, v14
	v_add_u32_e32 v5, 0x800, v5
	s_or_b64 s[2:3], vcc, s[2:3]
	s_waitcnt lgkmcnt(0)
	global_store_dwordx2 v[8:9], v[6:7], off
	s_andn2_b64 exec, exec, s[2:3]
	s_cbranch_execnz .LBB481_106
.LBB481_107:
	s_or_b64 exec, exec, s[0:1]
	v_cmp_eq_u32_e32 vcc, 0, v0
	s_and_b64 s[0:1], vcc, s[24:25]
	s_and_saveexec_b64 s[2:3], s[0:1]
	s_cbranch_execz .LBB481_77
.LBB481_108:
	v_mov_b32_e32 v0, s23
	v_add_co_u32_e32 v1, vcc, s22, v14
	v_addc_co_u32_e32 v3, vcc, 0, v0, vcc
	v_add_co_u32_e32 v0, vcc, v1, v15
	v_mov_b32_e32 v2, 0
	v_addc_co_u32_e32 v1, vcc, 0, v3, vcc
	global_store_dwordx2 v2, v[0:1], s[20:21]
	s_endpgm
	.section	.rodata,"a",@progbits
	.p2align	6, 0x0
	.amdhsa_kernel _ZN7rocprim17ROCPRIM_400000_NS6detail17trampoline_kernelINS0_14default_configENS1_25partition_config_selectorILNS1_17partition_subalgoE8ElNS0_10empty_typeEbEEZZNS1_14partition_implILS5_8ELb0ES3_jPKlPS6_PKS6_NS0_5tupleIJPlS6_EEENSE_IJSB_SB_EEENS0_18inequality_wrapperIN6hipcub16HIPCUB_304000_NS8EqualityEEESF_JS6_EEE10hipError_tPvRmT3_T4_T5_T6_T7_T9_mT8_P12ihipStream_tbDpT10_ENKUlT_T0_E_clISt17integral_constantIbLb0EES16_EEDaS11_S12_EUlS11_E_NS1_11comp_targetILNS1_3genE4ELNS1_11target_archE910ELNS1_3gpuE8ELNS1_3repE0EEENS1_30default_config_static_selectorELNS0_4arch9wavefront6targetE1EEEvT1_
		.amdhsa_group_segment_fixed_size 10248
		.amdhsa_private_segment_fixed_size 0
		.amdhsa_kernarg_size 112
		.amdhsa_user_sgpr_count 6
		.amdhsa_user_sgpr_private_segment_buffer 1
		.amdhsa_user_sgpr_dispatch_ptr 0
		.amdhsa_user_sgpr_queue_ptr 0
		.amdhsa_user_sgpr_kernarg_segment_ptr 1
		.amdhsa_user_sgpr_dispatch_id 0
		.amdhsa_user_sgpr_flat_scratch_init 0
		.amdhsa_user_sgpr_kernarg_preload_length 0
		.amdhsa_user_sgpr_kernarg_preload_offset 0
		.amdhsa_user_sgpr_private_segment_size 0
		.amdhsa_uses_dynamic_stack 0
		.amdhsa_system_sgpr_private_segment_wavefront_offset 0
		.amdhsa_system_sgpr_workgroup_id_x 1
		.amdhsa_system_sgpr_workgroup_id_y 0
		.amdhsa_system_sgpr_workgroup_id_z 0
		.amdhsa_system_sgpr_workgroup_info 0
		.amdhsa_system_vgpr_workitem_id 0
		.amdhsa_next_free_vgpr 47
		.amdhsa_next_free_sgpr 40
		.amdhsa_accum_offset 48
		.amdhsa_reserve_vcc 1
		.amdhsa_reserve_flat_scratch 0
		.amdhsa_float_round_mode_32 0
		.amdhsa_float_round_mode_16_64 0
		.amdhsa_float_denorm_mode_32 3
		.amdhsa_float_denorm_mode_16_64 3
		.amdhsa_dx10_clamp 1
		.amdhsa_ieee_mode 1
		.amdhsa_fp16_overflow 0
		.amdhsa_tg_split 0
		.amdhsa_exception_fp_ieee_invalid_op 0
		.amdhsa_exception_fp_denorm_src 0
		.amdhsa_exception_fp_ieee_div_zero 0
		.amdhsa_exception_fp_ieee_overflow 0
		.amdhsa_exception_fp_ieee_underflow 0
		.amdhsa_exception_fp_ieee_inexact 0
		.amdhsa_exception_int_div_zero 0
	.end_amdhsa_kernel
	.section	.text._ZN7rocprim17ROCPRIM_400000_NS6detail17trampoline_kernelINS0_14default_configENS1_25partition_config_selectorILNS1_17partition_subalgoE8ElNS0_10empty_typeEbEEZZNS1_14partition_implILS5_8ELb0ES3_jPKlPS6_PKS6_NS0_5tupleIJPlS6_EEENSE_IJSB_SB_EEENS0_18inequality_wrapperIN6hipcub16HIPCUB_304000_NS8EqualityEEESF_JS6_EEE10hipError_tPvRmT3_T4_T5_T6_T7_T9_mT8_P12ihipStream_tbDpT10_ENKUlT_T0_E_clISt17integral_constantIbLb0EES16_EEDaS11_S12_EUlS11_E_NS1_11comp_targetILNS1_3genE4ELNS1_11target_archE910ELNS1_3gpuE8ELNS1_3repE0EEENS1_30default_config_static_selectorELNS0_4arch9wavefront6targetE1EEEvT1_,"axG",@progbits,_ZN7rocprim17ROCPRIM_400000_NS6detail17trampoline_kernelINS0_14default_configENS1_25partition_config_selectorILNS1_17partition_subalgoE8ElNS0_10empty_typeEbEEZZNS1_14partition_implILS5_8ELb0ES3_jPKlPS6_PKS6_NS0_5tupleIJPlS6_EEENSE_IJSB_SB_EEENS0_18inequality_wrapperIN6hipcub16HIPCUB_304000_NS8EqualityEEESF_JS6_EEE10hipError_tPvRmT3_T4_T5_T6_T7_T9_mT8_P12ihipStream_tbDpT10_ENKUlT_T0_E_clISt17integral_constantIbLb0EES16_EEDaS11_S12_EUlS11_E_NS1_11comp_targetILNS1_3genE4ELNS1_11target_archE910ELNS1_3gpuE8ELNS1_3repE0EEENS1_30default_config_static_selectorELNS0_4arch9wavefront6targetE1EEEvT1_,comdat
.Lfunc_end481:
	.size	_ZN7rocprim17ROCPRIM_400000_NS6detail17trampoline_kernelINS0_14default_configENS1_25partition_config_selectorILNS1_17partition_subalgoE8ElNS0_10empty_typeEbEEZZNS1_14partition_implILS5_8ELb0ES3_jPKlPS6_PKS6_NS0_5tupleIJPlS6_EEENSE_IJSB_SB_EEENS0_18inequality_wrapperIN6hipcub16HIPCUB_304000_NS8EqualityEEESF_JS6_EEE10hipError_tPvRmT3_T4_T5_T6_T7_T9_mT8_P12ihipStream_tbDpT10_ENKUlT_T0_E_clISt17integral_constantIbLb0EES16_EEDaS11_S12_EUlS11_E_NS1_11comp_targetILNS1_3genE4ELNS1_11target_archE910ELNS1_3gpuE8ELNS1_3repE0EEENS1_30default_config_static_selectorELNS0_4arch9wavefront6targetE1EEEvT1_, .Lfunc_end481-_ZN7rocprim17ROCPRIM_400000_NS6detail17trampoline_kernelINS0_14default_configENS1_25partition_config_selectorILNS1_17partition_subalgoE8ElNS0_10empty_typeEbEEZZNS1_14partition_implILS5_8ELb0ES3_jPKlPS6_PKS6_NS0_5tupleIJPlS6_EEENSE_IJSB_SB_EEENS0_18inequality_wrapperIN6hipcub16HIPCUB_304000_NS8EqualityEEESF_JS6_EEE10hipError_tPvRmT3_T4_T5_T6_T7_T9_mT8_P12ihipStream_tbDpT10_ENKUlT_T0_E_clISt17integral_constantIbLb0EES16_EEDaS11_S12_EUlS11_E_NS1_11comp_targetILNS1_3genE4ELNS1_11target_archE910ELNS1_3gpuE8ELNS1_3repE0EEENS1_30default_config_static_selectorELNS0_4arch9wavefront6targetE1EEEvT1_
                                        ; -- End function
	.section	.AMDGPU.csdata,"",@progbits
; Kernel info:
; codeLenInByte = 4552
; NumSgprs: 44
; NumVgprs: 47
; NumAgprs: 0
; TotalNumVgprs: 47
; ScratchSize: 0
; MemoryBound: 0
; FloatMode: 240
; IeeeMode: 1
; LDSByteSize: 10248 bytes/workgroup (compile time only)
; SGPRBlocks: 5
; VGPRBlocks: 5
; NumSGPRsForWavesPerEU: 44
; NumVGPRsForWavesPerEU: 47
; AccumOffset: 48
; Occupancy: 6
; WaveLimiterHint : 1
; COMPUTE_PGM_RSRC2:SCRATCH_EN: 0
; COMPUTE_PGM_RSRC2:USER_SGPR: 6
; COMPUTE_PGM_RSRC2:TRAP_HANDLER: 0
; COMPUTE_PGM_RSRC2:TGID_X_EN: 1
; COMPUTE_PGM_RSRC2:TGID_Y_EN: 0
; COMPUTE_PGM_RSRC2:TGID_Z_EN: 0
; COMPUTE_PGM_RSRC2:TIDIG_COMP_CNT: 0
; COMPUTE_PGM_RSRC3_GFX90A:ACCUM_OFFSET: 11
; COMPUTE_PGM_RSRC3_GFX90A:TG_SPLIT: 0
	.section	.text._ZN7rocprim17ROCPRIM_400000_NS6detail17trampoline_kernelINS0_14default_configENS1_25partition_config_selectorILNS1_17partition_subalgoE8ElNS0_10empty_typeEbEEZZNS1_14partition_implILS5_8ELb0ES3_jPKlPS6_PKS6_NS0_5tupleIJPlS6_EEENSE_IJSB_SB_EEENS0_18inequality_wrapperIN6hipcub16HIPCUB_304000_NS8EqualityEEESF_JS6_EEE10hipError_tPvRmT3_T4_T5_T6_T7_T9_mT8_P12ihipStream_tbDpT10_ENKUlT_T0_E_clISt17integral_constantIbLb0EES16_EEDaS11_S12_EUlS11_E_NS1_11comp_targetILNS1_3genE3ELNS1_11target_archE908ELNS1_3gpuE7ELNS1_3repE0EEENS1_30default_config_static_selectorELNS0_4arch9wavefront6targetE1EEEvT1_,"axG",@progbits,_ZN7rocprim17ROCPRIM_400000_NS6detail17trampoline_kernelINS0_14default_configENS1_25partition_config_selectorILNS1_17partition_subalgoE8ElNS0_10empty_typeEbEEZZNS1_14partition_implILS5_8ELb0ES3_jPKlPS6_PKS6_NS0_5tupleIJPlS6_EEENSE_IJSB_SB_EEENS0_18inequality_wrapperIN6hipcub16HIPCUB_304000_NS8EqualityEEESF_JS6_EEE10hipError_tPvRmT3_T4_T5_T6_T7_T9_mT8_P12ihipStream_tbDpT10_ENKUlT_T0_E_clISt17integral_constantIbLb0EES16_EEDaS11_S12_EUlS11_E_NS1_11comp_targetILNS1_3genE3ELNS1_11target_archE908ELNS1_3gpuE7ELNS1_3repE0EEENS1_30default_config_static_selectorELNS0_4arch9wavefront6targetE1EEEvT1_,comdat
	.protected	_ZN7rocprim17ROCPRIM_400000_NS6detail17trampoline_kernelINS0_14default_configENS1_25partition_config_selectorILNS1_17partition_subalgoE8ElNS0_10empty_typeEbEEZZNS1_14partition_implILS5_8ELb0ES3_jPKlPS6_PKS6_NS0_5tupleIJPlS6_EEENSE_IJSB_SB_EEENS0_18inequality_wrapperIN6hipcub16HIPCUB_304000_NS8EqualityEEESF_JS6_EEE10hipError_tPvRmT3_T4_T5_T6_T7_T9_mT8_P12ihipStream_tbDpT10_ENKUlT_T0_E_clISt17integral_constantIbLb0EES16_EEDaS11_S12_EUlS11_E_NS1_11comp_targetILNS1_3genE3ELNS1_11target_archE908ELNS1_3gpuE7ELNS1_3repE0EEENS1_30default_config_static_selectorELNS0_4arch9wavefront6targetE1EEEvT1_ ; -- Begin function _ZN7rocprim17ROCPRIM_400000_NS6detail17trampoline_kernelINS0_14default_configENS1_25partition_config_selectorILNS1_17partition_subalgoE8ElNS0_10empty_typeEbEEZZNS1_14partition_implILS5_8ELb0ES3_jPKlPS6_PKS6_NS0_5tupleIJPlS6_EEENSE_IJSB_SB_EEENS0_18inequality_wrapperIN6hipcub16HIPCUB_304000_NS8EqualityEEESF_JS6_EEE10hipError_tPvRmT3_T4_T5_T6_T7_T9_mT8_P12ihipStream_tbDpT10_ENKUlT_T0_E_clISt17integral_constantIbLb0EES16_EEDaS11_S12_EUlS11_E_NS1_11comp_targetILNS1_3genE3ELNS1_11target_archE908ELNS1_3gpuE7ELNS1_3repE0EEENS1_30default_config_static_selectorELNS0_4arch9wavefront6targetE1EEEvT1_
	.globl	_ZN7rocprim17ROCPRIM_400000_NS6detail17trampoline_kernelINS0_14default_configENS1_25partition_config_selectorILNS1_17partition_subalgoE8ElNS0_10empty_typeEbEEZZNS1_14partition_implILS5_8ELb0ES3_jPKlPS6_PKS6_NS0_5tupleIJPlS6_EEENSE_IJSB_SB_EEENS0_18inequality_wrapperIN6hipcub16HIPCUB_304000_NS8EqualityEEESF_JS6_EEE10hipError_tPvRmT3_T4_T5_T6_T7_T9_mT8_P12ihipStream_tbDpT10_ENKUlT_T0_E_clISt17integral_constantIbLb0EES16_EEDaS11_S12_EUlS11_E_NS1_11comp_targetILNS1_3genE3ELNS1_11target_archE908ELNS1_3gpuE7ELNS1_3repE0EEENS1_30default_config_static_selectorELNS0_4arch9wavefront6targetE1EEEvT1_
	.p2align	8
	.type	_ZN7rocprim17ROCPRIM_400000_NS6detail17trampoline_kernelINS0_14default_configENS1_25partition_config_selectorILNS1_17partition_subalgoE8ElNS0_10empty_typeEbEEZZNS1_14partition_implILS5_8ELb0ES3_jPKlPS6_PKS6_NS0_5tupleIJPlS6_EEENSE_IJSB_SB_EEENS0_18inequality_wrapperIN6hipcub16HIPCUB_304000_NS8EqualityEEESF_JS6_EEE10hipError_tPvRmT3_T4_T5_T6_T7_T9_mT8_P12ihipStream_tbDpT10_ENKUlT_T0_E_clISt17integral_constantIbLb0EES16_EEDaS11_S12_EUlS11_E_NS1_11comp_targetILNS1_3genE3ELNS1_11target_archE908ELNS1_3gpuE7ELNS1_3repE0EEENS1_30default_config_static_selectorELNS0_4arch9wavefront6targetE1EEEvT1_,@function
_ZN7rocprim17ROCPRIM_400000_NS6detail17trampoline_kernelINS0_14default_configENS1_25partition_config_selectorILNS1_17partition_subalgoE8ElNS0_10empty_typeEbEEZZNS1_14partition_implILS5_8ELb0ES3_jPKlPS6_PKS6_NS0_5tupleIJPlS6_EEENSE_IJSB_SB_EEENS0_18inequality_wrapperIN6hipcub16HIPCUB_304000_NS8EqualityEEESF_JS6_EEE10hipError_tPvRmT3_T4_T5_T6_T7_T9_mT8_P12ihipStream_tbDpT10_ENKUlT_T0_E_clISt17integral_constantIbLb0EES16_EEDaS11_S12_EUlS11_E_NS1_11comp_targetILNS1_3genE3ELNS1_11target_archE908ELNS1_3gpuE7ELNS1_3repE0EEENS1_30default_config_static_selectorELNS0_4arch9wavefront6targetE1EEEvT1_: ; @_ZN7rocprim17ROCPRIM_400000_NS6detail17trampoline_kernelINS0_14default_configENS1_25partition_config_selectorILNS1_17partition_subalgoE8ElNS0_10empty_typeEbEEZZNS1_14partition_implILS5_8ELb0ES3_jPKlPS6_PKS6_NS0_5tupleIJPlS6_EEENSE_IJSB_SB_EEENS0_18inequality_wrapperIN6hipcub16HIPCUB_304000_NS8EqualityEEESF_JS6_EEE10hipError_tPvRmT3_T4_T5_T6_T7_T9_mT8_P12ihipStream_tbDpT10_ENKUlT_T0_E_clISt17integral_constantIbLb0EES16_EEDaS11_S12_EUlS11_E_NS1_11comp_targetILNS1_3genE3ELNS1_11target_archE908ELNS1_3gpuE7ELNS1_3repE0EEENS1_30default_config_static_selectorELNS0_4arch9wavefront6targetE1EEEvT1_
; %bb.0:
	.section	.rodata,"a",@progbits
	.p2align	6, 0x0
	.amdhsa_kernel _ZN7rocprim17ROCPRIM_400000_NS6detail17trampoline_kernelINS0_14default_configENS1_25partition_config_selectorILNS1_17partition_subalgoE8ElNS0_10empty_typeEbEEZZNS1_14partition_implILS5_8ELb0ES3_jPKlPS6_PKS6_NS0_5tupleIJPlS6_EEENSE_IJSB_SB_EEENS0_18inequality_wrapperIN6hipcub16HIPCUB_304000_NS8EqualityEEESF_JS6_EEE10hipError_tPvRmT3_T4_T5_T6_T7_T9_mT8_P12ihipStream_tbDpT10_ENKUlT_T0_E_clISt17integral_constantIbLb0EES16_EEDaS11_S12_EUlS11_E_NS1_11comp_targetILNS1_3genE3ELNS1_11target_archE908ELNS1_3gpuE7ELNS1_3repE0EEENS1_30default_config_static_selectorELNS0_4arch9wavefront6targetE1EEEvT1_
		.amdhsa_group_segment_fixed_size 0
		.amdhsa_private_segment_fixed_size 0
		.amdhsa_kernarg_size 112
		.amdhsa_user_sgpr_count 6
		.amdhsa_user_sgpr_private_segment_buffer 1
		.amdhsa_user_sgpr_dispatch_ptr 0
		.amdhsa_user_sgpr_queue_ptr 0
		.amdhsa_user_sgpr_kernarg_segment_ptr 1
		.amdhsa_user_sgpr_dispatch_id 0
		.amdhsa_user_sgpr_flat_scratch_init 0
		.amdhsa_user_sgpr_kernarg_preload_length 0
		.amdhsa_user_sgpr_kernarg_preload_offset 0
		.amdhsa_user_sgpr_private_segment_size 0
		.amdhsa_uses_dynamic_stack 0
		.amdhsa_system_sgpr_private_segment_wavefront_offset 0
		.amdhsa_system_sgpr_workgroup_id_x 1
		.amdhsa_system_sgpr_workgroup_id_y 0
		.amdhsa_system_sgpr_workgroup_id_z 0
		.amdhsa_system_sgpr_workgroup_info 0
		.amdhsa_system_vgpr_workitem_id 0
		.amdhsa_next_free_vgpr 1
		.amdhsa_next_free_sgpr 0
		.amdhsa_accum_offset 4
		.amdhsa_reserve_vcc 0
		.amdhsa_reserve_flat_scratch 0
		.amdhsa_float_round_mode_32 0
		.amdhsa_float_round_mode_16_64 0
		.amdhsa_float_denorm_mode_32 3
		.amdhsa_float_denorm_mode_16_64 3
		.amdhsa_dx10_clamp 1
		.amdhsa_ieee_mode 1
		.amdhsa_fp16_overflow 0
		.amdhsa_tg_split 0
		.amdhsa_exception_fp_ieee_invalid_op 0
		.amdhsa_exception_fp_denorm_src 0
		.amdhsa_exception_fp_ieee_div_zero 0
		.amdhsa_exception_fp_ieee_overflow 0
		.amdhsa_exception_fp_ieee_underflow 0
		.amdhsa_exception_fp_ieee_inexact 0
		.amdhsa_exception_int_div_zero 0
	.end_amdhsa_kernel
	.section	.text._ZN7rocprim17ROCPRIM_400000_NS6detail17trampoline_kernelINS0_14default_configENS1_25partition_config_selectorILNS1_17partition_subalgoE8ElNS0_10empty_typeEbEEZZNS1_14partition_implILS5_8ELb0ES3_jPKlPS6_PKS6_NS0_5tupleIJPlS6_EEENSE_IJSB_SB_EEENS0_18inequality_wrapperIN6hipcub16HIPCUB_304000_NS8EqualityEEESF_JS6_EEE10hipError_tPvRmT3_T4_T5_T6_T7_T9_mT8_P12ihipStream_tbDpT10_ENKUlT_T0_E_clISt17integral_constantIbLb0EES16_EEDaS11_S12_EUlS11_E_NS1_11comp_targetILNS1_3genE3ELNS1_11target_archE908ELNS1_3gpuE7ELNS1_3repE0EEENS1_30default_config_static_selectorELNS0_4arch9wavefront6targetE1EEEvT1_,"axG",@progbits,_ZN7rocprim17ROCPRIM_400000_NS6detail17trampoline_kernelINS0_14default_configENS1_25partition_config_selectorILNS1_17partition_subalgoE8ElNS0_10empty_typeEbEEZZNS1_14partition_implILS5_8ELb0ES3_jPKlPS6_PKS6_NS0_5tupleIJPlS6_EEENSE_IJSB_SB_EEENS0_18inequality_wrapperIN6hipcub16HIPCUB_304000_NS8EqualityEEESF_JS6_EEE10hipError_tPvRmT3_T4_T5_T6_T7_T9_mT8_P12ihipStream_tbDpT10_ENKUlT_T0_E_clISt17integral_constantIbLb0EES16_EEDaS11_S12_EUlS11_E_NS1_11comp_targetILNS1_3genE3ELNS1_11target_archE908ELNS1_3gpuE7ELNS1_3repE0EEENS1_30default_config_static_selectorELNS0_4arch9wavefront6targetE1EEEvT1_,comdat
.Lfunc_end482:
	.size	_ZN7rocprim17ROCPRIM_400000_NS6detail17trampoline_kernelINS0_14default_configENS1_25partition_config_selectorILNS1_17partition_subalgoE8ElNS0_10empty_typeEbEEZZNS1_14partition_implILS5_8ELb0ES3_jPKlPS6_PKS6_NS0_5tupleIJPlS6_EEENSE_IJSB_SB_EEENS0_18inequality_wrapperIN6hipcub16HIPCUB_304000_NS8EqualityEEESF_JS6_EEE10hipError_tPvRmT3_T4_T5_T6_T7_T9_mT8_P12ihipStream_tbDpT10_ENKUlT_T0_E_clISt17integral_constantIbLb0EES16_EEDaS11_S12_EUlS11_E_NS1_11comp_targetILNS1_3genE3ELNS1_11target_archE908ELNS1_3gpuE7ELNS1_3repE0EEENS1_30default_config_static_selectorELNS0_4arch9wavefront6targetE1EEEvT1_, .Lfunc_end482-_ZN7rocprim17ROCPRIM_400000_NS6detail17trampoline_kernelINS0_14default_configENS1_25partition_config_selectorILNS1_17partition_subalgoE8ElNS0_10empty_typeEbEEZZNS1_14partition_implILS5_8ELb0ES3_jPKlPS6_PKS6_NS0_5tupleIJPlS6_EEENSE_IJSB_SB_EEENS0_18inequality_wrapperIN6hipcub16HIPCUB_304000_NS8EqualityEEESF_JS6_EEE10hipError_tPvRmT3_T4_T5_T6_T7_T9_mT8_P12ihipStream_tbDpT10_ENKUlT_T0_E_clISt17integral_constantIbLb0EES16_EEDaS11_S12_EUlS11_E_NS1_11comp_targetILNS1_3genE3ELNS1_11target_archE908ELNS1_3gpuE7ELNS1_3repE0EEENS1_30default_config_static_selectorELNS0_4arch9wavefront6targetE1EEEvT1_
                                        ; -- End function
	.section	.AMDGPU.csdata,"",@progbits
; Kernel info:
; codeLenInByte = 0
; NumSgprs: 4
; NumVgprs: 0
; NumAgprs: 0
; TotalNumVgprs: 0
; ScratchSize: 0
; MemoryBound: 0
; FloatMode: 240
; IeeeMode: 1
; LDSByteSize: 0 bytes/workgroup (compile time only)
; SGPRBlocks: 0
; VGPRBlocks: 0
; NumSGPRsForWavesPerEU: 4
; NumVGPRsForWavesPerEU: 1
; AccumOffset: 4
; Occupancy: 8
; WaveLimiterHint : 0
; COMPUTE_PGM_RSRC2:SCRATCH_EN: 0
; COMPUTE_PGM_RSRC2:USER_SGPR: 6
; COMPUTE_PGM_RSRC2:TRAP_HANDLER: 0
; COMPUTE_PGM_RSRC2:TGID_X_EN: 1
; COMPUTE_PGM_RSRC2:TGID_Y_EN: 0
; COMPUTE_PGM_RSRC2:TGID_Z_EN: 0
; COMPUTE_PGM_RSRC2:TIDIG_COMP_CNT: 0
; COMPUTE_PGM_RSRC3_GFX90A:ACCUM_OFFSET: 0
; COMPUTE_PGM_RSRC3_GFX90A:TG_SPLIT: 0
	.section	.text._ZN7rocprim17ROCPRIM_400000_NS6detail17trampoline_kernelINS0_14default_configENS1_25partition_config_selectorILNS1_17partition_subalgoE8ElNS0_10empty_typeEbEEZZNS1_14partition_implILS5_8ELb0ES3_jPKlPS6_PKS6_NS0_5tupleIJPlS6_EEENSE_IJSB_SB_EEENS0_18inequality_wrapperIN6hipcub16HIPCUB_304000_NS8EqualityEEESF_JS6_EEE10hipError_tPvRmT3_T4_T5_T6_T7_T9_mT8_P12ihipStream_tbDpT10_ENKUlT_T0_E_clISt17integral_constantIbLb0EES16_EEDaS11_S12_EUlS11_E_NS1_11comp_targetILNS1_3genE2ELNS1_11target_archE906ELNS1_3gpuE6ELNS1_3repE0EEENS1_30default_config_static_selectorELNS0_4arch9wavefront6targetE1EEEvT1_,"axG",@progbits,_ZN7rocprim17ROCPRIM_400000_NS6detail17trampoline_kernelINS0_14default_configENS1_25partition_config_selectorILNS1_17partition_subalgoE8ElNS0_10empty_typeEbEEZZNS1_14partition_implILS5_8ELb0ES3_jPKlPS6_PKS6_NS0_5tupleIJPlS6_EEENSE_IJSB_SB_EEENS0_18inequality_wrapperIN6hipcub16HIPCUB_304000_NS8EqualityEEESF_JS6_EEE10hipError_tPvRmT3_T4_T5_T6_T7_T9_mT8_P12ihipStream_tbDpT10_ENKUlT_T0_E_clISt17integral_constantIbLb0EES16_EEDaS11_S12_EUlS11_E_NS1_11comp_targetILNS1_3genE2ELNS1_11target_archE906ELNS1_3gpuE6ELNS1_3repE0EEENS1_30default_config_static_selectorELNS0_4arch9wavefront6targetE1EEEvT1_,comdat
	.protected	_ZN7rocprim17ROCPRIM_400000_NS6detail17trampoline_kernelINS0_14default_configENS1_25partition_config_selectorILNS1_17partition_subalgoE8ElNS0_10empty_typeEbEEZZNS1_14partition_implILS5_8ELb0ES3_jPKlPS6_PKS6_NS0_5tupleIJPlS6_EEENSE_IJSB_SB_EEENS0_18inequality_wrapperIN6hipcub16HIPCUB_304000_NS8EqualityEEESF_JS6_EEE10hipError_tPvRmT3_T4_T5_T6_T7_T9_mT8_P12ihipStream_tbDpT10_ENKUlT_T0_E_clISt17integral_constantIbLb0EES16_EEDaS11_S12_EUlS11_E_NS1_11comp_targetILNS1_3genE2ELNS1_11target_archE906ELNS1_3gpuE6ELNS1_3repE0EEENS1_30default_config_static_selectorELNS0_4arch9wavefront6targetE1EEEvT1_ ; -- Begin function _ZN7rocprim17ROCPRIM_400000_NS6detail17trampoline_kernelINS0_14default_configENS1_25partition_config_selectorILNS1_17partition_subalgoE8ElNS0_10empty_typeEbEEZZNS1_14partition_implILS5_8ELb0ES3_jPKlPS6_PKS6_NS0_5tupleIJPlS6_EEENSE_IJSB_SB_EEENS0_18inequality_wrapperIN6hipcub16HIPCUB_304000_NS8EqualityEEESF_JS6_EEE10hipError_tPvRmT3_T4_T5_T6_T7_T9_mT8_P12ihipStream_tbDpT10_ENKUlT_T0_E_clISt17integral_constantIbLb0EES16_EEDaS11_S12_EUlS11_E_NS1_11comp_targetILNS1_3genE2ELNS1_11target_archE906ELNS1_3gpuE6ELNS1_3repE0EEENS1_30default_config_static_selectorELNS0_4arch9wavefront6targetE1EEEvT1_
	.globl	_ZN7rocprim17ROCPRIM_400000_NS6detail17trampoline_kernelINS0_14default_configENS1_25partition_config_selectorILNS1_17partition_subalgoE8ElNS0_10empty_typeEbEEZZNS1_14partition_implILS5_8ELb0ES3_jPKlPS6_PKS6_NS0_5tupleIJPlS6_EEENSE_IJSB_SB_EEENS0_18inequality_wrapperIN6hipcub16HIPCUB_304000_NS8EqualityEEESF_JS6_EEE10hipError_tPvRmT3_T4_T5_T6_T7_T9_mT8_P12ihipStream_tbDpT10_ENKUlT_T0_E_clISt17integral_constantIbLb0EES16_EEDaS11_S12_EUlS11_E_NS1_11comp_targetILNS1_3genE2ELNS1_11target_archE906ELNS1_3gpuE6ELNS1_3repE0EEENS1_30default_config_static_selectorELNS0_4arch9wavefront6targetE1EEEvT1_
	.p2align	8
	.type	_ZN7rocprim17ROCPRIM_400000_NS6detail17trampoline_kernelINS0_14default_configENS1_25partition_config_selectorILNS1_17partition_subalgoE8ElNS0_10empty_typeEbEEZZNS1_14partition_implILS5_8ELb0ES3_jPKlPS6_PKS6_NS0_5tupleIJPlS6_EEENSE_IJSB_SB_EEENS0_18inequality_wrapperIN6hipcub16HIPCUB_304000_NS8EqualityEEESF_JS6_EEE10hipError_tPvRmT3_T4_T5_T6_T7_T9_mT8_P12ihipStream_tbDpT10_ENKUlT_T0_E_clISt17integral_constantIbLb0EES16_EEDaS11_S12_EUlS11_E_NS1_11comp_targetILNS1_3genE2ELNS1_11target_archE906ELNS1_3gpuE6ELNS1_3repE0EEENS1_30default_config_static_selectorELNS0_4arch9wavefront6targetE1EEEvT1_,@function
_ZN7rocprim17ROCPRIM_400000_NS6detail17trampoline_kernelINS0_14default_configENS1_25partition_config_selectorILNS1_17partition_subalgoE8ElNS0_10empty_typeEbEEZZNS1_14partition_implILS5_8ELb0ES3_jPKlPS6_PKS6_NS0_5tupleIJPlS6_EEENSE_IJSB_SB_EEENS0_18inequality_wrapperIN6hipcub16HIPCUB_304000_NS8EqualityEEESF_JS6_EEE10hipError_tPvRmT3_T4_T5_T6_T7_T9_mT8_P12ihipStream_tbDpT10_ENKUlT_T0_E_clISt17integral_constantIbLb0EES16_EEDaS11_S12_EUlS11_E_NS1_11comp_targetILNS1_3genE2ELNS1_11target_archE906ELNS1_3gpuE6ELNS1_3repE0EEENS1_30default_config_static_selectorELNS0_4arch9wavefront6targetE1EEEvT1_: ; @_ZN7rocprim17ROCPRIM_400000_NS6detail17trampoline_kernelINS0_14default_configENS1_25partition_config_selectorILNS1_17partition_subalgoE8ElNS0_10empty_typeEbEEZZNS1_14partition_implILS5_8ELb0ES3_jPKlPS6_PKS6_NS0_5tupleIJPlS6_EEENSE_IJSB_SB_EEENS0_18inequality_wrapperIN6hipcub16HIPCUB_304000_NS8EqualityEEESF_JS6_EEE10hipError_tPvRmT3_T4_T5_T6_T7_T9_mT8_P12ihipStream_tbDpT10_ENKUlT_T0_E_clISt17integral_constantIbLb0EES16_EEDaS11_S12_EUlS11_E_NS1_11comp_targetILNS1_3genE2ELNS1_11target_archE906ELNS1_3gpuE6ELNS1_3repE0EEENS1_30default_config_static_selectorELNS0_4arch9wavefront6targetE1EEEvT1_
; %bb.0:
	.section	.rodata,"a",@progbits
	.p2align	6, 0x0
	.amdhsa_kernel _ZN7rocprim17ROCPRIM_400000_NS6detail17trampoline_kernelINS0_14default_configENS1_25partition_config_selectorILNS1_17partition_subalgoE8ElNS0_10empty_typeEbEEZZNS1_14partition_implILS5_8ELb0ES3_jPKlPS6_PKS6_NS0_5tupleIJPlS6_EEENSE_IJSB_SB_EEENS0_18inequality_wrapperIN6hipcub16HIPCUB_304000_NS8EqualityEEESF_JS6_EEE10hipError_tPvRmT3_T4_T5_T6_T7_T9_mT8_P12ihipStream_tbDpT10_ENKUlT_T0_E_clISt17integral_constantIbLb0EES16_EEDaS11_S12_EUlS11_E_NS1_11comp_targetILNS1_3genE2ELNS1_11target_archE906ELNS1_3gpuE6ELNS1_3repE0EEENS1_30default_config_static_selectorELNS0_4arch9wavefront6targetE1EEEvT1_
		.amdhsa_group_segment_fixed_size 0
		.amdhsa_private_segment_fixed_size 0
		.amdhsa_kernarg_size 112
		.amdhsa_user_sgpr_count 6
		.amdhsa_user_sgpr_private_segment_buffer 1
		.amdhsa_user_sgpr_dispatch_ptr 0
		.amdhsa_user_sgpr_queue_ptr 0
		.amdhsa_user_sgpr_kernarg_segment_ptr 1
		.amdhsa_user_sgpr_dispatch_id 0
		.amdhsa_user_sgpr_flat_scratch_init 0
		.amdhsa_user_sgpr_kernarg_preload_length 0
		.amdhsa_user_sgpr_kernarg_preload_offset 0
		.amdhsa_user_sgpr_private_segment_size 0
		.amdhsa_uses_dynamic_stack 0
		.amdhsa_system_sgpr_private_segment_wavefront_offset 0
		.amdhsa_system_sgpr_workgroup_id_x 1
		.amdhsa_system_sgpr_workgroup_id_y 0
		.amdhsa_system_sgpr_workgroup_id_z 0
		.amdhsa_system_sgpr_workgroup_info 0
		.amdhsa_system_vgpr_workitem_id 0
		.amdhsa_next_free_vgpr 1
		.amdhsa_next_free_sgpr 0
		.amdhsa_accum_offset 4
		.amdhsa_reserve_vcc 0
		.amdhsa_reserve_flat_scratch 0
		.amdhsa_float_round_mode_32 0
		.amdhsa_float_round_mode_16_64 0
		.amdhsa_float_denorm_mode_32 3
		.amdhsa_float_denorm_mode_16_64 3
		.amdhsa_dx10_clamp 1
		.amdhsa_ieee_mode 1
		.amdhsa_fp16_overflow 0
		.amdhsa_tg_split 0
		.amdhsa_exception_fp_ieee_invalid_op 0
		.amdhsa_exception_fp_denorm_src 0
		.amdhsa_exception_fp_ieee_div_zero 0
		.amdhsa_exception_fp_ieee_overflow 0
		.amdhsa_exception_fp_ieee_underflow 0
		.amdhsa_exception_fp_ieee_inexact 0
		.amdhsa_exception_int_div_zero 0
	.end_amdhsa_kernel
	.section	.text._ZN7rocprim17ROCPRIM_400000_NS6detail17trampoline_kernelINS0_14default_configENS1_25partition_config_selectorILNS1_17partition_subalgoE8ElNS0_10empty_typeEbEEZZNS1_14partition_implILS5_8ELb0ES3_jPKlPS6_PKS6_NS0_5tupleIJPlS6_EEENSE_IJSB_SB_EEENS0_18inequality_wrapperIN6hipcub16HIPCUB_304000_NS8EqualityEEESF_JS6_EEE10hipError_tPvRmT3_T4_T5_T6_T7_T9_mT8_P12ihipStream_tbDpT10_ENKUlT_T0_E_clISt17integral_constantIbLb0EES16_EEDaS11_S12_EUlS11_E_NS1_11comp_targetILNS1_3genE2ELNS1_11target_archE906ELNS1_3gpuE6ELNS1_3repE0EEENS1_30default_config_static_selectorELNS0_4arch9wavefront6targetE1EEEvT1_,"axG",@progbits,_ZN7rocprim17ROCPRIM_400000_NS6detail17trampoline_kernelINS0_14default_configENS1_25partition_config_selectorILNS1_17partition_subalgoE8ElNS0_10empty_typeEbEEZZNS1_14partition_implILS5_8ELb0ES3_jPKlPS6_PKS6_NS0_5tupleIJPlS6_EEENSE_IJSB_SB_EEENS0_18inequality_wrapperIN6hipcub16HIPCUB_304000_NS8EqualityEEESF_JS6_EEE10hipError_tPvRmT3_T4_T5_T6_T7_T9_mT8_P12ihipStream_tbDpT10_ENKUlT_T0_E_clISt17integral_constantIbLb0EES16_EEDaS11_S12_EUlS11_E_NS1_11comp_targetILNS1_3genE2ELNS1_11target_archE906ELNS1_3gpuE6ELNS1_3repE0EEENS1_30default_config_static_selectorELNS0_4arch9wavefront6targetE1EEEvT1_,comdat
.Lfunc_end483:
	.size	_ZN7rocprim17ROCPRIM_400000_NS6detail17trampoline_kernelINS0_14default_configENS1_25partition_config_selectorILNS1_17partition_subalgoE8ElNS0_10empty_typeEbEEZZNS1_14partition_implILS5_8ELb0ES3_jPKlPS6_PKS6_NS0_5tupleIJPlS6_EEENSE_IJSB_SB_EEENS0_18inequality_wrapperIN6hipcub16HIPCUB_304000_NS8EqualityEEESF_JS6_EEE10hipError_tPvRmT3_T4_T5_T6_T7_T9_mT8_P12ihipStream_tbDpT10_ENKUlT_T0_E_clISt17integral_constantIbLb0EES16_EEDaS11_S12_EUlS11_E_NS1_11comp_targetILNS1_3genE2ELNS1_11target_archE906ELNS1_3gpuE6ELNS1_3repE0EEENS1_30default_config_static_selectorELNS0_4arch9wavefront6targetE1EEEvT1_, .Lfunc_end483-_ZN7rocprim17ROCPRIM_400000_NS6detail17trampoline_kernelINS0_14default_configENS1_25partition_config_selectorILNS1_17partition_subalgoE8ElNS0_10empty_typeEbEEZZNS1_14partition_implILS5_8ELb0ES3_jPKlPS6_PKS6_NS0_5tupleIJPlS6_EEENSE_IJSB_SB_EEENS0_18inequality_wrapperIN6hipcub16HIPCUB_304000_NS8EqualityEEESF_JS6_EEE10hipError_tPvRmT3_T4_T5_T6_T7_T9_mT8_P12ihipStream_tbDpT10_ENKUlT_T0_E_clISt17integral_constantIbLb0EES16_EEDaS11_S12_EUlS11_E_NS1_11comp_targetILNS1_3genE2ELNS1_11target_archE906ELNS1_3gpuE6ELNS1_3repE0EEENS1_30default_config_static_selectorELNS0_4arch9wavefront6targetE1EEEvT1_
                                        ; -- End function
	.section	.AMDGPU.csdata,"",@progbits
; Kernel info:
; codeLenInByte = 0
; NumSgprs: 4
; NumVgprs: 0
; NumAgprs: 0
; TotalNumVgprs: 0
; ScratchSize: 0
; MemoryBound: 0
; FloatMode: 240
; IeeeMode: 1
; LDSByteSize: 0 bytes/workgroup (compile time only)
; SGPRBlocks: 0
; VGPRBlocks: 0
; NumSGPRsForWavesPerEU: 4
; NumVGPRsForWavesPerEU: 1
; AccumOffset: 4
; Occupancy: 8
; WaveLimiterHint : 0
; COMPUTE_PGM_RSRC2:SCRATCH_EN: 0
; COMPUTE_PGM_RSRC2:USER_SGPR: 6
; COMPUTE_PGM_RSRC2:TRAP_HANDLER: 0
; COMPUTE_PGM_RSRC2:TGID_X_EN: 1
; COMPUTE_PGM_RSRC2:TGID_Y_EN: 0
; COMPUTE_PGM_RSRC2:TGID_Z_EN: 0
; COMPUTE_PGM_RSRC2:TIDIG_COMP_CNT: 0
; COMPUTE_PGM_RSRC3_GFX90A:ACCUM_OFFSET: 0
; COMPUTE_PGM_RSRC3_GFX90A:TG_SPLIT: 0
	.section	.text._ZN7rocprim17ROCPRIM_400000_NS6detail17trampoline_kernelINS0_14default_configENS1_25partition_config_selectorILNS1_17partition_subalgoE8ElNS0_10empty_typeEbEEZZNS1_14partition_implILS5_8ELb0ES3_jPKlPS6_PKS6_NS0_5tupleIJPlS6_EEENSE_IJSB_SB_EEENS0_18inequality_wrapperIN6hipcub16HIPCUB_304000_NS8EqualityEEESF_JS6_EEE10hipError_tPvRmT3_T4_T5_T6_T7_T9_mT8_P12ihipStream_tbDpT10_ENKUlT_T0_E_clISt17integral_constantIbLb0EES16_EEDaS11_S12_EUlS11_E_NS1_11comp_targetILNS1_3genE10ELNS1_11target_archE1200ELNS1_3gpuE4ELNS1_3repE0EEENS1_30default_config_static_selectorELNS0_4arch9wavefront6targetE1EEEvT1_,"axG",@progbits,_ZN7rocprim17ROCPRIM_400000_NS6detail17trampoline_kernelINS0_14default_configENS1_25partition_config_selectorILNS1_17partition_subalgoE8ElNS0_10empty_typeEbEEZZNS1_14partition_implILS5_8ELb0ES3_jPKlPS6_PKS6_NS0_5tupleIJPlS6_EEENSE_IJSB_SB_EEENS0_18inequality_wrapperIN6hipcub16HIPCUB_304000_NS8EqualityEEESF_JS6_EEE10hipError_tPvRmT3_T4_T5_T6_T7_T9_mT8_P12ihipStream_tbDpT10_ENKUlT_T0_E_clISt17integral_constantIbLb0EES16_EEDaS11_S12_EUlS11_E_NS1_11comp_targetILNS1_3genE10ELNS1_11target_archE1200ELNS1_3gpuE4ELNS1_3repE0EEENS1_30default_config_static_selectorELNS0_4arch9wavefront6targetE1EEEvT1_,comdat
	.protected	_ZN7rocprim17ROCPRIM_400000_NS6detail17trampoline_kernelINS0_14default_configENS1_25partition_config_selectorILNS1_17partition_subalgoE8ElNS0_10empty_typeEbEEZZNS1_14partition_implILS5_8ELb0ES3_jPKlPS6_PKS6_NS0_5tupleIJPlS6_EEENSE_IJSB_SB_EEENS0_18inequality_wrapperIN6hipcub16HIPCUB_304000_NS8EqualityEEESF_JS6_EEE10hipError_tPvRmT3_T4_T5_T6_T7_T9_mT8_P12ihipStream_tbDpT10_ENKUlT_T0_E_clISt17integral_constantIbLb0EES16_EEDaS11_S12_EUlS11_E_NS1_11comp_targetILNS1_3genE10ELNS1_11target_archE1200ELNS1_3gpuE4ELNS1_3repE0EEENS1_30default_config_static_selectorELNS0_4arch9wavefront6targetE1EEEvT1_ ; -- Begin function _ZN7rocprim17ROCPRIM_400000_NS6detail17trampoline_kernelINS0_14default_configENS1_25partition_config_selectorILNS1_17partition_subalgoE8ElNS0_10empty_typeEbEEZZNS1_14partition_implILS5_8ELb0ES3_jPKlPS6_PKS6_NS0_5tupleIJPlS6_EEENSE_IJSB_SB_EEENS0_18inequality_wrapperIN6hipcub16HIPCUB_304000_NS8EqualityEEESF_JS6_EEE10hipError_tPvRmT3_T4_T5_T6_T7_T9_mT8_P12ihipStream_tbDpT10_ENKUlT_T0_E_clISt17integral_constantIbLb0EES16_EEDaS11_S12_EUlS11_E_NS1_11comp_targetILNS1_3genE10ELNS1_11target_archE1200ELNS1_3gpuE4ELNS1_3repE0EEENS1_30default_config_static_selectorELNS0_4arch9wavefront6targetE1EEEvT1_
	.globl	_ZN7rocprim17ROCPRIM_400000_NS6detail17trampoline_kernelINS0_14default_configENS1_25partition_config_selectorILNS1_17partition_subalgoE8ElNS0_10empty_typeEbEEZZNS1_14partition_implILS5_8ELb0ES3_jPKlPS6_PKS6_NS0_5tupleIJPlS6_EEENSE_IJSB_SB_EEENS0_18inequality_wrapperIN6hipcub16HIPCUB_304000_NS8EqualityEEESF_JS6_EEE10hipError_tPvRmT3_T4_T5_T6_T7_T9_mT8_P12ihipStream_tbDpT10_ENKUlT_T0_E_clISt17integral_constantIbLb0EES16_EEDaS11_S12_EUlS11_E_NS1_11comp_targetILNS1_3genE10ELNS1_11target_archE1200ELNS1_3gpuE4ELNS1_3repE0EEENS1_30default_config_static_selectorELNS0_4arch9wavefront6targetE1EEEvT1_
	.p2align	8
	.type	_ZN7rocprim17ROCPRIM_400000_NS6detail17trampoline_kernelINS0_14default_configENS1_25partition_config_selectorILNS1_17partition_subalgoE8ElNS0_10empty_typeEbEEZZNS1_14partition_implILS5_8ELb0ES3_jPKlPS6_PKS6_NS0_5tupleIJPlS6_EEENSE_IJSB_SB_EEENS0_18inequality_wrapperIN6hipcub16HIPCUB_304000_NS8EqualityEEESF_JS6_EEE10hipError_tPvRmT3_T4_T5_T6_T7_T9_mT8_P12ihipStream_tbDpT10_ENKUlT_T0_E_clISt17integral_constantIbLb0EES16_EEDaS11_S12_EUlS11_E_NS1_11comp_targetILNS1_3genE10ELNS1_11target_archE1200ELNS1_3gpuE4ELNS1_3repE0EEENS1_30default_config_static_selectorELNS0_4arch9wavefront6targetE1EEEvT1_,@function
_ZN7rocprim17ROCPRIM_400000_NS6detail17trampoline_kernelINS0_14default_configENS1_25partition_config_selectorILNS1_17partition_subalgoE8ElNS0_10empty_typeEbEEZZNS1_14partition_implILS5_8ELb0ES3_jPKlPS6_PKS6_NS0_5tupleIJPlS6_EEENSE_IJSB_SB_EEENS0_18inequality_wrapperIN6hipcub16HIPCUB_304000_NS8EqualityEEESF_JS6_EEE10hipError_tPvRmT3_T4_T5_T6_T7_T9_mT8_P12ihipStream_tbDpT10_ENKUlT_T0_E_clISt17integral_constantIbLb0EES16_EEDaS11_S12_EUlS11_E_NS1_11comp_targetILNS1_3genE10ELNS1_11target_archE1200ELNS1_3gpuE4ELNS1_3repE0EEENS1_30default_config_static_selectorELNS0_4arch9wavefront6targetE1EEEvT1_: ; @_ZN7rocprim17ROCPRIM_400000_NS6detail17trampoline_kernelINS0_14default_configENS1_25partition_config_selectorILNS1_17partition_subalgoE8ElNS0_10empty_typeEbEEZZNS1_14partition_implILS5_8ELb0ES3_jPKlPS6_PKS6_NS0_5tupleIJPlS6_EEENSE_IJSB_SB_EEENS0_18inequality_wrapperIN6hipcub16HIPCUB_304000_NS8EqualityEEESF_JS6_EEE10hipError_tPvRmT3_T4_T5_T6_T7_T9_mT8_P12ihipStream_tbDpT10_ENKUlT_T0_E_clISt17integral_constantIbLb0EES16_EEDaS11_S12_EUlS11_E_NS1_11comp_targetILNS1_3genE10ELNS1_11target_archE1200ELNS1_3gpuE4ELNS1_3repE0EEENS1_30default_config_static_selectorELNS0_4arch9wavefront6targetE1EEEvT1_
; %bb.0:
	.section	.rodata,"a",@progbits
	.p2align	6, 0x0
	.amdhsa_kernel _ZN7rocprim17ROCPRIM_400000_NS6detail17trampoline_kernelINS0_14default_configENS1_25partition_config_selectorILNS1_17partition_subalgoE8ElNS0_10empty_typeEbEEZZNS1_14partition_implILS5_8ELb0ES3_jPKlPS6_PKS6_NS0_5tupleIJPlS6_EEENSE_IJSB_SB_EEENS0_18inequality_wrapperIN6hipcub16HIPCUB_304000_NS8EqualityEEESF_JS6_EEE10hipError_tPvRmT3_T4_T5_T6_T7_T9_mT8_P12ihipStream_tbDpT10_ENKUlT_T0_E_clISt17integral_constantIbLb0EES16_EEDaS11_S12_EUlS11_E_NS1_11comp_targetILNS1_3genE10ELNS1_11target_archE1200ELNS1_3gpuE4ELNS1_3repE0EEENS1_30default_config_static_selectorELNS0_4arch9wavefront6targetE1EEEvT1_
		.amdhsa_group_segment_fixed_size 0
		.amdhsa_private_segment_fixed_size 0
		.amdhsa_kernarg_size 112
		.amdhsa_user_sgpr_count 6
		.amdhsa_user_sgpr_private_segment_buffer 1
		.amdhsa_user_sgpr_dispatch_ptr 0
		.amdhsa_user_sgpr_queue_ptr 0
		.amdhsa_user_sgpr_kernarg_segment_ptr 1
		.amdhsa_user_sgpr_dispatch_id 0
		.amdhsa_user_sgpr_flat_scratch_init 0
		.amdhsa_user_sgpr_kernarg_preload_length 0
		.amdhsa_user_sgpr_kernarg_preload_offset 0
		.amdhsa_user_sgpr_private_segment_size 0
		.amdhsa_uses_dynamic_stack 0
		.amdhsa_system_sgpr_private_segment_wavefront_offset 0
		.amdhsa_system_sgpr_workgroup_id_x 1
		.amdhsa_system_sgpr_workgroup_id_y 0
		.amdhsa_system_sgpr_workgroup_id_z 0
		.amdhsa_system_sgpr_workgroup_info 0
		.amdhsa_system_vgpr_workitem_id 0
		.amdhsa_next_free_vgpr 1
		.amdhsa_next_free_sgpr 0
		.amdhsa_accum_offset 4
		.amdhsa_reserve_vcc 0
		.amdhsa_reserve_flat_scratch 0
		.amdhsa_float_round_mode_32 0
		.amdhsa_float_round_mode_16_64 0
		.amdhsa_float_denorm_mode_32 3
		.amdhsa_float_denorm_mode_16_64 3
		.amdhsa_dx10_clamp 1
		.amdhsa_ieee_mode 1
		.amdhsa_fp16_overflow 0
		.amdhsa_tg_split 0
		.amdhsa_exception_fp_ieee_invalid_op 0
		.amdhsa_exception_fp_denorm_src 0
		.amdhsa_exception_fp_ieee_div_zero 0
		.amdhsa_exception_fp_ieee_overflow 0
		.amdhsa_exception_fp_ieee_underflow 0
		.amdhsa_exception_fp_ieee_inexact 0
		.amdhsa_exception_int_div_zero 0
	.end_amdhsa_kernel
	.section	.text._ZN7rocprim17ROCPRIM_400000_NS6detail17trampoline_kernelINS0_14default_configENS1_25partition_config_selectorILNS1_17partition_subalgoE8ElNS0_10empty_typeEbEEZZNS1_14partition_implILS5_8ELb0ES3_jPKlPS6_PKS6_NS0_5tupleIJPlS6_EEENSE_IJSB_SB_EEENS0_18inequality_wrapperIN6hipcub16HIPCUB_304000_NS8EqualityEEESF_JS6_EEE10hipError_tPvRmT3_T4_T5_T6_T7_T9_mT8_P12ihipStream_tbDpT10_ENKUlT_T0_E_clISt17integral_constantIbLb0EES16_EEDaS11_S12_EUlS11_E_NS1_11comp_targetILNS1_3genE10ELNS1_11target_archE1200ELNS1_3gpuE4ELNS1_3repE0EEENS1_30default_config_static_selectorELNS0_4arch9wavefront6targetE1EEEvT1_,"axG",@progbits,_ZN7rocprim17ROCPRIM_400000_NS6detail17trampoline_kernelINS0_14default_configENS1_25partition_config_selectorILNS1_17partition_subalgoE8ElNS0_10empty_typeEbEEZZNS1_14partition_implILS5_8ELb0ES3_jPKlPS6_PKS6_NS0_5tupleIJPlS6_EEENSE_IJSB_SB_EEENS0_18inequality_wrapperIN6hipcub16HIPCUB_304000_NS8EqualityEEESF_JS6_EEE10hipError_tPvRmT3_T4_T5_T6_T7_T9_mT8_P12ihipStream_tbDpT10_ENKUlT_T0_E_clISt17integral_constantIbLb0EES16_EEDaS11_S12_EUlS11_E_NS1_11comp_targetILNS1_3genE10ELNS1_11target_archE1200ELNS1_3gpuE4ELNS1_3repE0EEENS1_30default_config_static_selectorELNS0_4arch9wavefront6targetE1EEEvT1_,comdat
.Lfunc_end484:
	.size	_ZN7rocprim17ROCPRIM_400000_NS6detail17trampoline_kernelINS0_14default_configENS1_25partition_config_selectorILNS1_17partition_subalgoE8ElNS0_10empty_typeEbEEZZNS1_14partition_implILS5_8ELb0ES3_jPKlPS6_PKS6_NS0_5tupleIJPlS6_EEENSE_IJSB_SB_EEENS0_18inequality_wrapperIN6hipcub16HIPCUB_304000_NS8EqualityEEESF_JS6_EEE10hipError_tPvRmT3_T4_T5_T6_T7_T9_mT8_P12ihipStream_tbDpT10_ENKUlT_T0_E_clISt17integral_constantIbLb0EES16_EEDaS11_S12_EUlS11_E_NS1_11comp_targetILNS1_3genE10ELNS1_11target_archE1200ELNS1_3gpuE4ELNS1_3repE0EEENS1_30default_config_static_selectorELNS0_4arch9wavefront6targetE1EEEvT1_, .Lfunc_end484-_ZN7rocprim17ROCPRIM_400000_NS6detail17trampoline_kernelINS0_14default_configENS1_25partition_config_selectorILNS1_17partition_subalgoE8ElNS0_10empty_typeEbEEZZNS1_14partition_implILS5_8ELb0ES3_jPKlPS6_PKS6_NS0_5tupleIJPlS6_EEENSE_IJSB_SB_EEENS0_18inequality_wrapperIN6hipcub16HIPCUB_304000_NS8EqualityEEESF_JS6_EEE10hipError_tPvRmT3_T4_T5_T6_T7_T9_mT8_P12ihipStream_tbDpT10_ENKUlT_T0_E_clISt17integral_constantIbLb0EES16_EEDaS11_S12_EUlS11_E_NS1_11comp_targetILNS1_3genE10ELNS1_11target_archE1200ELNS1_3gpuE4ELNS1_3repE0EEENS1_30default_config_static_selectorELNS0_4arch9wavefront6targetE1EEEvT1_
                                        ; -- End function
	.section	.AMDGPU.csdata,"",@progbits
; Kernel info:
; codeLenInByte = 0
; NumSgprs: 4
; NumVgprs: 0
; NumAgprs: 0
; TotalNumVgprs: 0
; ScratchSize: 0
; MemoryBound: 0
; FloatMode: 240
; IeeeMode: 1
; LDSByteSize: 0 bytes/workgroup (compile time only)
; SGPRBlocks: 0
; VGPRBlocks: 0
; NumSGPRsForWavesPerEU: 4
; NumVGPRsForWavesPerEU: 1
; AccumOffset: 4
; Occupancy: 8
; WaveLimiterHint : 0
; COMPUTE_PGM_RSRC2:SCRATCH_EN: 0
; COMPUTE_PGM_RSRC2:USER_SGPR: 6
; COMPUTE_PGM_RSRC2:TRAP_HANDLER: 0
; COMPUTE_PGM_RSRC2:TGID_X_EN: 1
; COMPUTE_PGM_RSRC2:TGID_Y_EN: 0
; COMPUTE_PGM_RSRC2:TGID_Z_EN: 0
; COMPUTE_PGM_RSRC2:TIDIG_COMP_CNT: 0
; COMPUTE_PGM_RSRC3_GFX90A:ACCUM_OFFSET: 0
; COMPUTE_PGM_RSRC3_GFX90A:TG_SPLIT: 0
	.section	.text._ZN7rocprim17ROCPRIM_400000_NS6detail17trampoline_kernelINS0_14default_configENS1_25partition_config_selectorILNS1_17partition_subalgoE8ElNS0_10empty_typeEbEEZZNS1_14partition_implILS5_8ELb0ES3_jPKlPS6_PKS6_NS0_5tupleIJPlS6_EEENSE_IJSB_SB_EEENS0_18inequality_wrapperIN6hipcub16HIPCUB_304000_NS8EqualityEEESF_JS6_EEE10hipError_tPvRmT3_T4_T5_T6_T7_T9_mT8_P12ihipStream_tbDpT10_ENKUlT_T0_E_clISt17integral_constantIbLb0EES16_EEDaS11_S12_EUlS11_E_NS1_11comp_targetILNS1_3genE9ELNS1_11target_archE1100ELNS1_3gpuE3ELNS1_3repE0EEENS1_30default_config_static_selectorELNS0_4arch9wavefront6targetE1EEEvT1_,"axG",@progbits,_ZN7rocprim17ROCPRIM_400000_NS6detail17trampoline_kernelINS0_14default_configENS1_25partition_config_selectorILNS1_17partition_subalgoE8ElNS0_10empty_typeEbEEZZNS1_14partition_implILS5_8ELb0ES3_jPKlPS6_PKS6_NS0_5tupleIJPlS6_EEENSE_IJSB_SB_EEENS0_18inequality_wrapperIN6hipcub16HIPCUB_304000_NS8EqualityEEESF_JS6_EEE10hipError_tPvRmT3_T4_T5_T6_T7_T9_mT8_P12ihipStream_tbDpT10_ENKUlT_T0_E_clISt17integral_constantIbLb0EES16_EEDaS11_S12_EUlS11_E_NS1_11comp_targetILNS1_3genE9ELNS1_11target_archE1100ELNS1_3gpuE3ELNS1_3repE0EEENS1_30default_config_static_selectorELNS0_4arch9wavefront6targetE1EEEvT1_,comdat
	.protected	_ZN7rocprim17ROCPRIM_400000_NS6detail17trampoline_kernelINS0_14default_configENS1_25partition_config_selectorILNS1_17partition_subalgoE8ElNS0_10empty_typeEbEEZZNS1_14partition_implILS5_8ELb0ES3_jPKlPS6_PKS6_NS0_5tupleIJPlS6_EEENSE_IJSB_SB_EEENS0_18inequality_wrapperIN6hipcub16HIPCUB_304000_NS8EqualityEEESF_JS6_EEE10hipError_tPvRmT3_T4_T5_T6_T7_T9_mT8_P12ihipStream_tbDpT10_ENKUlT_T0_E_clISt17integral_constantIbLb0EES16_EEDaS11_S12_EUlS11_E_NS1_11comp_targetILNS1_3genE9ELNS1_11target_archE1100ELNS1_3gpuE3ELNS1_3repE0EEENS1_30default_config_static_selectorELNS0_4arch9wavefront6targetE1EEEvT1_ ; -- Begin function _ZN7rocprim17ROCPRIM_400000_NS6detail17trampoline_kernelINS0_14default_configENS1_25partition_config_selectorILNS1_17partition_subalgoE8ElNS0_10empty_typeEbEEZZNS1_14partition_implILS5_8ELb0ES3_jPKlPS6_PKS6_NS0_5tupleIJPlS6_EEENSE_IJSB_SB_EEENS0_18inequality_wrapperIN6hipcub16HIPCUB_304000_NS8EqualityEEESF_JS6_EEE10hipError_tPvRmT3_T4_T5_T6_T7_T9_mT8_P12ihipStream_tbDpT10_ENKUlT_T0_E_clISt17integral_constantIbLb0EES16_EEDaS11_S12_EUlS11_E_NS1_11comp_targetILNS1_3genE9ELNS1_11target_archE1100ELNS1_3gpuE3ELNS1_3repE0EEENS1_30default_config_static_selectorELNS0_4arch9wavefront6targetE1EEEvT1_
	.globl	_ZN7rocprim17ROCPRIM_400000_NS6detail17trampoline_kernelINS0_14default_configENS1_25partition_config_selectorILNS1_17partition_subalgoE8ElNS0_10empty_typeEbEEZZNS1_14partition_implILS5_8ELb0ES3_jPKlPS6_PKS6_NS0_5tupleIJPlS6_EEENSE_IJSB_SB_EEENS0_18inequality_wrapperIN6hipcub16HIPCUB_304000_NS8EqualityEEESF_JS6_EEE10hipError_tPvRmT3_T4_T5_T6_T7_T9_mT8_P12ihipStream_tbDpT10_ENKUlT_T0_E_clISt17integral_constantIbLb0EES16_EEDaS11_S12_EUlS11_E_NS1_11comp_targetILNS1_3genE9ELNS1_11target_archE1100ELNS1_3gpuE3ELNS1_3repE0EEENS1_30default_config_static_selectorELNS0_4arch9wavefront6targetE1EEEvT1_
	.p2align	8
	.type	_ZN7rocprim17ROCPRIM_400000_NS6detail17trampoline_kernelINS0_14default_configENS1_25partition_config_selectorILNS1_17partition_subalgoE8ElNS0_10empty_typeEbEEZZNS1_14partition_implILS5_8ELb0ES3_jPKlPS6_PKS6_NS0_5tupleIJPlS6_EEENSE_IJSB_SB_EEENS0_18inequality_wrapperIN6hipcub16HIPCUB_304000_NS8EqualityEEESF_JS6_EEE10hipError_tPvRmT3_T4_T5_T6_T7_T9_mT8_P12ihipStream_tbDpT10_ENKUlT_T0_E_clISt17integral_constantIbLb0EES16_EEDaS11_S12_EUlS11_E_NS1_11comp_targetILNS1_3genE9ELNS1_11target_archE1100ELNS1_3gpuE3ELNS1_3repE0EEENS1_30default_config_static_selectorELNS0_4arch9wavefront6targetE1EEEvT1_,@function
_ZN7rocprim17ROCPRIM_400000_NS6detail17trampoline_kernelINS0_14default_configENS1_25partition_config_selectorILNS1_17partition_subalgoE8ElNS0_10empty_typeEbEEZZNS1_14partition_implILS5_8ELb0ES3_jPKlPS6_PKS6_NS0_5tupleIJPlS6_EEENSE_IJSB_SB_EEENS0_18inequality_wrapperIN6hipcub16HIPCUB_304000_NS8EqualityEEESF_JS6_EEE10hipError_tPvRmT3_T4_T5_T6_T7_T9_mT8_P12ihipStream_tbDpT10_ENKUlT_T0_E_clISt17integral_constantIbLb0EES16_EEDaS11_S12_EUlS11_E_NS1_11comp_targetILNS1_3genE9ELNS1_11target_archE1100ELNS1_3gpuE3ELNS1_3repE0EEENS1_30default_config_static_selectorELNS0_4arch9wavefront6targetE1EEEvT1_: ; @_ZN7rocprim17ROCPRIM_400000_NS6detail17trampoline_kernelINS0_14default_configENS1_25partition_config_selectorILNS1_17partition_subalgoE8ElNS0_10empty_typeEbEEZZNS1_14partition_implILS5_8ELb0ES3_jPKlPS6_PKS6_NS0_5tupleIJPlS6_EEENSE_IJSB_SB_EEENS0_18inequality_wrapperIN6hipcub16HIPCUB_304000_NS8EqualityEEESF_JS6_EEE10hipError_tPvRmT3_T4_T5_T6_T7_T9_mT8_P12ihipStream_tbDpT10_ENKUlT_T0_E_clISt17integral_constantIbLb0EES16_EEDaS11_S12_EUlS11_E_NS1_11comp_targetILNS1_3genE9ELNS1_11target_archE1100ELNS1_3gpuE3ELNS1_3repE0EEENS1_30default_config_static_selectorELNS0_4arch9wavefront6targetE1EEEvT1_
; %bb.0:
	.section	.rodata,"a",@progbits
	.p2align	6, 0x0
	.amdhsa_kernel _ZN7rocprim17ROCPRIM_400000_NS6detail17trampoline_kernelINS0_14default_configENS1_25partition_config_selectorILNS1_17partition_subalgoE8ElNS0_10empty_typeEbEEZZNS1_14partition_implILS5_8ELb0ES3_jPKlPS6_PKS6_NS0_5tupleIJPlS6_EEENSE_IJSB_SB_EEENS0_18inequality_wrapperIN6hipcub16HIPCUB_304000_NS8EqualityEEESF_JS6_EEE10hipError_tPvRmT3_T4_T5_T6_T7_T9_mT8_P12ihipStream_tbDpT10_ENKUlT_T0_E_clISt17integral_constantIbLb0EES16_EEDaS11_S12_EUlS11_E_NS1_11comp_targetILNS1_3genE9ELNS1_11target_archE1100ELNS1_3gpuE3ELNS1_3repE0EEENS1_30default_config_static_selectorELNS0_4arch9wavefront6targetE1EEEvT1_
		.amdhsa_group_segment_fixed_size 0
		.amdhsa_private_segment_fixed_size 0
		.amdhsa_kernarg_size 112
		.amdhsa_user_sgpr_count 6
		.amdhsa_user_sgpr_private_segment_buffer 1
		.amdhsa_user_sgpr_dispatch_ptr 0
		.amdhsa_user_sgpr_queue_ptr 0
		.amdhsa_user_sgpr_kernarg_segment_ptr 1
		.amdhsa_user_sgpr_dispatch_id 0
		.amdhsa_user_sgpr_flat_scratch_init 0
		.amdhsa_user_sgpr_kernarg_preload_length 0
		.amdhsa_user_sgpr_kernarg_preload_offset 0
		.amdhsa_user_sgpr_private_segment_size 0
		.amdhsa_uses_dynamic_stack 0
		.amdhsa_system_sgpr_private_segment_wavefront_offset 0
		.amdhsa_system_sgpr_workgroup_id_x 1
		.amdhsa_system_sgpr_workgroup_id_y 0
		.amdhsa_system_sgpr_workgroup_id_z 0
		.amdhsa_system_sgpr_workgroup_info 0
		.amdhsa_system_vgpr_workitem_id 0
		.amdhsa_next_free_vgpr 1
		.amdhsa_next_free_sgpr 0
		.amdhsa_accum_offset 4
		.amdhsa_reserve_vcc 0
		.amdhsa_reserve_flat_scratch 0
		.amdhsa_float_round_mode_32 0
		.amdhsa_float_round_mode_16_64 0
		.amdhsa_float_denorm_mode_32 3
		.amdhsa_float_denorm_mode_16_64 3
		.amdhsa_dx10_clamp 1
		.amdhsa_ieee_mode 1
		.amdhsa_fp16_overflow 0
		.amdhsa_tg_split 0
		.amdhsa_exception_fp_ieee_invalid_op 0
		.amdhsa_exception_fp_denorm_src 0
		.amdhsa_exception_fp_ieee_div_zero 0
		.amdhsa_exception_fp_ieee_overflow 0
		.amdhsa_exception_fp_ieee_underflow 0
		.amdhsa_exception_fp_ieee_inexact 0
		.amdhsa_exception_int_div_zero 0
	.end_amdhsa_kernel
	.section	.text._ZN7rocprim17ROCPRIM_400000_NS6detail17trampoline_kernelINS0_14default_configENS1_25partition_config_selectorILNS1_17partition_subalgoE8ElNS0_10empty_typeEbEEZZNS1_14partition_implILS5_8ELb0ES3_jPKlPS6_PKS6_NS0_5tupleIJPlS6_EEENSE_IJSB_SB_EEENS0_18inequality_wrapperIN6hipcub16HIPCUB_304000_NS8EqualityEEESF_JS6_EEE10hipError_tPvRmT3_T4_T5_T6_T7_T9_mT8_P12ihipStream_tbDpT10_ENKUlT_T0_E_clISt17integral_constantIbLb0EES16_EEDaS11_S12_EUlS11_E_NS1_11comp_targetILNS1_3genE9ELNS1_11target_archE1100ELNS1_3gpuE3ELNS1_3repE0EEENS1_30default_config_static_selectorELNS0_4arch9wavefront6targetE1EEEvT1_,"axG",@progbits,_ZN7rocprim17ROCPRIM_400000_NS6detail17trampoline_kernelINS0_14default_configENS1_25partition_config_selectorILNS1_17partition_subalgoE8ElNS0_10empty_typeEbEEZZNS1_14partition_implILS5_8ELb0ES3_jPKlPS6_PKS6_NS0_5tupleIJPlS6_EEENSE_IJSB_SB_EEENS0_18inequality_wrapperIN6hipcub16HIPCUB_304000_NS8EqualityEEESF_JS6_EEE10hipError_tPvRmT3_T4_T5_T6_T7_T9_mT8_P12ihipStream_tbDpT10_ENKUlT_T0_E_clISt17integral_constantIbLb0EES16_EEDaS11_S12_EUlS11_E_NS1_11comp_targetILNS1_3genE9ELNS1_11target_archE1100ELNS1_3gpuE3ELNS1_3repE0EEENS1_30default_config_static_selectorELNS0_4arch9wavefront6targetE1EEEvT1_,comdat
.Lfunc_end485:
	.size	_ZN7rocprim17ROCPRIM_400000_NS6detail17trampoline_kernelINS0_14default_configENS1_25partition_config_selectorILNS1_17partition_subalgoE8ElNS0_10empty_typeEbEEZZNS1_14partition_implILS5_8ELb0ES3_jPKlPS6_PKS6_NS0_5tupleIJPlS6_EEENSE_IJSB_SB_EEENS0_18inequality_wrapperIN6hipcub16HIPCUB_304000_NS8EqualityEEESF_JS6_EEE10hipError_tPvRmT3_T4_T5_T6_T7_T9_mT8_P12ihipStream_tbDpT10_ENKUlT_T0_E_clISt17integral_constantIbLb0EES16_EEDaS11_S12_EUlS11_E_NS1_11comp_targetILNS1_3genE9ELNS1_11target_archE1100ELNS1_3gpuE3ELNS1_3repE0EEENS1_30default_config_static_selectorELNS0_4arch9wavefront6targetE1EEEvT1_, .Lfunc_end485-_ZN7rocprim17ROCPRIM_400000_NS6detail17trampoline_kernelINS0_14default_configENS1_25partition_config_selectorILNS1_17partition_subalgoE8ElNS0_10empty_typeEbEEZZNS1_14partition_implILS5_8ELb0ES3_jPKlPS6_PKS6_NS0_5tupleIJPlS6_EEENSE_IJSB_SB_EEENS0_18inequality_wrapperIN6hipcub16HIPCUB_304000_NS8EqualityEEESF_JS6_EEE10hipError_tPvRmT3_T4_T5_T6_T7_T9_mT8_P12ihipStream_tbDpT10_ENKUlT_T0_E_clISt17integral_constantIbLb0EES16_EEDaS11_S12_EUlS11_E_NS1_11comp_targetILNS1_3genE9ELNS1_11target_archE1100ELNS1_3gpuE3ELNS1_3repE0EEENS1_30default_config_static_selectorELNS0_4arch9wavefront6targetE1EEEvT1_
                                        ; -- End function
	.section	.AMDGPU.csdata,"",@progbits
; Kernel info:
; codeLenInByte = 0
; NumSgprs: 4
; NumVgprs: 0
; NumAgprs: 0
; TotalNumVgprs: 0
; ScratchSize: 0
; MemoryBound: 0
; FloatMode: 240
; IeeeMode: 1
; LDSByteSize: 0 bytes/workgroup (compile time only)
; SGPRBlocks: 0
; VGPRBlocks: 0
; NumSGPRsForWavesPerEU: 4
; NumVGPRsForWavesPerEU: 1
; AccumOffset: 4
; Occupancy: 8
; WaveLimiterHint : 0
; COMPUTE_PGM_RSRC2:SCRATCH_EN: 0
; COMPUTE_PGM_RSRC2:USER_SGPR: 6
; COMPUTE_PGM_RSRC2:TRAP_HANDLER: 0
; COMPUTE_PGM_RSRC2:TGID_X_EN: 1
; COMPUTE_PGM_RSRC2:TGID_Y_EN: 0
; COMPUTE_PGM_RSRC2:TGID_Z_EN: 0
; COMPUTE_PGM_RSRC2:TIDIG_COMP_CNT: 0
; COMPUTE_PGM_RSRC3_GFX90A:ACCUM_OFFSET: 0
; COMPUTE_PGM_RSRC3_GFX90A:TG_SPLIT: 0
	.section	.text._ZN7rocprim17ROCPRIM_400000_NS6detail17trampoline_kernelINS0_14default_configENS1_25partition_config_selectorILNS1_17partition_subalgoE8ElNS0_10empty_typeEbEEZZNS1_14partition_implILS5_8ELb0ES3_jPKlPS6_PKS6_NS0_5tupleIJPlS6_EEENSE_IJSB_SB_EEENS0_18inequality_wrapperIN6hipcub16HIPCUB_304000_NS8EqualityEEESF_JS6_EEE10hipError_tPvRmT3_T4_T5_T6_T7_T9_mT8_P12ihipStream_tbDpT10_ENKUlT_T0_E_clISt17integral_constantIbLb0EES16_EEDaS11_S12_EUlS11_E_NS1_11comp_targetILNS1_3genE8ELNS1_11target_archE1030ELNS1_3gpuE2ELNS1_3repE0EEENS1_30default_config_static_selectorELNS0_4arch9wavefront6targetE1EEEvT1_,"axG",@progbits,_ZN7rocprim17ROCPRIM_400000_NS6detail17trampoline_kernelINS0_14default_configENS1_25partition_config_selectorILNS1_17partition_subalgoE8ElNS0_10empty_typeEbEEZZNS1_14partition_implILS5_8ELb0ES3_jPKlPS6_PKS6_NS0_5tupleIJPlS6_EEENSE_IJSB_SB_EEENS0_18inequality_wrapperIN6hipcub16HIPCUB_304000_NS8EqualityEEESF_JS6_EEE10hipError_tPvRmT3_T4_T5_T6_T7_T9_mT8_P12ihipStream_tbDpT10_ENKUlT_T0_E_clISt17integral_constantIbLb0EES16_EEDaS11_S12_EUlS11_E_NS1_11comp_targetILNS1_3genE8ELNS1_11target_archE1030ELNS1_3gpuE2ELNS1_3repE0EEENS1_30default_config_static_selectorELNS0_4arch9wavefront6targetE1EEEvT1_,comdat
	.protected	_ZN7rocprim17ROCPRIM_400000_NS6detail17trampoline_kernelINS0_14default_configENS1_25partition_config_selectorILNS1_17partition_subalgoE8ElNS0_10empty_typeEbEEZZNS1_14partition_implILS5_8ELb0ES3_jPKlPS6_PKS6_NS0_5tupleIJPlS6_EEENSE_IJSB_SB_EEENS0_18inequality_wrapperIN6hipcub16HIPCUB_304000_NS8EqualityEEESF_JS6_EEE10hipError_tPvRmT3_T4_T5_T6_T7_T9_mT8_P12ihipStream_tbDpT10_ENKUlT_T0_E_clISt17integral_constantIbLb0EES16_EEDaS11_S12_EUlS11_E_NS1_11comp_targetILNS1_3genE8ELNS1_11target_archE1030ELNS1_3gpuE2ELNS1_3repE0EEENS1_30default_config_static_selectorELNS0_4arch9wavefront6targetE1EEEvT1_ ; -- Begin function _ZN7rocprim17ROCPRIM_400000_NS6detail17trampoline_kernelINS0_14default_configENS1_25partition_config_selectorILNS1_17partition_subalgoE8ElNS0_10empty_typeEbEEZZNS1_14partition_implILS5_8ELb0ES3_jPKlPS6_PKS6_NS0_5tupleIJPlS6_EEENSE_IJSB_SB_EEENS0_18inequality_wrapperIN6hipcub16HIPCUB_304000_NS8EqualityEEESF_JS6_EEE10hipError_tPvRmT3_T4_T5_T6_T7_T9_mT8_P12ihipStream_tbDpT10_ENKUlT_T0_E_clISt17integral_constantIbLb0EES16_EEDaS11_S12_EUlS11_E_NS1_11comp_targetILNS1_3genE8ELNS1_11target_archE1030ELNS1_3gpuE2ELNS1_3repE0EEENS1_30default_config_static_selectorELNS0_4arch9wavefront6targetE1EEEvT1_
	.globl	_ZN7rocprim17ROCPRIM_400000_NS6detail17trampoline_kernelINS0_14default_configENS1_25partition_config_selectorILNS1_17partition_subalgoE8ElNS0_10empty_typeEbEEZZNS1_14partition_implILS5_8ELb0ES3_jPKlPS6_PKS6_NS0_5tupleIJPlS6_EEENSE_IJSB_SB_EEENS0_18inequality_wrapperIN6hipcub16HIPCUB_304000_NS8EqualityEEESF_JS6_EEE10hipError_tPvRmT3_T4_T5_T6_T7_T9_mT8_P12ihipStream_tbDpT10_ENKUlT_T0_E_clISt17integral_constantIbLb0EES16_EEDaS11_S12_EUlS11_E_NS1_11comp_targetILNS1_3genE8ELNS1_11target_archE1030ELNS1_3gpuE2ELNS1_3repE0EEENS1_30default_config_static_selectorELNS0_4arch9wavefront6targetE1EEEvT1_
	.p2align	8
	.type	_ZN7rocprim17ROCPRIM_400000_NS6detail17trampoline_kernelINS0_14default_configENS1_25partition_config_selectorILNS1_17partition_subalgoE8ElNS0_10empty_typeEbEEZZNS1_14partition_implILS5_8ELb0ES3_jPKlPS6_PKS6_NS0_5tupleIJPlS6_EEENSE_IJSB_SB_EEENS0_18inequality_wrapperIN6hipcub16HIPCUB_304000_NS8EqualityEEESF_JS6_EEE10hipError_tPvRmT3_T4_T5_T6_T7_T9_mT8_P12ihipStream_tbDpT10_ENKUlT_T0_E_clISt17integral_constantIbLb0EES16_EEDaS11_S12_EUlS11_E_NS1_11comp_targetILNS1_3genE8ELNS1_11target_archE1030ELNS1_3gpuE2ELNS1_3repE0EEENS1_30default_config_static_selectorELNS0_4arch9wavefront6targetE1EEEvT1_,@function
_ZN7rocprim17ROCPRIM_400000_NS6detail17trampoline_kernelINS0_14default_configENS1_25partition_config_selectorILNS1_17partition_subalgoE8ElNS0_10empty_typeEbEEZZNS1_14partition_implILS5_8ELb0ES3_jPKlPS6_PKS6_NS0_5tupleIJPlS6_EEENSE_IJSB_SB_EEENS0_18inequality_wrapperIN6hipcub16HIPCUB_304000_NS8EqualityEEESF_JS6_EEE10hipError_tPvRmT3_T4_T5_T6_T7_T9_mT8_P12ihipStream_tbDpT10_ENKUlT_T0_E_clISt17integral_constantIbLb0EES16_EEDaS11_S12_EUlS11_E_NS1_11comp_targetILNS1_3genE8ELNS1_11target_archE1030ELNS1_3gpuE2ELNS1_3repE0EEENS1_30default_config_static_selectorELNS0_4arch9wavefront6targetE1EEEvT1_: ; @_ZN7rocprim17ROCPRIM_400000_NS6detail17trampoline_kernelINS0_14default_configENS1_25partition_config_selectorILNS1_17partition_subalgoE8ElNS0_10empty_typeEbEEZZNS1_14partition_implILS5_8ELb0ES3_jPKlPS6_PKS6_NS0_5tupleIJPlS6_EEENSE_IJSB_SB_EEENS0_18inequality_wrapperIN6hipcub16HIPCUB_304000_NS8EqualityEEESF_JS6_EEE10hipError_tPvRmT3_T4_T5_T6_T7_T9_mT8_P12ihipStream_tbDpT10_ENKUlT_T0_E_clISt17integral_constantIbLb0EES16_EEDaS11_S12_EUlS11_E_NS1_11comp_targetILNS1_3genE8ELNS1_11target_archE1030ELNS1_3gpuE2ELNS1_3repE0EEENS1_30default_config_static_selectorELNS0_4arch9wavefront6targetE1EEEvT1_
; %bb.0:
	.section	.rodata,"a",@progbits
	.p2align	6, 0x0
	.amdhsa_kernel _ZN7rocprim17ROCPRIM_400000_NS6detail17trampoline_kernelINS0_14default_configENS1_25partition_config_selectorILNS1_17partition_subalgoE8ElNS0_10empty_typeEbEEZZNS1_14partition_implILS5_8ELb0ES3_jPKlPS6_PKS6_NS0_5tupleIJPlS6_EEENSE_IJSB_SB_EEENS0_18inequality_wrapperIN6hipcub16HIPCUB_304000_NS8EqualityEEESF_JS6_EEE10hipError_tPvRmT3_T4_T5_T6_T7_T9_mT8_P12ihipStream_tbDpT10_ENKUlT_T0_E_clISt17integral_constantIbLb0EES16_EEDaS11_S12_EUlS11_E_NS1_11comp_targetILNS1_3genE8ELNS1_11target_archE1030ELNS1_3gpuE2ELNS1_3repE0EEENS1_30default_config_static_selectorELNS0_4arch9wavefront6targetE1EEEvT1_
		.amdhsa_group_segment_fixed_size 0
		.amdhsa_private_segment_fixed_size 0
		.amdhsa_kernarg_size 112
		.amdhsa_user_sgpr_count 6
		.amdhsa_user_sgpr_private_segment_buffer 1
		.amdhsa_user_sgpr_dispatch_ptr 0
		.amdhsa_user_sgpr_queue_ptr 0
		.amdhsa_user_sgpr_kernarg_segment_ptr 1
		.amdhsa_user_sgpr_dispatch_id 0
		.amdhsa_user_sgpr_flat_scratch_init 0
		.amdhsa_user_sgpr_kernarg_preload_length 0
		.amdhsa_user_sgpr_kernarg_preload_offset 0
		.amdhsa_user_sgpr_private_segment_size 0
		.amdhsa_uses_dynamic_stack 0
		.amdhsa_system_sgpr_private_segment_wavefront_offset 0
		.amdhsa_system_sgpr_workgroup_id_x 1
		.amdhsa_system_sgpr_workgroup_id_y 0
		.amdhsa_system_sgpr_workgroup_id_z 0
		.amdhsa_system_sgpr_workgroup_info 0
		.amdhsa_system_vgpr_workitem_id 0
		.amdhsa_next_free_vgpr 1
		.amdhsa_next_free_sgpr 0
		.amdhsa_accum_offset 4
		.amdhsa_reserve_vcc 0
		.amdhsa_reserve_flat_scratch 0
		.amdhsa_float_round_mode_32 0
		.amdhsa_float_round_mode_16_64 0
		.amdhsa_float_denorm_mode_32 3
		.amdhsa_float_denorm_mode_16_64 3
		.amdhsa_dx10_clamp 1
		.amdhsa_ieee_mode 1
		.amdhsa_fp16_overflow 0
		.amdhsa_tg_split 0
		.amdhsa_exception_fp_ieee_invalid_op 0
		.amdhsa_exception_fp_denorm_src 0
		.amdhsa_exception_fp_ieee_div_zero 0
		.amdhsa_exception_fp_ieee_overflow 0
		.amdhsa_exception_fp_ieee_underflow 0
		.amdhsa_exception_fp_ieee_inexact 0
		.amdhsa_exception_int_div_zero 0
	.end_amdhsa_kernel
	.section	.text._ZN7rocprim17ROCPRIM_400000_NS6detail17trampoline_kernelINS0_14default_configENS1_25partition_config_selectorILNS1_17partition_subalgoE8ElNS0_10empty_typeEbEEZZNS1_14partition_implILS5_8ELb0ES3_jPKlPS6_PKS6_NS0_5tupleIJPlS6_EEENSE_IJSB_SB_EEENS0_18inequality_wrapperIN6hipcub16HIPCUB_304000_NS8EqualityEEESF_JS6_EEE10hipError_tPvRmT3_T4_T5_T6_T7_T9_mT8_P12ihipStream_tbDpT10_ENKUlT_T0_E_clISt17integral_constantIbLb0EES16_EEDaS11_S12_EUlS11_E_NS1_11comp_targetILNS1_3genE8ELNS1_11target_archE1030ELNS1_3gpuE2ELNS1_3repE0EEENS1_30default_config_static_selectorELNS0_4arch9wavefront6targetE1EEEvT1_,"axG",@progbits,_ZN7rocprim17ROCPRIM_400000_NS6detail17trampoline_kernelINS0_14default_configENS1_25partition_config_selectorILNS1_17partition_subalgoE8ElNS0_10empty_typeEbEEZZNS1_14partition_implILS5_8ELb0ES3_jPKlPS6_PKS6_NS0_5tupleIJPlS6_EEENSE_IJSB_SB_EEENS0_18inequality_wrapperIN6hipcub16HIPCUB_304000_NS8EqualityEEESF_JS6_EEE10hipError_tPvRmT3_T4_T5_T6_T7_T9_mT8_P12ihipStream_tbDpT10_ENKUlT_T0_E_clISt17integral_constantIbLb0EES16_EEDaS11_S12_EUlS11_E_NS1_11comp_targetILNS1_3genE8ELNS1_11target_archE1030ELNS1_3gpuE2ELNS1_3repE0EEENS1_30default_config_static_selectorELNS0_4arch9wavefront6targetE1EEEvT1_,comdat
.Lfunc_end486:
	.size	_ZN7rocprim17ROCPRIM_400000_NS6detail17trampoline_kernelINS0_14default_configENS1_25partition_config_selectorILNS1_17partition_subalgoE8ElNS0_10empty_typeEbEEZZNS1_14partition_implILS5_8ELb0ES3_jPKlPS6_PKS6_NS0_5tupleIJPlS6_EEENSE_IJSB_SB_EEENS0_18inequality_wrapperIN6hipcub16HIPCUB_304000_NS8EqualityEEESF_JS6_EEE10hipError_tPvRmT3_T4_T5_T6_T7_T9_mT8_P12ihipStream_tbDpT10_ENKUlT_T0_E_clISt17integral_constantIbLb0EES16_EEDaS11_S12_EUlS11_E_NS1_11comp_targetILNS1_3genE8ELNS1_11target_archE1030ELNS1_3gpuE2ELNS1_3repE0EEENS1_30default_config_static_selectorELNS0_4arch9wavefront6targetE1EEEvT1_, .Lfunc_end486-_ZN7rocprim17ROCPRIM_400000_NS6detail17trampoline_kernelINS0_14default_configENS1_25partition_config_selectorILNS1_17partition_subalgoE8ElNS0_10empty_typeEbEEZZNS1_14partition_implILS5_8ELb0ES3_jPKlPS6_PKS6_NS0_5tupleIJPlS6_EEENSE_IJSB_SB_EEENS0_18inequality_wrapperIN6hipcub16HIPCUB_304000_NS8EqualityEEESF_JS6_EEE10hipError_tPvRmT3_T4_T5_T6_T7_T9_mT8_P12ihipStream_tbDpT10_ENKUlT_T0_E_clISt17integral_constantIbLb0EES16_EEDaS11_S12_EUlS11_E_NS1_11comp_targetILNS1_3genE8ELNS1_11target_archE1030ELNS1_3gpuE2ELNS1_3repE0EEENS1_30default_config_static_selectorELNS0_4arch9wavefront6targetE1EEEvT1_
                                        ; -- End function
	.section	.AMDGPU.csdata,"",@progbits
; Kernel info:
; codeLenInByte = 0
; NumSgprs: 4
; NumVgprs: 0
; NumAgprs: 0
; TotalNumVgprs: 0
; ScratchSize: 0
; MemoryBound: 0
; FloatMode: 240
; IeeeMode: 1
; LDSByteSize: 0 bytes/workgroup (compile time only)
; SGPRBlocks: 0
; VGPRBlocks: 0
; NumSGPRsForWavesPerEU: 4
; NumVGPRsForWavesPerEU: 1
; AccumOffset: 4
; Occupancy: 8
; WaveLimiterHint : 0
; COMPUTE_PGM_RSRC2:SCRATCH_EN: 0
; COMPUTE_PGM_RSRC2:USER_SGPR: 6
; COMPUTE_PGM_RSRC2:TRAP_HANDLER: 0
; COMPUTE_PGM_RSRC2:TGID_X_EN: 1
; COMPUTE_PGM_RSRC2:TGID_Y_EN: 0
; COMPUTE_PGM_RSRC2:TGID_Z_EN: 0
; COMPUTE_PGM_RSRC2:TIDIG_COMP_CNT: 0
; COMPUTE_PGM_RSRC3_GFX90A:ACCUM_OFFSET: 0
; COMPUTE_PGM_RSRC3_GFX90A:TG_SPLIT: 0
	.section	.text._ZN7rocprim17ROCPRIM_400000_NS6detail17trampoline_kernelINS0_14default_configENS1_25partition_config_selectorILNS1_17partition_subalgoE8ElNS0_10empty_typeEbEEZZNS1_14partition_implILS5_8ELb0ES3_jPKlPS6_PKS6_NS0_5tupleIJPlS6_EEENSE_IJSB_SB_EEENS0_18inequality_wrapperIN6hipcub16HIPCUB_304000_NS8EqualityEEESF_JS6_EEE10hipError_tPvRmT3_T4_T5_T6_T7_T9_mT8_P12ihipStream_tbDpT10_ENKUlT_T0_E_clISt17integral_constantIbLb1EES16_EEDaS11_S12_EUlS11_E_NS1_11comp_targetILNS1_3genE0ELNS1_11target_archE4294967295ELNS1_3gpuE0ELNS1_3repE0EEENS1_30default_config_static_selectorELNS0_4arch9wavefront6targetE1EEEvT1_,"axG",@progbits,_ZN7rocprim17ROCPRIM_400000_NS6detail17trampoline_kernelINS0_14default_configENS1_25partition_config_selectorILNS1_17partition_subalgoE8ElNS0_10empty_typeEbEEZZNS1_14partition_implILS5_8ELb0ES3_jPKlPS6_PKS6_NS0_5tupleIJPlS6_EEENSE_IJSB_SB_EEENS0_18inequality_wrapperIN6hipcub16HIPCUB_304000_NS8EqualityEEESF_JS6_EEE10hipError_tPvRmT3_T4_T5_T6_T7_T9_mT8_P12ihipStream_tbDpT10_ENKUlT_T0_E_clISt17integral_constantIbLb1EES16_EEDaS11_S12_EUlS11_E_NS1_11comp_targetILNS1_3genE0ELNS1_11target_archE4294967295ELNS1_3gpuE0ELNS1_3repE0EEENS1_30default_config_static_selectorELNS0_4arch9wavefront6targetE1EEEvT1_,comdat
	.protected	_ZN7rocprim17ROCPRIM_400000_NS6detail17trampoline_kernelINS0_14default_configENS1_25partition_config_selectorILNS1_17partition_subalgoE8ElNS0_10empty_typeEbEEZZNS1_14partition_implILS5_8ELb0ES3_jPKlPS6_PKS6_NS0_5tupleIJPlS6_EEENSE_IJSB_SB_EEENS0_18inequality_wrapperIN6hipcub16HIPCUB_304000_NS8EqualityEEESF_JS6_EEE10hipError_tPvRmT3_T4_T5_T6_T7_T9_mT8_P12ihipStream_tbDpT10_ENKUlT_T0_E_clISt17integral_constantIbLb1EES16_EEDaS11_S12_EUlS11_E_NS1_11comp_targetILNS1_3genE0ELNS1_11target_archE4294967295ELNS1_3gpuE0ELNS1_3repE0EEENS1_30default_config_static_selectorELNS0_4arch9wavefront6targetE1EEEvT1_ ; -- Begin function _ZN7rocprim17ROCPRIM_400000_NS6detail17trampoline_kernelINS0_14default_configENS1_25partition_config_selectorILNS1_17partition_subalgoE8ElNS0_10empty_typeEbEEZZNS1_14partition_implILS5_8ELb0ES3_jPKlPS6_PKS6_NS0_5tupleIJPlS6_EEENSE_IJSB_SB_EEENS0_18inequality_wrapperIN6hipcub16HIPCUB_304000_NS8EqualityEEESF_JS6_EEE10hipError_tPvRmT3_T4_T5_T6_T7_T9_mT8_P12ihipStream_tbDpT10_ENKUlT_T0_E_clISt17integral_constantIbLb1EES16_EEDaS11_S12_EUlS11_E_NS1_11comp_targetILNS1_3genE0ELNS1_11target_archE4294967295ELNS1_3gpuE0ELNS1_3repE0EEENS1_30default_config_static_selectorELNS0_4arch9wavefront6targetE1EEEvT1_
	.globl	_ZN7rocprim17ROCPRIM_400000_NS6detail17trampoline_kernelINS0_14default_configENS1_25partition_config_selectorILNS1_17partition_subalgoE8ElNS0_10empty_typeEbEEZZNS1_14partition_implILS5_8ELb0ES3_jPKlPS6_PKS6_NS0_5tupleIJPlS6_EEENSE_IJSB_SB_EEENS0_18inequality_wrapperIN6hipcub16HIPCUB_304000_NS8EqualityEEESF_JS6_EEE10hipError_tPvRmT3_T4_T5_T6_T7_T9_mT8_P12ihipStream_tbDpT10_ENKUlT_T0_E_clISt17integral_constantIbLb1EES16_EEDaS11_S12_EUlS11_E_NS1_11comp_targetILNS1_3genE0ELNS1_11target_archE4294967295ELNS1_3gpuE0ELNS1_3repE0EEENS1_30default_config_static_selectorELNS0_4arch9wavefront6targetE1EEEvT1_
	.p2align	8
	.type	_ZN7rocprim17ROCPRIM_400000_NS6detail17trampoline_kernelINS0_14default_configENS1_25partition_config_selectorILNS1_17partition_subalgoE8ElNS0_10empty_typeEbEEZZNS1_14partition_implILS5_8ELb0ES3_jPKlPS6_PKS6_NS0_5tupleIJPlS6_EEENSE_IJSB_SB_EEENS0_18inequality_wrapperIN6hipcub16HIPCUB_304000_NS8EqualityEEESF_JS6_EEE10hipError_tPvRmT3_T4_T5_T6_T7_T9_mT8_P12ihipStream_tbDpT10_ENKUlT_T0_E_clISt17integral_constantIbLb1EES16_EEDaS11_S12_EUlS11_E_NS1_11comp_targetILNS1_3genE0ELNS1_11target_archE4294967295ELNS1_3gpuE0ELNS1_3repE0EEENS1_30default_config_static_selectorELNS0_4arch9wavefront6targetE1EEEvT1_,@function
_ZN7rocprim17ROCPRIM_400000_NS6detail17trampoline_kernelINS0_14default_configENS1_25partition_config_selectorILNS1_17partition_subalgoE8ElNS0_10empty_typeEbEEZZNS1_14partition_implILS5_8ELb0ES3_jPKlPS6_PKS6_NS0_5tupleIJPlS6_EEENSE_IJSB_SB_EEENS0_18inequality_wrapperIN6hipcub16HIPCUB_304000_NS8EqualityEEESF_JS6_EEE10hipError_tPvRmT3_T4_T5_T6_T7_T9_mT8_P12ihipStream_tbDpT10_ENKUlT_T0_E_clISt17integral_constantIbLb1EES16_EEDaS11_S12_EUlS11_E_NS1_11comp_targetILNS1_3genE0ELNS1_11target_archE4294967295ELNS1_3gpuE0ELNS1_3repE0EEENS1_30default_config_static_selectorELNS0_4arch9wavefront6targetE1EEEvT1_: ; @_ZN7rocprim17ROCPRIM_400000_NS6detail17trampoline_kernelINS0_14default_configENS1_25partition_config_selectorILNS1_17partition_subalgoE8ElNS0_10empty_typeEbEEZZNS1_14partition_implILS5_8ELb0ES3_jPKlPS6_PKS6_NS0_5tupleIJPlS6_EEENSE_IJSB_SB_EEENS0_18inequality_wrapperIN6hipcub16HIPCUB_304000_NS8EqualityEEESF_JS6_EEE10hipError_tPvRmT3_T4_T5_T6_T7_T9_mT8_P12ihipStream_tbDpT10_ENKUlT_T0_E_clISt17integral_constantIbLb1EES16_EEDaS11_S12_EUlS11_E_NS1_11comp_targetILNS1_3genE0ELNS1_11target_archE4294967295ELNS1_3gpuE0ELNS1_3repE0EEENS1_30default_config_static_selectorELNS0_4arch9wavefront6targetE1EEEvT1_
; %bb.0:
	.section	.rodata,"a",@progbits
	.p2align	6, 0x0
	.amdhsa_kernel _ZN7rocprim17ROCPRIM_400000_NS6detail17trampoline_kernelINS0_14default_configENS1_25partition_config_selectorILNS1_17partition_subalgoE8ElNS0_10empty_typeEbEEZZNS1_14partition_implILS5_8ELb0ES3_jPKlPS6_PKS6_NS0_5tupleIJPlS6_EEENSE_IJSB_SB_EEENS0_18inequality_wrapperIN6hipcub16HIPCUB_304000_NS8EqualityEEESF_JS6_EEE10hipError_tPvRmT3_T4_T5_T6_T7_T9_mT8_P12ihipStream_tbDpT10_ENKUlT_T0_E_clISt17integral_constantIbLb1EES16_EEDaS11_S12_EUlS11_E_NS1_11comp_targetILNS1_3genE0ELNS1_11target_archE4294967295ELNS1_3gpuE0ELNS1_3repE0EEENS1_30default_config_static_selectorELNS0_4arch9wavefront6targetE1EEEvT1_
		.amdhsa_group_segment_fixed_size 0
		.amdhsa_private_segment_fixed_size 0
		.amdhsa_kernarg_size 128
		.amdhsa_user_sgpr_count 6
		.amdhsa_user_sgpr_private_segment_buffer 1
		.amdhsa_user_sgpr_dispatch_ptr 0
		.amdhsa_user_sgpr_queue_ptr 0
		.amdhsa_user_sgpr_kernarg_segment_ptr 1
		.amdhsa_user_sgpr_dispatch_id 0
		.amdhsa_user_sgpr_flat_scratch_init 0
		.amdhsa_user_sgpr_kernarg_preload_length 0
		.amdhsa_user_sgpr_kernarg_preload_offset 0
		.amdhsa_user_sgpr_private_segment_size 0
		.amdhsa_uses_dynamic_stack 0
		.amdhsa_system_sgpr_private_segment_wavefront_offset 0
		.amdhsa_system_sgpr_workgroup_id_x 1
		.amdhsa_system_sgpr_workgroup_id_y 0
		.amdhsa_system_sgpr_workgroup_id_z 0
		.amdhsa_system_sgpr_workgroup_info 0
		.amdhsa_system_vgpr_workitem_id 0
		.amdhsa_next_free_vgpr 1
		.amdhsa_next_free_sgpr 0
		.amdhsa_accum_offset 4
		.amdhsa_reserve_vcc 0
		.amdhsa_reserve_flat_scratch 0
		.amdhsa_float_round_mode_32 0
		.amdhsa_float_round_mode_16_64 0
		.amdhsa_float_denorm_mode_32 3
		.amdhsa_float_denorm_mode_16_64 3
		.amdhsa_dx10_clamp 1
		.amdhsa_ieee_mode 1
		.amdhsa_fp16_overflow 0
		.amdhsa_tg_split 0
		.amdhsa_exception_fp_ieee_invalid_op 0
		.amdhsa_exception_fp_denorm_src 0
		.amdhsa_exception_fp_ieee_div_zero 0
		.amdhsa_exception_fp_ieee_overflow 0
		.amdhsa_exception_fp_ieee_underflow 0
		.amdhsa_exception_fp_ieee_inexact 0
		.amdhsa_exception_int_div_zero 0
	.end_amdhsa_kernel
	.section	.text._ZN7rocprim17ROCPRIM_400000_NS6detail17trampoline_kernelINS0_14default_configENS1_25partition_config_selectorILNS1_17partition_subalgoE8ElNS0_10empty_typeEbEEZZNS1_14partition_implILS5_8ELb0ES3_jPKlPS6_PKS6_NS0_5tupleIJPlS6_EEENSE_IJSB_SB_EEENS0_18inequality_wrapperIN6hipcub16HIPCUB_304000_NS8EqualityEEESF_JS6_EEE10hipError_tPvRmT3_T4_T5_T6_T7_T9_mT8_P12ihipStream_tbDpT10_ENKUlT_T0_E_clISt17integral_constantIbLb1EES16_EEDaS11_S12_EUlS11_E_NS1_11comp_targetILNS1_3genE0ELNS1_11target_archE4294967295ELNS1_3gpuE0ELNS1_3repE0EEENS1_30default_config_static_selectorELNS0_4arch9wavefront6targetE1EEEvT1_,"axG",@progbits,_ZN7rocprim17ROCPRIM_400000_NS6detail17trampoline_kernelINS0_14default_configENS1_25partition_config_selectorILNS1_17partition_subalgoE8ElNS0_10empty_typeEbEEZZNS1_14partition_implILS5_8ELb0ES3_jPKlPS6_PKS6_NS0_5tupleIJPlS6_EEENSE_IJSB_SB_EEENS0_18inequality_wrapperIN6hipcub16HIPCUB_304000_NS8EqualityEEESF_JS6_EEE10hipError_tPvRmT3_T4_T5_T6_T7_T9_mT8_P12ihipStream_tbDpT10_ENKUlT_T0_E_clISt17integral_constantIbLb1EES16_EEDaS11_S12_EUlS11_E_NS1_11comp_targetILNS1_3genE0ELNS1_11target_archE4294967295ELNS1_3gpuE0ELNS1_3repE0EEENS1_30default_config_static_selectorELNS0_4arch9wavefront6targetE1EEEvT1_,comdat
.Lfunc_end487:
	.size	_ZN7rocprim17ROCPRIM_400000_NS6detail17trampoline_kernelINS0_14default_configENS1_25partition_config_selectorILNS1_17partition_subalgoE8ElNS0_10empty_typeEbEEZZNS1_14partition_implILS5_8ELb0ES3_jPKlPS6_PKS6_NS0_5tupleIJPlS6_EEENSE_IJSB_SB_EEENS0_18inequality_wrapperIN6hipcub16HIPCUB_304000_NS8EqualityEEESF_JS6_EEE10hipError_tPvRmT3_T4_T5_T6_T7_T9_mT8_P12ihipStream_tbDpT10_ENKUlT_T0_E_clISt17integral_constantIbLb1EES16_EEDaS11_S12_EUlS11_E_NS1_11comp_targetILNS1_3genE0ELNS1_11target_archE4294967295ELNS1_3gpuE0ELNS1_3repE0EEENS1_30default_config_static_selectorELNS0_4arch9wavefront6targetE1EEEvT1_, .Lfunc_end487-_ZN7rocprim17ROCPRIM_400000_NS6detail17trampoline_kernelINS0_14default_configENS1_25partition_config_selectorILNS1_17partition_subalgoE8ElNS0_10empty_typeEbEEZZNS1_14partition_implILS5_8ELb0ES3_jPKlPS6_PKS6_NS0_5tupleIJPlS6_EEENSE_IJSB_SB_EEENS0_18inequality_wrapperIN6hipcub16HIPCUB_304000_NS8EqualityEEESF_JS6_EEE10hipError_tPvRmT3_T4_T5_T6_T7_T9_mT8_P12ihipStream_tbDpT10_ENKUlT_T0_E_clISt17integral_constantIbLb1EES16_EEDaS11_S12_EUlS11_E_NS1_11comp_targetILNS1_3genE0ELNS1_11target_archE4294967295ELNS1_3gpuE0ELNS1_3repE0EEENS1_30default_config_static_selectorELNS0_4arch9wavefront6targetE1EEEvT1_
                                        ; -- End function
	.section	.AMDGPU.csdata,"",@progbits
; Kernel info:
; codeLenInByte = 0
; NumSgprs: 4
; NumVgprs: 0
; NumAgprs: 0
; TotalNumVgprs: 0
; ScratchSize: 0
; MemoryBound: 0
; FloatMode: 240
; IeeeMode: 1
; LDSByteSize: 0 bytes/workgroup (compile time only)
; SGPRBlocks: 0
; VGPRBlocks: 0
; NumSGPRsForWavesPerEU: 4
; NumVGPRsForWavesPerEU: 1
; AccumOffset: 4
; Occupancy: 8
; WaveLimiterHint : 0
; COMPUTE_PGM_RSRC2:SCRATCH_EN: 0
; COMPUTE_PGM_RSRC2:USER_SGPR: 6
; COMPUTE_PGM_RSRC2:TRAP_HANDLER: 0
; COMPUTE_PGM_RSRC2:TGID_X_EN: 1
; COMPUTE_PGM_RSRC2:TGID_Y_EN: 0
; COMPUTE_PGM_RSRC2:TGID_Z_EN: 0
; COMPUTE_PGM_RSRC2:TIDIG_COMP_CNT: 0
; COMPUTE_PGM_RSRC3_GFX90A:ACCUM_OFFSET: 0
; COMPUTE_PGM_RSRC3_GFX90A:TG_SPLIT: 0
	.section	.text._ZN7rocprim17ROCPRIM_400000_NS6detail17trampoline_kernelINS0_14default_configENS1_25partition_config_selectorILNS1_17partition_subalgoE8ElNS0_10empty_typeEbEEZZNS1_14partition_implILS5_8ELb0ES3_jPKlPS6_PKS6_NS0_5tupleIJPlS6_EEENSE_IJSB_SB_EEENS0_18inequality_wrapperIN6hipcub16HIPCUB_304000_NS8EqualityEEESF_JS6_EEE10hipError_tPvRmT3_T4_T5_T6_T7_T9_mT8_P12ihipStream_tbDpT10_ENKUlT_T0_E_clISt17integral_constantIbLb1EES16_EEDaS11_S12_EUlS11_E_NS1_11comp_targetILNS1_3genE5ELNS1_11target_archE942ELNS1_3gpuE9ELNS1_3repE0EEENS1_30default_config_static_selectorELNS0_4arch9wavefront6targetE1EEEvT1_,"axG",@progbits,_ZN7rocprim17ROCPRIM_400000_NS6detail17trampoline_kernelINS0_14default_configENS1_25partition_config_selectorILNS1_17partition_subalgoE8ElNS0_10empty_typeEbEEZZNS1_14partition_implILS5_8ELb0ES3_jPKlPS6_PKS6_NS0_5tupleIJPlS6_EEENSE_IJSB_SB_EEENS0_18inequality_wrapperIN6hipcub16HIPCUB_304000_NS8EqualityEEESF_JS6_EEE10hipError_tPvRmT3_T4_T5_T6_T7_T9_mT8_P12ihipStream_tbDpT10_ENKUlT_T0_E_clISt17integral_constantIbLb1EES16_EEDaS11_S12_EUlS11_E_NS1_11comp_targetILNS1_3genE5ELNS1_11target_archE942ELNS1_3gpuE9ELNS1_3repE0EEENS1_30default_config_static_selectorELNS0_4arch9wavefront6targetE1EEEvT1_,comdat
	.protected	_ZN7rocprim17ROCPRIM_400000_NS6detail17trampoline_kernelINS0_14default_configENS1_25partition_config_selectorILNS1_17partition_subalgoE8ElNS0_10empty_typeEbEEZZNS1_14partition_implILS5_8ELb0ES3_jPKlPS6_PKS6_NS0_5tupleIJPlS6_EEENSE_IJSB_SB_EEENS0_18inequality_wrapperIN6hipcub16HIPCUB_304000_NS8EqualityEEESF_JS6_EEE10hipError_tPvRmT3_T4_T5_T6_T7_T9_mT8_P12ihipStream_tbDpT10_ENKUlT_T0_E_clISt17integral_constantIbLb1EES16_EEDaS11_S12_EUlS11_E_NS1_11comp_targetILNS1_3genE5ELNS1_11target_archE942ELNS1_3gpuE9ELNS1_3repE0EEENS1_30default_config_static_selectorELNS0_4arch9wavefront6targetE1EEEvT1_ ; -- Begin function _ZN7rocprim17ROCPRIM_400000_NS6detail17trampoline_kernelINS0_14default_configENS1_25partition_config_selectorILNS1_17partition_subalgoE8ElNS0_10empty_typeEbEEZZNS1_14partition_implILS5_8ELb0ES3_jPKlPS6_PKS6_NS0_5tupleIJPlS6_EEENSE_IJSB_SB_EEENS0_18inequality_wrapperIN6hipcub16HIPCUB_304000_NS8EqualityEEESF_JS6_EEE10hipError_tPvRmT3_T4_T5_T6_T7_T9_mT8_P12ihipStream_tbDpT10_ENKUlT_T0_E_clISt17integral_constantIbLb1EES16_EEDaS11_S12_EUlS11_E_NS1_11comp_targetILNS1_3genE5ELNS1_11target_archE942ELNS1_3gpuE9ELNS1_3repE0EEENS1_30default_config_static_selectorELNS0_4arch9wavefront6targetE1EEEvT1_
	.globl	_ZN7rocprim17ROCPRIM_400000_NS6detail17trampoline_kernelINS0_14default_configENS1_25partition_config_selectorILNS1_17partition_subalgoE8ElNS0_10empty_typeEbEEZZNS1_14partition_implILS5_8ELb0ES3_jPKlPS6_PKS6_NS0_5tupleIJPlS6_EEENSE_IJSB_SB_EEENS0_18inequality_wrapperIN6hipcub16HIPCUB_304000_NS8EqualityEEESF_JS6_EEE10hipError_tPvRmT3_T4_T5_T6_T7_T9_mT8_P12ihipStream_tbDpT10_ENKUlT_T0_E_clISt17integral_constantIbLb1EES16_EEDaS11_S12_EUlS11_E_NS1_11comp_targetILNS1_3genE5ELNS1_11target_archE942ELNS1_3gpuE9ELNS1_3repE0EEENS1_30default_config_static_selectorELNS0_4arch9wavefront6targetE1EEEvT1_
	.p2align	8
	.type	_ZN7rocprim17ROCPRIM_400000_NS6detail17trampoline_kernelINS0_14default_configENS1_25partition_config_selectorILNS1_17partition_subalgoE8ElNS0_10empty_typeEbEEZZNS1_14partition_implILS5_8ELb0ES3_jPKlPS6_PKS6_NS0_5tupleIJPlS6_EEENSE_IJSB_SB_EEENS0_18inequality_wrapperIN6hipcub16HIPCUB_304000_NS8EqualityEEESF_JS6_EEE10hipError_tPvRmT3_T4_T5_T6_T7_T9_mT8_P12ihipStream_tbDpT10_ENKUlT_T0_E_clISt17integral_constantIbLb1EES16_EEDaS11_S12_EUlS11_E_NS1_11comp_targetILNS1_3genE5ELNS1_11target_archE942ELNS1_3gpuE9ELNS1_3repE0EEENS1_30default_config_static_selectorELNS0_4arch9wavefront6targetE1EEEvT1_,@function
_ZN7rocprim17ROCPRIM_400000_NS6detail17trampoline_kernelINS0_14default_configENS1_25partition_config_selectorILNS1_17partition_subalgoE8ElNS0_10empty_typeEbEEZZNS1_14partition_implILS5_8ELb0ES3_jPKlPS6_PKS6_NS0_5tupleIJPlS6_EEENSE_IJSB_SB_EEENS0_18inequality_wrapperIN6hipcub16HIPCUB_304000_NS8EqualityEEESF_JS6_EEE10hipError_tPvRmT3_T4_T5_T6_T7_T9_mT8_P12ihipStream_tbDpT10_ENKUlT_T0_E_clISt17integral_constantIbLb1EES16_EEDaS11_S12_EUlS11_E_NS1_11comp_targetILNS1_3genE5ELNS1_11target_archE942ELNS1_3gpuE9ELNS1_3repE0EEENS1_30default_config_static_selectorELNS0_4arch9wavefront6targetE1EEEvT1_: ; @_ZN7rocprim17ROCPRIM_400000_NS6detail17trampoline_kernelINS0_14default_configENS1_25partition_config_selectorILNS1_17partition_subalgoE8ElNS0_10empty_typeEbEEZZNS1_14partition_implILS5_8ELb0ES3_jPKlPS6_PKS6_NS0_5tupleIJPlS6_EEENSE_IJSB_SB_EEENS0_18inequality_wrapperIN6hipcub16HIPCUB_304000_NS8EqualityEEESF_JS6_EEE10hipError_tPvRmT3_T4_T5_T6_T7_T9_mT8_P12ihipStream_tbDpT10_ENKUlT_T0_E_clISt17integral_constantIbLb1EES16_EEDaS11_S12_EUlS11_E_NS1_11comp_targetILNS1_3genE5ELNS1_11target_archE942ELNS1_3gpuE9ELNS1_3repE0EEENS1_30default_config_static_selectorELNS0_4arch9wavefront6targetE1EEEvT1_
; %bb.0:
	.section	.rodata,"a",@progbits
	.p2align	6, 0x0
	.amdhsa_kernel _ZN7rocprim17ROCPRIM_400000_NS6detail17trampoline_kernelINS0_14default_configENS1_25partition_config_selectorILNS1_17partition_subalgoE8ElNS0_10empty_typeEbEEZZNS1_14partition_implILS5_8ELb0ES3_jPKlPS6_PKS6_NS0_5tupleIJPlS6_EEENSE_IJSB_SB_EEENS0_18inequality_wrapperIN6hipcub16HIPCUB_304000_NS8EqualityEEESF_JS6_EEE10hipError_tPvRmT3_T4_T5_T6_T7_T9_mT8_P12ihipStream_tbDpT10_ENKUlT_T0_E_clISt17integral_constantIbLb1EES16_EEDaS11_S12_EUlS11_E_NS1_11comp_targetILNS1_3genE5ELNS1_11target_archE942ELNS1_3gpuE9ELNS1_3repE0EEENS1_30default_config_static_selectorELNS0_4arch9wavefront6targetE1EEEvT1_
		.amdhsa_group_segment_fixed_size 0
		.amdhsa_private_segment_fixed_size 0
		.amdhsa_kernarg_size 128
		.amdhsa_user_sgpr_count 6
		.amdhsa_user_sgpr_private_segment_buffer 1
		.amdhsa_user_sgpr_dispatch_ptr 0
		.amdhsa_user_sgpr_queue_ptr 0
		.amdhsa_user_sgpr_kernarg_segment_ptr 1
		.amdhsa_user_sgpr_dispatch_id 0
		.amdhsa_user_sgpr_flat_scratch_init 0
		.amdhsa_user_sgpr_kernarg_preload_length 0
		.amdhsa_user_sgpr_kernarg_preload_offset 0
		.amdhsa_user_sgpr_private_segment_size 0
		.amdhsa_uses_dynamic_stack 0
		.amdhsa_system_sgpr_private_segment_wavefront_offset 0
		.amdhsa_system_sgpr_workgroup_id_x 1
		.amdhsa_system_sgpr_workgroup_id_y 0
		.amdhsa_system_sgpr_workgroup_id_z 0
		.amdhsa_system_sgpr_workgroup_info 0
		.amdhsa_system_vgpr_workitem_id 0
		.amdhsa_next_free_vgpr 1
		.amdhsa_next_free_sgpr 0
		.amdhsa_accum_offset 4
		.amdhsa_reserve_vcc 0
		.amdhsa_reserve_flat_scratch 0
		.amdhsa_float_round_mode_32 0
		.amdhsa_float_round_mode_16_64 0
		.amdhsa_float_denorm_mode_32 3
		.amdhsa_float_denorm_mode_16_64 3
		.amdhsa_dx10_clamp 1
		.amdhsa_ieee_mode 1
		.amdhsa_fp16_overflow 0
		.amdhsa_tg_split 0
		.amdhsa_exception_fp_ieee_invalid_op 0
		.amdhsa_exception_fp_denorm_src 0
		.amdhsa_exception_fp_ieee_div_zero 0
		.amdhsa_exception_fp_ieee_overflow 0
		.amdhsa_exception_fp_ieee_underflow 0
		.amdhsa_exception_fp_ieee_inexact 0
		.amdhsa_exception_int_div_zero 0
	.end_amdhsa_kernel
	.section	.text._ZN7rocprim17ROCPRIM_400000_NS6detail17trampoline_kernelINS0_14default_configENS1_25partition_config_selectorILNS1_17partition_subalgoE8ElNS0_10empty_typeEbEEZZNS1_14partition_implILS5_8ELb0ES3_jPKlPS6_PKS6_NS0_5tupleIJPlS6_EEENSE_IJSB_SB_EEENS0_18inequality_wrapperIN6hipcub16HIPCUB_304000_NS8EqualityEEESF_JS6_EEE10hipError_tPvRmT3_T4_T5_T6_T7_T9_mT8_P12ihipStream_tbDpT10_ENKUlT_T0_E_clISt17integral_constantIbLb1EES16_EEDaS11_S12_EUlS11_E_NS1_11comp_targetILNS1_3genE5ELNS1_11target_archE942ELNS1_3gpuE9ELNS1_3repE0EEENS1_30default_config_static_selectorELNS0_4arch9wavefront6targetE1EEEvT1_,"axG",@progbits,_ZN7rocprim17ROCPRIM_400000_NS6detail17trampoline_kernelINS0_14default_configENS1_25partition_config_selectorILNS1_17partition_subalgoE8ElNS0_10empty_typeEbEEZZNS1_14partition_implILS5_8ELb0ES3_jPKlPS6_PKS6_NS0_5tupleIJPlS6_EEENSE_IJSB_SB_EEENS0_18inequality_wrapperIN6hipcub16HIPCUB_304000_NS8EqualityEEESF_JS6_EEE10hipError_tPvRmT3_T4_T5_T6_T7_T9_mT8_P12ihipStream_tbDpT10_ENKUlT_T0_E_clISt17integral_constantIbLb1EES16_EEDaS11_S12_EUlS11_E_NS1_11comp_targetILNS1_3genE5ELNS1_11target_archE942ELNS1_3gpuE9ELNS1_3repE0EEENS1_30default_config_static_selectorELNS0_4arch9wavefront6targetE1EEEvT1_,comdat
.Lfunc_end488:
	.size	_ZN7rocprim17ROCPRIM_400000_NS6detail17trampoline_kernelINS0_14default_configENS1_25partition_config_selectorILNS1_17partition_subalgoE8ElNS0_10empty_typeEbEEZZNS1_14partition_implILS5_8ELb0ES3_jPKlPS6_PKS6_NS0_5tupleIJPlS6_EEENSE_IJSB_SB_EEENS0_18inequality_wrapperIN6hipcub16HIPCUB_304000_NS8EqualityEEESF_JS6_EEE10hipError_tPvRmT3_T4_T5_T6_T7_T9_mT8_P12ihipStream_tbDpT10_ENKUlT_T0_E_clISt17integral_constantIbLb1EES16_EEDaS11_S12_EUlS11_E_NS1_11comp_targetILNS1_3genE5ELNS1_11target_archE942ELNS1_3gpuE9ELNS1_3repE0EEENS1_30default_config_static_selectorELNS0_4arch9wavefront6targetE1EEEvT1_, .Lfunc_end488-_ZN7rocprim17ROCPRIM_400000_NS6detail17trampoline_kernelINS0_14default_configENS1_25partition_config_selectorILNS1_17partition_subalgoE8ElNS0_10empty_typeEbEEZZNS1_14partition_implILS5_8ELb0ES3_jPKlPS6_PKS6_NS0_5tupleIJPlS6_EEENSE_IJSB_SB_EEENS0_18inequality_wrapperIN6hipcub16HIPCUB_304000_NS8EqualityEEESF_JS6_EEE10hipError_tPvRmT3_T4_T5_T6_T7_T9_mT8_P12ihipStream_tbDpT10_ENKUlT_T0_E_clISt17integral_constantIbLb1EES16_EEDaS11_S12_EUlS11_E_NS1_11comp_targetILNS1_3genE5ELNS1_11target_archE942ELNS1_3gpuE9ELNS1_3repE0EEENS1_30default_config_static_selectorELNS0_4arch9wavefront6targetE1EEEvT1_
                                        ; -- End function
	.section	.AMDGPU.csdata,"",@progbits
; Kernel info:
; codeLenInByte = 0
; NumSgprs: 4
; NumVgprs: 0
; NumAgprs: 0
; TotalNumVgprs: 0
; ScratchSize: 0
; MemoryBound: 0
; FloatMode: 240
; IeeeMode: 1
; LDSByteSize: 0 bytes/workgroup (compile time only)
; SGPRBlocks: 0
; VGPRBlocks: 0
; NumSGPRsForWavesPerEU: 4
; NumVGPRsForWavesPerEU: 1
; AccumOffset: 4
; Occupancy: 8
; WaveLimiterHint : 0
; COMPUTE_PGM_RSRC2:SCRATCH_EN: 0
; COMPUTE_PGM_RSRC2:USER_SGPR: 6
; COMPUTE_PGM_RSRC2:TRAP_HANDLER: 0
; COMPUTE_PGM_RSRC2:TGID_X_EN: 1
; COMPUTE_PGM_RSRC2:TGID_Y_EN: 0
; COMPUTE_PGM_RSRC2:TGID_Z_EN: 0
; COMPUTE_PGM_RSRC2:TIDIG_COMP_CNT: 0
; COMPUTE_PGM_RSRC3_GFX90A:ACCUM_OFFSET: 0
; COMPUTE_PGM_RSRC3_GFX90A:TG_SPLIT: 0
	.section	.text._ZN7rocprim17ROCPRIM_400000_NS6detail17trampoline_kernelINS0_14default_configENS1_25partition_config_selectorILNS1_17partition_subalgoE8ElNS0_10empty_typeEbEEZZNS1_14partition_implILS5_8ELb0ES3_jPKlPS6_PKS6_NS0_5tupleIJPlS6_EEENSE_IJSB_SB_EEENS0_18inequality_wrapperIN6hipcub16HIPCUB_304000_NS8EqualityEEESF_JS6_EEE10hipError_tPvRmT3_T4_T5_T6_T7_T9_mT8_P12ihipStream_tbDpT10_ENKUlT_T0_E_clISt17integral_constantIbLb1EES16_EEDaS11_S12_EUlS11_E_NS1_11comp_targetILNS1_3genE4ELNS1_11target_archE910ELNS1_3gpuE8ELNS1_3repE0EEENS1_30default_config_static_selectorELNS0_4arch9wavefront6targetE1EEEvT1_,"axG",@progbits,_ZN7rocprim17ROCPRIM_400000_NS6detail17trampoline_kernelINS0_14default_configENS1_25partition_config_selectorILNS1_17partition_subalgoE8ElNS0_10empty_typeEbEEZZNS1_14partition_implILS5_8ELb0ES3_jPKlPS6_PKS6_NS0_5tupleIJPlS6_EEENSE_IJSB_SB_EEENS0_18inequality_wrapperIN6hipcub16HIPCUB_304000_NS8EqualityEEESF_JS6_EEE10hipError_tPvRmT3_T4_T5_T6_T7_T9_mT8_P12ihipStream_tbDpT10_ENKUlT_T0_E_clISt17integral_constantIbLb1EES16_EEDaS11_S12_EUlS11_E_NS1_11comp_targetILNS1_3genE4ELNS1_11target_archE910ELNS1_3gpuE8ELNS1_3repE0EEENS1_30default_config_static_selectorELNS0_4arch9wavefront6targetE1EEEvT1_,comdat
	.protected	_ZN7rocprim17ROCPRIM_400000_NS6detail17trampoline_kernelINS0_14default_configENS1_25partition_config_selectorILNS1_17partition_subalgoE8ElNS0_10empty_typeEbEEZZNS1_14partition_implILS5_8ELb0ES3_jPKlPS6_PKS6_NS0_5tupleIJPlS6_EEENSE_IJSB_SB_EEENS0_18inequality_wrapperIN6hipcub16HIPCUB_304000_NS8EqualityEEESF_JS6_EEE10hipError_tPvRmT3_T4_T5_T6_T7_T9_mT8_P12ihipStream_tbDpT10_ENKUlT_T0_E_clISt17integral_constantIbLb1EES16_EEDaS11_S12_EUlS11_E_NS1_11comp_targetILNS1_3genE4ELNS1_11target_archE910ELNS1_3gpuE8ELNS1_3repE0EEENS1_30default_config_static_selectorELNS0_4arch9wavefront6targetE1EEEvT1_ ; -- Begin function _ZN7rocprim17ROCPRIM_400000_NS6detail17trampoline_kernelINS0_14default_configENS1_25partition_config_selectorILNS1_17partition_subalgoE8ElNS0_10empty_typeEbEEZZNS1_14partition_implILS5_8ELb0ES3_jPKlPS6_PKS6_NS0_5tupleIJPlS6_EEENSE_IJSB_SB_EEENS0_18inequality_wrapperIN6hipcub16HIPCUB_304000_NS8EqualityEEESF_JS6_EEE10hipError_tPvRmT3_T4_T5_T6_T7_T9_mT8_P12ihipStream_tbDpT10_ENKUlT_T0_E_clISt17integral_constantIbLb1EES16_EEDaS11_S12_EUlS11_E_NS1_11comp_targetILNS1_3genE4ELNS1_11target_archE910ELNS1_3gpuE8ELNS1_3repE0EEENS1_30default_config_static_selectorELNS0_4arch9wavefront6targetE1EEEvT1_
	.globl	_ZN7rocprim17ROCPRIM_400000_NS6detail17trampoline_kernelINS0_14default_configENS1_25partition_config_selectorILNS1_17partition_subalgoE8ElNS0_10empty_typeEbEEZZNS1_14partition_implILS5_8ELb0ES3_jPKlPS6_PKS6_NS0_5tupleIJPlS6_EEENSE_IJSB_SB_EEENS0_18inequality_wrapperIN6hipcub16HIPCUB_304000_NS8EqualityEEESF_JS6_EEE10hipError_tPvRmT3_T4_T5_T6_T7_T9_mT8_P12ihipStream_tbDpT10_ENKUlT_T0_E_clISt17integral_constantIbLb1EES16_EEDaS11_S12_EUlS11_E_NS1_11comp_targetILNS1_3genE4ELNS1_11target_archE910ELNS1_3gpuE8ELNS1_3repE0EEENS1_30default_config_static_selectorELNS0_4arch9wavefront6targetE1EEEvT1_
	.p2align	8
	.type	_ZN7rocprim17ROCPRIM_400000_NS6detail17trampoline_kernelINS0_14default_configENS1_25partition_config_selectorILNS1_17partition_subalgoE8ElNS0_10empty_typeEbEEZZNS1_14partition_implILS5_8ELb0ES3_jPKlPS6_PKS6_NS0_5tupleIJPlS6_EEENSE_IJSB_SB_EEENS0_18inequality_wrapperIN6hipcub16HIPCUB_304000_NS8EqualityEEESF_JS6_EEE10hipError_tPvRmT3_T4_T5_T6_T7_T9_mT8_P12ihipStream_tbDpT10_ENKUlT_T0_E_clISt17integral_constantIbLb1EES16_EEDaS11_S12_EUlS11_E_NS1_11comp_targetILNS1_3genE4ELNS1_11target_archE910ELNS1_3gpuE8ELNS1_3repE0EEENS1_30default_config_static_selectorELNS0_4arch9wavefront6targetE1EEEvT1_,@function
_ZN7rocprim17ROCPRIM_400000_NS6detail17trampoline_kernelINS0_14default_configENS1_25partition_config_selectorILNS1_17partition_subalgoE8ElNS0_10empty_typeEbEEZZNS1_14partition_implILS5_8ELb0ES3_jPKlPS6_PKS6_NS0_5tupleIJPlS6_EEENSE_IJSB_SB_EEENS0_18inequality_wrapperIN6hipcub16HIPCUB_304000_NS8EqualityEEESF_JS6_EEE10hipError_tPvRmT3_T4_T5_T6_T7_T9_mT8_P12ihipStream_tbDpT10_ENKUlT_T0_E_clISt17integral_constantIbLb1EES16_EEDaS11_S12_EUlS11_E_NS1_11comp_targetILNS1_3genE4ELNS1_11target_archE910ELNS1_3gpuE8ELNS1_3repE0EEENS1_30default_config_static_selectorELNS0_4arch9wavefront6targetE1EEEvT1_: ; @_ZN7rocprim17ROCPRIM_400000_NS6detail17trampoline_kernelINS0_14default_configENS1_25partition_config_selectorILNS1_17partition_subalgoE8ElNS0_10empty_typeEbEEZZNS1_14partition_implILS5_8ELb0ES3_jPKlPS6_PKS6_NS0_5tupleIJPlS6_EEENSE_IJSB_SB_EEENS0_18inequality_wrapperIN6hipcub16HIPCUB_304000_NS8EqualityEEESF_JS6_EEE10hipError_tPvRmT3_T4_T5_T6_T7_T9_mT8_P12ihipStream_tbDpT10_ENKUlT_T0_E_clISt17integral_constantIbLb1EES16_EEDaS11_S12_EUlS11_E_NS1_11comp_targetILNS1_3genE4ELNS1_11target_archE910ELNS1_3gpuE8ELNS1_3repE0EEENS1_30default_config_static_selectorELNS0_4arch9wavefront6targetE1EEEvT1_
; %bb.0:
	s_load_dwordx2 s[18:19], s[4:5], 0x28
	s_load_dwordx4 s[20:23], s[4:5], 0x40
	s_load_dwordx2 s[6:7], s[4:5], 0x50
	s_load_dwordx2 s[28:29], s[4:5], 0x60
	v_cmp_ne_u32_e64 s[2:3], 0, v0
	v_cmp_eq_u32_e64 s[0:1], 0, v0
	s_and_saveexec_b64 s[8:9], s[0:1]
	s_cbranch_execz .LBB489_4
; %bb.1:
	s_mov_b64 s[12:13], exec
	v_mbcnt_lo_u32_b32 v1, s12, 0
	v_mbcnt_hi_u32_b32 v1, s13, v1
	v_cmp_eq_u32_e32 vcc, 0, v1
                                        ; implicit-def: $vgpr2
	s_and_saveexec_b64 s[10:11], vcc
	s_cbranch_execz .LBB489_3
; %bb.2:
	s_load_dwordx2 s[14:15], s[4:5], 0x70
	s_bcnt1_i32_b64 s12, s[12:13]
	v_mov_b32_e32 v2, 0
	v_mov_b32_e32 v3, s12
	s_waitcnt lgkmcnt(0)
	global_atomic_add v2, v2, v3, s[14:15] glc
.LBB489_3:
	s_or_b64 exec, exec, s[10:11]
	s_waitcnt vmcnt(0)
	v_readfirstlane_b32 s10, v2
	v_add_u32_e32 v1, s10, v1
	v_mov_b32_e32 v2, 0
	ds_write_b32 v2, v1
.LBB489_4:
	s_or_b64 exec, exec, s[8:9]
	v_mov_b32_e32 v3, 0
	s_load_dwordx4 s[8:11], s[4:5], 0x8
	s_load_dword s12, s[4:5], 0x68
	s_waitcnt lgkmcnt(0)
	s_barrier
	ds_read_b32 v1, v3
	s_waitcnt lgkmcnt(0)
	s_barrier
	global_load_dwordx2 v[4:5], v3, s[22:23]
	s_lshl_b64 s[4:5], s[10:11], 3
	s_mul_i32 s13, s12, 0x500
	s_add_u32 s8, s8, s4
	s_addc_u32 s4, s9, s5
	s_add_i32 s5, s13, s10
	s_add_i32 s12, s12, -1
	s_sub_i32 s30, s6, s5
	v_mov_b32_e32 v8, s4
	s_add_u32 s4, s10, s13
	s_addc_u32 s5, s11, 0
	v_readfirstlane_b32 s33, v1
	v_mov_b32_e32 v6, s6
	v_mov_b32_e32 v7, s7
	s_movk_i32 s7, 0x500
	s_cmp_eq_u32 s33, s12
	v_mul_lo_u32 v2, v1, s7
	v_cmp_ge_u64_e32 vcc, s[4:5], v[6:7]
	s_cselect_b64 s[24:25], -1, 0
	v_lshlrev_b64 v[2:3], 3, v[2:3]
	s_and_b64 s[12:13], vcc, s[24:25]
	v_add_co_u32_e64 v18, s[4:5], s8, v2
	s_xor_b64 s[26:27], s[12:13], -1
	s_mov_b64 s[14:15], -1
	v_addc_co_u32_e64 v19, s[4:5], v8, v3, s[4:5]
	s_and_b64 vcc, exec, s[26:27]
	s_waitcnt vmcnt(0)
	v_readfirstlane_b32 s22, v4
	v_readfirstlane_b32 s23, v5
	s_cbranch_vccz .LBB489_6
; %bb.5:
	v_lshlrev_b32_e32 v1, 3, v0
	v_add_co_u32_e32 v12, vcc, v18, v1
	v_addc_co_u32_e32 v13, vcc, 0, v19, vcc
	v_add_co_u32_e32 v2, vcc, 0x1000, v12
	v_readfirstlane_b32 s4, v18
	v_readfirstlane_b32 s5, v19
	v_addc_co_u32_e32 v3, vcc, 0, v13, vcc
	s_nop 3
	global_load_dwordx2 v[4:5], v1, s[4:5]
	global_load_dwordx2 v[6:7], v1, s[4:5] offset:2048
	global_load_dwordx2 v[8:9], v[2:3], off
	global_load_dwordx2 v[10:11], v[2:3], off offset:2048
	v_add_co_u32_e32 v2, vcc, 0x2000, v12
	v_addc_co_u32_e32 v3, vcc, 0, v13, vcc
	global_load_dwordx2 v[2:3], v[2:3], off
	s_mov_b64 s[14:15], 0
	s_waitcnt vmcnt(3)
	ds_write2st64_b64 v1, v[4:5], v[6:7] offset1:4
	s_waitcnt vmcnt(1)
	ds_write2st64_b64 v1, v[8:9], v[10:11] offset0:8 offset1:12
	s_waitcnt vmcnt(0)
	ds_write_b64 v1, v[2:3] offset:8192
	s_waitcnt lgkmcnt(0)
	s_barrier
.LBB489_6:
	s_andn2_b64 vcc, exec, s[14:15]
	s_addk_i32 s30, 0x500
	s_cbranch_vccnz .LBB489_18
; %bb.7:
	v_cmp_gt_u32_e32 vcc, s30, v0
                                        ; implicit-def: $vgpr2_vgpr3_vgpr4_vgpr5_vgpr6_vgpr7_vgpr8_vgpr9_vgpr10_vgpr11_vgpr12_vgpr13_vgpr14_vgpr15_vgpr16_vgpr17
	s_and_saveexec_b64 s[4:5], vcc
	s_cbranch_execz .LBB489_9
; %bb.8:
	v_lshlrev_b32_e32 v1, 3, v0
	v_readfirstlane_b32 s6, v18
	v_readfirstlane_b32 s7, v19
	s_nop 4
	global_load_dwordx2 v[2:3], v1, s[6:7]
.LBB489_9:
	s_or_b64 exec, exec, s[4:5]
	v_or_b32_e32 v1, 0x100, v0
	v_cmp_gt_u32_e32 vcc, s30, v1
	s_and_saveexec_b64 s[4:5], vcc
	s_cbranch_execz .LBB489_11
; %bb.10:
	v_lshlrev_b32_e32 v1, 3, v0
	v_readfirstlane_b32 s6, v18
	v_readfirstlane_b32 s7, v19
	s_nop 4
	global_load_dwordx2 v[4:5], v1, s[6:7] offset:2048
.LBB489_11:
	s_or_b64 exec, exec, s[4:5]
	v_or_b32_e32 v1, 0x200, v0
	v_cmp_gt_u32_e32 vcc, s30, v1
	s_and_saveexec_b64 s[4:5], vcc
	s_cbranch_execz .LBB489_13
; %bb.12:
	v_lshlrev_b32_e32 v1, 3, v1
	v_readfirstlane_b32 s6, v18
	v_readfirstlane_b32 s7, v19
	s_nop 4
	global_load_dwordx2 v[6:7], v1, s[6:7]
.LBB489_13:
	s_or_b64 exec, exec, s[4:5]
	v_or_b32_e32 v1, 0x300, v0
	v_cmp_gt_u32_e32 vcc, s30, v1
	s_and_saveexec_b64 s[4:5], vcc
	s_cbranch_execz .LBB489_15
; %bb.14:
	v_lshlrev_b32_e32 v1, 3, v1
	v_readfirstlane_b32 s6, v18
	v_readfirstlane_b32 s7, v19
	s_nop 4
	global_load_dwordx2 v[8:9], v1, s[6:7]
.LBB489_15:
	s_or_b64 exec, exec, s[4:5]
	v_or_b32_e32 v1, 0x400, v0
	v_cmp_gt_u32_e32 vcc, s30, v1
	s_and_saveexec_b64 s[4:5], vcc
	s_cbranch_execz .LBB489_17
; %bb.16:
	v_lshlrev_b32_e32 v1, 3, v1
	v_readfirstlane_b32 s6, v18
	v_readfirstlane_b32 s7, v19
	s_nop 4
	global_load_dwordx2 v[10:11], v1, s[6:7]
.LBB489_17:
	s_or_b64 exec, exec, s[4:5]
	v_lshlrev_b32_e32 v1, 3, v0
	s_waitcnt vmcnt(0)
	ds_write2st64_b64 v1, v[2:3], v[4:5] offset1:4
	ds_write2st64_b64 v1, v[6:7], v[8:9] offset0:8 offset1:12
	ds_write_b64 v1, v[10:11] offset:8192
	s_waitcnt lgkmcnt(0)
	s_barrier
.LBB489_18:
	v_mul_u32_u24_e32 v20, 5, v0
	v_lshlrev_b32_e32 v1, 3, v20
	ds_read2_b64 v[6:9], v1 offset1:1
	ds_read2_b64 v[2:5], v1 offset0:2 offset1:3
	ds_read_b64 v[10:11], v1 offset:32
	s_cmp_lg_u32 s33, 0
	s_cselect_b64 s[16:17], -1, 0
	s_cmp_lg_u64 s[10:11], 0
	s_cselect_b64 s[4:5], -1, 0
	s_or_b64 s[4:5], s[4:5], s[16:17]
	v_mad_u32_u24 v23, v0, 5, 1
	v_mad_u32_u24 v21, v0, 5, 2
	;; [unrolled: 1-line block ×4, first 2 shown]
	s_mov_b64 s[14:15], 0
	s_and_b64 vcc, exec, s[4:5]
	s_waitcnt lgkmcnt(0)
	s_barrier
	s_cbranch_vccz .LBB489_23
; %bb.19:
	global_load_dwordx2 v[14:15], v[18:19], off offset:-8
	v_lshlrev_b32_e32 v12, 3, v0
	s_and_b64 vcc, exec, s[26:27]
	ds_write_b64 v12, v[10:11]
	s_cbranch_vccz .LBB489_24
; %bb.20:
	s_waitcnt vmcnt(0)
	v_pk_mov_b32 v[16:17], v[14:15], v[14:15] op_sel:[0,1]
	s_waitcnt lgkmcnt(0)
	s_barrier
	s_and_saveexec_b64 s[4:5], s[2:3]
	s_cbranch_execz .LBB489_22
; %bb.21:
	v_add_u32_e32 v13, -8, v12
	ds_read_b64 v[16:17], v13
.LBB489_22:
	s_or_b64 exec, exec, s[4:5]
	v_cmp_ne_u64_e32 vcc, v[4:5], v[10:11]
	v_cndmask_b32_e64 v13, 0, 1, vcc
	v_cmp_ne_u64_e32 vcc, v[2:3], v[4:5]
	v_cndmask_b32_e64 v18, 0, 1, vcc
	;; [unrolled: 2-line block ×4, first 2 shown]
	s_waitcnt lgkmcnt(0)
	v_cmp_ne_u64_e64 s[4:5], v[16:17], v[6:7]
	v_lshlrev_b16_e32 v16, 8, v18
	v_or_b32_sdwa v16, v19, v16 dst_sel:WORD_1 dst_unused:UNUSED_PAD src0_sel:DWORD src1_sel:DWORD
	v_lshlrev_b16_e32 v17, 8, v25
	v_or_b32_e32 v16, v17, v16
	s_branch .LBB489_28
.LBB489_23:
                                        ; implicit-def: $sgpr4_sgpr5
                                        ; implicit-def: $vgpr13
                                        ; implicit-def: $vgpr16
	s_branch .LBB489_29
.LBB489_24:
                                        ; implicit-def: $sgpr4_sgpr5
                                        ; implicit-def: $vgpr13
                                        ; implicit-def: $vgpr16
	s_cbranch_execz .LBB489_28
; %bb.25:
	s_waitcnt lgkmcnt(0)
	s_barrier
	s_and_saveexec_b64 s[4:5], s[2:3]
	s_cbranch_execz .LBB489_27
; %bb.26:
	v_add_u32_e32 v12, -8, v12
	s_waitcnt vmcnt(0)
	ds_read_b64 v[14:15], v12
.LBB489_27:
	s_or_b64 exec, exec, s[4:5]
	v_cmp_gt_u32_e32 vcc, s30, v22
	v_cmp_ne_u64_e64 s[4:5], v[4:5], v[10:11]
	s_and_b64 s[4:5], vcc, s[4:5]
	v_cndmask_b32_e64 v13, 0, 1, s[4:5]
	v_cmp_gt_u32_e32 vcc, s30, v24
	v_cmp_ne_u64_e64 s[4:5], v[2:3], v[4:5]
	s_and_b64 s[4:5], vcc, s[4:5]
	v_cndmask_b32_e64 v12, 0, 1, s[4:5]
	;; [unrolled: 4-line block ×4, first 2 shown]
	v_lshlrev_b16_e32 v12, 8, v12
	v_cmp_gt_u32_e32 vcc, s30, v20
	s_waitcnt vmcnt(0) lgkmcnt(0)
	v_cmp_ne_u64_e64 s[4:5], v[14:15], v[6:7]
	v_or_b32_sdwa v12, v16, v12 dst_sel:WORD_1 dst_unused:UNUSED_PAD src0_sel:DWORD src1_sel:DWORD
	v_lshlrev_b16_e32 v14, 8, v17
	s_and_b64 s[4:5], vcc, s[4:5]
	v_or_b32_e32 v16, v14, v12
.LBB489_28:
	s_mov_b64 s[14:15], -1
	s_cbranch_execnz .LBB489_37
.LBB489_29:
	v_lshlrev_b32_e32 v12, 5, v0
	s_waitcnt vmcnt(0)
	v_sub_u32_e32 v14, v1, v12
	s_and_b64 vcc, exec, s[26:27]
	v_cmp_ne_u64_e64 s[4:5], v[4:5], v[10:11]
	v_cmp_ne_u64_e64 s[6:7], v[2:3], v[4:5]
	;; [unrolled: 1-line block ×4, first 2 shown]
	ds_write_b64 v14, v[10:11]
	s_cbranch_vccz .LBB489_33
; %bb.30:
	v_cndmask_b32_e64 v12, 0, 1, s[6:7]
	v_cndmask_b32_e64 v13, 0, 1, s[8:9]
	;; [unrolled: 1-line block ×3, first 2 shown]
	v_lshlrev_b16_e32 v12, 8, v12
	v_or_b32_sdwa v12, v13, v12 dst_sel:WORD_1 dst_unused:UNUSED_PAD src0_sel:DWORD src1_sel:DWORD
	v_lshlrev_b16_e32 v13, 8, v15
	v_or_b32_e32 v13, 1, v13
	v_or_b32_sdwa v12, v13, v12 dst_sel:DWORD dst_unused:UNUSED_PAD src0_sel:WORD_0 src1_sel:DWORD
	v_cndmask_b32_e64 v13, 0, 1, s[4:5]
	s_waitcnt lgkmcnt(0)
	s_barrier
	s_waitcnt lgkmcnt(0)
                                        ; implicit-def: $sgpr4_sgpr5
                                        ; implicit-def: $vgpr16
	s_and_saveexec_b64 s[6:7], s[2:3]
	s_xor_b64 s[6:7], exec, s[6:7]
	s_cbranch_execz .LBB489_32
; %bb.31:
	v_add_u32_e32 v15, -8, v14
	ds_read_b64 v[18:19], v15
	s_mov_b32 s4, 0x3020104
	v_perm_b32 v16, v12, v12, s4
	s_or_b64 s[14:15], s[14:15], exec
	s_waitcnt lgkmcnt(0)
	v_cmp_ne_u64_e32 vcc, v[18:19], v[6:7]
	s_and_b64 s[4:5], vcc, exec
.LBB489_32:
	s_or_b64 exec, exec, s[6:7]
	s_branch .LBB489_37
.LBB489_33:
                                        ; implicit-def: $sgpr4_sgpr5
                                        ; implicit-def: $vgpr13
                                        ; implicit-def: $vgpr16
	s_cbranch_execz .LBB489_37
; %bb.34:
	v_cmp_gt_u32_e64 s[6:7], s30, v24
	v_cmp_ne_u64_e64 s[8:9], v[2:3], v[4:5]
	s_and_b64 s[6:7], s[6:7], s[8:9]
	v_cndmask_b32_e64 v12, 0, 1, s[6:7]
	v_cmp_gt_u32_e64 s[6:7], s30, v21
	v_cmp_ne_u64_e64 s[8:9], v[8:9], v[2:3]
	s_and_b64 s[6:7], s[6:7], s[8:9]
	v_cndmask_b32_e64 v13, 0, 1, s[6:7]
	;; [unrolled: 4-line block ×3, first 2 shown]
	v_lshlrev_b16_e32 v12, 8, v12
	v_cmp_gt_u32_e32 vcc, s30, v22
	v_cmp_ne_u64_e64 s[4:5], v[4:5], v[10:11]
	v_or_b32_sdwa v12, v13, v12 dst_sel:WORD_1 dst_unused:UNUSED_PAD src0_sel:DWORD src1_sel:DWORD
	v_lshlrev_b16_e32 v13, 8, v15
	v_or_b32_e32 v13, 1, v13
	s_and_b64 s[4:5], vcc, s[4:5]
	v_or_b32_sdwa v12, v13, v12 dst_sel:DWORD dst_unused:UNUSED_PAD src0_sel:WORD_0 src1_sel:DWORD
	v_cndmask_b32_e64 v13, 0, 1, s[4:5]
	s_waitcnt lgkmcnt(0)
	s_barrier
	s_waitcnt lgkmcnt(0)
                                        ; implicit-def: $sgpr4_sgpr5
                                        ; implicit-def: $vgpr16
	s_and_saveexec_b64 s[6:7], s[2:3]
	s_cbranch_execz .LBB489_36
; %bb.35:
	v_add_u32_e32 v14, -8, v14
	ds_read_b64 v[14:15], v14
	s_mov_b32 s2, 0x3020104
	v_cmp_gt_u32_e32 vcc, s30, v20
	v_perm_b32 v16, v12, v12, s2
	s_or_b64 s[14:15], s[14:15], exec
	s_waitcnt lgkmcnt(0)
	v_cmp_ne_u64_e64 s[2:3], v[14:15], v[6:7]
	s_and_b64 s[2:3], vcc, s[2:3]
	s_and_b64 s[4:5], s[2:3], exec
.LBB489_36:
	s_or_b64 exec, exec, s[6:7]
.LBB489_37:
	s_and_saveexec_b64 s[2:3], s[14:15]
	s_cbranch_execz .LBB489_39
; %bb.38:
	v_cndmask_b32_e64 v12, 0, 1, s[4:5]
	s_waitcnt vmcnt(0)
	v_lshrrev_b32_e32 v14, 24, v16
	s_movk_i32 s4, 0xff
	v_lshlrev_b16_e32 v14, 8, v14
	v_and_b32_sdwa v15, v16, s4 dst_sel:DWORD dst_unused:UNUSED_PAD src0_sel:WORD_1 src1_sel:DWORD
	v_or_b32_sdwa v14, v15, v14 dst_sel:WORD_1 dst_unused:UNUSED_PAD src0_sel:DWORD src1_sel:DWORD
	v_mov_b32_e32 v15, 8
	v_lshrrev_b32_sdwa v15, v15, v16 dst_sel:BYTE_1 dst_unused:UNUSED_PAD src0_sel:DWORD src1_sel:DWORD
	v_or_b32_e32 v12, v12, v15
	s_mov_b32 s4, 0xffff
	v_or_b32_sdwa v12, v12, v14 dst_sel:DWORD dst_unused:UNUSED_PAD src0_sel:WORD_0 src1_sel:DWORD
	v_and_b32_sdwa v13, s4, v13 dst_sel:DWORD dst_unused:UNUSED_PAD src0_sel:DWORD src1_sel:BYTE_0
.LBB489_39:
	s_or_b64 exec, exec, s[2:3]
	s_andn2_b64 vcc, exec, s[12:13]
	s_cbranch_vccnz .LBB489_41
; %bb.40:
	v_cmp_gt_u32_e32 vcc, s30, v20
	s_waitcnt vmcnt(0)
	v_cndmask_b32_e32 v14, 0, v12, vcc
	v_and_b32_e32 v14, 0xffff00ff, v14
	v_cmp_gt_u32_e64 s[2:3], s30, v23
	v_cndmask_b32_e64 v14, v14, v12, s[2:3]
	v_lshrrev_b32_e32 v15, 24, v14
	s_mov_b32 s4, 0x40c0100
	v_perm_b32 v14, v15, v14, s4
	v_cmp_gt_u32_e64 s[4:5], s30, v21
	v_cmp_gt_u32_e64 s[6:7], s30, v24
	v_cndmask_b32_e64 v14, v14, v12, s[4:5]
	s_or_b64 s[4:5], s[6:7], s[4:5]
	s_or_b64 s[2:3], s[4:5], s[2:3]
	s_or_b64 vcc, s[2:3], vcc
	v_and_b32_e32 v14, 0xffffff, v14
	v_cndmask_b32_e32 v15, 0, v13, vcc
	v_cndmask_b32_e64 v14, v14, v12, s[6:7]
	v_and_b32_e32 v15, 0xffffff00, v15
	v_cmp_gt_u32_e32 vcc, s30, v22
	v_cndmask_b32_e32 v12, v14, v12, vcc
	v_cndmask_b32_e32 v13, v15, v13, vcc
	s_mov_b32 s2, 0x3020104
	v_and_b32_e32 v13, 0xff, v13
	v_perm_b32 v12, v12, v12, s2
.LBB489_41:
	v_and_b32_e32 v25, 0xff, v12
	v_bfe_u32 v27, v12, 8, 8
	v_bfe_u32 v28, v12, 16, 8
	s_waitcnt vmcnt(0)
	v_alignbit_b32 v14, v13, v12, 24
	v_and_b32_e32 v29, 0xff, v14
	v_and_b32_e32 v14, 0xff, v13
	v_add3_u32 v15, v27, v25, v28
	v_add3_u32 v32, v15, v29, v14
	v_mbcnt_lo_u32_b32 v14, -1, 0
	v_mbcnt_hi_u32_b32 v30, -1, v14
	v_and_b32_e32 v14, 15, v30
	v_cmp_eq_u32_e64 s[14:15], 0, v14
	v_cmp_lt_u32_e64 s[12:13], 1, v14
	v_cmp_lt_u32_e64 s[10:11], 3, v14
	;; [unrolled: 1-line block ×3, first 2 shown]
	v_and_b32_e32 v14, 16, v30
	v_cmp_eq_u32_e64 s[6:7], 0, v14
	v_or_b32_e32 v14, 63, v0
	v_cmp_lt_u32_e64 s[2:3], 31, v30
	v_lshrrev_b32_e32 v31, 6, v0
	v_cmp_eq_u32_e64 s[4:5], v14, v0
	s_and_b64 vcc, exec, s[16:17]
	s_waitcnt lgkmcnt(0)
	s_barrier
	s_cbranch_vccz .LBB489_72
; %bb.42:
	v_mov_b32_dpp v14, v32 row_shr:1 row_mask:0xf bank_mask:0xf
	v_cndmask_b32_e64 v14, v14, 0, s[14:15]
	v_add_u32_e32 v14, v14, v32
	s_nop 1
	v_mov_b32_dpp v15, v14 row_shr:2 row_mask:0xf bank_mask:0xf
	v_cndmask_b32_e64 v15, 0, v15, s[12:13]
	v_add_u32_e32 v14, v14, v15
	s_nop 1
	;; [unrolled: 4-line block ×4, first 2 shown]
	v_mov_b32_dpp v15, v14 row_bcast:15 row_mask:0xf bank_mask:0xf
	v_cndmask_b32_e64 v15, v15, 0, s[6:7]
	v_add_u32_e32 v14, v14, v15
	s_nop 1
	v_mov_b32_dpp v15, v14 row_bcast:31 row_mask:0xf bank_mask:0xf
	v_cndmask_b32_e64 v15, 0, v15, s[2:3]
	v_add_u32_e32 v14, v14, v15
	s_and_saveexec_b64 s[16:17], s[4:5]
	s_cbranch_execz .LBB489_44
; %bb.43:
	v_lshlrev_b32_e32 v15, 2, v31
	ds_write_b32 v15, v14
.LBB489_44:
	s_or_b64 exec, exec, s[16:17]
	v_cmp_gt_u32_e32 vcc, 4, v0
	s_waitcnt lgkmcnt(0)
	s_barrier
	s_and_saveexec_b64 s[16:17], vcc
	s_cbranch_execz .LBB489_46
; %bb.45:
	v_lshlrev_b32_e32 v15, 2, v0
	ds_read_b32 v16, v15
	v_and_b32_e32 v17, 3, v30
	v_cmp_ne_u32_e32 vcc, 0, v17
	s_waitcnt lgkmcnt(0)
	v_mov_b32_dpp v18, v16 row_shr:1 row_mask:0xf bank_mask:0xf
	v_cndmask_b32_e32 v18, 0, v18, vcc
	v_add_u32_e32 v16, v18, v16
	v_cmp_lt_u32_e32 vcc, 1, v17
	s_nop 0
	v_mov_b32_dpp v18, v16 row_shr:2 row_mask:0xf bank_mask:0xf
	v_cndmask_b32_e32 v17, 0, v18, vcc
	v_add_u32_e32 v16, v16, v17
	ds_write_b32 v15, v16
.LBB489_46:
	s_or_b64 exec, exec, s[16:17]
	v_cmp_gt_u32_e32 vcc, 64, v0
	v_cmp_lt_u32_e64 s[16:17], 63, v0
	s_waitcnt lgkmcnt(0)
	s_barrier
	s_waitcnt lgkmcnt(0)
                                        ; implicit-def: $vgpr24
	s_and_saveexec_b64 s[30:31], s[16:17]
	s_cbranch_execz .LBB489_48
; %bb.47:
	v_lshl_add_u32 v15, v31, 2, -4
	ds_read_b32 v24, v15
	s_waitcnt lgkmcnt(0)
	v_add_u32_e32 v14, v24, v14
.LBB489_48:
	s_or_b64 exec, exec, s[30:31]
	v_add_u32_e32 v15, -1, v30
	v_and_b32_e32 v16, 64, v30
	v_cmp_lt_i32_e64 s[16:17], v15, v16
	v_cndmask_b32_e64 v15, v15, v30, s[16:17]
	v_lshlrev_b32_e32 v15, 2, v15
	ds_bpermute_b32 v26, v15, v14
	v_cmp_eq_u32_e64 s[16:17], 0, v30
	s_and_saveexec_b64 s[30:31], vcc
	s_cbranch_execz .LBB489_71
; %bb.49:
	v_mov_b32_e32 v23, 0
	ds_read_b32 v14, v23 offset:12
	s_and_saveexec_b64 s[34:35], s[16:17]
	s_cbranch_execz .LBB489_51
; %bb.50:
	s_add_i32 s36, s33, 64
	s_mov_b32 s37, 0
	s_lshl_b64 s[36:37], s[36:37], 3
	s_add_u32 s36, s28, s36
	v_mov_b32_e32 v15, 1
	s_addc_u32 s37, s29, s37
	s_waitcnt lgkmcnt(0)
	global_store_dwordx2 v23, v[14:15], s[36:37]
.LBB489_51:
	s_or_b64 exec, exec, s[34:35]
	v_xad_u32 v16, v30, -1, s33
	v_add_u32_e32 v22, 64, v16
	v_lshlrev_b64 v[18:19], 3, v[22:23]
	v_mov_b32_e32 v15, s29
	v_add_co_u32_e32 v18, vcc, s28, v18
	v_addc_co_u32_e32 v19, vcc, v15, v19, vcc
	global_load_dwordx2 v[20:21], v[18:19], off glc
	s_waitcnt vmcnt(0)
	v_cmp_eq_u16_sdwa s[36:37], v21, v23 src0_sel:BYTE_0 src1_sel:DWORD
	s_and_saveexec_b64 s[34:35], s[36:37]
	s_cbranch_execz .LBB489_57
; %bb.52:
	s_mov_b32 s38, 1
	s_mov_b64 s[36:37], 0
	v_mov_b32_e32 v15, 0
.LBB489_53:                             ; =>This Loop Header: Depth=1
                                        ;     Child Loop BB489_54 Depth 2
	s_max_u32 s39, s38, 1
.LBB489_54:                             ;   Parent Loop BB489_53 Depth=1
                                        ; =>  This Inner Loop Header: Depth=2
	s_add_i32 s39, s39, -1
	s_cmp_eq_u32 s39, 0
	s_sleep 1
	s_cbranch_scc0 .LBB489_54
; %bb.55:                               ;   in Loop: Header=BB489_53 Depth=1
	global_load_dwordx2 v[20:21], v[18:19], off glc
	s_cmp_lt_u32 s38, 32
	s_cselect_b64 s[40:41], -1, 0
	s_cmp_lg_u64 s[40:41], 0
	s_addc_u32 s38, s38, 0
	s_waitcnt vmcnt(0)
	v_cmp_ne_u16_sdwa s[40:41], v21, v15 src0_sel:BYTE_0 src1_sel:DWORD
	s_or_b64 s[36:37], s[40:41], s[36:37]
	s_andn2_b64 exec, exec, s[36:37]
	s_cbranch_execnz .LBB489_53
; %bb.56:
	s_or_b64 exec, exec, s[36:37]
.LBB489_57:
	s_or_b64 exec, exec, s[34:35]
	v_and_b32_e32 v34, 63, v30
	v_mov_b32_e32 v33, 2
	v_cmp_ne_u32_e32 vcc, 63, v34
	v_cmp_eq_u16_sdwa s[34:35], v21, v33 src0_sel:BYTE_0 src1_sel:DWORD
	v_lshlrev_b64 v[18:19], v30, -1
	v_addc_co_u32_e32 v22, vcc, 0, v30, vcc
	v_and_b32_e32 v15, s35, v19
	v_lshlrev_b32_e32 v35, 2, v22
	v_or_b32_e32 v15, 0x80000000, v15
	ds_bpermute_b32 v22, v35, v20
	v_and_b32_e32 v17, s34, v18
	v_ffbl_b32_e32 v15, v15
	v_add_u32_e32 v15, 32, v15
	v_ffbl_b32_e32 v17, v17
	v_min_u32_e32 v15, v17, v15
	v_cmp_lt_u32_e32 vcc, v34, v15
	s_waitcnt lgkmcnt(0)
	v_cndmask_b32_e32 v17, 0, v22, vcc
	v_cmp_gt_u32_e32 vcc, 62, v34
	v_add_u32_e32 v17, v17, v20
	v_cndmask_b32_e64 v20, 0, 1, vcc
	v_lshlrev_b32_e32 v20, 1, v20
	v_add_lshl_u32 v36, v20, v30, 2
	ds_bpermute_b32 v20, v36, v17
	v_add_u32_e32 v37, 2, v34
	v_cmp_le_u32_e32 vcc, v37, v15
	v_add_u32_e32 v39, 4, v34
	v_add_u32_e32 v41, 8, v34
	s_waitcnt lgkmcnt(0)
	v_cndmask_b32_e32 v20, 0, v20, vcc
	v_cmp_gt_u32_e32 vcc, 60, v34
	v_add_u32_e32 v17, v17, v20
	v_cndmask_b32_e64 v20, 0, 1, vcc
	v_lshlrev_b32_e32 v20, 2, v20
	v_add_lshl_u32 v38, v20, v30, 2
	ds_bpermute_b32 v20, v38, v17
	v_cmp_le_u32_e32 vcc, v39, v15
	v_add_u32_e32 v43, 16, v34
	v_add_u32_e32 v45, 32, v34
	s_waitcnt lgkmcnt(0)
	v_cndmask_b32_e32 v20, 0, v20, vcc
	v_cmp_gt_u32_e32 vcc, 56, v34
	v_add_u32_e32 v17, v17, v20
	v_cndmask_b32_e64 v20, 0, 1, vcc
	v_lshlrev_b32_e32 v20, 3, v20
	v_add_lshl_u32 v40, v20, v30, 2
	ds_bpermute_b32 v20, v40, v17
	v_cmp_le_u32_e32 vcc, v41, v15
	s_waitcnt lgkmcnt(0)
	v_cndmask_b32_e32 v20, 0, v20, vcc
	v_cmp_gt_u32_e32 vcc, 48, v34
	v_add_u32_e32 v17, v17, v20
	v_cndmask_b32_e64 v20, 0, 1, vcc
	v_lshlrev_b32_e32 v20, 4, v20
	v_add_lshl_u32 v42, v20, v30, 2
	ds_bpermute_b32 v20, v42, v17
	v_cmp_le_u32_e32 vcc, v43, v15
	;; [unrolled: 9-line block ×3, first 2 shown]
	s_waitcnt lgkmcnt(0)
	v_cndmask_b32_e32 v15, 0, v20, vcc
	v_add_u32_e32 v20, v17, v15
	v_mov_b32_e32 v17, 0
	s_branch .LBB489_59
.LBB489_58:                             ;   in Loop: Header=BB489_59 Depth=1
	s_or_b64 exec, exec, s[34:35]
	v_cmp_eq_u16_sdwa s[34:35], v21, v33 src0_sel:BYTE_0 src1_sel:DWORD
	v_and_b32_e32 v22, s35, v19
	v_or_b32_e32 v22, 0x80000000, v22
	ds_bpermute_b32 v46, v35, v20
	v_and_b32_e32 v23, s34, v18
	v_ffbl_b32_e32 v22, v22
	v_add_u32_e32 v22, 32, v22
	v_ffbl_b32_e32 v23, v23
	v_min_u32_e32 v22, v23, v22
	v_cmp_lt_u32_e32 vcc, v34, v22
	s_waitcnt lgkmcnt(0)
	v_cndmask_b32_e32 v23, 0, v46, vcc
	v_add_u32_e32 v20, v23, v20
	ds_bpermute_b32 v23, v36, v20
	v_cmp_le_u32_e32 vcc, v37, v22
	v_subrev_u32_e32 v16, 64, v16
	s_waitcnt lgkmcnt(0)
	v_cndmask_b32_e32 v23, 0, v23, vcc
	v_add_u32_e32 v20, v20, v23
	ds_bpermute_b32 v23, v38, v20
	v_cmp_le_u32_e32 vcc, v39, v22
	s_waitcnt lgkmcnt(0)
	v_cndmask_b32_e32 v23, 0, v23, vcc
	v_add_u32_e32 v20, v20, v23
	ds_bpermute_b32 v23, v40, v20
	v_cmp_le_u32_e32 vcc, v41, v22
	s_waitcnt lgkmcnt(0)
	v_cndmask_b32_e32 v23, 0, v23, vcc
	v_add_u32_e32 v20, v20, v23
	ds_bpermute_b32 v23, v42, v20
	v_cmp_le_u32_e32 vcc, v43, v22
	s_waitcnt lgkmcnt(0)
	v_cndmask_b32_e32 v23, 0, v23, vcc
	v_add_u32_e32 v20, v20, v23
	ds_bpermute_b32 v23, v44, v20
	v_cmp_le_u32_e32 vcc, v45, v22
	s_waitcnt lgkmcnt(0)
	v_cndmask_b32_e32 v22, 0, v23, vcc
	v_add3_u32 v20, v22, v15, v20
.LBB489_59:                             ; =>This Loop Header: Depth=1
                                        ;     Child Loop BB489_62 Depth 2
                                        ;       Child Loop BB489_63 Depth 3
	v_cmp_ne_u16_sdwa s[34:35], v21, v33 src0_sel:BYTE_0 src1_sel:DWORD
	v_cndmask_b32_e64 v15, 0, 1, s[34:35]
	;;#ASMSTART
	;;#ASMEND
	v_cmp_ne_u32_e32 vcc, 0, v15
	s_cmp_lg_u64 vcc, exec
	v_mov_b32_e32 v15, v20
	s_cbranch_scc1 .LBB489_66
; %bb.60:                               ;   in Loop: Header=BB489_59 Depth=1
	v_lshlrev_b64 v[20:21], 3, v[16:17]
	v_mov_b32_e32 v23, s29
	v_add_co_u32_e32 v22, vcc, s28, v20
	v_addc_co_u32_e32 v23, vcc, v23, v21, vcc
	global_load_dwordx2 v[20:21], v[22:23], off glc
	s_waitcnt vmcnt(0)
	v_cmp_eq_u16_sdwa s[36:37], v21, v17 src0_sel:BYTE_0 src1_sel:DWORD
	s_and_saveexec_b64 s[34:35], s[36:37]
	s_cbranch_execz .LBB489_58
; %bb.61:                               ;   in Loop: Header=BB489_59 Depth=1
	s_mov_b32 s38, 1
	s_mov_b64 s[36:37], 0
.LBB489_62:                             ;   Parent Loop BB489_59 Depth=1
                                        ; =>  This Loop Header: Depth=2
                                        ;       Child Loop BB489_63 Depth 3
	s_max_u32 s39, s38, 1
.LBB489_63:                             ;   Parent Loop BB489_59 Depth=1
                                        ;     Parent Loop BB489_62 Depth=2
                                        ; =>    This Inner Loop Header: Depth=3
	s_add_i32 s39, s39, -1
	s_cmp_eq_u32 s39, 0
	s_sleep 1
	s_cbranch_scc0 .LBB489_63
; %bb.64:                               ;   in Loop: Header=BB489_62 Depth=2
	global_load_dwordx2 v[20:21], v[22:23], off glc
	s_cmp_lt_u32 s38, 32
	s_cselect_b64 s[40:41], -1, 0
	s_cmp_lg_u64 s[40:41], 0
	s_addc_u32 s38, s38, 0
	s_waitcnt vmcnt(0)
	v_cmp_ne_u16_sdwa s[40:41], v21, v17 src0_sel:BYTE_0 src1_sel:DWORD
	s_or_b64 s[36:37], s[40:41], s[36:37]
	s_andn2_b64 exec, exec, s[36:37]
	s_cbranch_execnz .LBB489_62
; %bb.65:                               ;   in Loop: Header=BB489_59 Depth=1
	s_or_b64 exec, exec, s[36:37]
	s_branch .LBB489_58
.LBB489_66:                             ;   in Loop: Header=BB489_59 Depth=1
                                        ; implicit-def: $vgpr20
                                        ; implicit-def: $vgpr21
	s_cbranch_execz .LBB489_59
; %bb.67:
	s_and_saveexec_b64 s[34:35], s[16:17]
	s_cbranch_execz .LBB489_69
; %bb.68:
	s_add_i32 s36, s33, 64
	s_mov_b32 s37, 0
	s_lshl_b64 s[36:37], s[36:37], 3
	s_add_u32 s36, s28, s36
	v_add_u32_e32 v16, v15, v14
	v_mov_b32_e32 v17, 2
	s_addc_u32 s37, s29, s37
	v_mov_b32_e32 v18, 0
	global_store_dwordx2 v18, v[16:17], s[36:37]
	ds_write_b64 v18, v[14:15] offset:10240
.LBB489_69:
	s_or_b64 exec, exec, s[34:35]
	s_and_b64 exec, exec, s[0:1]
	s_cbranch_execz .LBB489_71
; %bb.70:
	v_mov_b32_e32 v14, 0
	ds_write_b32 v14, v15 offset:12
.LBB489_71:
	s_or_b64 exec, exec, s[30:31]
	v_mov_b32_e32 v14, 0
	s_waitcnt lgkmcnt(0)
	s_barrier
	ds_read_b32 v15, v14 offset:12
	v_cndmask_b32_e64 v16, v26, v24, s[16:17]
	v_cndmask_b32_e64 v16, v16, 0, s[0:1]
	s_waitcnt lgkmcnt(0)
	s_barrier
	v_add_u32_e32 v26, v15, v16
	ds_read_b64 v[14:15], v14 offset:10240
	v_add_u32_e32 v24, v26, v25
	v_add_u32_e32 v22, v24, v27
	;; [unrolled: 1-line block ×4, first 2 shown]
	v_lshrrev_b64 v[16:17], 24, v[12:13]
	s_branch .LBB489_82
.LBB489_72:
                                        ; implicit-def: $vgpr15
                                        ; implicit-def: $vgpr18
                                        ; implicit-def: $vgpr20
                                        ; implicit-def: $vgpr22
                                        ; implicit-def: $vgpr24
                                        ; implicit-def: $vgpr26
	v_lshrrev_b64 v[16:17], 24, v[12:13]
	s_cbranch_execz .LBB489_82
; %bb.73:
	s_waitcnt lgkmcnt(0)
	v_mov_b32_dpp v14, v32 row_shr:1 row_mask:0xf bank_mask:0xf
	v_cndmask_b32_e64 v14, v14, 0, s[14:15]
	v_add_u32_e32 v14, v14, v32
	s_nop 1
	v_mov_b32_dpp v15, v14 row_shr:2 row_mask:0xf bank_mask:0xf
	v_cndmask_b32_e64 v15, 0, v15, s[12:13]
	v_add_u32_e32 v14, v14, v15
	s_nop 1
	;; [unrolled: 4-line block ×4, first 2 shown]
	v_mov_b32_dpp v15, v14 row_bcast:15 row_mask:0xf bank_mask:0xf
	v_cndmask_b32_e64 v15, v15, 0, s[6:7]
	v_add_u32_e32 v14, v14, v15
	s_nop 1
	v_mov_b32_dpp v15, v14 row_bcast:31 row_mask:0xf bank_mask:0xf
	v_cndmask_b32_e64 v15, 0, v15, s[2:3]
	v_add_u32_e32 v14, v14, v15
	s_and_saveexec_b64 s[2:3], s[4:5]
	s_cbranch_execz .LBB489_75
; %bb.74:
	v_lshlrev_b32_e32 v15, 2, v31
	ds_write_b32 v15, v14
.LBB489_75:
	s_or_b64 exec, exec, s[2:3]
	v_cmp_gt_u32_e32 vcc, 4, v0
	s_waitcnt lgkmcnt(0)
	s_barrier
	s_and_saveexec_b64 s[2:3], vcc
	s_cbranch_execz .LBB489_77
; %bb.76:
	s_movk_i32 s4, 0xffdc
	v_mad_i32_i24 v1, v0, s4, v1
	ds_read_b32 v15, v1
	v_and_b32_e32 v17, 3, v30
	v_cmp_ne_u32_e32 vcc, 0, v17
	s_waitcnt lgkmcnt(0)
	v_mov_b32_dpp v18, v15 row_shr:1 row_mask:0xf bank_mask:0xf
	v_cndmask_b32_e32 v18, 0, v18, vcc
	v_add_u32_e32 v15, v18, v15
	v_cmp_lt_u32_e32 vcc, 1, v17
	s_nop 0
	v_mov_b32_dpp v18, v15 row_shr:2 row_mask:0xf bank_mask:0xf
	v_cndmask_b32_e32 v17, 0, v18, vcc
	v_add_u32_e32 v15, v15, v17
	ds_write_b32 v1, v15
.LBB489_77:
	s_or_b64 exec, exec, s[2:3]
	v_cmp_lt_u32_e32 vcc, 63, v0
	v_mov_b32_e32 v15, 0
	v_mov_b32_e32 v1, 0
	s_waitcnt lgkmcnt(0)
	s_barrier
	s_and_saveexec_b64 s[2:3], vcc
	s_cbranch_execz .LBB489_79
; %bb.78:
	v_lshl_add_u32 v1, v31, 2, -4
	ds_read_b32 v1, v1
.LBB489_79:
	s_or_b64 exec, exec, s[2:3]
	v_add_u32_e32 v17, -1, v30
	v_and_b32_e32 v18, 64, v30
	v_cmp_lt_i32_e32 vcc, v17, v18
	v_cndmask_b32_e32 v17, v17, v30, vcc
	s_waitcnt lgkmcnt(0)
	v_add_u32_e32 v14, v1, v14
	v_lshlrev_b32_e32 v17, 2, v17
	ds_bpermute_b32 v17, v17, v14
	ds_read_b32 v14, v15 offset:12
	s_and_saveexec_b64 s[2:3], s[0:1]
	s_cbranch_execz .LBB489_81
; %bb.80:
	v_mov_b32_e32 v18, 0
	v_mov_b32_e32 v15, 2
	s_waitcnt lgkmcnt(0)
	global_store_dwordx2 v18, v[14:15], s[28:29] offset:512
.LBB489_81:
	s_or_b64 exec, exec, s[2:3]
	v_cmp_eq_u32_e32 vcc, 0, v30
	s_waitcnt lgkmcnt(1)
	v_cndmask_b32_e32 v1, v17, v1, vcc
	v_cndmask_b32_e64 v26, v1, 0, s[0:1]
	v_add_u32_e32 v24, v26, v25
	v_add_u32_e32 v22, v24, v27
	;; [unrolled: 1-line block ×3, first 2 shown]
	v_mov_b32_e32 v15, 0
	v_add_u32_e32 v18, v20, v29
	s_waitcnt lgkmcnt(0)
	s_barrier
.LBB489_82:
	s_movk_i32 s2, 0x101
	s_waitcnt lgkmcnt(0)
	v_cmp_gt_u32_e32 vcc, s2, v14
	v_lshrrev_b32_e32 v1, 8, v12
	s_mov_b64 s[2:3], -1
	s_cbranch_vccnz .LBB489_86
; %bb.83:
	s_and_b64 vcc, exec, s[2:3]
	s_cbranch_vccnz .LBB489_102
.LBB489_84:
	s_and_b64 s[0:1], s[0:1], s[24:25]
	s_and_saveexec_b64 s[2:3], s[0:1]
	s_cbranch_execnz .LBB489_116
.LBB489_85:
	s_endpgm
.LBB489_86:
	v_add_u32_e32 v17, v15, v14
	v_cmp_lt_u32_e32 vcc, v26, v17
	s_or_b64 s[4:5], s[26:27], vcc
	s_and_saveexec_b64 s[2:3], s[4:5]
	s_cbranch_execz .LBB489_89
; %bb.87:
	v_and_b32_e32 v19, 1, v12
	v_cmp_eq_u32_e32 vcc, 1, v19
	s_and_b64 exec, exec, vcc
	s_cbranch_execz .LBB489_89
; %bb.88:
	s_lshl_b64 s[4:5], s[22:23], 3
	s_add_u32 s4, s18, s4
	v_mov_b32_e32 v27, 0
	s_addc_u32 s5, s19, s5
	v_lshlrev_b64 v[28:29], 3, v[26:27]
	v_mov_b32_e32 v19, s5
	v_add_co_u32_e32 v28, vcc, s4, v28
	v_addc_co_u32_e32 v29, vcc, v19, v29, vcc
	global_store_dwordx2 v[28:29], v[6:7], off
.LBB489_89:
	s_or_b64 exec, exec, s[2:3]
	v_cmp_lt_u32_e32 vcc, v24, v17
	s_or_b64 s[4:5], s[26:27], vcc
	s_and_saveexec_b64 s[2:3], s[4:5]
	s_cbranch_execz .LBB489_92
; %bb.90:
	v_and_b32_e32 v19, 1, v1
	v_cmp_eq_u32_e32 vcc, 1, v19
	s_and_b64 exec, exec, vcc
	s_cbranch_execz .LBB489_92
; %bb.91:
	s_lshl_b64 s[4:5], s[22:23], 3
	s_add_u32 s4, s18, s4
	v_mov_b32_e32 v25, 0
	s_addc_u32 s5, s19, s5
	v_lshlrev_b64 v[28:29], 3, v[24:25]
	v_mov_b32_e32 v19, s5
	v_add_co_u32_e32 v28, vcc, s4, v28
	v_addc_co_u32_e32 v29, vcc, v19, v29, vcc
	global_store_dwordx2 v[28:29], v[8:9], off
.LBB489_92:
	s_or_b64 exec, exec, s[2:3]
	v_cmp_lt_u32_e32 vcc, v22, v17
	s_or_b64 s[4:5], s[26:27], vcc
	s_and_saveexec_b64 s[2:3], s[4:5]
	s_cbranch_execz .LBB489_95
; %bb.93:
	v_mov_b32_e32 v19, 1
	v_and_b32_sdwa v19, v19, v12 dst_sel:DWORD dst_unused:UNUSED_PAD src0_sel:DWORD src1_sel:WORD_1
	v_cmp_eq_u32_e32 vcc, 1, v19
	s_and_b64 exec, exec, vcc
	s_cbranch_execz .LBB489_95
; %bb.94:
	s_lshl_b64 s[4:5], s[22:23], 3
	s_add_u32 s4, s18, s4
	v_mov_b32_e32 v23, 0
	s_addc_u32 s5, s19, s5
	v_lshlrev_b64 v[28:29], 3, v[22:23]
	v_mov_b32_e32 v19, s5
	v_add_co_u32_e32 v28, vcc, s4, v28
	v_addc_co_u32_e32 v29, vcc, v19, v29, vcc
	global_store_dwordx2 v[28:29], v[2:3], off
.LBB489_95:
	s_or_b64 exec, exec, s[2:3]
	v_cmp_lt_u32_e32 vcc, v20, v17
	s_or_b64 s[4:5], s[26:27], vcc
	s_and_saveexec_b64 s[2:3], s[4:5]
	s_cbranch_execz .LBB489_98
; %bb.96:
	v_and_b32_e32 v19, 1, v16
	v_cmp_eq_u32_e32 vcc, 1, v19
	s_and_b64 exec, exec, vcc
	s_cbranch_execz .LBB489_98
; %bb.97:
	s_lshl_b64 s[4:5], s[22:23], 3
	s_add_u32 s4, s18, s4
	v_mov_b32_e32 v21, 0
	s_addc_u32 s5, s19, s5
	v_lshlrev_b64 v[28:29], 3, v[20:21]
	v_mov_b32_e32 v19, s5
	v_add_co_u32_e32 v28, vcc, s4, v28
	v_addc_co_u32_e32 v29, vcc, v19, v29, vcc
	global_store_dwordx2 v[28:29], v[4:5], off
.LBB489_98:
	s_or_b64 exec, exec, s[2:3]
	v_cmp_lt_u32_e32 vcc, v18, v17
	s_or_b64 s[4:5], s[26:27], vcc
	s_and_saveexec_b64 s[2:3], s[4:5]
	s_cbranch_execz .LBB489_101
; %bb.99:
	v_and_b32_e32 v17, 1, v13
	v_cmp_eq_u32_e32 vcc, 1, v17
	s_and_b64 exec, exec, vcc
	s_cbranch_execz .LBB489_101
; %bb.100:
	s_lshl_b64 s[4:5], s[22:23], 3
	s_add_u32 s4, s18, s4
	v_mov_b32_e32 v19, 0
	s_addc_u32 s5, s19, s5
	v_lshlrev_b64 v[28:29], 3, v[18:19]
	v_mov_b32_e32 v17, s5
	v_add_co_u32_e32 v28, vcc, s4, v28
	v_addc_co_u32_e32 v29, vcc, v17, v29, vcc
	global_store_dwordx2 v[28:29], v[10:11], off
.LBB489_101:
	s_or_b64 exec, exec, s[2:3]
	s_branch .LBB489_84
.LBB489_102:
	v_and_b32_e32 v17, 1, v12
	v_cmp_eq_u32_e32 vcc, 1, v17
	s_and_saveexec_b64 s[2:3], vcc
	s_cbranch_execz .LBB489_104
; %bb.103:
	v_sub_u32_e32 v17, v26, v15
	v_lshlrev_b32_e32 v17, 3, v17
	ds_write_b64 v17, v[6:7]
.LBB489_104:
	s_or_b64 exec, exec, s[2:3]
	v_and_b32_e32 v1, 1, v1
	v_cmp_eq_u32_e32 vcc, 1, v1
	s_and_saveexec_b64 s[2:3], vcc
	s_cbranch_execz .LBB489_106
; %bb.105:
	v_sub_u32_e32 v1, v24, v15
	v_lshlrev_b32_e32 v1, 3, v1
	ds_write_b64 v1, v[8:9]
.LBB489_106:
	s_or_b64 exec, exec, s[2:3]
	v_mov_b32_e32 v1, 1
	v_and_b32_sdwa v1, v1, v12 dst_sel:DWORD dst_unused:UNUSED_PAD src0_sel:DWORD src1_sel:WORD_1
	v_cmp_eq_u32_e32 vcc, 1, v1
	s_and_saveexec_b64 s[2:3], vcc
	s_cbranch_execz .LBB489_108
; %bb.107:
	v_sub_u32_e32 v1, v22, v15
	v_lshlrev_b32_e32 v1, 3, v1
	ds_write_b64 v1, v[2:3]
.LBB489_108:
	s_or_b64 exec, exec, s[2:3]
	v_and_b32_e32 v1, 1, v16
	v_cmp_eq_u32_e32 vcc, 1, v1
	s_and_saveexec_b64 s[2:3], vcc
	s_cbranch_execz .LBB489_110
; %bb.109:
	v_sub_u32_e32 v1, v20, v15
	v_lshlrev_b32_e32 v1, 3, v1
	ds_write_b64 v1, v[4:5]
.LBB489_110:
	s_or_b64 exec, exec, s[2:3]
	v_and_b32_e32 v1, 1, v13
	v_cmp_eq_u32_e32 vcc, 1, v1
	s_and_saveexec_b64 s[2:3], vcc
	s_cbranch_execz .LBB489_112
; %bb.111:
	v_sub_u32_e32 v1, v18, v15
	v_lshlrev_b32_e32 v1, 3, v1
	ds_write_b64 v1, v[10:11]
.LBB489_112:
	s_or_b64 exec, exec, s[2:3]
	v_cmp_lt_u32_e32 vcc, v0, v14
	s_waitcnt lgkmcnt(0)
	s_barrier
	s_and_saveexec_b64 s[2:3], vcc
	s_cbranch_execz .LBB489_115
; %bb.113:
	v_mov_b32_e32 v1, 0
	v_mov_b32_e32 v2, v15
	;; [unrolled: 1-line block ×3, first 2 shown]
	v_lshlrev_b64 v[2:3], 3, v[2:3]
	v_mov_b32_e32 v4, s19
	v_add_co_u32_e32 v2, vcc, s18, v2
	v_addc_co_u32_e32 v3, vcc, v4, v3, vcc
	s_lshl_b64 s[4:5], s[22:23], 3
	v_mov_b32_e32 v4, s5
	v_add_co_u32_e32 v2, vcc, s4, v2
	v_addc_co_u32_e32 v3, vcc, v3, v4, vcc
	v_lshlrev_b32_e32 v4, 3, v0
	s_mov_b64 s[4:5], 0
.LBB489_114:                            ; =>This Inner Loop Header: Depth=1
	ds_read_b64 v[6:7], v4
	v_lshlrev_b64 v[8:9], 3, v[0:1]
	v_add_co_u32_e32 v8, vcc, v2, v8
	v_add_u32_e32 v0, 0x100, v0
	v_addc_co_u32_e32 v9, vcc, v3, v9, vcc
	v_cmp_ge_u32_e32 vcc, v0, v14
	v_add_u32_e32 v4, 0x800, v4
	s_or_b64 s[4:5], vcc, s[4:5]
	s_waitcnt lgkmcnt(0)
	global_store_dwordx2 v[8:9], v[6:7], off
	s_andn2_b64 exec, exec, s[4:5]
	s_cbranch_execnz .LBB489_114
.LBB489_115:
	s_or_b64 exec, exec, s[2:3]
	s_and_b64 s[0:1], s[0:1], s[24:25]
	s_and_saveexec_b64 s[2:3], s[0:1]
	s_cbranch_execz .LBB489_85
.LBB489_116:
	v_mov_b32_e32 v0, s23
	v_add_co_u32_e32 v1, vcc, s22, v14
	v_addc_co_u32_e32 v3, vcc, 0, v0, vcc
	v_add_co_u32_e32 v0, vcc, v1, v15
	v_mov_b32_e32 v2, 0
	v_addc_co_u32_e32 v1, vcc, 0, v3, vcc
	global_store_dwordx2 v2, v[0:1], s[20:21]
	s_endpgm
	.section	.rodata,"a",@progbits
	.p2align	6, 0x0
	.amdhsa_kernel _ZN7rocprim17ROCPRIM_400000_NS6detail17trampoline_kernelINS0_14default_configENS1_25partition_config_selectorILNS1_17partition_subalgoE8ElNS0_10empty_typeEbEEZZNS1_14partition_implILS5_8ELb0ES3_jPKlPS6_PKS6_NS0_5tupleIJPlS6_EEENSE_IJSB_SB_EEENS0_18inequality_wrapperIN6hipcub16HIPCUB_304000_NS8EqualityEEESF_JS6_EEE10hipError_tPvRmT3_T4_T5_T6_T7_T9_mT8_P12ihipStream_tbDpT10_ENKUlT_T0_E_clISt17integral_constantIbLb1EES16_EEDaS11_S12_EUlS11_E_NS1_11comp_targetILNS1_3genE4ELNS1_11target_archE910ELNS1_3gpuE8ELNS1_3repE0EEENS1_30default_config_static_selectorELNS0_4arch9wavefront6targetE1EEEvT1_
		.amdhsa_group_segment_fixed_size 10248
		.amdhsa_private_segment_fixed_size 0
		.amdhsa_kernarg_size 128
		.amdhsa_user_sgpr_count 6
		.amdhsa_user_sgpr_private_segment_buffer 1
		.amdhsa_user_sgpr_dispatch_ptr 0
		.amdhsa_user_sgpr_queue_ptr 0
		.amdhsa_user_sgpr_kernarg_segment_ptr 1
		.amdhsa_user_sgpr_dispatch_id 0
		.amdhsa_user_sgpr_flat_scratch_init 0
		.amdhsa_user_sgpr_kernarg_preload_length 0
		.amdhsa_user_sgpr_kernarg_preload_offset 0
		.amdhsa_user_sgpr_private_segment_size 0
		.amdhsa_uses_dynamic_stack 0
		.amdhsa_system_sgpr_private_segment_wavefront_offset 0
		.amdhsa_system_sgpr_workgroup_id_x 1
		.amdhsa_system_sgpr_workgroup_id_y 0
		.amdhsa_system_sgpr_workgroup_id_z 0
		.amdhsa_system_sgpr_workgroup_info 0
		.amdhsa_system_vgpr_workitem_id 0
		.amdhsa_next_free_vgpr 47
		.amdhsa_next_free_sgpr 42
		.amdhsa_accum_offset 48
		.amdhsa_reserve_vcc 1
		.amdhsa_reserve_flat_scratch 0
		.amdhsa_float_round_mode_32 0
		.amdhsa_float_round_mode_16_64 0
		.amdhsa_float_denorm_mode_32 3
		.amdhsa_float_denorm_mode_16_64 3
		.amdhsa_dx10_clamp 1
		.amdhsa_ieee_mode 1
		.amdhsa_fp16_overflow 0
		.amdhsa_tg_split 0
		.amdhsa_exception_fp_ieee_invalid_op 0
		.amdhsa_exception_fp_denorm_src 0
		.amdhsa_exception_fp_ieee_div_zero 0
		.amdhsa_exception_fp_ieee_overflow 0
		.amdhsa_exception_fp_ieee_underflow 0
		.amdhsa_exception_fp_ieee_inexact 0
		.amdhsa_exception_int_div_zero 0
	.end_amdhsa_kernel
	.section	.text._ZN7rocprim17ROCPRIM_400000_NS6detail17trampoline_kernelINS0_14default_configENS1_25partition_config_selectorILNS1_17partition_subalgoE8ElNS0_10empty_typeEbEEZZNS1_14partition_implILS5_8ELb0ES3_jPKlPS6_PKS6_NS0_5tupleIJPlS6_EEENSE_IJSB_SB_EEENS0_18inequality_wrapperIN6hipcub16HIPCUB_304000_NS8EqualityEEESF_JS6_EEE10hipError_tPvRmT3_T4_T5_T6_T7_T9_mT8_P12ihipStream_tbDpT10_ENKUlT_T0_E_clISt17integral_constantIbLb1EES16_EEDaS11_S12_EUlS11_E_NS1_11comp_targetILNS1_3genE4ELNS1_11target_archE910ELNS1_3gpuE8ELNS1_3repE0EEENS1_30default_config_static_selectorELNS0_4arch9wavefront6targetE1EEEvT1_,"axG",@progbits,_ZN7rocprim17ROCPRIM_400000_NS6detail17trampoline_kernelINS0_14default_configENS1_25partition_config_selectorILNS1_17partition_subalgoE8ElNS0_10empty_typeEbEEZZNS1_14partition_implILS5_8ELb0ES3_jPKlPS6_PKS6_NS0_5tupleIJPlS6_EEENSE_IJSB_SB_EEENS0_18inequality_wrapperIN6hipcub16HIPCUB_304000_NS8EqualityEEESF_JS6_EEE10hipError_tPvRmT3_T4_T5_T6_T7_T9_mT8_P12ihipStream_tbDpT10_ENKUlT_T0_E_clISt17integral_constantIbLb1EES16_EEDaS11_S12_EUlS11_E_NS1_11comp_targetILNS1_3genE4ELNS1_11target_archE910ELNS1_3gpuE8ELNS1_3repE0EEENS1_30default_config_static_selectorELNS0_4arch9wavefront6targetE1EEEvT1_,comdat
.Lfunc_end489:
	.size	_ZN7rocprim17ROCPRIM_400000_NS6detail17trampoline_kernelINS0_14default_configENS1_25partition_config_selectorILNS1_17partition_subalgoE8ElNS0_10empty_typeEbEEZZNS1_14partition_implILS5_8ELb0ES3_jPKlPS6_PKS6_NS0_5tupleIJPlS6_EEENSE_IJSB_SB_EEENS0_18inequality_wrapperIN6hipcub16HIPCUB_304000_NS8EqualityEEESF_JS6_EEE10hipError_tPvRmT3_T4_T5_T6_T7_T9_mT8_P12ihipStream_tbDpT10_ENKUlT_T0_E_clISt17integral_constantIbLb1EES16_EEDaS11_S12_EUlS11_E_NS1_11comp_targetILNS1_3genE4ELNS1_11target_archE910ELNS1_3gpuE8ELNS1_3repE0EEENS1_30default_config_static_selectorELNS0_4arch9wavefront6targetE1EEEvT1_, .Lfunc_end489-_ZN7rocprim17ROCPRIM_400000_NS6detail17trampoline_kernelINS0_14default_configENS1_25partition_config_selectorILNS1_17partition_subalgoE8ElNS0_10empty_typeEbEEZZNS1_14partition_implILS5_8ELb0ES3_jPKlPS6_PKS6_NS0_5tupleIJPlS6_EEENSE_IJSB_SB_EEENS0_18inequality_wrapperIN6hipcub16HIPCUB_304000_NS8EqualityEEESF_JS6_EEE10hipError_tPvRmT3_T4_T5_T6_T7_T9_mT8_P12ihipStream_tbDpT10_ENKUlT_T0_E_clISt17integral_constantIbLb1EES16_EEDaS11_S12_EUlS11_E_NS1_11comp_targetILNS1_3genE4ELNS1_11target_archE910ELNS1_3gpuE8ELNS1_3repE0EEENS1_30default_config_static_selectorELNS0_4arch9wavefront6targetE1EEEvT1_
                                        ; -- End function
	.section	.AMDGPU.csdata,"",@progbits
; Kernel info:
; codeLenInByte = 4828
; NumSgprs: 46
; NumVgprs: 47
; NumAgprs: 0
; TotalNumVgprs: 47
; ScratchSize: 0
; MemoryBound: 0
; FloatMode: 240
; IeeeMode: 1
; LDSByteSize: 10248 bytes/workgroup (compile time only)
; SGPRBlocks: 5
; VGPRBlocks: 5
; NumSGPRsForWavesPerEU: 46
; NumVGPRsForWavesPerEU: 47
; AccumOffset: 48
; Occupancy: 6
; WaveLimiterHint : 1
; COMPUTE_PGM_RSRC2:SCRATCH_EN: 0
; COMPUTE_PGM_RSRC2:USER_SGPR: 6
; COMPUTE_PGM_RSRC2:TRAP_HANDLER: 0
; COMPUTE_PGM_RSRC2:TGID_X_EN: 1
; COMPUTE_PGM_RSRC2:TGID_Y_EN: 0
; COMPUTE_PGM_RSRC2:TGID_Z_EN: 0
; COMPUTE_PGM_RSRC2:TIDIG_COMP_CNT: 0
; COMPUTE_PGM_RSRC3_GFX90A:ACCUM_OFFSET: 11
; COMPUTE_PGM_RSRC3_GFX90A:TG_SPLIT: 0
	.section	.text._ZN7rocprim17ROCPRIM_400000_NS6detail17trampoline_kernelINS0_14default_configENS1_25partition_config_selectorILNS1_17partition_subalgoE8ElNS0_10empty_typeEbEEZZNS1_14partition_implILS5_8ELb0ES3_jPKlPS6_PKS6_NS0_5tupleIJPlS6_EEENSE_IJSB_SB_EEENS0_18inequality_wrapperIN6hipcub16HIPCUB_304000_NS8EqualityEEESF_JS6_EEE10hipError_tPvRmT3_T4_T5_T6_T7_T9_mT8_P12ihipStream_tbDpT10_ENKUlT_T0_E_clISt17integral_constantIbLb1EES16_EEDaS11_S12_EUlS11_E_NS1_11comp_targetILNS1_3genE3ELNS1_11target_archE908ELNS1_3gpuE7ELNS1_3repE0EEENS1_30default_config_static_selectorELNS0_4arch9wavefront6targetE1EEEvT1_,"axG",@progbits,_ZN7rocprim17ROCPRIM_400000_NS6detail17trampoline_kernelINS0_14default_configENS1_25partition_config_selectorILNS1_17partition_subalgoE8ElNS0_10empty_typeEbEEZZNS1_14partition_implILS5_8ELb0ES3_jPKlPS6_PKS6_NS0_5tupleIJPlS6_EEENSE_IJSB_SB_EEENS0_18inequality_wrapperIN6hipcub16HIPCUB_304000_NS8EqualityEEESF_JS6_EEE10hipError_tPvRmT3_T4_T5_T6_T7_T9_mT8_P12ihipStream_tbDpT10_ENKUlT_T0_E_clISt17integral_constantIbLb1EES16_EEDaS11_S12_EUlS11_E_NS1_11comp_targetILNS1_3genE3ELNS1_11target_archE908ELNS1_3gpuE7ELNS1_3repE0EEENS1_30default_config_static_selectorELNS0_4arch9wavefront6targetE1EEEvT1_,comdat
	.protected	_ZN7rocprim17ROCPRIM_400000_NS6detail17trampoline_kernelINS0_14default_configENS1_25partition_config_selectorILNS1_17partition_subalgoE8ElNS0_10empty_typeEbEEZZNS1_14partition_implILS5_8ELb0ES3_jPKlPS6_PKS6_NS0_5tupleIJPlS6_EEENSE_IJSB_SB_EEENS0_18inequality_wrapperIN6hipcub16HIPCUB_304000_NS8EqualityEEESF_JS6_EEE10hipError_tPvRmT3_T4_T5_T6_T7_T9_mT8_P12ihipStream_tbDpT10_ENKUlT_T0_E_clISt17integral_constantIbLb1EES16_EEDaS11_S12_EUlS11_E_NS1_11comp_targetILNS1_3genE3ELNS1_11target_archE908ELNS1_3gpuE7ELNS1_3repE0EEENS1_30default_config_static_selectorELNS0_4arch9wavefront6targetE1EEEvT1_ ; -- Begin function _ZN7rocprim17ROCPRIM_400000_NS6detail17trampoline_kernelINS0_14default_configENS1_25partition_config_selectorILNS1_17partition_subalgoE8ElNS0_10empty_typeEbEEZZNS1_14partition_implILS5_8ELb0ES3_jPKlPS6_PKS6_NS0_5tupleIJPlS6_EEENSE_IJSB_SB_EEENS0_18inequality_wrapperIN6hipcub16HIPCUB_304000_NS8EqualityEEESF_JS6_EEE10hipError_tPvRmT3_T4_T5_T6_T7_T9_mT8_P12ihipStream_tbDpT10_ENKUlT_T0_E_clISt17integral_constantIbLb1EES16_EEDaS11_S12_EUlS11_E_NS1_11comp_targetILNS1_3genE3ELNS1_11target_archE908ELNS1_3gpuE7ELNS1_3repE0EEENS1_30default_config_static_selectorELNS0_4arch9wavefront6targetE1EEEvT1_
	.globl	_ZN7rocprim17ROCPRIM_400000_NS6detail17trampoline_kernelINS0_14default_configENS1_25partition_config_selectorILNS1_17partition_subalgoE8ElNS0_10empty_typeEbEEZZNS1_14partition_implILS5_8ELb0ES3_jPKlPS6_PKS6_NS0_5tupleIJPlS6_EEENSE_IJSB_SB_EEENS0_18inequality_wrapperIN6hipcub16HIPCUB_304000_NS8EqualityEEESF_JS6_EEE10hipError_tPvRmT3_T4_T5_T6_T7_T9_mT8_P12ihipStream_tbDpT10_ENKUlT_T0_E_clISt17integral_constantIbLb1EES16_EEDaS11_S12_EUlS11_E_NS1_11comp_targetILNS1_3genE3ELNS1_11target_archE908ELNS1_3gpuE7ELNS1_3repE0EEENS1_30default_config_static_selectorELNS0_4arch9wavefront6targetE1EEEvT1_
	.p2align	8
	.type	_ZN7rocprim17ROCPRIM_400000_NS6detail17trampoline_kernelINS0_14default_configENS1_25partition_config_selectorILNS1_17partition_subalgoE8ElNS0_10empty_typeEbEEZZNS1_14partition_implILS5_8ELb0ES3_jPKlPS6_PKS6_NS0_5tupleIJPlS6_EEENSE_IJSB_SB_EEENS0_18inequality_wrapperIN6hipcub16HIPCUB_304000_NS8EqualityEEESF_JS6_EEE10hipError_tPvRmT3_T4_T5_T6_T7_T9_mT8_P12ihipStream_tbDpT10_ENKUlT_T0_E_clISt17integral_constantIbLb1EES16_EEDaS11_S12_EUlS11_E_NS1_11comp_targetILNS1_3genE3ELNS1_11target_archE908ELNS1_3gpuE7ELNS1_3repE0EEENS1_30default_config_static_selectorELNS0_4arch9wavefront6targetE1EEEvT1_,@function
_ZN7rocprim17ROCPRIM_400000_NS6detail17trampoline_kernelINS0_14default_configENS1_25partition_config_selectorILNS1_17partition_subalgoE8ElNS0_10empty_typeEbEEZZNS1_14partition_implILS5_8ELb0ES3_jPKlPS6_PKS6_NS0_5tupleIJPlS6_EEENSE_IJSB_SB_EEENS0_18inequality_wrapperIN6hipcub16HIPCUB_304000_NS8EqualityEEESF_JS6_EEE10hipError_tPvRmT3_T4_T5_T6_T7_T9_mT8_P12ihipStream_tbDpT10_ENKUlT_T0_E_clISt17integral_constantIbLb1EES16_EEDaS11_S12_EUlS11_E_NS1_11comp_targetILNS1_3genE3ELNS1_11target_archE908ELNS1_3gpuE7ELNS1_3repE0EEENS1_30default_config_static_selectorELNS0_4arch9wavefront6targetE1EEEvT1_: ; @_ZN7rocprim17ROCPRIM_400000_NS6detail17trampoline_kernelINS0_14default_configENS1_25partition_config_selectorILNS1_17partition_subalgoE8ElNS0_10empty_typeEbEEZZNS1_14partition_implILS5_8ELb0ES3_jPKlPS6_PKS6_NS0_5tupleIJPlS6_EEENSE_IJSB_SB_EEENS0_18inequality_wrapperIN6hipcub16HIPCUB_304000_NS8EqualityEEESF_JS6_EEE10hipError_tPvRmT3_T4_T5_T6_T7_T9_mT8_P12ihipStream_tbDpT10_ENKUlT_T0_E_clISt17integral_constantIbLb1EES16_EEDaS11_S12_EUlS11_E_NS1_11comp_targetILNS1_3genE3ELNS1_11target_archE908ELNS1_3gpuE7ELNS1_3repE0EEENS1_30default_config_static_selectorELNS0_4arch9wavefront6targetE1EEEvT1_
; %bb.0:
	.section	.rodata,"a",@progbits
	.p2align	6, 0x0
	.amdhsa_kernel _ZN7rocprim17ROCPRIM_400000_NS6detail17trampoline_kernelINS0_14default_configENS1_25partition_config_selectorILNS1_17partition_subalgoE8ElNS0_10empty_typeEbEEZZNS1_14partition_implILS5_8ELb0ES3_jPKlPS6_PKS6_NS0_5tupleIJPlS6_EEENSE_IJSB_SB_EEENS0_18inequality_wrapperIN6hipcub16HIPCUB_304000_NS8EqualityEEESF_JS6_EEE10hipError_tPvRmT3_T4_T5_T6_T7_T9_mT8_P12ihipStream_tbDpT10_ENKUlT_T0_E_clISt17integral_constantIbLb1EES16_EEDaS11_S12_EUlS11_E_NS1_11comp_targetILNS1_3genE3ELNS1_11target_archE908ELNS1_3gpuE7ELNS1_3repE0EEENS1_30default_config_static_selectorELNS0_4arch9wavefront6targetE1EEEvT1_
		.amdhsa_group_segment_fixed_size 0
		.amdhsa_private_segment_fixed_size 0
		.amdhsa_kernarg_size 128
		.amdhsa_user_sgpr_count 6
		.amdhsa_user_sgpr_private_segment_buffer 1
		.amdhsa_user_sgpr_dispatch_ptr 0
		.amdhsa_user_sgpr_queue_ptr 0
		.amdhsa_user_sgpr_kernarg_segment_ptr 1
		.amdhsa_user_sgpr_dispatch_id 0
		.amdhsa_user_sgpr_flat_scratch_init 0
		.amdhsa_user_sgpr_kernarg_preload_length 0
		.amdhsa_user_sgpr_kernarg_preload_offset 0
		.amdhsa_user_sgpr_private_segment_size 0
		.amdhsa_uses_dynamic_stack 0
		.amdhsa_system_sgpr_private_segment_wavefront_offset 0
		.amdhsa_system_sgpr_workgroup_id_x 1
		.amdhsa_system_sgpr_workgroup_id_y 0
		.amdhsa_system_sgpr_workgroup_id_z 0
		.amdhsa_system_sgpr_workgroup_info 0
		.amdhsa_system_vgpr_workitem_id 0
		.amdhsa_next_free_vgpr 1
		.amdhsa_next_free_sgpr 0
		.amdhsa_accum_offset 4
		.amdhsa_reserve_vcc 0
		.amdhsa_reserve_flat_scratch 0
		.amdhsa_float_round_mode_32 0
		.amdhsa_float_round_mode_16_64 0
		.amdhsa_float_denorm_mode_32 3
		.amdhsa_float_denorm_mode_16_64 3
		.amdhsa_dx10_clamp 1
		.amdhsa_ieee_mode 1
		.amdhsa_fp16_overflow 0
		.amdhsa_tg_split 0
		.amdhsa_exception_fp_ieee_invalid_op 0
		.amdhsa_exception_fp_denorm_src 0
		.amdhsa_exception_fp_ieee_div_zero 0
		.amdhsa_exception_fp_ieee_overflow 0
		.amdhsa_exception_fp_ieee_underflow 0
		.amdhsa_exception_fp_ieee_inexact 0
		.amdhsa_exception_int_div_zero 0
	.end_amdhsa_kernel
	.section	.text._ZN7rocprim17ROCPRIM_400000_NS6detail17trampoline_kernelINS0_14default_configENS1_25partition_config_selectorILNS1_17partition_subalgoE8ElNS0_10empty_typeEbEEZZNS1_14partition_implILS5_8ELb0ES3_jPKlPS6_PKS6_NS0_5tupleIJPlS6_EEENSE_IJSB_SB_EEENS0_18inequality_wrapperIN6hipcub16HIPCUB_304000_NS8EqualityEEESF_JS6_EEE10hipError_tPvRmT3_T4_T5_T6_T7_T9_mT8_P12ihipStream_tbDpT10_ENKUlT_T0_E_clISt17integral_constantIbLb1EES16_EEDaS11_S12_EUlS11_E_NS1_11comp_targetILNS1_3genE3ELNS1_11target_archE908ELNS1_3gpuE7ELNS1_3repE0EEENS1_30default_config_static_selectorELNS0_4arch9wavefront6targetE1EEEvT1_,"axG",@progbits,_ZN7rocprim17ROCPRIM_400000_NS6detail17trampoline_kernelINS0_14default_configENS1_25partition_config_selectorILNS1_17partition_subalgoE8ElNS0_10empty_typeEbEEZZNS1_14partition_implILS5_8ELb0ES3_jPKlPS6_PKS6_NS0_5tupleIJPlS6_EEENSE_IJSB_SB_EEENS0_18inequality_wrapperIN6hipcub16HIPCUB_304000_NS8EqualityEEESF_JS6_EEE10hipError_tPvRmT3_T4_T5_T6_T7_T9_mT8_P12ihipStream_tbDpT10_ENKUlT_T0_E_clISt17integral_constantIbLb1EES16_EEDaS11_S12_EUlS11_E_NS1_11comp_targetILNS1_3genE3ELNS1_11target_archE908ELNS1_3gpuE7ELNS1_3repE0EEENS1_30default_config_static_selectorELNS0_4arch9wavefront6targetE1EEEvT1_,comdat
.Lfunc_end490:
	.size	_ZN7rocprim17ROCPRIM_400000_NS6detail17trampoline_kernelINS0_14default_configENS1_25partition_config_selectorILNS1_17partition_subalgoE8ElNS0_10empty_typeEbEEZZNS1_14partition_implILS5_8ELb0ES3_jPKlPS6_PKS6_NS0_5tupleIJPlS6_EEENSE_IJSB_SB_EEENS0_18inequality_wrapperIN6hipcub16HIPCUB_304000_NS8EqualityEEESF_JS6_EEE10hipError_tPvRmT3_T4_T5_T6_T7_T9_mT8_P12ihipStream_tbDpT10_ENKUlT_T0_E_clISt17integral_constantIbLb1EES16_EEDaS11_S12_EUlS11_E_NS1_11comp_targetILNS1_3genE3ELNS1_11target_archE908ELNS1_3gpuE7ELNS1_3repE0EEENS1_30default_config_static_selectorELNS0_4arch9wavefront6targetE1EEEvT1_, .Lfunc_end490-_ZN7rocprim17ROCPRIM_400000_NS6detail17trampoline_kernelINS0_14default_configENS1_25partition_config_selectorILNS1_17partition_subalgoE8ElNS0_10empty_typeEbEEZZNS1_14partition_implILS5_8ELb0ES3_jPKlPS6_PKS6_NS0_5tupleIJPlS6_EEENSE_IJSB_SB_EEENS0_18inequality_wrapperIN6hipcub16HIPCUB_304000_NS8EqualityEEESF_JS6_EEE10hipError_tPvRmT3_T4_T5_T6_T7_T9_mT8_P12ihipStream_tbDpT10_ENKUlT_T0_E_clISt17integral_constantIbLb1EES16_EEDaS11_S12_EUlS11_E_NS1_11comp_targetILNS1_3genE3ELNS1_11target_archE908ELNS1_3gpuE7ELNS1_3repE0EEENS1_30default_config_static_selectorELNS0_4arch9wavefront6targetE1EEEvT1_
                                        ; -- End function
	.section	.AMDGPU.csdata,"",@progbits
; Kernel info:
; codeLenInByte = 0
; NumSgprs: 4
; NumVgprs: 0
; NumAgprs: 0
; TotalNumVgprs: 0
; ScratchSize: 0
; MemoryBound: 0
; FloatMode: 240
; IeeeMode: 1
; LDSByteSize: 0 bytes/workgroup (compile time only)
; SGPRBlocks: 0
; VGPRBlocks: 0
; NumSGPRsForWavesPerEU: 4
; NumVGPRsForWavesPerEU: 1
; AccumOffset: 4
; Occupancy: 8
; WaveLimiterHint : 0
; COMPUTE_PGM_RSRC2:SCRATCH_EN: 0
; COMPUTE_PGM_RSRC2:USER_SGPR: 6
; COMPUTE_PGM_RSRC2:TRAP_HANDLER: 0
; COMPUTE_PGM_RSRC2:TGID_X_EN: 1
; COMPUTE_PGM_RSRC2:TGID_Y_EN: 0
; COMPUTE_PGM_RSRC2:TGID_Z_EN: 0
; COMPUTE_PGM_RSRC2:TIDIG_COMP_CNT: 0
; COMPUTE_PGM_RSRC3_GFX90A:ACCUM_OFFSET: 0
; COMPUTE_PGM_RSRC3_GFX90A:TG_SPLIT: 0
	.section	.text._ZN7rocprim17ROCPRIM_400000_NS6detail17trampoline_kernelINS0_14default_configENS1_25partition_config_selectorILNS1_17partition_subalgoE8ElNS0_10empty_typeEbEEZZNS1_14partition_implILS5_8ELb0ES3_jPKlPS6_PKS6_NS0_5tupleIJPlS6_EEENSE_IJSB_SB_EEENS0_18inequality_wrapperIN6hipcub16HIPCUB_304000_NS8EqualityEEESF_JS6_EEE10hipError_tPvRmT3_T4_T5_T6_T7_T9_mT8_P12ihipStream_tbDpT10_ENKUlT_T0_E_clISt17integral_constantIbLb1EES16_EEDaS11_S12_EUlS11_E_NS1_11comp_targetILNS1_3genE2ELNS1_11target_archE906ELNS1_3gpuE6ELNS1_3repE0EEENS1_30default_config_static_selectorELNS0_4arch9wavefront6targetE1EEEvT1_,"axG",@progbits,_ZN7rocprim17ROCPRIM_400000_NS6detail17trampoline_kernelINS0_14default_configENS1_25partition_config_selectorILNS1_17partition_subalgoE8ElNS0_10empty_typeEbEEZZNS1_14partition_implILS5_8ELb0ES3_jPKlPS6_PKS6_NS0_5tupleIJPlS6_EEENSE_IJSB_SB_EEENS0_18inequality_wrapperIN6hipcub16HIPCUB_304000_NS8EqualityEEESF_JS6_EEE10hipError_tPvRmT3_T4_T5_T6_T7_T9_mT8_P12ihipStream_tbDpT10_ENKUlT_T0_E_clISt17integral_constantIbLb1EES16_EEDaS11_S12_EUlS11_E_NS1_11comp_targetILNS1_3genE2ELNS1_11target_archE906ELNS1_3gpuE6ELNS1_3repE0EEENS1_30default_config_static_selectorELNS0_4arch9wavefront6targetE1EEEvT1_,comdat
	.protected	_ZN7rocprim17ROCPRIM_400000_NS6detail17trampoline_kernelINS0_14default_configENS1_25partition_config_selectorILNS1_17partition_subalgoE8ElNS0_10empty_typeEbEEZZNS1_14partition_implILS5_8ELb0ES3_jPKlPS6_PKS6_NS0_5tupleIJPlS6_EEENSE_IJSB_SB_EEENS0_18inequality_wrapperIN6hipcub16HIPCUB_304000_NS8EqualityEEESF_JS6_EEE10hipError_tPvRmT3_T4_T5_T6_T7_T9_mT8_P12ihipStream_tbDpT10_ENKUlT_T0_E_clISt17integral_constantIbLb1EES16_EEDaS11_S12_EUlS11_E_NS1_11comp_targetILNS1_3genE2ELNS1_11target_archE906ELNS1_3gpuE6ELNS1_3repE0EEENS1_30default_config_static_selectorELNS0_4arch9wavefront6targetE1EEEvT1_ ; -- Begin function _ZN7rocprim17ROCPRIM_400000_NS6detail17trampoline_kernelINS0_14default_configENS1_25partition_config_selectorILNS1_17partition_subalgoE8ElNS0_10empty_typeEbEEZZNS1_14partition_implILS5_8ELb0ES3_jPKlPS6_PKS6_NS0_5tupleIJPlS6_EEENSE_IJSB_SB_EEENS0_18inequality_wrapperIN6hipcub16HIPCUB_304000_NS8EqualityEEESF_JS6_EEE10hipError_tPvRmT3_T4_T5_T6_T7_T9_mT8_P12ihipStream_tbDpT10_ENKUlT_T0_E_clISt17integral_constantIbLb1EES16_EEDaS11_S12_EUlS11_E_NS1_11comp_targetILNS1_3genE2ELNS1_11target_archE906ELNS1_3gpuE6ELNS1_3repE0EEENS1_30default_config_static_selectorELNS0_4arch9wavefront6targetE1EEEvT1_
	.globl	_ZN7rocprim17ROCPRIM_400000_NS6detail17trampoline_kernelINS0_14default_configENS1_25partition_config_selectorILNS1_17partition_subalgoE8ElNS0_10empty_typeEbEEZZNS1_14partition_implILS5_8ELb0ES3_jPKlPS6_PKS6_NS0_5tupleIJPlS6_EEENSE_IJSB_SB_EEENS0_18inequality_wrapperIN6hipcub16HIPCUB_304000_NS8EqualityEEESF_JS6_EEE10hipError_tPvRmT3_T4_T5_T6_T7_T9_mT8_P12ihipStream_tbDpT10_ENKUlT_T0_E_clISt17integral_constantIbLb1EES16_EEDaS11_S12_EUlS11_E_NS1_11comp_targetILNS1_3genE2ELNS1_11target_archE906ELNS1_3gpuE6ELNS1_3repE0EEENS1_30default_config_static_selectorELNS0_4arch9wavefront6targetE1EEEvT1_
	.p2align	8
	.type	_ZN7rocprim17ROCPRIM_400000_NS6detail17trampoline_kernelINS0_14default_configENS1_25partition_config_selectorILNS1_17partition_subalgoE8ElNS0_10empty_typeEbEEZZNS1_14partition_implILS5_8ELb0ES3_jPKlPS6_PKS6_NS0_5tupleIJPlS6_EEENSE_IJSB_SB_EEENS0_18inequality_wrapperIN6hipcub16HIPCUB_304000_NS8EqualityEEESF_JS6_EEE10hipError_tPvRmT3_T4_T5_T6_T7_T9_mT8_P12ihipStream_tbDpT10_ENKUlT_T0_E_clISt17integral_constantIbLb1EES16_EEDaS11_S12_EUlS11_E_NS1_11comp_targetILNS1_3genE2ELNS1_11target_archE906ELNS1_3gpuE6ELNS1_3repE0EEENS1_30default_config_static_selectorELNS0_4arch9wavefront6targetE1EEEvT1_,@function
_ZN7rocprim17ROCPRIM_400000_NS6detail17trampoline_kernelINS0_14default_configENS1_25partition_config_selectorILNS1_17partition_subalgoE8ElNS0_10empty_typeEbEEZZNS1_14partition_implILS5_8ELb0ES3_jPKlPS6_PKS6_NS0_5tupleIJPlS6_EEENSE_IJSB_SB_EEENS0_18inequality_wrapperIN6hipcub16HIPCUB_304000_NS8EqualityEEESF_JS6_EEE10hipError_tPvRmT3_T4_T5_T6_T7_T9_mT8_P12ihipStream_tbDpT10_ENKUlT_T0_E_clISt17integral_constantIbLb1EES16_EEDaS11_S12_EUlS11_E_NS1_11comp_targetILNS1_3genE2ELNS1_11target_archE906ELNS1_3gpuE6ELNS1_3repE0EEENS1_30default_config_static_selectorELNS0_4arch9wavefront6targetE1EEEvT1_: ; @_ZN7rocprim17ROCPRIM_400000_NS6detail17trampoline_kernelINS0_14default_configENS1_25partition_config_selectorILNS1_17partition_subalgoE8ElNS0_10empty_typeEbEEZZNS1_14partition_implILS5_8ELb0ES3_jPKlPS6_PKS6_NS0_5tupleIJPlS6_EEENSE_IJSB_SB_EEENS0_18inequality_wrapperIN6hipcub16HIPCUB_304000_NS8EqualityEEESF_JS6_EEE10hipError_tPvRmT3_T4_T5_T6_T7_T9_mT8_P12ihipStream_tbDpT10_ENKUlT_T0_E_clISt17integral_constantIbLb1EES16_EEDaS11_S12_EUlS11_E_NS1_11comp_targetILNS1_3genE2ELNS1_11target_archE906ELNS1_3gpuE6ELNS1_3repE0EEENS1_30default_config_static_selectorELNS0_4arch9wavefront6targetE1EEEvT1_
; %bb.0:
	.section	.rodata,"a",@progbits
	.p2align	6, 0x0
	.amdhsa_kernel _ZN7rocprim17ROCPRIM_400000_NS6detail17trampoline_kernelINS0_14default_configENS1_25partition_config_selectorILNS1_17partition_subalgoE8ElNS0_10empty_typeEbEEZZNS1_14partition_implILS5_8ELb0ES3_jPKlPS6_PKS6_NS0_5tupleIJPlS6_EEENSE_IJSB_SB_EEENS0_18inequality_wrapperIN6hipcub16HIPCUB_304000_NS8EqualityEEESF_JS6_EEE10hipError_tPvRmT3_T4_T5_T6_T7_T9_mT8_P12ihipStream_tbDpT10_ENKUlT_T0_E_clISt17integral_constantIbLb1EES16_EEDaS11_S12_EUlS11_E_NS1_11comp_targetILNS1_3genE2ELNS1_11target_archE906ELNS1_3gpuE6ELNS1_3repE0EEENS1_30default_config_static_selectorELNS0_4arch9wavefront6targetE1EEEvT1_
		.amdhsa_group_segment_fixed_size 0
		.amdhsa_private_segment_fixed_size 0
		.amdhsa_kernarg_size 128
		.amdhsa_user_sgpr_count 6
		.amdhsa_user_sgpr_private_segment_buffer 1
		.amdhsa_user_sgpr_dispatch_ptr 0
		.amdhsa_user_sgpr_queue_ptr 0
		.amdhsa_user_sgpr_kernarg_segment_ptr 1
		.amdhsa_user_sgpr_dispatch_id 0
		.amdhsa_user_sgpr_flat_scratch_init 0
		.amdhsa_user_sgpr_kernarg_preload_length 0
		.amdhsa_user_sgpr_kernarg_preload_offset 0
		.amdhsa_user_sgpr_private_segment_size 0
		.amdhsa_uses_dynamic_stack 0
		.amdhsa_system_sgpr_private_segment_wavefront_offset 0
		.amdhsa_system_sgpr_workgroup_id_x 1
		.amdhsa_system_sgpr_workgroup_id_y 0
		.amdhsa_system_sgpr_workgroup_id_z 0
		.amdhsa_system_sgpr_workgroup_info 0
		.amdhsa_system_vgpr_workitem_id 0
		.amdhsa_next_free_vgpr 1
		.amdhsa_next_free_sgpr 0
		.amdhsa_accum_offset 4
		.amdhsa_reserve_vcc 0
		.amdhsa_reserve_flat_scratch 0
		.amdhsa_float_round_mode_32 0
		.amdhsa_float_round_mode_16_64 0
		.amdhsa_float_denorm_mode_32 3
		.amdhsa_float_denorm_mode_16_64 3
		.amdhsa_dx10_clamp 1
		.amdhsa_ieee_mode 1
		.amdhsa_fp16_overflow 0
		.amdhsa_tg_split 0
		.amdhsa_exception_fp_ieee_invalid_op 0
		.amdhsa_exception_fp_denorm_src 0
		.amdhsa_exception_fp_ieee_div_zero 0
		.amdhsa_exception_fp_ieee_overflow 0
		.amdhsa_exception_fp_ieee_underflow 0
		.amdhsa_exception_fp_ieee_inexact 0
		.amdhsa_exception_int_div_zero 0
	.end_amdhsa_kernel
	.section	.text._ZN7rocprim17ROCPRIM_400000_NS6detail17trampoline_kernelINS0_14default_configENS1_25partition_config_selectorILNS1_17partition_subalgoE8ElNS0_10empty_typeEbEEZZNS1_14partition_implILS5_8ELb0ES3_jPKlPS6_PKS6_NS0_5tupleIJPlS6_EEENSE_IJSB_SB_EEENS0_18inequality_wrapperIN6hipcub16HIPCUB_304000_NS8EqualityEEESF_JS6_EEE10hipError_tPvRmT3_T4_T5_T6_T7_T9_mT8_P12ihipStream_tbDpT10_ENKUlT_T0_E_clISt17integral_constantIbLb1EES16_EEDaS11_S12_EUlS11_E_NS1_11comp_targetILNS1_3genE2ELNS1_11target_archE906ELNS1_3gpuE6ELNS1_3repE0EEENS1_30default_config_static_selectorELNS0_4arch9wavefront6targetE1EEEvT1_,"axG",@progbits,_ZN7rocprim17ROCPRIM_400000_NS6detail17trampoline_kernelINS0_14default_configENS1_25partition_config_selectorILNS1_17partition_subalgoE8ElNS0_10empty_typeEbEEZZNS1_14partition_implILS5_8ELb0ES3_jPKlPS6_PKS6_NS0_5tupleIJPlS6_EEENSE_IJSB_SB_EEENS0_18inequality_wrapperIN6hipcub16HIPCUB_304000_NS8EqualityEEESF_JS6_EEE10hipError_tPvRmT3_T4_T5_T6_T7_T9_mT8_P12ihipStream_tbDpT10_ENKUlT_T0_E_clISt17integral_constantIbLb1EES16_EEDaS11_S12_EUlS11_E_NS1_11comp_targetILNS1_3genE2ELNS1_11target_archE906ELNS1_3gpuE6ELNS1_3repE0EEENS1_30default_config_static_selectorELNS0_4arch9wavefront6targetE1EEEvT1_,comdat
.Lfunc_end491:
	.size	_ZN7rocprim17ROCPRIM_400000_NS6detail17trampoline_kernelINS0_14default_configENS1_25partition_config_selectorILNS1_17partition_subalgoE8ElNS0_10empty_typeEbEEZZNS1_14partition_implILS5_8ELb0ES3_jPKlPS6_PKS6_NS0_5tupleIJPlS6_EEENSE_IJSB_SB_EEENS0_18inequality_wrapperIN6hipcub16HIPCUB_304000_NS8EqualityEEESF_JS6_EEE10hipError_tPvRmT3_T4_T5_T6_T7_T9_mT8_P12ihipStream_tbDpT10_ENKUlT_T0_E_clISt17integral_constantIbLb1EES16_EEDaS11_S12_EUlS11_E_NS1_11comp_targetILNS1_3genE2ELNS1_11target_archE906ELNS1_3gpuE6ELNS1_3repE0EEENS1_30default_config_static_selectorELNS0_4arch9wavefront6targetE1EEEvT1_, .Lfunc_end491-_ZN7rocprim17ROCPRIM_400000_NS6detail17trampoline_kernelINS0_14default_configENS1_25partition_config_selectorILNS1_17partition_subalgoE8ElNS0_10empty_typeEbEEZZNS1_14partition_implILS5_8ELb0ES3_jPKlPS6_PKS6_NS0_5tupleIJPlS6_EEENSE_IJSB_SB_EEENS0_18inequality_wrapperIN6hipcub16HIPCUB_304000_NS8EqualityEEESF_JS6_EEE10hipError_tPvRmT3_T4_T5_T6_T7_T9_mT8_P12ihipStream_tbDpT10_ENKUlT_T0_E_clISt17integral_constantIbLb1EES16_EEDaS11_S12_EUlS11_E_NS1_11comp_targetILNS1_3genE2ELNS1_11target_archE906ELNS1_3gpuE6ELNS1_3repE0EEENS1_30default_config_static_selectorELNS0_4arch9wavefront6targetE1EEEvT1_
                                        ; -- End function
	.section	.AMDGPU.csdata,"",@progbits
; Kernel info:
; codeLenInByte = 0
; NumSgprs: 4
; NumVgprs: 0
; NumAgprs: 0
; TotalNumVgprs: 0
; ScratchSize: 0
; MemoryBound: 0
; FloatMode: 240
; IeeeMode: 1
; LDSByteSize: 0 bytes/workgroup (compile time only)
; SGPRBlocks: 0
; VGPRBlocks: 0
; NumSGPRsForWavesPerEU: 4
; NumVGPRsForWavesPerEU: 1
; AccumOffset: 4
; Occupancy: 8
; WaveLimiterHint : 0
; COMPUTE_PGM_RSRC2:SCRATCH_EN: 0
; COMPUTE_PGM_RSRC2:USER_SGPR: 6
; COMPUTE_PGM_RSRC2:TRAP_HANDLER: 0
; COMPUTE_PGM_RSRC2:TGID_X_EN: 1
; COMPUTE_PGM_RSRC2:TGID_Y_EN: 0
; COMPUTE_PGM_RSRC2:TGID_Z_EN: 0
; COMPUTE_PGM_RSRC2:TIDIG_COMP_CNT: 0
; COMPUTE_PGM_RSRC3_GFX90A:ACCUM_OFFSET: 0
; COMPUTE_PGM_RSRC3_GFX90A:TG_SPLIT: 0
	.section	.text._ZN7rocprim17ROCPRIM_400000_NS6detail17trampoline_kernelINS0_14default_configENS1_25partition_config_selectorILNS1_17partition_subalgoE8ElNS0_10empty_typeEbEEZZNS1_14partition_implILS5_8ELb0ES3_jPKlPS6_PKS6_NS0_5tupleIJPlS6_EEENSE_IJSB_SB_EEENS0_18inequality_wrapperIN6hipcub16HIPCUB_304000_NS8EqualityEEESF_JS6_EEE10hipError_tPvRmT3_T4_T5_T6_T7_T9_mT8_P12ihipStream_tbDpT10_ENKUlT_T0_E_clISt17integral_constantIbLb1EES16_EEDaS11_S12_EUlS11_E_NS1_11comp_targetILNS1_3genE10ELNS1_11target_archE1200ELNS1_3gpuE4ELNS1_3repE0EEENS1_30default_config_static_selectorELNS0_4arch9wavefront6targetE1EEEvT1_,"axG",@progbits,_ZN7rocprim17ROCPRIM_400000_NS6detail17trampoline_kernelINS0_14default_configENS1_25partition_config_selectorILNS1_17partition_subalgoE8ElNS0_10empty_typeEbEEZZNS1_14partition_implILS5_8ELb0ES3_jPKlPS6_PKS6_NS0_5tupleIJPlS6_EEENSE_IJSB_SB_EEENS0_18inequality_wrapperIN6hipcub16HIPCUB_304000_NS8EqualityEEESF_JS6_EEE10hipError_tPvRmT3_T4_T5_T6_T7_T9_mT8_P12ihipStream_tbDpT10_ENKUlT_T0_E_clISt17integral_constantIbLb1EES16_EEDaS11_S12_EUlS11_E_NS1_11comp_targetILNS1_3genE10ELNS1_11target_archE1200ELNS1_3gpuE4ELNS1_3repE0EEENS1_30default_config_static_selectorELNS0_4arch9wavefront6targetE1EEEvT1_,comdat
	.protected	_ZN7rocprim17ROCPRIM_400000_NS6detail17trampoline_kernelINS0_14default_configENS1_25partition_config_selectorILNS1_17partition_subalgoE8ElNS0_10empty_typeEbEEZZNS1_14partition_implILS5_8ELb0ES3_jPKlPS6_PKS6_NS0_5tupleIJPlS6_EEENSE_IJSB_SB_EEENS0_18inequality_wrapperIN6hipcub16HIPCUB_304000_NS8EqualityEEESF_JS6_EEE10hipError_tPvRmT3_T4_T5_T6_T7_T9_mT8_P12ihipStream_tbDpT10_ENKUlT_T0_E_clISt17integral_constantIbLb1EES16_EEDaS11_S12_EUlS11_E_NS1_11comp_targetILNS1_3genE10ELNS1_11target_archE1200ELNS1_3gpuE4ELNS1_3repE0EEENS1_30default_config_static_selectorELNS0_4arch9wavefront6targetE1EEEvT1_ ; -- Begin function _ZN7rocprim17ROCPRIM_400000_NS6detail17trampoline_kernelINS0_14default_configENS1_25partition_config_selectorILNS1_17partition_subalgoE8ElNS0_10empty_typeEbEEZZNS1_14partition_implILS5_8ELb0ES3_jPKlPS6_PKS6_NS0_5tupleIJPlS6_EEENSE_IJSB_SB_EEENS0_18inequality_wrapperIN6hipcub16HIPCUB_304000_NS8EqualityEEESF_JS6_EEE10hipError_tPvRmT3_T4_T5_T6_T7_T9_mT8_P12ihipStream_tbDpT10_ENKUlT_T0_E_clISt17integral_constantIbLb1EES16_EEDaS11_S12_EUlS11_E_NS1_11comp_targetILNS1_3genE10ELNS1_11target_archE1200ELNS1_3gpuE4ELNS1_3repE0EEENS1_30default_config_static_selectorELNS0_4arch9wavefront6targetE1EEEvT1_
	.globl	_ZN7rocprim17ROCPRIM_400000_NS6detail17trampoline_kernelINS0_14default_configENS1_25partition_config_selectorILNS1_17partition_subalgoE8ElNS0_10empty_typeEbEEZZNS1_14partition_implILS5_8ELb0ES3_jPKlPS6_PKS6_NS0_5tupleIJPlS6_EEENSE_IJSB_SB_EEENS0_18inequality_wrapperIN6hipcub16HIPCUB_304000_NS8EqualityEEESF_JS6_EEE10hipError_tPvRmT3_T4_T5_T6_T7_T9_mT8_P12ihipStream_tbDpT10_ENKUlT_T0_E_clISt17integral_constantIbLb1EES16_EEDaS11_S12_EUlS11_E_NS1_11comp_targetILNS1_3genE10ELNS1_11target_archE1200ELNS1_3gpuE4ELNS1_3repE0EEENS1_30default_config_static_selectorELNS0_4arch9wavefront6targetE1EEEvT1_
	.p2align	8
	.type	_ZN7rocprim17ROCPRIM_400000_NS6detail17trampoline_kernelINS0_14default_configENS1_25partition_config_selectorILNS1_17partition_subalgoE8ElNS0_10empty_typeEbEEZZNS1_14partition_implILS5_8ELb0ES3_jPKlPS6_PKS6_NS0_5tupleIJPlS6_EEENSE_IJSB_SB_EEENS0_18inequality_wrapperIN6hipcub16HIPCUB_304000_NS8EqualityEEESF_JS6_EEE10hipError_tPvRmT3_T4_T5_T6_T7_T9_mT8_P12ihipStream_tbDpT10_ENKUlT_T0_E_clISt17integral_constantIbLb1EES16_EEDaS11_S12_EUlS11_E_NS1_11comp_targetILNS1_3genE10ELNS1_11target_archE1200ELNS1_3gpuE4ELNS1_3repE0EEENS1_30default_config_static_selectorELNS0_4arch9wavefront6targetE1EEEvT1_,@function
_ZN7rocprim17ROCPRIM_400000_NS6detail17trampoline_kernelINS0_14default_configENS1_25partition_config_selectorILNS1_17partition_subalgoE8ElNS0_10empty_typeEbEEZZNS1_14partition_implILS5_8ELb0ES3_jPKlPS6_PKS6_NS0_5tupleIJPlS6_EEENSE_IJSB_SB_EEENS0_18inequality_wrapperIN6hipcub16HIPCUB_304000_NS8EqualityEEESF_JS6_EEE10hipError_tPvRmT3_T4_T5_T6_T7_T9_mT8_P12ihipStream_tbDpT10_ENKUlT_T0_E_clISt17integral_constantIbLb1EES16_EEDaS11_S12_EUlS11_E_NS1_11comp_targetILNS1_3genE10ELNS1_11target_archE1200ELNS1_3gpuE4ELNS1_3repE0EEENS1_30default_config_static_selectorELNS0_4arch9wavefront6targetE1EEEvT1_: ; @_ZN7rocprim17ROCPRIM_400000_NS6detail17trampoline_kernelINS0_14default_configENS1_25partition_config_selectorILNS1_17partition_subalgoE8ElNS0_10empty_typeEbEEZZNS1_14partition_implILS5_8ELb0ES3_jPKlPS6_PKS6_NS0_5tupleIJPlS6_EEENSE_IJSB_SB_EEENS0_18inequality_wrapperIN6hipcub16HIPCUB_304000_NS8EqualityEEESF_JS6_EEE10hipError_tPvRmT3_T4_T5_T6_T7_T9_mT8_P12ihipStream_tbDpT10_ENKUlT_T0_E_clISt17integral_constantIbLb1EES16_EEDaS11_S12_EUlS11_E_NS1_11comp_targetILNS1_3genE10ELNS1_11target_archE1200ELNS1_3gpuE4ELNS1_3repE0EEENS1_30default_config_static_selectorELNS0_4arch9wavefront6targetE1EEEvT1_
; %bb.0:
	.section	.rodata,"a",@progbits
	.p2align	6, 0x0
	.amdhsa_kernel _ZN7rocprim17ROCPRIM_400000_NS6detail17trampoline_kernelINS0_14default_configENS1_25partition_config_selectorILNS1_17partition_subalgoE8ElNS0_10empty_typeEbEEZZNS1_14partition_implILS5_8ELb0ES3_jPKlPS6_PKS6_NS0_5tupleIJPlS6_EEENSE_IJSB_SB_EEENS0_18inequality_wrapperIN6hipcub16HIPCUB_304000_NS8EqualityEEESF_JS6_EEE10hipError_tPvRmT3_T4_T5_T6_T7_T9_mT8_P12ihipStream_tbDpT10_ENKUlT_T0_E_clISt17integral_constantIbLb1EES16_EEDaS11_S12_EUlS11_E_NS1_11comp_targetILNS1_3genE10ELNS1_11target_archE1200ELNS1_3gpuE4ELNS1_3repE0EEENS1_30default_config_static_selectorELNS0_4arch9wavefront6targetE1EEEvT1_
		.amdhsa_group_segment_fixed_size 0
		.amdhsa_private_segment_fixed_size 0
		.amdhsa_kernarg_size 128
		.amdhsa_user_sgpr_count 6
		.amdhsa_user_sgpr_private_segment_buffer 1
		.amdhsa_user_sgpr_dispatch_ptr 0
		.amdhsa_user_sgpr_queue_ptr 0
		.amdhsa_user_sgpr_kernarg_segment_ptr 1
		.amdhsa_user_sgpr_dispatch_id 0
		.amdhsa_user_sgpr_flat_scratch_init 0
		.amdhsa_user_sgpr_kernarg_preload_length 0
		.amdhsa_user_sgpr_kernarg_preload_offset 0
		.amdhsa_user_sgpr_private_segment_size 0
		.amdhsa_uses_dynamic_stack 0
		.amdhsa_system_sgpr_private_segment_wavefront_offset 0
		.amdhsa_system_sgpr_workgroup_id_x 1
		.amdhsa_system_sgpr_workgroup_id_y 0
		.amdhsa_system_sgpr_workgroup_id_z 0
		.amdhsa_system_sgpr_workgroup_info 0
		.amdhsa_system_vgpr_workitem_id 0
		.amdhsa_next_free_vgpr 1
		.amdhsa_next_free_sgpr 0
		.amdhsa_accum_offset 4
		.amdhsa_reserve_vcc 0
		.amdhsa_reserve_flat_scratch 0
		.amdhsa_float_round_mode_32 0
		.amdhsa_float_round_mode_16_64 0
		.amdhsa_float_denorm_mode_32 3
		.amdhsa_float_denorm_mode_16_64 3
		.amdhsa_dx10_clamp 1
		.amdhsa_ieee_mode 1
		.amdhsa_fp16_overflow 0
		.amdhsa_tg_split 0
		.amdhsa_exception_fp_ieee_invalid_op 0
		.amdhsa_exception_fp_denorm_src 0
		.amdhsa_exception_fp_ieee_div_zero 0
		.amdhsa_exception_fp_ieee_overflow 0
		.amdhsa_exception_fp_ieee_underflow 0
		.amdhsa_exception_fp_ieee_inexact 0
		.amdhsa_exception_int_div_zero 0
	.end_amdhsa_kernel
	.section	.text._ZN7rocprim17ROCPRIM_400000_NS6detail17trampoline_kernelINS0_14default_configENS1_25partition_config_selectorILNS1_17partition_subalgoE8ElNS0_10empty_typeEbEEZZNS1_14partition_implILS5_8ELb0ES3_jPKlPS6_PKS6_NS0_5tupleIJPlS6_EEENSE_IJSB_SB_EEENS0_18inequality_wrapperIN6hipcub16HIPCUB_304000_NS8EqualityEEESF_JS6_EEE10hipError_tPvRmT3_T4_T5_T6_T7_T9_mT8_P12ihipStream_tbDpT10_ENKUlT_T0_E_clISt17integral_constantIbLb1EES16_EEDaS11_S12_EUlS11_E_NS1_11comp_targetILNS1_3genE10ELNS1_11target_archE1200ELNS1_3gpuE4ELNS1_3repE0EEENS1_30default_config_static_selectorELNS0_4arch9wavefront6targetE1EEEvT1_,"axG",@progbits,_ZN7rocprim17ROCPRIM_400000_NS6detail17trampoline_kernelINS0_14default_configENS1_25partition_config_selectorILNS1_17partition_subalgoE8ElNS0_10empty_typeEbEEZZNS1_14partition_implILS5_8ELb0ES3_jPKlPS6_PKS6_NS0_5tupleIJPlS6_EEENSE_IJSB_SB_EEENS0_18inequality_wrapperIN6hipcub16HIPCUB_304000_NS8EqualityEEESF_JS6_EEE10hipError_tPvRmT3_T4_T5_T6_T7_T9_mT8_P12ihipStream_tbDpT10_ENKUlT_T0_E_clISt17integral_constantIbLb1EES16_EEDaS11_S12_EUlS11_E_NS1_11comp_targetILNS1_3genE10ELNS1_11target_archE1200ELNS1_3gpuE4ELNS1_3repE0EEENS1_30default_config_static_selectorELNS0_4arch9wavefront6targetE1EEEvT1_,comdat
.Lfunc_end492:
	.size	_ZN7rocprim17ROCPRIM_400000_NS6detail17trampoline_kernelINS0_14default_configENS1_25partition_config_selectorILNS1_17partition_subalgoE8ElNS0_10empty_typeEbEEZZNS1_14partition_implILS5_8ELb0ES3_jPKlPS6_PKS6_NS0_5tupleIJPlS6_EEENSE_IJSB_SB_EEENS0_18inequality_wrapperIN6hipcub16HIPCUB_304000_NS8EqualityEEESF_JS6_EEE10hipError_tPvRmT3_T4_T5_T6_T7_T9_mT8_P12ihipStream_tbDpT10_ENKUlT_T0_E_clISt17integral_constantIbLb1EES16_EEDaS11_S12_EUlS11_E_NS1_11comp_targetILNS1_3genE10ELNS1_11target_archE1200ELNS1_3gpuE4ELNS1_3repE0EEENS1_30default_config_static_selectorELNS0_4arch9wavefront6targetE1EEEvT1_, .Lfunc_end492-_ZN7rocprim17ROCPRIM_400000_NS6detail17trampoline_kernelINS0_14default_configENS1_25partition_config_selectorILNS1_17partition_subalgoE8ElNS0_10empty_typeEbEEZZNS1_14partition_implILS5_8ELb0ES3_jPKlPS6_PKS6_NS0_5tupleIJPlS6_EEENSE_IJSB_SB_EEENS0_18inequality_wrapperIN6hipcub16HIPCUB_304000_NS8EqualityEEESF_JS6_EEE10hipError_tPvRmT3_T4_T5_T6_T7_T9_mT8_P12ihipStream_tbDpT10_ENKUlT_T0_E_clISt17integral_constantIbLb1EES16_EEDaS11_S12_EUlS11_E_NS1_11comp_targetILNS1_3genE10ELNS1_11target_archE1200ELNS1_3gpuE4ELNS1_3repE0EEENS1_30default_config_static_selectorELNS0_4arch9wavefront6targetE1EEEvT1_
                                        ; -- End function
	.section	.AMDGPU.csdata,"",@progbits
; Kernel info:
; codeLenInByte = 0
; NumSgprs: 4
; NumVgprs: 0
; NumAgprs: 0
; TotalNumVgprs: 0
; ScratchSize: 0
; MemoryBound: 0
; FloatMode: 240
; IeeeMode: 1
; LDSByteSize: 0 bytes/workgroup (compile time only)
; SGPRBlocks: 0
; VGPRBlocks: 0
; NumSGPRsForWavesPerEU: 4
; NumVGPRsForWavesPerEU: 1
; AccumOffset: 4
; Occupancy: 8
; WaveLimiterHint : 0
; COMPUTE_PGM_RSRC2:SCRATCH_EN: 0
; COMPUTE_PGM_RSRC2:USER_SGPR: 6
; COMPUTE_PGM_RSRC2:TRAP_HANDLER: 0
; COMPUTE_PGM_RSRC2:TGID_X_EN: 1
; COMPUTE_PGM_RSRC2:TGID_Y_EN: 0
; COMPUTE_PGM_RSRC2:TGID_Z_EN: 0
; COMPUTE_PGM_RSRC2:TIDIG_COMP_CNT: 0
; COMPUTE_PGM_RSRC3_GFX90A:ACCUM_OFFSET: 0
; COMPUTE_PGM_RSRC3_GFX90A:TG_SPLIT: 0
	.section	.text._ZN7rocprim17ROCPRIM_400000_NS6detail17trampoline_kernelINS0_14default_configENS1_25partition_config_selectorILNS1_17partition_subalgoE8ElNS0_10empty_typeEbEEZZNS1_14partition_implILS5_8ELb0ES3_jPKlPS6_PKS6_NS0_5tupleIJPlS6_EEENSE_IJSB_SB_EEENS0_18inequality_wrapperIN6hipcub16HIPCUB_304000_NS8EqualityEEESF_JS6_EEE10hipError_tPvRmT3_T4_T5_T6_T7_T9_mT8_P12ihipStream_tbDpT10_ENKUlT_T0_E_clISt17integral_constantIbLb1EES16_EEDaS11_S12_EUlS11_E_NS1_11comp_targetILNS1_3genE9ELNS1_11target_archE1100ELNS1_3gpuE3ELNS1_3repE0EEENS1_30default_config_static_selectorELNS0_4arch9wavefront6targetE1EEEvT1_,"axG",@progbits,_ZN7rocprim17ROCPRIM_400000_NS6detail17trampoline_kernelINS0_14default_configENS1_25partition_config_selectorILNS1_17partition_subalgoE8ElNS0_10empty_typeEbEEZZNS1_14partition_implILS5_8ELb0ES3_jPKlPS6_PKS6_NS0_5tupleIJPlS6_EEENSE_IJSB_SB_EEENS0_18inequality_wrapperIN6hipcub16HIPCUB_304000_NS8EqualityEEESF_JS6_EEE10hipError_tPvRmT3_T4_T5_T6_T7_T9_mT8_P12ihipStream_tbDpT10_ENKUlT_T0_E_clISt17integral_constantIbLb1EES16_EEDaS11_S12_EUlS11_E_NS1_11comp_targetILNS1_3genE9ELNS1_11target_archE1100ELNS1_3gpuE3ELNS1_3repE0EEENS1_30default_config_static_selectorELNS0_4arch9wavefront6targetE1EEEvT1_,comdat
	.protected	_ZN7rocprim17ROCPRIM_400000_NS6detail17trampoline_kernelINS0_14default_configENS1_25partition_config_selectorILNS1_17partition_subalgoE8ElNS0_10empty_typeEbEEZZNS1_14partition_implILS5_8ELb0ES3_jPKlPS6_PKS6_NS0_5tupleIJPlS6_EEENSE_IJSB_SB_EEENS0_18inequality_wrapperIN6hipcub16HIPCUB_304000_NS8EqualityEEESF_JS6_EEE10hipError_tPvRmT3_T4_T5_T6_T7_T9_mT8_P12ihipStream_tbDpT10_ENKUlT_T0_E_clISt17integral_constantIbLb1EES16_EEDaS11_S12_EUlS11_E_NS1_11comp_targetILNS1_3genE9ELNS1_11target_archE1100ELNS1_3gpuE3ELNS1_3repE0EEENS1_30default_config_static_selectorELNS0_4arch9wavefront6targetE1EEEvT1_ ; -- Begin function _ZN7rocprim17ROCPRIM_400000_NS6detail17trampoline_kernelINS0_14default_configENS1_25partition_config_selectorILNS1_17partition_subalgoE8ElNS0_10empty_typeEbEEZZNS1_14partition_implILS5_8ELb0ES3_jPKlPS6_PKS6_NS0_5tupleIJPlS6_EEENSE_IJSB_SB_EEENS0_18inequality_wrapperIN6hipcub16HIPCUB_304000_NS8EqualityEEESF_JS6_EEE10hipError_tPvRmT3_T4_T5_T6_T7_T9_mT8_P12ihipStream_tbDpT10_ENKUlT_T0_E_clISt17integral_constantIbLb1EES16_EEDaS11_S12_EUlS11_E_NS1_11comp_targetILNS1_3genE9ELNS1_11target_archE1100ELNS1_3gpuE3ELNS1_3repE0EEENS1_30default_config_static_selectorELNS0_4arch9wavefront6targetE1EEEvT1_
	.globl	_ZN7rocprim17ROCPRIM_400000_NS6detail17trampoline_kernelINS0_14default_configENS1_25partition_config_selectorILNS1_17partition_subalgoE8ElNS0_10empty_typeEbEEZZNS1_14partition_implILS5_8ELb0ES3_jPKlPS6_PKS6_NS0_5tupleIJPlS6_EEENSE_IJSB_SB_EEENS0_18inequality_wrapperIN6hipcub16HIPCUB_304000_NS8EqualityEEESF_JS6_EEE10hipError_tPvRmT3_T4_T5_T6_T7_T9_mT8_P12ihipStream_tbDpT10_ENKUlT_T0_E_clISt17integral_constantIbLb1EES16_EEDaS11_S12_EUlS11_E_NS1_11comp_targetILNS1_3genE9ELNS1_11target_archE1100ELNS1_3gpuE3ELNS1_3repE0EEENS1_30default_config_static_selectorELNS0_4arch9wavefront6targetE1EEEvT1_
	.p2align	8
	.type	_ZN7rocprim17ROCPRIM_400000_NS6detail17trampoline_kernelINS0_14default_configENS1_25partition_config_selectorILNS1_17partition_subalgoE8ElNS0_10empty_typeEbEEZZNS1_14partition_implILS5_8ELb0ES3_jPKlPS6_PKS6_NS0_5tupleIJPlS6_EEENSE_IJSB_SB_EEENS0_18inequality_wrapperIN6hipcub16HIPCUB_304000_NS8EqualityEEESF_JS6_EEE10hipError_tPvRmT3_T4_T5_T6_T7_T9_mT8_P12ihipStream_tbDpT10_ENKUlT_T0_E_clISt17integral_constantIbLb1EES16_EEDaS11_S12_EUlS11_E_NS1_11comp_targetILNS1_3genE9ELNS1_11target_archE1100ELNS1_3gpuE3ELNS1_3repE0EEENS1_30default_config_static_selectorELNS0_4arch9wavefront6targetE1EEEvT1_,@function
_ZN7rocprim17ROCPRIM_400000_NS6detail17trampoline_kernelINS0_14default_configENS1_25partition_config_selectorILNS1_17partition_subalgoE8ElNS0_10empty_typeEbEEZZNS1_14partition_implILS5_8ELb0ES3_jPKlPS6_PKS6_NS0_5tupleIJPlS6_EEENSE_IJSB_SB_EEENS0_18inequality_wrapperIN6hipcub16HIPCUB_304000_NS8EqualityEEESF_JS6_EEE10hipError_tPvRmT3_T4_T5_T6_T7_T9_mT8_P12ihipStream_tbDpT10_ENKUlT_T0_E_clISt17integral_constantIbLb1EES16_EEDaS11_S12_EUlS11_E_NS1_11comp_targetILNS1_3genE9ELNS1_11target_archE1100ELNS1_3gpuE3ELNS1_3repE0EEENS1_30default_config_static_selectorELNS0_4arch9wavefront6targetE1EEEvT1_: ; @_ZN7rocprim17ROCPRIM_400000_NS6detail17trampoline_kernelINS0_14default_configENS1_25partition_config_selectorILNS1_17partition_subalgoE8ElNS0_10empty_typeEbEEZZNS1_14partition_implILS5_8ELb0ES3_jPKlPS6_PKS6_NS0_5tupleIJPlS6_EEENSE_IJSB_SB_EEENS0_18inequality_wrapperIN6hipcub16HIPCUB_304000_NS8EqualityEEESF_JS6_EEE10hipError_tPvRmT3_T4_T5_T6_T7_T9_mT8_P12ihipStream_tbDpT10_ENKUlT_T0_E_clISt17integral_constantIbLb1EES16_EEDaS11_S12_EUlS11_E_NS1_11comp_targetILNS1_3genE9ELNS1_11target_archE1100ELNS1_3gpuE3ELNS1_3repE0EEENS1_30default_config_static_selectorELNS0_4arch9wavefront6targetE1EEEvT1_
; %bb.0:
	.section	.rodata,"a",@progbits
	.p2align	6, 0x0
	.amdhsa_kernel _ZN7rocprim17ROCPRIM_400000_NS6detail17trampoline_kernelINS0_14default_configENS1_25partition_config_selectorILNS1_17partition_subalgoE8ElNS0_10empty_typeEbEEZZNS1_14partition_implILS5_8ELb0ES3_jPKlPS6_PKS6_NS0_5tupleIJPlS6_EEENSE_IJSB_SB_EEENS0_18inequality_wrapperIN6hipcub16HIPCUB_304000_NS8EqualityEEESF_JS6_EEE10hipError_tPvRmT3_T4_T5_T6_T7_T9_mT8_P12ihipStream_tbDpT10_ENKUlT_T0_E_clISt17integral_constantIbLb1EES16_EEDaS11_S12_EUlS11_E_NS1_11comp_targetILNS1_3genE9ELNS1_11target_archE1100ELNS1_3gpuE3ELNS1_3repE0EEENS1_30default_config_static_selectorELNS0_4arch9wavefront6targetE1EEEvT1_
		.amdhsa_group_segment_fixed_size 0
		.amdhsa_private_segment_fixed_size 0
		.amdhsa_kernarg_size 128
		.amdhsa_user_sgpr_count 6
		.amdhsa_user_sgpr_private_segment_buffer 1
		.amdhsa_user_sgpr_dispatch_ptr 0
		.amdhsa_user_sgpr_queue_ptr 0
		.amdhsa_user_sgpr_kernarg_segment_ptr 1
		.amdhsa_user_sgpr_dispatch_id 0
		.amdhsa_user_sgpr_flat_scratch_init 0
		.amdhsa_user_sgpr_kernarg_preload_length 0
		.amdhsa_user_sgpr_kernarg_preload_offset 0
		.amdhsa_user_sgpr_private_segment_size 0
		.amdhsa_uses_dynamic_stack 0
		.amdhsa_system_sgpr_private_segment_wavefront_offset 0
		.amdhsa_system_sgpr_workgroup_id_x 1
		.amdhsa_system_sgpr_workgroup_id_y 0
		.amdhsa_system_sgpr_workgroup_id_z 0
		.amdhsa_system_sgpr_workgroup_info 0
		.amdhsa_system_vgpr_workitem_id 0
		.amdhsa_next_free_vgpr 1
		.amdhsa_next_free_sgpr 0
		.amdhsa_accum_offset 4
		.amdhsa_reserve_vcc 0
		.amdhsa_reserve_flat_scratch 0
		.amdhsa_float_round_mode_32 0
		.amdhsa_float_round_mode_16_64 0
		.amdhsa_float_denorm_mode_32 3
		.amdhsa_float_denorm_mode_16_64 3
		.amdhsa_dx10_clamp 1
		.amdhsa_ieee_mode 1
		.amdhsa_fp16_overflow 0
		.amdhsa_tg_split 0
		.amdhsa_exception_fp_ieee_invalid_op 0
		.amdhsa_exception_fp_denorm_src 0
		.amdhsa_exception_fp_ieee_div_zero 0
		.amdhsa_exception_fp_ieee_overflow 0
		.amdhsa_exception_fp_ieee_underflow 0
		.amdhsa_exception_fp_ieee_inexact 0
		.amdhsa_exception_int_div_zero 0
	.end_amdhsa_kernel
	.section	.text._ZN7rocprim17ROCPRIM_400000_NS6detail17trampoline_kernelINS0_14default_configENS1_25partition_config_selectorILNS1_17partition_subalgoE8ElNS0_10empty_typeEbEEZZNS1_14partition_implILS5_8ELb0ES3_jPKlPS6_PKS6_NS0_5tupleIJPlS6_EEENSE_IJSB_SB_EEENS0_18inequality_wrapperIN6hipcub16HIPCUB_304000_NS8EqualityEEESF_JS6_EEE10hipError_tPvRmT3_T4_T5_T6_T7_T9_mT8_P12ihipStream_tbDpT10_ENKUlT_T0_E_clISt17integral_constantIbLb1EES16_EEDaS11_S12_EUlS11_E_NS1_11comp_targetILNS1_3genE9ELNS1_11target_archE1100ELNS1_3gpuE3ELNS1_3repE0EEENS1_30default_config_static_selectorELNS0_4arch9wavefront6targetE1EEEvT1_,"axG",@progbits,_ZN7rocprim17ROCPRIM_400000_NS6detail17trampoline_kernelINS0_14default_configENS1_25partition_config_selectorILNS1_17partition_subalgoE8ElNS0_10empty_typeEbEEZZNS1_14partition_implILS5_8ELb0ES3_jPKlPS6_PKS6_NS0_5tupleIJPlS6_EEENSE_IJSB_SB_EEENS0_18inequality_wrapperIN6hipcub16HIPCUB_304000_NS8EqualityEEESF_JS6_EEE10hipError_tPvRmT3_T4_T5_T6_T7_T9_mT8_P12ihipStream_tbDpT10_ENKUlT_T0_E_clISt17integral_constantIbLb1EES16_EEDaS11_S12_EUlS11_E_NS1_11comp_targetILNS1_3genE9ELNS1_11target_archE1100ELNS1_3gpuE3ELNS1_3repE0EEENS1_30default_config_static_selectorELNS0_4arch9wavefront6targetE1EEEvT1_,comdat
.Lfunc_end493:
	.size	_ZN7rocprim17ROCPRIM_400000_NS6detail17trampoline_kernelINS0_14default_configENS1_25partition_config_selectorILNS1_17partition_subalgoE8ElNS0_10empty_typeEbEEZZNS1_14partition_implILS5_8ELb0ES3_jPKlPS6_PKS6_NS0_5tupleIJPlS6_EEENSE_IJSB_SB_EEENS0_18inequality_wrapperIN6hipcub16HIPCUB_304000_NS8EqualityEEESF_JS6_EEE10hipError_tPvRmT3_T4_T5_T6_T7_T9_mT8_P12ihipStream_tbDpT10_ENKUlT_T0_E_clISt17integral_constantIbLb1EES16_EEDaS11_S12_EUlS11_E_NS1_11comp_targetILNS1_3genE9ELNS1_11target_archE1100ELNS1_3gpuE3ELNS1_3repE0EEENS1_30default_config_static_selectorELNS0_4arch9wavefront6targetE1EEEvT1_, .Lfunc_end493-_ZN7rocprim17ROCPRIM_400000_NS6detail17trampoline_kernelINS0_14default_configENS1_25partition_config_selectorILNS1_17partition_subalgoE8ElNS0_10empty_typeEbEEZZNS1_14partition_implILS5_8ELb0ES3_jPKlPS6_PKS6_NS0_5tupleIJPlS6_EEENSE_IJSB_SB_EEENS0_18inequality_wrapperIN6hipcub16HIPCUB_304000_NS8EqualityEEESF_JS6_EEE10hipError_tPvRmT3_T4_T5_T6_T7_T9_mT8_P12ihipStream_tbDpT10_ENKUlT_T0_E_clISt17integral_constantIbLb1EES16_EEDaS11_S12_EUlS11_E_NS1_11comp_targetILNS1_3genE9ELNS1_11target_archE1100ELNS1_3gpuE3ELNS1_3repE0EEENS1_30default_config_static_selectorELNS0_4arch9wavefront6targetE1EEEvT1_
                                        ; -- End function
	.section	.AMDGPU.csdata,"",@progbits
; Kernel info:
; codeLenInByte = 0
; NumSgprs: 4
; NumVgprs: 0
; NumAgprs: 0
; TotalNumVgprs: 0
; ScratchSize: 0
; MemoryBound: 0
; FloatMode: 240
; IeeeMode: 1
; LDSByteSize: 0 bytes/workgroup (compile time only)
; SGPRBlocks: 0
; VGPRBlocks: 0
; NumSGPRsForWavesPerEU: 4
; NumVGPRsForWavesPerEU: 1
; AccumOffset: 4
; Occupancy: 8
; WaveLimiterHint : 0
; COMPUTE_PGM_RSRC2:SCRATCH_EN: 0
; COMPUTE_PGM_RSRC2:USER_SGPR: 6
; COMPUTE_PGM_RSRC2:TRAP_HANDLER: 0
; COMPUTE_PGM_RSRC2:TGID_X_EN: 1
; COMPUTE_PGM_RSRC2:TGID_Y_EN: 0
; COMPUTE_PGM_RSRC2:TGID_Z_EN: 0
; COMPUTE_PGM_RSRC2:TIDIG_COMP_CNT: 0
; COMPUTE_PGM_RSRC3_GFX90A:ACCUM_OFFSET: 0
; COMPUTE_PGM_RSRC3_GFX90A:TG_SPLIT: 0
	.section	.text._ZN7rocprim17ROCPRIM_400000_NS6detail17trampoline_kernelINS0_14default_configENS1_25partition_config_selectorILNS1_17partition_subalgoE8ElNS0_10empty_typeEbEEZZNS1_14partition_implILS5_8ELb0ES3_jPKlPS6_PKS6_NS0_5tupleIJPlS6_EEENSE_IJSB_SB_EEENS0_18inequality_wrapperIN6hipcub16HIPCUB_304000_NS8EqualityEEESF_JS6_EEE10hipError_tPvRmT3_T4_T5_T6_T7_T9_mT8_P12ihipStream_tbDpT10_ENKUlT_T0_E_clISt17integral_constantIbLb1EES16_EEDaS11_S12_EUlS11_E_NS1_11comp_targetILNS1_3genE8ELNS1_11target_archE1030ELNS1_3gpuE2ELNS1_3repE0EEENS1_30default_config_static_selectorELNS0_4arch9wavefront6targetE1EEEvT1_,"axG",@progbits,_ZN7rocprim17ROCPRIM_400000_NS6detail17trampoline_kernelINS0_14default_configENS1_25partition_config_selectorILNS1_17partition_subalgoE8ElNS0_10empty_typeEbEEZZNS1_14partition_implILS5_8ELb0ES3_jPKlPS6_PKS6_NS0_5tupleIJPlS6_EEENSE_IJSB_SB_EEENS0_18inequality_wrapperIN6hipcub16HIPCUB_304000_NS8EqualityEEESF_JS6_EEE10hipError_tPvRmT3_T4_T5_T6_T7_T9_mT8_P12ihipStream_tbDpT10_ENKUlT_T0_E_clISt17integral_constantIbLb1EES16_EEDaS11_S12_EUlS11_E_NS1_11comp_targetILNS1_3genE8ELNS1_11target_archE1030ELNS1_3gpuE2ELNS1_3repE0EEENS1_30default_config_static_selectorELNS0_4arch9wavefront6targetE1EEEvT1_,comdat
	.protected	_ZN7rocprim17ROCPRIM_400000_NS6detail17trampoline_kernelINS0_14default_configENS1_25partition_config_selectorILNS1_17partition_subalgoE8ElNS0_10empty_typeEbEEZZNS1_14partition_implILS5_8ELb0ES3_jPKlPS6_PKS6_NS0_5tupleIJPlS6_EEENSE_IJSB_SB_EEENS0_18inequality_wrapperIN6hipcub16HIPCUB_304000_NS8EqualityEEESF_JS6_EEE10hipError_tPvRmT3_T4_T5_T6_T7_T9_mT8_P12ihipStream_tbDpT10_ENKUlT_T0_E_clISt17integral_constantIbLb1EES16_EEDaS11_S12_EUlS11_E_NS1_11comp_targetILNS1_3genE8ELNS1_11target_archE1030ELNS1_3gpuE2ELNS1_3repE0EEENS1_30default_config_static_selectorELNS0_4arch9wavefront6targetE1EEEvT1_ ; -- Begin function _ZN7rocprim17ROCPRIM_400000_NS6detail17trampoline_kernelINS0_14default_configENS1_25partition_config_selectorILNS1_17partition_subalgoE8ElNS0_10empty_typeEbEEZZNS1_14partition_implILS5_8ELb0ES3_jPKlPS6_PKS6_NS0_5tupleIJPlS6_EEENSE_IJSB_SB_EEENS0_18inequality_wrapperIN6hipcub16HIPCUB_304000_NS8EqualityEEESF_JS6_EEE10hipError_tPvRmT3_T4_T5_T6_T7_T9_mT8_P12ihipStream_tbDpT10_ENKUlT_T0_E_clISt17integral_constantIbLb1EES16_EEDaS11_S12_EUlS11_E_NS1_11comp_targetILNS1_3genE8ELNS1_11target_archE1030ELNS1_3gpuE2ELNS1_3repE0EEENS1_30default_config_static_selectorELNS0_4arch9wavefront6targetE1EEEvT1_
	.globl	_ZN7rocprim17ROCPRIM_400000_NS6detail17trampoline_kernelINS0_14default_configENS1_25partition_config_selectorILNS1_17partition_subalgoE8ElNS0_10empty_typeEbEEZZNS1_14partition_implILS5_8ELb0ES3_jPKlPS6_PKS6_NS0_5tupleIJPlS6_EEENSE_IJSB_SB_EEENS0_18inequality_wrapperIN6hipcub16HIPCUB_304000_NS8EqualityEEESF_JS6_EEE10hipError_tPvRmT3_T4_T5_T6_T7_T9_mT8_P12ihipStream_tbDpT10_ENKUlT_T0_E_clISt17integral_constantIbLb1EES16_EEDaS11_S12_EUlS11_E_NS1_11comp_targetILNS1_3genE8ELNS1_11target_archE1030ELNS1_3gpuE2ELNS1_3repE0EEENS1_30default_config_static_selectorELNS0_4arch9wavefront6targetE1EEEvT1_
	.p2align	8
	.type	_ZN7rocprim17ROCPRIM_400000_NS6detail17trampoline_kernelINS0_14default_configENS1_25partition_config_selectorILNS1_17partition_subalgoE8ElNS0_10empty_typeEbEEZZNS1_14partition_implILS5_8ELb0ES3_jPKlPS6_PKS6_NS0_5tupleIJPlS6_EEENSE_IJSB_SB_EEENS0_18inequality_wrapperIN6hipcub16HIPCUB_304000_NS8EqualityEEESF_JS6_EEE10hipError_tPvRmT3_T4_T5_T6_T7_T9_mT8_P12ihipStream_tbDpT10_ENKUlT_T0_E_clISt17integral_constantIbLb1EES16_EEDaS11_S12_EUlS11_E_NS1_11comp_targetILNS1_3genE8ELNS1_11target_archE1030ELNS1_3gpuE2ELNS1_3repE0EEENS1_30default_config_static_selectorELNS0_4arch9wavefront6targetE1EEEvT1_,@function
_ZN7rocprim17ROCPRIM_400000_NS6detail17trampoline_kernelINS0_14default_configENS1_25partition_config_selectorILNS1_17partition_subalgoE8ElNS0_10empty_typeEbEEZZNS1_14partition_implILS5_8ELb0ES3_jPKlPS6_PKS6_NS0_5tupleIJPlS6_EEENSE_IJSB_SB_EEENS0_18inequality_wrapperIN6hipcub16HIPCUB_304000_NS8EqualityEEESF_JS6_EEE10hipError_tPvRmT3_T4_T5_T6_T7_T9_mT8_P12ihipStream_tbDpT10_ENKUlT_T0_E_clISt17integral_constantIbLb1EES16_EEDaS11_S12_EUlS11_E_NS1_11comp_targetILNS1_3genE8ELNS1_11target_archE1030ELNS1_3gpuE2ELNS1_3repE0EEENS1_30default_config_static_selectorELNS0_4arch9wavefront6targetE1EEEvT1_: ; @_ZN7rocprim17ROCPRIM_400000_NS6detail17trampoline_kernelINS0_14default_configENS1_25partition_config_selectorILNS1_17partition_subalgoE8ElNS0_10empty_typeEbEEZZNS1_14partition_implILS5_8ELb0ES3_jPKlPS6_PKS6_NS0_5tupleIJPlS6_EEENSE_IJSB_SB_EEENS0_18inequality_wrapperIN6hipcub16HIPCUB_304000_NS8EqualityEEESF_JS6_EEE10hipError_tPvRmT3_T4_T5_T6_T7_T9_mT8_P12ihipStream_tbDpT10_ENKUlT_T0_E_clISt17integral_constantIbLb1EES16_EEDaS11_S12_EUlS11_E_NS1_11comp_targetILNS1_3genE8ELNS1_11target_archE1030ELNS1_3gpuE2ELNS1_3repE0EEENS1_30default_config_static_selectorELNS0_4arch9wavefront6targetE1EEEvT1_
; %bb.0:
	.section	.rodata,"a",@progbits
	.p2align	6, 0x0
	.amdhsa_kernel _ZN7rocprim17ROCPRIM_400000_NS6detail17trampoline_kernelINS0_14default_configENS1_25partition_config_selectorILNS1_17partition_subalgoE8ElNS0_10empty_typeEbEEZZNS1_14partition_implILS5_8ELb0ES3_jPKlPS6_PKS6_NS0_5tupleIJPlS6_EEENSE_IJSB_SB_EEENS0_18inequality_wrapperIN6hipcub16HIPCUB_304000_NS8EqualityEEESF_JS6_EEE10hipError_tPvRmT3_T4_T5_T6_T7_T9_mT8_P12ihipStream_tbDpT10_ENKUlT_T0_E_clISt17integral_constantIbLb1EES16_EEDaS11_S12_EUlS11_E_NS1_11comp_targetILNS1_3genE8ELNS1_11target_archE1030ELNS1_3gpuE2ELNS1_3repE0EEENS1_30default_config_static_selectorELNS0_4arch9wavefront6targetE1EEEvT1_
		.amdhsa_group_segment_fixed_size 0
		.amdhsa_private_segment_fixed_size 0
		.amdhsa_kernarg_size 128
		.amdhsa_user_sgpr_count 6
		.amdhsa_user_sgpr_private_segment_buffer 1
		.amdhsa_user_sgpr_dispatch_ptr 0
		.amdhsa_user_sgpr_queue_ptr 0
		.amdhsa_user_sgpr_kernarg_segment_ptr 1
		.amdhsa_user_sgpr_dispatch_id 0
		.amdhsa_user_sgpr_flat_scratch_init 0
		.amdhsa_user_sgpr_kernarg_preload_length 0
		.amdhsa_user_sgpr_kernarg_preload_offset 0
		.amdhsa_user_sgpr_private_segment_size 0
		.amdhsa_uses_dynamic_stack 0
		.amdhsa_system_sgpr_private_segment_wavefront_offset 0
		.amdhsa_system_sgpr_workgroup_id_x 1
		.amdhsa_system_sgpr_workgroup_id_y 0
		.amdhsa_system_sgpr_workgroup_id_z 0
		.amdhsa_system_sgpr_workgroup_info 0
		.amdhsa_system_vgpr_workitem_id 0
		.amdhsa_next_free_vgpr 1
		.amdhsa_next_free_sgpr 0
		.amdhsa_accum_offset 4
		.amdhsa_reserve_vcc 0
		.amdhsa_reserve_flat_scratch 0
		.amdhsa_float_round_mode_32 0
		.amdhsa_float_round_mode_16_64 0
		.amdhsa_float_denorm_mode_32 3
		.amdhsa_float_denorm_mode_16_64 3
		.amdhsa_dx10_clamp 1
		.amdhsa_ieee_mode 1
		.amdhsa_fp16_overflow 0
		.amdhsa_tg_split 0
		.amdhsa_exception_fp_ieee_invalid_op 0
		.amdhsa_exception_fp_denorm_src 0
		.amdhsa_exception_fp_ieee_div_zero 0
		.amdhsa_exception_fp_ieee_overflow 0
		.amdhsa_exception_fp_ieee_underflow 0
		.amdhsa_exception_fp_ieee_inexact 0
		.amdhsa_exception_int_div_zero 0
	.end_amdhsa_kernel
	.section	.text._ZN7rocprim17ROCPRIM_400000_NS6detail17trampoline_kernelINS0_14default_configENS1_25partition_config_selectorILNS1_17partition_subalgoE8ElNS0_10empty_typeEbEEZZNS1_14partition_implILS5_8ELb0ES3_jPKlPS6_PKS6_NS0_5tupleIJPlS6_EEENSE_IJSB_SB_EEENS0_18inequality_wrapperIN6hipcub16HIPCUB_304000_NS8EqualityEEESF_JS6_EEE10hipError_tPvRmT3_T4_T5_T6_T7_T9_mT8_P12ihipStream_tbDpT10_ENKUlT_T0_E_clISt17integral_constantIbLb1EES16_EEDaS11_S12_EUlS11_E_NS1_11comp_targetILNS1_3genE8ELNS1_11target_archE1030ELNS1_3gpuE2ELNS1_3repE0EEENS1_30default_config_static_selectorELNS0_4arch9wavefront6targetE1EEEvT1_,"axG",@progbits,_ZN7rocprim17ROCPRIM_400000_NS6detail17trampoline_kernelINS0_14default_configENS1_25partition_config_selectorILNS1_17partition_subalgoE8ElNS0_10empty_typeEbEEZZNS1_14partition_implILS5_8ELb0ES3_jPKlPS6_PKS6_NS0_5tupleIJPlS6_EEENSE_IJSB_SB_EEENS0_18inequality_wrapperIN6hipcub16HIPCUB_304000_NS8EqualityEEESF_JS6_EEE10hipError_tPvRmT3_T4_T5_T6_T7_T9_mT8_P12ihipStream_tbDpT10_ENKUlT_T0_E_clISt17integral_constantIbLb1EES16_EEDaS11_S12_EUlS11_E_NS1_11comp_targetILNS1_3genE8ELNS1_11target_archE1030ELNS1_3gpuE2ELNS1_3repE0EEENS1_30default_config_static_selectorELNS0_4arch9wavefront6targetE1EEEvT1_,comdat
.Lfunc_end494:
	.size	_ZN7rocprim17ROCPRIM_400000_NS6detail17trampoline_kernelINS0_14default_configENS1_25partition_config_selectorILNS1_17partition_subalgoE8ElNS0_10empty_typeEbEEZZNS1_14partition_implILS5_8ELb0ES3_jPKlPS6_PKS6_NS0_5tupleIJPlS6_EEENSE_IJSB_SB_EEENS0_18inequality_wrapperIN6hipcub16HIPCUB_304000_NS8EqualityEEESF_JS6_EEE10hipError_tPvRmT3_T4_T5_T6_T7_T9_mT8_P12ihipStream_tbDpT10_ENKUlT_T0_E_clISt17integral_constantIbLb1EES16_EEDaS11_S12_EUlS11_E_NS1_11comp_targetILNS1_3genE8ELNS1_11target_archE1030ELNS1_3gpuE2ELNS1_3repE0EEENS1_30default_config_static_selectorELNS0_4arch9wavefront6targetE1EEEvT1_, .Lfunc_end494-_ZN7rocprim17ROCPRIM_400000_NS6detail17trampoline_kernelINS0_14default_configENS1_25partition_config_selectorILNS1_17partition_subalgoE8ElNS0_10empty_typeEbEEZZNS1_14partition_implILS5_8ELb0ES3_jPKlPS6_PKS6_NS0_5tupleIJPlS6_EEENSE_IJSB_SB_EEENS0_18inequality_wrapperIN6hipcub16HIPCUB_304000_NS8EqualityEEESF_JS6_EEE10hipError_tPvRmT3_T4_T5_T6_T7_T9_mT8_P12ihipStream_tbDpT10_ENKUlT_T0_E_clISt17integral_constantIbLb1EES16_EEDaS11_S12_EUlS11_E_NS1_11comp_targetILNS1_3genE8ELNS1_11target_archE1030ELNS1_3gpuE2ELNS1_3repE0EEENS1_30default_config_static_selectorELNS0_4arch9wavefront6targetE1EEEvT1_
                                        ; -- End function
	.section	.AMDGPU.csdata,"",@progbits
; Kernel info:
; codeLenInByte = 0
; NumSgprs: 4
; NumVgprs: 0
; NumAgprs: 0
; TotalNumVgprs: 0
; ScratchSize: 0
; MemoryBound: 0
; FloatMode: 240
; IeeeMode: 1
; LDSByteSize: 0 bytes/workgroup (compile time only)
; SGPRBlocks: 0
; VGPRBlocks: 0
; NumSGPRsForWavesPerEU: 4
; NumVGPRsForWavesPerEU: 1
; AccumOffset: 4
; Occupancy: 8
; WaveLimiterHint : 0
; COMPUTE_PGM_RSRC2:SCRATCH_EN: 0
; COMPUTE_PGM_RSRC2:USER_SGPR: 6
; COMPUTE_PGM_RSRC2:TRAP_HANDLER: 0
; COMPUTE_PGM_RSRC2:TGID_X_EN: 1
; COMPUTE_PGM_RSRC2:TGID_Y_EN: 0
; COMPUTE_PGM_RSRC2:TGID_Z_EN: 0
; COMPUTE_PGM_RSRC2:TIDIG_COMP_CNT: 0
; COMPUTE_PGM_RSRC3_GFX90A:ACCUM_OFFSET: 0
; COMPUTE_PGM_RSRC3_GFX90A:TG_SPLIT: 0
	.section	.text._ZN7rocprim17ROCPRIM_400000_NS6detail17trampoline_kernelINS0_14default_configENS1_25partition_config_selectorILNS1_17partition_subalgoE8ElNS0_10empty_typeEbEEZZNS1_14partition_implILS5_8ELb0ES3_jPKlPS6_PKS6_NS0_5tupleIJPlS6_EEENSE_IJSB_SB_EEENS0_18inequality_wrapperIN6hipcub16HIPCUB_304000_NS8EqualityEEESF_JS6_EEE10hipError_tPvRmT3_T4_T5_T6_T7_T9_mT8_P12ihipStream_tbDpT10_ENKUlT_T0_E_clISt17integral_constantIbLb1EES15_IbLb0EEEEDaS11_S12_EUlS11_E_NS1_11comp_targetILNS1_3genE0ELNS1_11target_archE4294967295ELNS1_3gpuE0ELNS1_3repE0EEENS1_30default_config_static_selectorELNS0_4arch9wavefront6targetE1EEEvT1_,"axG",@progbits,_ZN7rocprim17ROCPRIM_400000_NS6detail17trampoline_kernelINS0_14default_configENS1_25partition_config_selectorILNS1_17partition_subalgoE8ElNS0_10empty_typeEbEEZZNS1_14partition_implILS5_8ELb0ES3_jPKlPS6_PKS6_NS0_5tupleIJPlS6_EEENSE_IJSB_SB_EEENS0_18inequality_wrapperIN6hipcub16HIPCUB_304000_NS8EqualityEEESF_JS6_EEE10hipError_tPvRmT3_T4_T5_T6_T7_T9_mT8_P12ihipStream_tbDpT10_ENKUlT_T0_E_clISt17integral_constantIbLb1EES15_IbLb0EEEEDaS11_S12_EUlS11_E_NS1_11comp_targetILNS1_3genE0ELNS1_11target_archE4294967295ELNS1_3gpuE0ELNS1_3repE0EEENS1_30default_config_static_selectorELNS0_4arch9wavefront6targetE1EEEvT1_,comdat
	.protected	_ZN7rocprim17ROCPRIM_400000_NS6detail17trampoline_kernelINS0_14default_configENS1_25partition_config_selectorILNS1_17partition_subalgoE8ElNS0_10empty_typeEbEEZZNS1_14partition_implILS5_8ELb0ES3_jPKlPS6_PKS6_NS0_5tupleIJPlS6_EEENSE_IJSB_SB_EEENS0_18inequality_wrapperIN6hipcub16HIPCUB_304000_NS8EqualityEEESF_JS6_EEE10hipError_tPvRmT3_T4_T5_T6_T7_T9_mT8_P12ihipStream_tbDpT10_ENKUlT_T0_E_clISt17integral_constantIbLb1EES15_IbLb0EEEEDaS11_S12_EUlS11_E_NS1_11comp_targetILNS1_3genE0ELNS1_11target_archE4294967295ELNS1_3gpuE0ELNS1_3repE0EEENS1_30default_config_static_selectorELNS0_4arch9wavefront6targetE1EEEvT1_ ; -- Begin function _ZN7rocprim17ROCPRIM_400000_NS6detail17trampoline_kernelINS0_14default_configENS1_25partition_config_selectorILNS1_17partition_subalgoE8ElNS0_10empty_typeEbEEZZNS1_14partition_implILS5_8ELb0ES3_jPKlPS6_PKS6_NS0_5tupleIJPlS6_EEENSE_IJSB_SB_EEENS0_18inequality_wrapperIN6hipcub16HIPCUB_304000_NS8EqualityEEESF_JS6_EEE10hipError_tPvRmT3_T4_T5_T6_T7_T9_mT8_P12ihipStream_tbDpT10_ENKUlT_T0_E_clISt17integral_constantIbLb1EES15_IbLb0EEEEDaS11_S12_EUlS11_E_NS1_11comp_targetILNS1_3genE0ELNS1_11target_archE4294967295ELNS1_3gpuE0ELNS1_3repE0EEENS1_30default_config_static_selectorELNS0_4arch9wavefront6targetE1EEEvT1_
	.globl	_ZN7rocprim17ROCPRIM_400000_NS6detail17trampoline_kernelINS0_14default_configENS1_25partition_config_selectorILNS1_17partition_subalgoE8ElNS0_10empty_typeEbEEZZNS1_14partition_implILS5_8ELb0ES3_jPKlPS6_PKS6_NS0_5tupleIJPlS6_EEENSE_IJSB_SB_EEENS0_18inequality_wrapperIN6hipcub16HIPCUB_304000_NS8EqualityEEESF_JS6_EEE10hipError_tPvRmT3_T4_T5_T6_T7_T9_mT8_P12ihipStream_tbDpT10_ENKUlT_T0_E_clISt17integral_constantIbLb1EES15_IbLb0EEEEDaS11_S12_EUlS11_E_NS1_11comp_targetILNS1_3genE0ELNS1_11target_archE4294967295ELNS1_3gpuE0ELNS1_3repE0EEENS1_30default_config_static_selectorELNS0_4arch9wavefront6targetE1EEEvT1_
	.p2align	8
	.type	_ZN7rocprim17ROCPRIM_400000_NS6detail17trampoline_kernelINS0_14default_configENS1_25partition_config_selectorILNS1_17partition_subalgoE8ElNS0_10empty_typeEbEEZZNS1_14partition_implILS5_8ELb0ES3_jPKlPS6_PKS6_NS0_5tupleIJPlS6_EEENSE_IJSB_SB_EEENS0_18inequality_wrapperIN6hipcub16HIPCUB_304000_NS8EqualityEEESF_JS6_EEE10hipError_tPvRmT3_T4_T5_T6_T7_T9_mT8_P12ihipStream_tbDpT10_ENKUlT_T0_E_clISt17integral_constantIbLb1EES15_IbLb0EEEEDaS11_S12_EUlS11_E_NS1_11comp_targetILNS1_3genE0ELNS1_11target_archE4294967295ELNS1_3gpuE0ELNS1_3repE0EEENS1_30default_config_static_selectorELNS0_4arch9wavefront6targetE1EEEvT1_,@function
_ZN7rocprim17ROCPRIM_400000_NS6detail17trampoline_kernelINS0_14default_configENS1_25partition_config_selectorILNS1_17partition_subalgoE8ElNS0_10empty_typeEbEEZZNS1_14partition_implILS5_8ELb0ES3_jPKlPS6_PKS6_NS0_5tupleIJPlS6_EEENSE_IJSB_SB_EEENS0_18inequality_wrapperIN6hipcub16HIPCUB_304000_NS8EqualityEEESF_JS6_EEE10hipError_tPvRmT3_T4_T5_T6_T7_T9_mT8_P12ihipStream_tbDpT10_ENKUlT_T0_E_clISt17integral_constantIbLb1EES15_IbLb0EEEEDaS11_S12_EUlS11_E_NS1_11comp_targetILNS1_3genE0ELNS1_11target_archE4294967295ELNS1_3gpuE0ELNS1_3repE0EEENS1_30default_config_static_selectorELNS0_4arch9wavefront6targetE1EEEvT1_: ; @_ZN7rocprim17ROCPRIM_400000_NS6detail17trampoline_kernelINS0_14default_configENS1_25partition_config_selectorILNS1_17partition_subalgoE8ElNS0_10empty_typeEbEEZZNS1_14partition_implILS5_8ELb0ES3_jPKlPS6_PKS6_NS0_5tupleIJPlS6_EEENSE_IJSB_SB_EEENS0_18inequality_wrapperIN6hipcub16HIPCUB_304000_NS8EqualityEEESF_JS6_EEE10hipError_tPvRmT3_T4_T5_T6_T7_T9_mT8_P12ihipStream_tbDpT10_ENKUlT_T0_E_clISt17integral_constantIbLb1EES15_IbLb0EEEEDaS11_S12_EUlS11_E_NS1_11comp_targetILNS1_3genE0ELNS1_11target_archE4294967295ELNS1_3gpuE0ELNS1_3repE0EEENS1_30default_config_static_selectorELNS0_4arch9wavefront6targetE1EEEvT1_
; %bb.0:
	.section	.rodata,"a",@progbits
	.p2align	6, 0x0
	.amdhsa_kernel _ZN7rocprim17ROCPRIM_400000_NS6detail17trampoline_kernelINS0_14default_configENS1_25partition_config_selectorILNS1_17partition_subalgoE8ElNS0_10empty_typeEbEEZZNS1_14partition_implILS5_8ELb0ES3_jPKlPS6_PKS6_NS0_5tupleIJPlS6_EEENSE_IJSB_SB_EEENS0_18inequality_wrapperIN6hipcub16HIPCUB_304000_NS8EqualityEEESF_JS6_EEE10hipError_tPvRmT3_T4_T5_T6_T7_T9_mT8_P12ihipStream_tbDpT10_ENKUlT_T0_E_clISt17integral_constantIbLb1EES15_IbLb0EEEEDaS11_S12_EUlS11_E_NS1_11comp_targetILNS1_3genE0ELNS1_11target_archE4294967295ELNS1_3gpuE0ELNS1_3repE0EEENS1_30default_config_static_selectorELNS0_4arch9wavefront6targetE1EEEvT1_
		.amdhsa_group_segment_fixed_size 0
		.amdhsa_private_segment_fixed_size 0
		.amdhsa_kernarg_size 112
		.amdhsa_user_sgpr_count 6
		.amdhsa_user_sgpr_private_segment_buffer 1
		.amdhsa_user_sgpr_dispatch_ptr 0
		.amdhsa_user_sgpr_queue_ptr 0
		.amdhsa_user_sgpr_kernarg_segment_ptr 1
		.amdhsa_user_sgpr_dispatch_id 0
		.amdhsa_user_sgpr_flat_scratch_init 0
		.amdhsa_user_sgpr_kernarg_preload_length 0
		.amdhsa_user_sgpr_kernarg_preload_offset 0
		.amdhsa_user_sgpr_private_segment_size 0
		.amdhsa_uses_dynamic_stack 0
		.amdhsa_system_sgpr_private_segment_wavefront_offset 0
		.amdhsa_system_sgpr_workgroup_id_x 1
		.amdhsa_system_sgpr_workgroup_id_y 0
		.amdhsa_system_sgpr_workgroup_id_z 0
		.amdhsa_system_sgpr_workgroup_info 0
		.amdhsa_system_vgpr_workitem_id 0
		.amdhsa_next_free_vgpr 1
		.amdhsa_next_free_sgpr 0
		.amdhsa_accum_offset 4
		.amdhsa_reserve_vcc 0
		.amdhsa_reserve_flat_scratch 0
		.amdhsa_float_round_mode_32 0
		.amdhsa_float_round_mode_16_64 0
		.amdhsa_float_denorm_mode_32 3
		.amdhsa_float_denorm_mode_16_64 3
		.amdhsa_dx10_clamp 1
		.amdhsa_ieee_mode 1
		.amdhsa_fp16_overflow 0
		.amdhsa_tg_split 0
		.amdhsa_exception_fp_ieee_invalid_op 0
		.amdhsa_exception_fp_denorm_src 0
		.amdhsa_exception_fp_ieee_div_zero 0
		.amdhsa_exception_fp_ieee_overflow 0
		.amdhsa_exception_fp_ieee_underflow 0
		.amdhsa_exception_fp_ieee_inexact 0
		.amdhsa_exception_int_div_zero 0
	.end_amdhsa_kernel
	.section	.text._ZN7rocprim17ROCPRIM_400000_NS6detail17trampoline_kernelINS0_14default_configENS1_25partition_config_selectorILNS1_17partition_subalgoE8ElNS0_10empty_typeEbEEZZNS1_14partition_implILS5_8ELb0ES3_jPKlPS6_PKS6_NS0_5tupleIJPlS6_EEENSE_IJSB_SB_EEENS0_18inequality_wrapperIN6hipcub16HIPCUB_304000_NS8EqualityEEESF_JS6_EEE10hipError_tPvRmT3_T4_T5_T6_T7_T9_mT8_P12ihipStream_tbDpT10_ENKUlT_T0_E_clISt17integral_constantIbLb1EES15_IbLb0EEEEDaS11_S12_EUlS11_E_NS1_11comp_targetILNS1_3genE0ELNS1_11target_archE4294967295ELNS1_3gpuE0ELNS1_3repE0EEENS1_30default_config_static_selectorELNS0_4arch9wavefront6targetE1EEEvT1_,"axG",@progbits,_ZN7rocprim17ROCPRIM_400000_NS6detail17trampoline_kernelINS0_14default_configENS1_25partition_config_selectorILNS1_17partition_subalgoE8ElNS0_10empty_typeEbEEZZNS1_14partition_implILS5_8ELb0ES3_jPKlPS6_PKS6_NS0_5tupleIJPlS6_EEENSE_IJSB_SB_EEENS0_18inequality_wrapperIN6hipcub16HIPCUB_304000_NS8EqualityEEESF_JS6_EEE10hipError_tPvRmT3_T4_T5_T6_T7_T9_mT8_P12ihipStream_tbDpT10_ENKUlT_T0_E_clISt17integral_constantIbLb1EES15_IbLb0EEEEDaS11_S12_EUlS11_E_NS1_11comp_targetILNS1_3genE0ELNS1_11target_archE4294967295ELNS1_3gpuE0ELNS1_3repE0EEENS1_30default_config_static_selectorELNS0_4arch9wavefront6targetE1EEEvT1_,comdat
.Lfunc_end495:
	.size	_ZN7rocprim17ROCPRIM_400000_NS6detail17trampoline_kernelINS0_14default_configENS1_25partition_config_selectorILNS1_17partition_subalgoE8ElNS0_10empty_typeEbEEZZNS1_14partition_implILS5_8ELb0ES3_jPKlPS6_PKS6_NS0_5tupleIJPlS6_EEENSE_IJSB_SB_EEENS0_18inequality_wrapperIN6hipcub16HIPCUB_304000_NS8EqualityEEESF_JS6_EEE10hipError_tPvRmT3_T4_T5_T6_T7_T9_mT8_P12ihipStream_tbDpT10_ENKUlT_T0_E_clISt17integral_constantIbLb1EES15_IbLb0EEEEDaS11_S12_EUlS11_E_NS1_11comp_targetILNS1_3genE0ELNS1_11target_archE4294967295ELNS1_3gpuE0ELNS1_3repE0EEENS1_30default_config_static_selectorELNS0_4arch9wavefront6targetE1EEEvT1_, .Lfunc_end495-_ZN7rocprim17ROCPRIM_400000_NS6detail17trampoline_kernelINS0_14default_configENS1_25partition_config_selectorILNS1_17partition_subalgoE8ElNS0_10empty_typeEbEEZZNS1_14partition_implILS5_8ELb0ES3_jPKlPS6_PKS6_NS0_5tupleIJPlS6_EEENSE_IJSB_SB_EEENS0_18inequality_wrapperIN6hipcub16HIPCUB_304000_NS8EqualityEEESF_JS6_EEE10hipError_tPvRmT3_T4_T5_T6_T7_T9_mT8_P12ihipStream_tbDpT10_ENKUlT_T0_E_clISt17integral_constantIbLb1EES15_IbLb0EEEEDaS11_S12_EUlS11_E_NS1_11comp_targetILNS1_3genE0ELNS1_11target_archE4294967295ELNS1_3gpuE0ELNS1_3repE0EEENS1_30default_config_static_selectorELNS0_4arch9wavefront6targetE1EEEvT1_
                                        ; -- End function
	.section	.AMDGPU.csdata,"",@progbits
; Kernel info:
; codeLenInByte = 0
; NumSgprs: 4
; NumVgprs: 0
; NumAgprs: 0
; TotalNumVgprs: 0
; ScratchSize: 0
; MemoryBound: 0
; FloatMode: 240
; IeeeMode: 1
; LDSByteSize: 0 bytes/workgroup (compile time only)
; SGPRBlocks: 0
; VGPRBlocks: 0
; NumSGPRsForWavesPerEU: 4
; NumVGPRsForWavesPerEU: 1
; AccumOffset: 4
; Occupancy: 8
; WaveLimiterHint : 0
; COMPUTE_PGM_RSRC2:SCRATCH_EN: 0
; COMPUTE_PGM_RSRC2:USER_SGPR: 6
; COMPUTE_PGM_RSRC2:TRAP_HANDLER: 0
; COMPUTE_PGM_RSRC2:TGID_X_EN: 1
; COMPUTE_PGM_RSRC2:TGID_Y_EN: 0
; COMPUTE_PGM_RSRC2:TGID_Z_EN: 0
; COMPUTE_PGM_RSRC2:TIDIG_COMP_CNT: 0
; COMPUTE_PGM_RSRC3_GFX90A:ACCUM_OFFSET: 0
; COMPUTE_PGM_RSRC3_GFX90A:TG_SPLIT: 0
	.section	.text._ZN7rocprim17ROCPRIM_400000_NS6detail17trampoline_kernelINS0_14default_configENS1_25partition_config_selectorILNS1_17partition_subalgoE8ElNS0_10empty_typeEbEEZZNS1_14partition_implILS5_8ELb0ES3_jPKlPS6_PKS6_NS0_5tupleIJPlS6_EEENSE_IJSB_SB_EEENS0_18inequality_wrapperIN6hipcub16HIPCUB_304000_NS8EqualityEEESF_JS6_EEE10hipError_tPvRmT3_T4_T5_T6_T7_T9_mT8_P12ihipStream_tbDpT10_ENKUlT_T0_E_clISt17integral_constantIbLb1EES15_IbLb0EEEEDaS11_S12_EUlS11_E_NS1_11comp_targetILNS1_3genE5ELNS1_11target_archE942ELNS1_3gpuE9ELNS1_3repE0EEENS1_30default_config_static_selectorELNS0_4arch9wavefront6targetE1EEEvT1_,"axG",@progbits,_ZN7rocprim17ROCPRIM_400000_NS6detail17trampoline_kernelINS0_14default_configENS1_25partition_config_selectorILNS1_17partition_subalgoE8ElNS0_10empty_typeEbEEZZNS1_14partition_implILS5_8ELb0ES3_jPKlPS6_PKS6_NS0_5tupleIJPlS6_EEENSE_IJSB_SB_EEENS0_18inequality_wrapperIN6hipcub16HIPCUB_304000_NS8EqualityEEESF_JS6_EEE10hipError_tPvRmT3_T4_T5_T6_T7_T9_mT8_P12ihipStream_tbDpT10_ENKUlT_T0_E_clISt17integral_constantIbLb1EES15_IbLb0EEEEDaS11_S12_EUlS11_E_NS1_11comp_targetILNS1_3genE5ELNS1_11target_archE942ELNS1_3gpuE9ELNS1_3repE0EEENS1_30default_config_static_selectorELNS0_4arch9wavefront6targetE1EEEvT1_,comdat
	.protected	_ZN7rocprim17ROCPRIM_400000_NS6detail17trampoline_kernelINS0_14default_configENS1_25partition_config_selectorILNS1_17partition_subalgoE8ElNS0_10empty_typeEbEEZZNS1_14partition_implILS5_8ELb0ES3_jPKlPS6_PKS6_NS0_5tupleIJPlS6_EEENSE_IJSB_SB_EEENS0_18inequality_wrapperIN6hipcub16HIPCUB_304000_NS8EqualityEEESF_JS6_EEE10hipError_tPvRmT3_T4_T5_T6_T7_T9_mT8_P12ihipStream_tbDpT10_ENKUlT_T0_E_clISt17integral_constantIbLb1EES15_IbLb0EEEEDaS11_S12_EUlS11_E_NS1_11comp_targetILNS1_3genE5ELNS1_11target_archE942ELNS1_3gpuE9ELNS1_3repE0EEENS1_30default_config_static_selectorELNS0_4arch9wavefront6targetE1EEEvT1_ ; -- Begin function _ZN7rocprim17ROCPRIM_400000_NS6detail17trampoline_kernelINS0_14default_configENS1_25partition_config_selectorILNS1_17partition_subalgoE8ElNS0_10empty_typeEbEEZZNS1_14partition_implILS5_8ELb0ES3_jPKlPS6_PKS6_NS0_5tupleIJPlS6_EEENSE_IJSB_SB_EEENS0_18inequality_wrapperIN6hipcub16HIPCUB_304000_NS8EqualityEEESF_JS6_EEE10hipError_tPvRmT3_T4_T5_T6_T7_T9_mT8_P12ihipStream_tbDpT10_ENKUlT_T0_E_clISt17integral_constantIbLb1EES15_IbLb0EEEEDaS11_S12_EUlS11_E_NS1_11comp_targetILNS1_3genE5ELNS1_11target_archE942ELNS1_3gpuE9ELNS1_3repE0EEENS1_30default_config_static_selectorELNS0_4arch9wavefront6targetE1EEEvT1_
	.globl	_ZN7rocprim17ROCPRIM_400000_NS6detail17trampoline_kernelINS0_14default_configENS1_25partition_config_selectorILNS1_17partition_subalgoE8ElNS0_10empty_typeEbEEZZNS1_14partition_implILS5_8ELb0ES3_jPKlPS6_PKS6_NS0_5tupleIJPlS6_EEENSE_IJSB_SB_EEENS0_18inequality_wrapperIN6hipcub16HIPCUB_304000_NS8EqualityEEESF_JS6_EEE10hipError_tPvRmT3_T4_T5_T6_T7_T9_mT8_P12ihipStream_tbDpT10_ENKUlT_T0_E_clISt17integral_constantIbLb1EES15_IbLb0EEEEDaS11_S12_EUlS11_E_NS1_11comp_targetILNS1_3genE5ELNS1_11target_archE942ELNS1_3gpuE9ELNS1_3repE0EEENS1_30default_config_static_selectorELNS0_4arch9wavefront6targetE1EEEvT1_
	.p2align	8
	.type	_ZN7rocprim17ROCPRIM_400000_NS6detail17trampoline_kernelINS0_14default_configENS1_25partition_config_selectorILNS1_17partition_subalgoE8ElNS0_10empty_typeEbEEZZNS1_14partition_implILS5_8ELb0ES3_jPKlPS6_PKS6_NS0_5tupleIJPlS6_EEENSE_IJSB_SB_EEENS0_18inequality_wrapperIN6hipcub16HIPCUB_304000_NS8EqualityEEESF_JS6_EEE10hipError_tPvRmT3_T4_T5_T6_T7_T9_mT8_P12ihipStream_tbDpT10_ENKUlT_T0_E_clISt17integral_constantIbLb1EES15_IbLb0EEEEDaS11_S12_EUlS11_E_NS1_11comp_targetILNS1_3genE5ELNS1_11target_archE942ELNS1_3gpuE9ELNS1_3repE0EEENS1_30default_config_static_selectorELNS0_4arch9wavefront6targetE1EEEvT1_,@function
_ZN7rocprim17ROCPRIM_400000_NS6detail17trampoline_kernelINS0_14default_configENS1_25partition_config_selectorILNS1_17partition_subalgoE8ElNS0_10empty_typeEbEEZZNS1_14partition_implILS5_8ELb0ES3_jPKlPS6_PKS6_NS0_5tupleIJPlS6_EEENSE_IJSB_SB_EEENS0_18inequality_wrapperIN6hipcub16HIPCUB_304000_NS8EqualityEEESF_JS6_EEE10hipError_tPvRmT3_T4_T5_T6_T7_T9_mT8_P12ihipStream_tbDpT10_ENKUlT_T0_E_clISt17integral_constantIbLb1EES15_IbLb0EEEEDaS11_S12_EUlS11_E_NS1_11comp_targetILNS1_3genE5ELNS1_11target_archE942ELNS1_3gpuE9ELNS1_3repE0EEENS1_30default_config_static_selectorELNS0_4arch9wavefront6targetE1EEEvT1_: ; @_ZN7rocprim17ROCPRIM_400000_NS6detail17trampoline_kernelINS0_14default_configENS1_25partition_config_selectorILNS1_17partition_subalgoE8ElNS0_10empty_typeEbEEZZNS1_14partition_implILS5_8ELb0ES3_jPKlPS6_PKS6_NS0_5tupleIJPlS6_EEENSE_IJSB_SB_EEENS0_18inequality_wrapperIN6hipcub16HIPCUB_304000_NS8EqualityEEESF_JS6_EEE10hipError_tPvRmT3_T4_T5_T6_T7_T9_mT8_P12ihipStream_tbDpT10_ENKUlT_T0_E_clISt17integral_constantIbLb1EES15_IbLb0EEEEDaS11_S12_EUlS11_E_NS1_11comp_targetILNS1_3genE5ELNS1_11target_archE942ELNS1_3gpuE9ELNS1_3repE0EEENS1_30default_config_static_selectorELNS0_4arch9wavefront6targetE1EEEvT1_
; %bb.0:
	.section	.rodata,"a",@progbits
	.p2align	6, 0x0
	.amdhsa_kernel _ZN7rocprim17ROCPRIM_400000_NS6detail17trampoline_kernelINS0_14default_configENS1_25partition_config_selectorILNS1_17partition_subalgoE8ElNS0_10empty_typeEbEEZZNS1_14partition_implILS5_8ELb0ES3_jPKlPS6_PKS6_NS0_5tupleIJPlS6_EEENSE_IJSB_SB_EEENS0_18inequality_wrapperIN6hipcub16HIPCUB_304000_NS8EqualityEEESF_JS6_EEE10hipError_tPvRmT3_T4_T5_T6_T7_T9_mT8_P12ihipStream_tbDpT10_ENKUlT_T0_E_clISt17integral_constantIbLb1EES15_IbLb0EEEEDaS11_S12_EUlS11_E_NS1_11comp_targetILNS1_3genE5ELNS1_11target_archE942ELNS1_3gpuE9ELNS1_3repE0EEENS1_30default_config_static_selectorELNS0_4arch9wavefront6targetE1EEEvT1_
		.amdhsa_group_segment_fixed_size 0
		.amdhsa_private_segment_fixed_size 0
		.amdhsa_kernarg_size 112
		.amdhsa_user_sgpr_count 6
		.amdhsa_user_sgpr_private_segment_buffer 1
		.amdhsa_user_sgpr_dispatch_ptr 0
		.amdhsa_user_sgpr_queue_ptr 0
		.amdhsa_user_sgpr_kernarg_segment_ptr 1
		.amdhsa_user_sgpr_dispatch_id 0
		.amdhsa_user_sgpr_flat_scratch_init 0
		.amdhsa_user_sgpr_kernarg_preload_length 0
		.amdhsa_user_sgpr_kernarg_preload_offset 0
		.amdhsa_user_sgpr_private_segment_size 0
		.amdhsa_uses_dynamic_stack 0
		.amdhsa_system_sgpr_private_segment_wavefront_offset 0
		.amdhsa_system_sgpr_workgroup_id_x 1
		.amdhsa_system_sgpr_workgroup_id_y 0
		.amdhsa_system_sgpr_workgroup_id_z 0
		.amdhsa_system_sgpr_workgroup_info 0
		.amdhsa_system_vgpr_workitem_id 0
		.amdhsa_next_free_vgpr 1
		.amdhsa_next_free_sgpr 0
		.amdhsa_accum_offset 4
		.amdhsa_reserve_vcc 0
		.amdhsa_reserve_flat_scratch 0
		.amdhsa_float_round_mode_32 0
		.amdhsa_float_round_mode_16_64 0
		.amdhsa_float_denorm_mode_32 3
		.amdhsa_float_denorm_mode_16_64 3
		.amdhsa_dx10_clamp 1
		.amdhsa_ieee_mode 1
		.amdhsa_fp16_overflow 0
		.amdhsa_tg_split 0
		.amdhsa_exception_fp_ieee_invalid_op 0
		.amdhsa_exception_fp_denorm_src 0
		.amdhsa_exception_fp_ieee_div_zero 0
		.amdhsa_exception_fp_ieee_overflow 0
		.amdhsa_exception_fp_ieee_underflow 0
		.amdhsa_exception_fp_ieee_inexact 0
		.amdhsa_exception_int_div_zero 0
	.end_amdhsa_kernel
	.section	.text._ZN7rocprim17ROCPRIM_400000_NS6detail17trampoline_kernelINS0_14default_configENS1_25partition_config_selectorILNS1_17partition_subalgoE8ElNS0_10empty_typeEbEEZZNS1_14partition_implILS5_8ELb0ES3_jPKlPS6_PKS6_NS0_5tupleIJPlS6_EEENSE_IJSB_SB_EEENS0_18inequality_wrapperIN6hipcub16HIPCUB_304000_NS8EqualityEEESF_JS6_EEE10hipError_tPvRmT3_T4_T5_T6_T7_T9_mT8_P12ihipStream_tbDpT10_ENKUlT_T0_E_clISt17integral_constantIbLb1EES15_IbLb0EEEEDaS11_S12_EUlS11_E_NS1_11comp_targetILNS1_3genE5ELNS1_11target_archE942ELNS1_3gpuE9ELNS1_3repE0EEENS1_30default_config_static_selectorELNS0_4arch9wavefront6targetE1EEEvT1_,"axG",@progbits,_ZN7rocprim17ROCPRIM_400000_NS6detail17trampoline_kernelINS0_14default_configENS1_25partition_config_selectorILNS1_17partition_subalgoE8ElNS0_10empty_typeEbEEZZNS1_14partition_implILS5_8ELb0ES3_jPKlPS6_PKS6_NS0_5tupleIJPlS6_EEENSE_IJSB_SB_EEENS0_18inequality_wrapperIN6hipcub16HIPCUB_304000_NS8EqualityEEESF_JS6_EEE10hipError_tPvRmT3_T4_T5_T6_T7_T9_mT8_P12ihipStream_tbDpT10_ENKUlT_T0_E_clISt17integral_constantIbLb1EES15_IbLb0EEEEDaS11_S12_EUlS11_E_NS1_11comp_targetILNS1_3genE5ELNS1_11target_archE942ELNS1_3gpuE9ELNS1_3repE0EEENS1_30default_config_static_selectorELNS0_4arch9wavefront6targetE1EEEvT1_,comdat
.Lfunc_end496:
	.size	_ZN7rocprim17ROCPRIM_400000_NS6detail17trampoline_kernelINS0_14default_configENS1_25partition_config_selectorILNS1_17partition_subalgoE8ElNS0_10empty_typeEbEEZZNS1_14partition_implILS5_8ELb0ES3_jPKlPS6_PKS6_NS0_5tupleIJPlS6_EEENSE_IJSB_SB_EEENS0_18inequality_wrapperIN6hipcub16HIPCUB_304000_NS8EqualityEEESF_JS6_EEE10hipError_tPvRmT3_T4_T5_T6_T7_T9_mT8_P12ihipStream_tbDpT10_ENKUlT_T0_E_clISt17integral_constantIbLb1EES15_IbLb0EEEEDaS11_S12_EUlS11_E_NS1_11comp_targetILNS1_3genE5ELNS1_11target_archE942ELNS1_3gpuE9ELNS1_3repE0EEENS1_30default_config_static_selectorELNS0_4arch9wavefront6targetE1EEEvT1_, .Lfunc_end496-_ZN7rocprim17ROCPRIM_400000_NS6detail17trampoline_kernelINS0_14default_configENS1_25partition_config_selectorILNS1_17partition_subalgoE8ElNS0_10empty_typeEbEEZZNS1_14partition_implILS5_8ELb0ES3_jPKlPS6_PKS6_NS0_5tupleIJPlS6_EEENSE_IJSB_SB_EEENS0_18inequality_wrapperIN6hipcub16HIPCUB_304000_NS8EqualityEEESF_JS6_EEE10hipError_tPvRmT3_T4_T5_T6_T7_T9_mT8_P12ihipStream_tbDpT10_ENKUlT_T0_E_clISt17integral_constantIbLb1EES15_IbLb0EEEEDaS11_S12_EUlS11_E_NS1_11comp_targetILNS1_3genE5ELNS1_11target_archE942ELNS1_3gpuE9ELNS1_3repE0EEENS1_30default_config_static_selectorELNS0_4arch9wavefront6targetE1EEEvT1_
                                        ; -- End function
	.section	.AMDGPU.csdata,"",@progbits
; Kernel info:
; codeLenInByte = 0
; NumSgprs: 4
; NumVgprs: 0
; NumAgprs: 0
; TotalNumVgprs: 0
; ScratchSize: 0
; MemoryBound: 0
; FloatMode: 240
; IeeeMode: 1
; LDSByteSize: 0 bytes/workgroup (compile time only)
; SGPRBlocks: 0
; VGPRBlocks: 0
; NumSGPRsForWavesPerEU: 4
; NumVGPRsForWavesPerEU: 1
; AccumOffset: 4
; Occupancy: 8
; WaveLimiterHint : 0
; COMPUTE_PGM_RSRC2:SCRATCH_EN: 0
; COMPUTE_PGM_RSRC2:USER_SGPR: 6
; COMPUTE_PGM_RSRC2:TRAP_HANDLER: 0
; COMPUTE_PGM_RSRC2:TGID_X_EN: 1
; COMPUTE_PGM_RSRC2:TGID_Y_EN: 0
; COMPUTE_PGM_RSRC2:TGID_Z_EN: 0
; COMPUTE_PGM_RSRC2:TIDIG_COMP_CNT: 0
; COMPUTE_PGM_RSRC3_GFX90A:ACCUM_OFFSET: 0
; COMPUTE_PGM_RSRC3_GFX90A:TG_SPLIT: 0
	.section	.text._ZN7rocprim17ROCPRIM_400000_NS6detail17trampoline_kernelINS0_14default_configENS1_25partition_config_selectorILNS1_17partition_subalgoE8ElNS0_10empty_typeEbEEZZNS1_14partition_implILS5_8ELb0ES3_jPKlPS6_PKS6_NS0_5tupleIJPlS6_EEENSE_IJSB_SB_EEENS0_18inequality_wrapperIN6hipcub16HIPCUB_304000_NS8EqualityEEESF_JS6_EEE10hipError_tPvRmT3_T4_T5_T6_T7_T9_mT8_P12ihipStream_tbDpT10_ENKUlT_T0_E_clISt17integral_constantIbLb1EES15_IbLb0EEEEDaS11_S12_EUlS11_E_NS1_11comp_targetILNS1_3genE4ELNS1_11target_archE910ELNS1_3gpuE8ELNS1_3repE0EEENS1_30default_config_static_selectorELNS0_4arch9wavefront6targetE1EEEvT1_,"axG",@progbits,_ZN7rocprim17ROCPRIM_400000_NS6detail17trampoline_kernelINS0_14default_configENS1_25partition_config_selectorILNS1_17partition_subalgoE8ElNS0_10empty_typeEbEEZZNS1_14partition_implILS5_8ELb0ES3_jPKlPS6_PKS6_NS0_5tupleIJPlS6_EEENSE_IJSB_SB_EEENS0_18inequality_wrapperIN6hipcub16HIPCUB_304000_NS8EqualityEEESF_JS6_EEE10hipError_tPvRmT3_T4_T5_T6_T7_T9_mT8_P12ihipStream_tbDpT10_ENKUlT_T0_E_clISt17integral_constantIbLb1EES15_IbLb0EEEEDaS11_S12_EUlS11_E_NS1_11comp_targetILNS1_3genE4ELNS1_11target_archE910ELNS1_3gpuE8ELNS1_3repE0EEENS1_30default_config_static_selectorELNS0_4arch9wavefront6targetE1EEEvT1_,comdat
	.protected	_ZN7rocprim17ROCPRIM_400000_NS6detail17trampoline_kernelINS0_14default_configENS1_25partition_config_selectorILNS1_17partition_subalgoE8ElNS0_10empty_typeEbEEZZNS1_14partition_implILS5_8ELb0ES3_jPKlPS6_PKS6_NS0_5tupleIJPlS6_EEENSE_IJSB_SB_EEENS0_18inequality_wrapperIN6hipcub16HIPCUB_304000_NS8EqualityEEESF_JS6_EEE10hipError_tPvRmT3_T4_T5_T6_T7_T9_mT8_P12ihipStream_tbDpT10_ENKUlT_T0_E_clISt17integral_constantIbLb1EES15_IbLb0EEEEDaS11_S12_EUlS11_E_NS1_11comp_targetILNS1_3genE4ELNS1_11target_archE910ELNS1_3gpuE8ELNS1_3repE0EEENS1_30default_config_static_selectorELNS0_4arch9wavefront6targetE1EEEvT1_ ; -- Begin function _ZN7rocprim17ROCPRIM_400000_NS6detail17trampoline_kernelINS0_14default_configENS1_25partition_config_selectorILNS1_17partition_subalgoE8ElNS0_10empty_typeEbEEZZNS1_14partition_implILS5_8ELb0ES3_jPKlPS6_PKS6_NS0_5tupleIJPlS6_EEENSE_IJSB_SB_EEENS0_18inequality_wrapperIN6hipcub16HIPCUB_304000_NS8EqualityEEESF_JS6_EEE10hipError_tPvRmT3_T4_T5_T6_T7_T9_mT8_P12ihipStream_tbDpT10_ENKUlT_T0_E_clISt17integral_constantIbLb1EES15_IbLb0EEEEDaS11_S12_EUlS11_E_NS1_11comp_targetILNS1_3genE4ELNS1_11target_archE910ELNS1_3gpuE8ELNS1_3repE0EEENS1_30default_config_static_selectorELNS0_4arch9wavefront6targetE1EEEvT1_
	.globl	_ZN7rocprim17ROCPRIM_400000_NS6detail17trampoline_kernelINS0_14default_configENS1_25partition_config_selectorILNS1_17partition_subalgoE8ElNS0_10empty_typeEbEEZZNS1_14partition_implILS5_8ELb0ES3_jPKlPS6_PKS6_NS0_5tupleIJPlS6_EEENSE_IJSB_SB_EEENS0_18inequality_wrapperIN6hipcub16HIPCUB_304000_NS8EqualityEEESF_JS6_EEE10hipError_tPvRmT3_T4_T5_T6_T7_T9_mT8_P12ihipStream_tbDpT10_ENKUlT_T0_E_clISt17integral_constantIbLb1EES15_IbLb0EEEEDaS11_S12_EUlS11_E_NS1_11comp_targetILNS1_3genE4ELNS1_11target_archE910ELNS1_3gpuE8ELNS1_3repE0EEENS1_30default_config_static_selectorELNS0_4arch9wavefront6targetE1EEEvT1_
	.p2align	8
	.type	_ZN7rocprim17ROCPRIM_400000_NS6detail17trampoline_kernelINS0_14default_configENS1_25partition_config_selectorILNS1_17partition_subalgoE8ElNS0_10empty_typeEbEEZZNS1_14partition_implILS5_8ELb0ES3_jPKlPS6_PKS6_NS0_5tupleIJPlS6_EEENSE_IJSB_SB_EEENS0_18inequality_wrapperIN6hipcub16HIPCUB_304000_NS8EqualityEEESF_JS6_EEE10hipError_tPvRmT3_T4_T5_T6_T7_T9_mT8_P12ihipStream_tbDpT10_ENKUlT_T0_E_clISt17integral_constantIbLb1EES15_IbLb0EEEEDaS11_S12_EUlS11_E_NS1_11comp_targetILNS1_3genE4ELNS1_11target_archE910ELNS1_3gpuE8ELNS1_3repE0EEENS1_30default_config_static_selectorELNS0_4arch9wavefront6targetE1EEEvT1_,@function
_ZN7rocprim17ROCPRIM_400000_NS6detail17trampoline_kernelINS0_14default_configENS1_25partition_config_selectorILNS1_17partition_subalgoE8ElNS0_10empty_typeEbEEZZNS1_14partition_implILS5_8ELb0ES3_jPKlPS6_PKS6_NS0_5tupleIJPlS6_EEENSE_IJSB_SB_EEENS0_18inequality_wrapperIN6hipcub16HIPCUB_304000_NS8EqualityEEESF_JS6_EEE10hipError_tPvRmT3_T4_T5_T6_T7_T9_mT8_P12ihipStream_tbDpT10_ENKUlT_T0_E_clISt17integral_constantIbLb1EES15_IbLb0EEEEDaS11_S12_EUlS11_E_NS1_11comp_targetILNS1_3genE4ELNS1_11target_archE910ELNS1_3gpuE8ELNS1_3repE0EEENS1_30default_config_static_selectorELNS0_4arch9wavefront6targetE1EEEvT1_: ; @_ZN7rocprim17ROCPRIM_400000_NS6detail17trampoline_kernelINS0_14default_configENS1_25partition_config_selectorILNS1_17partition_subalgoE8ElNS0_10empty_typeEbEEZZNS1_14partition_implILS5_8ELb0ES3_jPKlPS6_PKS6_NS0_5tupleIJPlS6_EEENSE_IJSB_SB_EEENS0_18inequality_wrapperIN6hipcub16HIPCUB_304000_NS8EqualityEEESF_JS6_EEE10hipError_tPvRmT3_T4_T5_T6_T7_T9_mT8_P12ihipStream_tbDpT10_ENKUlT_T0_E_clISt17integral_constantIbLb1EES15_IbLb0EEEEDaS11_S12_EUlS11_E_NS1_11comp_targetILNS1_3genE4ELNS1_11target_archE910ELNS1_3gpuE8ELNS1_3repE0EEENS1_30default_config_static_selectorELNS0_4arch9wavefront6targetE1EEEvT1_
; %bb.0:
	s_load_dwordx2 s[8:9], s[4:5], 0x50
	s_load_dwordx4 s[0:3], s[4:5], 0x8
	s_load_dwordx4 s[20:23], s[4:5], 0x40
	s_load_dword s7, s[4:5], 0x68
	s_waitcnt lgkmcnt(0)
	v_mov_b32_e32 v3, s9
	s_lshl_b64 s[10:11], s[2:3], 3
	s_add_u32 s10, s0, s10
	s_mul_i32 s9, s7, 0x500
	s_addc_u32 s11, s1, s11
	s_add_i32 s1, s9, s2
	s_add_i32 s12, s7, -1
	s_sub_i32 s7, s8, s1
	v_mov_b32_e32 v2, s8
	s_add_u32 s8, s2, s9
	s_addc_u32 s9, s3, 0
	s_cmp_eq_u32 s6, s12
	s_load_dwordx2 s[22:23], s[22:23], 0x0
	v_cmp_ge_u64_e32 vcc, s[8:9], v[2:3]
	s_cselect_b64 s[24:25], -1, 0
	s_mul_i32 s0, s6, 0x500
	s_mov_b32 s1, 0
	s_and_b64 s[12:13], s[24:25], vcc
	s_xor_b64 s[26:27], s[12:13], -1
	s_lshl_b64 s[0:1], s[0:1], 3
	s_add_u32 s0, s10, s0
	s_mov_b64 s[8:9], -1
	s_addc_u32 s1, s11, s1
	s_and_b64 vcc, exec, s[26:27]
	s_cbranch_vccz .LBB497_2
; %bb.1:
	v_lshlrev_b32_e32 v1, 3, v0
	v_mov_b32_e32 v2, s1
	v_add_co_u32_e32 v12, vcc, s0, v1
	v_addc_co_u32_e32 v13, vcc, 0, v2, vcc
	v_add_co_u32_e32 v2, vcc, 0x1000, v12
	v_addc_co_u32_e32 v3, vcc, 0, v13, vcc
	global_load_dwordx2 v[4:5], v1, s[0:1]
	global_load_dwordx2 v[6:7], v1, s[0:1] offset:2048
	global_load_dwordx2 v[8:9], v[2:3], off
	global_load_dwordx2 v[10:11], v[2:3], off offset:2048
	v_add_co_u32_e32 v2, vcc, 0x2000, v12
	v_addc_co_u32_e32 v3, vcc, 0, v13, vcc
	global_load_dwordx2 v[2:3], v[2:3], off
	s_mov_b64 s[8:9], 0
	s_waitcnt vmcnt(3)
	ds_write2st64_b64 v1, v[4:5], v[6:7] offset1:4
	s_waitcnt vmcnt(1)
	ds_write2st64_b64 v1, v[8:9], v[10:11] offset0:8 offset1:12
	s_waitcnt vmcnt(0)
	ds_write_b64 v1, v[2:3] offset:8192
	s_waitcnt lgkmcnt(0)
	s_barrier
.LBB497_2:
	s_andn2_b64 vcc, exec, s[8:9]
	s_addk_i32 s7, 0x500
	s_cbranch_vccnz .LBB497_14
; %bb.3:
	v_cmp_gt_u32_e32 vcc, s7, v0
                                        ; implicit-def: $vgpr2_vgpr3_vgpr4_vgpr5_vgpr6_vgpr7_vgpr8_vgpr9_vgpr10_vgpr11_vgpr12_vgpr13_vgpr14_vgpr15_vgpr16_vgpr17
	s_and_saveexec_b64 s[8:9], vcc
	s_cbranch_execz .LBB497_5
; %bb.4:
	v_lshlrev_b32_e32 v1, 3, v0
	global_load_dwordx2 v[2:3], v1, s[0:1]
.LBB497_5:
	s_or_b64 exec, exec, s[8:9]
	v_or_b32_e32 v1, 0x100, v0
	v_cmp_gt_u32_e32 vcc, s7, v1
	s_and_saveexec_b64 s[8:9], vcc
	s_cbranch_execz .LBB497_7
; %bb.6:
	v_lshlrev_b32_e32 v1, 3, v0
	global_load_dwordx2 v[4:5], v1, s[0:1] offset:2048
.LBB497_7:
	s_or_b64 exec, exec, s[8:9]
	v_or_b32_e32 v1, 0x200, v0
	v_cmp_gt_u32_e32 vcc, s7, v1
	s_and_saveexec_b64 s[8:9], vcc
	s_cbranch_execz .LBB497_9
; %bb.8:
	v_lshlrev_b32_e32 v1, 3, v1
	global_load_dwordx2 v[6:7], v1, s[0:1]
.LBB497_9:
	s_or_b64 exec, exec, s[8:9]
	v_or_b32_e32 v1, 0x300, v0
	v_cmp_gt_u32_e32 vcc, s7, v1
	s_and_saveexec_b64 s[8:9], vcc
	s_cbranch_execz .LBB497_11
; %bb.10:
	v_lshlrev_b32_e32 v1, 3, v1
	global_load_dwordx2 v[8:9], v1, s[0:1]
.LBB497_11:
	;; [unrolled: 9-line block ×3, first 2 shown]
	s_or_b64 exec, exec, s[8:9]
	v_lshlrev_b32_e32 v1, 3, v0
	s_waitcnt vmcnt(0)
	ds_write2st64_b64 v1, v[2:3], v[4:5] offset1:4
	ds_write2st64_b64 v1, v[6:7], v[8:9] offset0:8 offset1:12
	ds_write_b64 v1, v[10:11] offset:8192
	s_waitcnt lgkmcnt(0)
	s_barrier
.LBB497_14:
	v_mul_u32_u24_e32 v16, 5, v0
	v_lshlrev_b32_e32 v1, 3, v16
	s_waitcnt lgkmcnt(0)
	ds_read2_b64 v[6:9], v1 offset1:1
	ds_read2_b64 v[2:5], v1 offset0:2 offset1:3
	ds_read_b64 v[10:11], v1 offset:32
	s_cmp_lg_u32 s6, 0
	s_cselect_b64 s[16:17], -1, 0
	s_cmp_lg_u64 s[2:3], 0
	s_cselect_b64 s[2:3], -1, 0
	s_or_b64 s[2:3], s[16:17], s[2:3]
	v_mad_u32_u24 v19, v0, 5, 1
	v_mad_u32_u24 v17, v0, 5, 2
	;; [unrolled: 1-line block ×4, first 2 shown]
	s_mov_b64 s[14:15], 0
	s_and_b64 vcc, exec, s[2:3]
	s_waitcnt lgkmcnt(0)
	s_barrier
	s_cbranch_vccz .LBB497_19
; %bb.15:
	s_add_u32 s0, s0, -8
	s_addc_u32 s1, s1, -1
	s_load_dwordx2 s[2:3], s[0:1], 0x0
	v_lshlrev_b32_e32 v12, 3, v0
	s_and_b64 vcc, exec, s[26:27]
	ds_write_b64 v12, v[10:11]
	s_cbranch_vccz .LBB497_20
; %bb.16:
	v_cmp_ne_u32_e32 vcc, 0, v0
	s_waitcnt lgkmcnt(0)
	v_pk_mov_b32 v[14:15], s[2:3], s[2:3] op_sel:[0,1]
	s_barrier
	s_and_saveexec_b64 s[0:1], vcc
	s_cbranch_execz .LBB497_18
; %bb.17:
	v_add_u32_e32 v13, -8, v12
	ds_read_b64 v[14:15], v13
.LBB497_18:
	s_or_b64 exec, exec, s[0:1]
	v_cmp_ne_u64_e32 vcc, v[4:5], v[10:11]
	v_cndmask_b32_e64 v13, 0, 1, vcc
	v_cmp_ne_u64_e32 vcc, v[2:3], v[4:5]
	v_cndmask_b32_e64 v21, 0, 1, vcc
	;; [unrolled: 2-line block ×4, first 2 shown]
	s_waitcnt lgkmcnt(0)
	v_cmp_ne_u64_e64 s[0:1], v[14:15], v[6:7]
	v_lshlrev_b16_e32 v14, 8, v21
	v_or_b32_sdwa v14, v22, v14 dst_sel:WORD_1 dst_unused:UNUSED_PAD src0_sel:DWORD src1_sel:DWORD
	v_lshlrev_b16_e32 v15, 8, v23
	v_or_b32_e32 v14, v15, v14
	s_branch .LBB497_24
.LBB497_19:
                                        ; implicit-def: $sgpr0_sgpr1
                                        ; implicit-def: $vgpr13
                                        ; implicit-def: $vgpr14
	s_branch .LBB497_25
.LBB497_20:
                                        ; implicit-def: $sgpr0_sgpr1
                                        ; implicit-def: $vgpr13
                                        ; implicit-def: $vgpr14
	s_cbranch_execz .LBB497_24
; %bb.21:
	v_cmp_ne_u32_e32 vcc, 0, v0
	s_waitcnt lgkmcnt(0)
	v_pk_mov_b32 v[14:15], s[2:3], s[2:3] op_sel:[0,1]
	s_barrier
	s_and_saveexec_b64 s[0:1], vcc
	s_cbranch_execz .LBB497_23
; %bb.22:
	v_add_u32_e32 v12, -8, v12
	ds_read_b64 v[14:15], v12
.LBB497_23:
	s_or_b64 exec, exec, s[0:1]
	v_cmp_gt_u32_e32 vcc, s7, v18
	v_cmp_ne_u64_e64 s[0:1], v[4:5], v[10:11]
	s_and_b64 s[0:1], vcc, s[0:1]
	v_cndmask_b32_e64 v13, 0, 1, s[0:1]
	v_cmp_gt_u32_e32 vcc, s7, v20
	v_cmp_ne_u64_e64 s[0:1], v[2:3], v[4:5]
	s_and_b64 s[0:1], vcc, s[0:1]
	v_cndmask_b32_e64 v12, 0, 1, s[0:1]
	;; [unrolled: 4-line block ×4, first 2 shown]
	v_lshlrev_b16_e32 v12, 8, v12
	v_cmp_gt_u32_e32 vcc, s7, v16
	s_waitcnt lgkmcnt(0)
	v_cmp_ne_u64_e64 s[0:1], v[14:15], v[6:7]
	v_or_b32_sdwa v12, v21, v12 dst_sel:WORD_1 dst_unused:UNUSED_PAD src0_sel:DWORD src1_sel:DWORD
	v_lshlrev_b16_e32 v14, 8, v22
	s_and_b64 s[0:1], vcc, s[0:1]
	v_or_b32_e32 v14, v14, v12
.LBB497_24:
	s_waitcnt lgkmcnt(0)
	s_mov_b64 s[14:15], -1
	s_cbranch_execnz .LBB497_33
.LBB497_25:
	v_lshlrev_b32_e32 v12, 5, v0
	v_sub_u32_e32 v15, v1, v12
	s_and_b64 vcc, exec, s[26:27]
	v_cmp_ne_u64_e64 s[0:1], v[4:5], v[10:11]
	v_cmp_ne_u64_e64 s[2:3], v[2:3], v[4:5]
	;; [unrolled: 1-line block ×4, first 2 shown]
	ds_write_b64 v15, v[10:11]
	s_cbranch_vccz .LBB497_29
; %bb.26:
	v_cndmask_b32_e64 v12, 0, 1, s[2:3]
	v_cndmask_b32_e64 v13, 0, 1, s[10:11]
	;; [unrolled: 1-line block ×3, first 2 shown]
	v_lshlrev_b16_e32 v12, 8, v12
	v_or_b32_sdwa v12, v13, v12 dst_sel:WORD_1 dst_unused:UNUSED_PAD src0_sel:DWORD src1_sel:DWORD
	v_lshlrev_b16_e32 v13, 8, v14
	v_or_b32_e32 v13, 1, v13
	v_or_b32_sdwa v12, v13, v12 dst_sel:DWORD dst_unused:UNUSED_PAD src0_sel:WORD_0 src1_sel:DWORD
	v_cndmask_b32_e64 v13, 0, 1, s[0:1]
	v_cmp_ne_u32_e32 vcc, 0, v0
	s_waitcnt lgkmcnt(0)
	s_barrier
	s_waitcnt lgkmcnt(0)
                                        ; implicit-def: $sgpr0_sgpr1
                                        ; implicit-def: $vgpr14
	s_and_saveexec_b64 s[2:3], vcc
	s_xor_b64 s[2:3], exec, s[2:3]
	s_cbranch_execz .LBB497_28
; %bb.27:
	v_add_u32_e32 v14, -8, v15
	ds_read_b64 v[22:23], v14
	s_mov_b32 s0, 0x3020104
	v_perm_b32 v14, v12, v12, s0
	s_or_b64 s[14:15], s[14:15], exec
	s_waitcnt lgkmcnt(0)
	v_cmp_ne_u64_e32 vcc, v[22:23], v[6:7]
	s_and_b64 s[0:1], vcc, exec
.LBB497_28:
	s_or_b64 exec, exec, s[2:3]
	s_branch .LBB497_33
.LBB497_29:
                                        ; implicit-def: $sgpr0_sgpr1
                                        ; implicit-def: $vgpr13
                                        ; implicit-def: $vgpr14
	s_cbranch_execz .LBB497_33
; %bb.30:
	v_cmp_gt_u32_e64 s[2:3], s7, v20
	v_cmp_ne_u64_e64 s[8:9], v[2:3], v[4:5]
	s_and_b64 s[2:3], s[2:3], s[8:9]
	v_cndmask_b32_e64 v12, 0, 1, s[2:3]
	v_cmp_gt_u32_e64 s[2:3], s7, v17
	v_cmp_ne_u64_e64 s[8:9], v[8:9], v[2:3]
	s_and_b64 s[2:3], s[2:3], s[8:9]
	v_cndmask_b32_e64 v13, 0, 1, s[2:3]
	;; [unrolled: 4-line block ×3, first 2 shown]
	v_lshlrev_b16_e32 v12, 8, v12
	v_cmp_gt_u32_e32 vcc, s7, v18
	v_cmp_ne_u64_e64 s[0:1], v[4:5], v[10:11]
	v_or_b32_sdwa v12, v13, v12 dst_sel:WORD_1 dst_unused:UNUSED_PAD src0_sel:DWORD src1_sel:DWORD
	v_lshlrev_b16_e32 v13, 8, v14
	v_or_b32_e32 v13, 1, v13
	s_and_b64 s[0:1], vcc, s[0:1]
	v_or_b32_sdwa v12, v13, v12 dst_sel:DWORD dst_unused:UNUSED_PAD src0_sel:WORD_0 src1_sel:DWORD
	v_cndmask_b32_e64 v13, 0, 1, s[0:1]
	v_cmp_ne_u32_e32 vcc, 0, v0
	s_waitcnt lgkmcnt(0)
	s_barrier
	s_waitcnt lgkmcnt(0)
                                        ; implicit-def: $sgpr0_sgpr1
                                        ; implicit-def: $vgpr14
	s_and_saveexec_b64 s[2:3], vcc
	s_cbranch_execz .LBB497_32
; %bb.31:
	v_add_u32_e32 v14, -8, v15
	ds_read_b64 v[22:23], v14
	s_mov_b32 s0, 0x3020104
	v_cmp_gt_u32_e32 vcc, s7, v16
	v_perm_b32 v14, v12, v12, s0
	s_or_b64 s[14:15], s[14:15], exec
	s_waitcnt lgkmcnt(0)
	v_cmp_ne_u64_e64 s[0:1], v[22:23], v[6:7]
	s_and_b64 s[0:1], vcc, s[0:1]
	s_and_b64 s[0:1], s[0:1], exec
.LBB497_32:
	s_or_b64 exec, exec, s[2:3]
.LBB497_33:
	s_and_saveexec_b64 s[2:3], s[14:15]
	s_cbranch_execz .LBB497_35
; %bb.34:
	v_cndmask_b32_e64 v12, 0, 1, s[0:1]
	v_lshrrev_b32_e32 v15, 24, v14
	s_movk_i32 s0, 0xff
	v_lshlrev_b16_e32 v15, 8, v15
	v_and_b32_sdwa v21, v14, s0 dst_sel:DWORD dst_unused:UNUSED_PAD src0_sel:WORD_1 src1_sel:DWORD
	v_or_b32_sdwa v15, v21, v15 dst_sel:WORD_1 dst_unused:UNUSED_PAD src0_sel:DWORD src1_sel:DWORD
	v_mov_b32_e32 v21, 8
	v_lshrrev_b32_sdwa v14, v21, v14 dst_sel:BYTE_1 dst_unused:UNUSED_PAD src0_sel:DWORD src1_sel:DWORD
	v_or_b32_e32 v12, v12, v14
	s_mov_b32 s0, 0xffff
	v_or_b32_sdwa v12, v12, v15 dst_sel:DWORD dst_unused:UNUSED_PAD src0_sel:WORD_0 src1_sel:DWORD
	v_and_b32_sdwa v13, s0, v13 dst_sel:DWORD dst_unused:UNUSED_PAD src0_sel:DWORD src1_sel:BYTE_0
.LBB497_35:
	s_or_b64 exec, exec, s[2:3]
	s_load_dwordx2 s[28:29], s[4:5], 0x60
	s_andn2_b64 vcc, exec, s[12:13]
	s_cbranch_vccnz .LBB497_37
; %bb.36:
	v_cmp_gt_u32_e32 vcc, s7, v16
	v_cndmask_b32_e32 v14, 0, v12, vcc
	v_and_b32_e32 v14, 0xffff00ff, v14
	v_cmp_gt_u32_e64 s[0:1], s7, v19
	v_cndmask_b32_e64 v14, v14, v12, s[0:1]
	v_lshrrev_b32_e32 v15, 24, v14
	s_mov_b32 s2, 0x40c0100
	v_perm_b32 v14, v15, v14, s2
	v_cmp_gt_u32_e64 s[2:3], s7, v17
	v_cmp_gt_u32_e64 s[8:9], s7, v20
	v_cndmask_b32_e64 v14, v14, v12, s[2:3]
	s_or_b64 s[2:3], s[8:9], s[2:3]
	s_or_b64 s[0:1], s[2:3], s[0:1]
	s_or_b64 vcc, s[0:1], vcc
	v_and_b32_e32 v14, 0xffffff, v14
	v_cndmask_b32_e32 v15, 0, v13, vcc
	v_cndmask_b32_e64 v14, v14, v12, s[8:9]
	v_and_b32_e32 v15, 0xffffff00, v15
	v_cmp_gt_u32_e32 vcc, s7, v18
	v_cndmask_b32_e32 v12, v14, v12, vcc
	v_cndmask_b32_e32 v13, v15, v13, vcc
	s_mov_b32 s0, 0x3020104
	v_and_b32_e32 v13, 0xff, v13
	v_perm_b32 v12, v12, v12, s0
.LBB497_37:
	v_and_b32_e32 v25, 0xff, v12
	v_bfe_u32 v27, v12, 8, 8
	v_bfe_u32 v28, v12, 16, 8
	v_alignbit_b32 v14, v13, v12, 24
	v_and_b32_e32 v29, 0xff, v14
	v_and_b32_e32 v14, 0xff, v13
	v_add3_u32 v15, v27, v25, v28
	v_add3_u32 v32, v15, v29, v14
	v_mbcnt_lo_u32_b32 v14, -1, 0
	v_mbcnt_hi_u32_b32 v30, -1, v14
	v_and_b32_e32 v14, 15, v30
	v_cmp_eq_u32_e64 s[14:15], 0, v14
	v_cmp_lt_u32_e64 s[12:13], 1, v14
	v_cmp_lt_u32_e64 s[10:11], 3, v14
	;; [unrolled: 1-line block ×3, first 2 shown]
	v_and_b32_e32 v14, 16, v30
	v_cmp_eq_u32_e64 s[18:19], 0, v14
	v_or_b32_e32 v14, 63, v0
	v_cmp_lt_u32_e64 s[0:1], 31, v30
	v_lshrrev_b32_e32 v31, 6, v0
	v_cmp_eq_u32_e64 s[2:3], v14, v0
	s_and_b64 vcc, exec, s[16:17]
	s_waitcnt lgkmcnt(0)
	s_barrier
	s_cbranch_vccz .LBB497_68
; %bb.38:
	v_mov_b32_dpp v14, v32 row_shr:1 row_mask:0xf bank_mask:0xf
	v_cndmask_b32_e64 v14, v14, 0, s[14:15]
	v_add_u32_e32 v14, v14, v32
	s_nop 1
	v_mov_b32_dpp v15, v14 row_shr:2 row_mask:0xf bank_mask:0xf
	v_cndmask_b32_e64 v15, 0, v15, s[12:13]
	v_add_u32_e32 v14, v14, v15
	s_nop 1
	;; [unrolled: 4-line block ×4, first 2 shown]
	v_mov_b32_dpp v15, v14 row_bcast:15 row_mask:0xf bank_mask:0xf
	v_cndmask_b32_e64 v15, v15, 0, s[18:19]
	v_add_u32_e32 v14, v14, v15
	s_nop 1
	v_mov_b32_dpp v15, v14 row_bcast:31 row_mask:0xf bank_mask:0xf
	v_cndmask_b32_e64 v15, 0, v15, s[0:1]
	v_add_u32_e32 v14, v14, v15
	s_and_saveexec_b64 s[16:17], s[2:3]
	s_cbranch_execz .LBB497_40
; %bb.39:
	v_lshlrev_b32_e32 v15, 2, v31
	ds_write_b32 v15, v14
.LBB497_40:
	s_or_b64 exec, exec, s[16:17]
	v_cmp_gt_u32_e32 vcc, 4, v0
	s_waitcnt lgkmcnt(0)
	s_barrier
	s_and_saveexec_b64 s[16:17], vcc
	s_cbranch_execz .LBB497_42
; %bb.41:
	v_lshlrev_b32_e32 v15, 2, v0
	ds_read_b32 v16, v15
	v_and_b32_e32 v17, 3, v30
	v_cmp_ne_u32_e32 vcc, 0, v17
	s_waitcnt lgkmcnt(0)
	v_mov_b32_dpp v18, v16 row_shr:1 row_mask:0xf bank_mask:0xf
	v_cndmask_b32_e32 v18, 0, v18, vcc
	v_add_u32_e32 v16, v18, v16
	v_cmp_lt_u32_e32 vcc, 1, v17
	s_nop 0
	v_mov_b32_dpp v18, v16 row_shr:2 row_mask:0xf bank_mask:0xf
	v_cndmask_b32_e32 v17, 0, v18, vcc
	v_add_u32_e32 v16, v16, v17
	ds_write_b32 v15, v16
.LBB497_42:
	s_or_b64 exec, exec, s[16:17]
	v_cmp_gt_u32_e32 vcc, 64, v0
	v_cmp_lt_u32_e64 s[16:17], 63, v0
	s_waitcnt lgkmcnt(0)
	s_barrier
	s_waitcnt lgkmcnt(0)
                                        ; implicit-def: $vgpr24
	s_and_saveexec_b64 s[30:31], s[16:17]
	s_cbranch_execz .LBB497_44
; %bb.43:
	v_lshl_add_u32 v15, v31, 2, -4
	ds_read_b32 v24, v15
	s_waitcnt lgkmcnt(0)
	v_add_u32_e32 v14, v24, v14
.LBB497_44:
	s_or_b64 exec, exec, s[30:31]
	v_add_u32_e32 v15, -1, v30
	v_and_b32_e32 v16, 64, v30
	v_cmp_lt_i32_e64 s[16:17], v15, v16
	v_cndmask_b32_e64 v15, v15, v30, s[16:17]
	v_lshlrev_b32_e32 v15, 2, v15
	ds_bpermute_b32 v26, v15, v14
	v_cmp_eq_u32_e64 s[16:17], 0, v30
	s_and_saveexec_b64 s[30:31], vcc
	s_cbranch_execz .LBB497_67
; %bb.45:
	v_mov_b32_e32 v23, 0
	ds_read_b32 v14, v23 offset:12
	s_and_saveexec_b64 s[34:35], s[16:17]
	s_cbranch_execz .LBB497_47
; %bb.46:
	s_add_i32 s36, s6, 64
	s_mov_b32 s37, 0
	s_lshl_b64 s[36:37], s[36:37], 3
	s_add_u32 s36, s28, s36
	v_mov_b32_e32 v15, 1
	s_addc_u32 s37, s29, s37
	s_waitcnt lgkmcnt(0)
	global_store_dwordx2 v23, v[14:15], s[36:37]
.LBB497_47:
	s_or_b64 exec, exec, s[34:35]
	v_xad_u32 v16, v30, -1, s6
	v_add_u32_e32 v22, 64, v16
	v_lshlrev_b64 v[18:19], 3, v[22:23]
	v_mov_b32_e32 v15, s29
	v_add_co_u32_e32 v18, vcc, s28, v18
	v_addc_co_u32_e32 v19, vcc, v15, v19, vcc
	global_load_dwordx2 v[20:21], v[18:19], off glc
	s_waitcnt vmcnt(0)
	v_cmp_eq_u16_sdwa s[36:37], v21, v23 src0_sel:BYTE_0 src1_sel:DWORD
	s_and_saveexec_b64 s[34:35], s[36:37]
	s_cbranch_execz .LBB497_53
; %bb.48:
	s_mov_b32 s7, 1
	s_mov_b64 s[36:37], 0
	v_mov_b32_e32 v15, 0
.LBB497_49:                             ; =>This Loop Header: Depth=1
                                        ;     Child Loop BB497_50 Depth 2
	s_max_u32 s33, s7, 1
.LBB497_50:                             ;   Parent Loop BB497_49 Depth=1
                                        ; =>  This Inner Loop Header: Depth=2
	s_add_i32 s33, s33, -1
	s_cmp_eq_u32 s33, 0
	s_sleep 1
	s_cbranch_scc0 .LBB497_50
; %bb.51:                               ;   in Loop: Header=BB497_49 Depth=1
	global_load_dwordx2 v[20:21], v[18:19], off glc
	s_cmp_lt_u32 s7, 32
	s_cselect_b64 s[38:39], -1, 0
	s_cmp_lg_u64 s[38:39], 0
	s_addc_u32 s7, s7, 0
	s_waitcnt vmcnt(0)
	v_cmp_ne_u16_sdwa s[38:39], v21, v15 src0_sel:BYTE_0 src1_sel:DWORD
	s_or_b64 s[36:37], s[38:39], s[36:37]
	s_andn2_b64 exec, exec, s[36:37]
	s_cbranch_execnz .LBB497_49
; %bb.52:
	s_or_b64 exec, exec, s[36:37]
.LBB497_53:
	s_or_b64 exec, exec, s[34:35]
	v_and_b32_e32 v34, 63, v30
	v_mov_b32_e32 v33, 2
	v_cmp_ne_u32_e32 vcc, 63, v34
	v_cmp_eq_u16_sdwa s[34:35], v21, v33 src0_sel:BYTE_0 src1_sel:DWORD
	v_lshlrev_b64 v[18:19], v30, -1
	v_addc_co_u32_e32 v22, vcc, 0, v30, vcc
	v_and_b32_e32 v15, s35, v19
	v_lshlrev_b32_e32 v35, 2, v22
	v_or_b32_e32 v15, 0x80000000, v15
	ds_bpermute_b32 v22, v35, v20
	v_and_b32_e32 v17, s34, v18
	v_ffbl_b32_e32 v15, v15
	v_add_u32_e32 v15, 32, v15
	v_ffbl_b32_e32 v17, v17
	v_min_u32_e32 v15, v17, v15
	v_cmp_lt_u32_e32 vcc, v34, v15
	s_waitcnt lgkmcnt(0)
	v_cndmask_b32_e32 v17, 0, v22, vcc
	v_cmp_gt_u32_e32 vcc, 62, v34
	v_add_u32_e32 v17, v17, v20
	v_cndmask_b32_e64 v20, 0, 1, vcc
	v_lshlrev_b32_e32 v20, 1, v20
	v_add_lshl_u32 v36, v20, v30, 2
	ds_bpermute_b32 v20, v36, v17
	v_add_u32_e32 v37, 2, v34
	v_cmp_le_u32_e32 vcc, v37, v15
	v_add_u32_e32 v39, 4, v34
	v_add_u32_e32 v41, 8, v34
	s_waitcnt lgkmcnt(0)
	v_cndmask_b32_e32 v20, 0, v20, vcc
	v_cmp_gt_u32_e32 vcc, 60, v34
	v_add_u32_e32 v17, v17, v20
	v_cndmask_b32_e64 v20, 0, 1, vcc
	v_lshlrev_b32_e32 v20, 2, v20
	v_add_lshl_u32 v38, v20, v30, 2
	ds_bpermute_b32 v20, v38, v17
	v_cmp_le_u32_e32 vcc, v39, v15
	v_add_u32_e32 v43, 16, v34
	v_add_u32_e32 v45, 32, v34
	s_waitcnt lgkmcnt(0)
	v_cndmask_b32_e32 v20, 0, v20, vcc
	v_cmp_gt_u32_e32 vcc, 56, v34
	v_add_u32_e32 v17, v17, v20
	v_cndmask_b32_e64 v20, 0, 1, vcc
	v_lshlrev_b32_e32 v20, 3, v20
	v_add_lshl_u32 v40, v20, v30, 2
	ds_bpermute_b32 v20, v40, v17
	v_cmp_le_u32_e32 vcc, v41, v15
	s_waitcnt lgkmcnt(0)
	v_cndmask_b32_e32 v20, 0, v20, vcc
	v_cmp_gt_u32_e32 vcc, 48, v34
	v_add_u32_e32 v17, v17, v20
	v_cndmask_b32_e64 v20, 0, 1, vcc
	v_lshlrev_b32_e32 v20, 4, v20
	v_add_lshl_u32 v42, v20, v30, 2
	ds_bpermute_b32 v20, v42, v17
	v_cmp_le_u32_e32 vcc, v43, v15
	;; [unrolled: 9-line block ×3, first 2 shown]
	s_waitcnt lgkmcnt(0)
	v_cndmask_b32_e32 v15, 0, v20, vcc
	v_add_u32_e32 v20, v17, v15
	v_mov_b32_e32 v17, 0
	s_branch .LBB497_55
.LBB497_54:                             ;   in Loop: Header=BB497_55 Depth=1
	s_or_b64 exec, exec, s[34:35]
	v_cmp_eq_u16_sdwa s[34:35], v21, v33 src0_sel:BYTE_0 src1_sel:DWORD
	v_and_b32_e32 v22, s35, v19
	v_or_b32_e32 v22, 0x80000000, v22
	ds_bpermute_b32 v46, v35, v20
	v_and_b32_e32 v23, s34, v18
	v_ffbl_b32_e32 v22, v22
	v_add_u32_e32 v22, 32, v22
	v_ffbl_b32_e32 v23, v23
	v_min_u32_e32 v22, v23, v22
	v_cmp_lt_u32_e32 vcc, v34, v22
	s_waitcnt lgkmcnt(0)
	v_cndmask_b32_e32 v23, 0, v46, vcc
	v_add_u32_e32 v20, v23, v20
	ds_bpermute_b32 v23, v36, v20
	v_cmp_le_u32_e32 vcc, v37, v22
	v_subrev_u32_e32 v16, 64, v16
	s_waitcnt lgkmcnt(0)
	v_cndmask_b32_e32 v23, 0, v23, vcc
	v_add_u32_e32 v20, v20, v23
	ds_bpermute_b32 v23, v38, v20
	v_cmp_le_u32_e32 vcc, v39, v22
	s_waitcnt lgkmcnt(0)
	v_cndmask_b32_e32 v23, 0, v23, vcc
	v_add_u32_e32 v20, v20, v23
	ds_bpermute_b32 v23, v40, v20
	v_cmp_le_u32_e32 vcc, v41, v22
	s_waitcnt lgkmcnt(0)
	v_cndmask_b32_e32 v23, 0, v23, vcc
	v_add_u32_e32 v20, v20, v23
	ds_bpermute_b32 v23, v42, v20
	v_cmp_le_u32_e32 vcc, v43, v22
	s_waitcnt lgkmcnt(0)
	v_cndmask_b32_e32 v23, 0, v23, vcc
	v_add_u32_e32 v20, v20, v23
	ds_bpermute_b32 v23, v44, v20
	v_cmp_le_u32_e32 vcc, v45, v22
	s_waitcnt lgkmcnt(0)
	v_cndmask_b32_e32 v22, 0, v23, vcc
	v_add3_u32 v20, v22, v15, v20
.LBB497_55:                             ; =>This Loop Header: Depth=1
                                        ;     Child Loop BB497_58 Depth 2
                                        ;       Child Loop BB497_59 Depth 3
	v_cmp_ne_u16_sdwa s[34:35], v21, v33 src0_sel:BYTE_0 src1_sel:DWORD
	v_cndmask_b32_e64 v15, 0, 1, s[34:35]
	;;#ASMSTART
	;;#ASMEND
	v_cmp_ne_u32_e32 vcc, 0, v15
	s_cmp_lg_u64 vcc, exec
	v_mov_b32_e32 v15, v20
	s_cbranch_scc1 .LBB497_62
; %bb.56:                               ;   in Loop: Header=BB497_55 Depth=1
	v_lshlrev_b64 v[20:21], 3, v[16:17]
	v_mov_b32_e32 v23, s29
	v_add_co_u32_e32 v22, vcc, s28, v20
	v_addc_co_u32_e32 v23, vcc, v23, v21, vcc
	global_load_dwordx2 v[20:21], v[22:23], off glc
	s_waitcnt vmcnt(0)
	v_cmp_eq_u16_sdwa s[36:37], v21, v17 src0_sel:BYTE_0 src1_sel:DWORD
	s_and_saveexec_b64 s[34:35], s[36:37]
	s_cbranch_execz .LBB497_54
; %bb.57:                               ;   in Loop: Header=BB497_55 Depth=1
	s_mov_b32 s7, 1
	s_mov_b64 s[36:37], 0
.LBB497_58:                             ;   Parent Loop BB497_55 Depth=1
                                        ; =>  This Loop Header: Depth=2
                                        ;       Child Loop BB497_59 Depth 3
	s_max_u32 s33, s7, 1
.LBB497_59:                             ;   Parent Loop BB497_55 Depth=1
                                        ;     Parent Loop BB497_58 Depth=2
                                        ; =>    This Inner Loop Header: Depth=3
	s_add_i32 s33, s33, -1
	s_cmp_eq_u32 s33, 0
	s_sleep 1
	s_cbranch_scc0 .LBB497_59
; %bb.60:                               ;   in Loop: Header=BB497_58 Depth=2
	global_load_dwordx2 v[20:21], v[22:23], off glc
	s_cmp_lt_u32 s7, 32
	s_cselect_b64 s[38:39], -1, 0
	s_cmp_lg_u64 s[38:39], 0
	s_addc_u32 s7, s7, 0
	s_waitcnt vmcnt(0)
	v_cmp_ne_u16_sdwa s[38:39], v21, v17 src0_sel:BYTE_0 src1_sel:DWORD
	s_or_b64 s[36:37], s[38:39], s[36:37]
	s_andn2_b64 exec, exec, s[36:37]
	s_cbranch_execnz .LBB497_58
; %bb.61:                               ;   in Loop: Header=BB497_55 Depth=1
	s_or_b64 exec, exec, s[36:37]
	s_branch .LBB497_54
.LBB497_62:                             ;   in Loop: Header=BB497_55 Depth=1
                                        ; implicit-def: $vgpr20
                                        ; implicit-def: $vgpr21
	s_cbranch_execz .LBB497_55
; %bb.63:
	s_and_saveexec_b64 s[34:35], s[16:17]
	s_cbranch_execz .LBB497_65
; %bb.64:
	s_add_i32 s6, s6, 64
	s_mov_b32 s7, 0
	s_lshl_b64 s[6:7], s[6:7], 3
	s_add_u32 s6, s28, s6
	v_add_u32_e32 v16, v15, v14
	v_mov_b32_e32 v17, 2
	s_addc_u32 s7, s29, s7
	v_mov_b32_e32 v18, 0
	global_store_dwordx2 v18, v[16:17], s[6:7]
	ds_write_b64 v18, v[14:15] offset:10240
.LBB497_65:
	s_or_b64 exec, exec, s[34:35]
	v_cmp_eq_u32_e32 vcc, 0, v0
	s_and_b64 exec, exec, vcc
	s_cbranch_execz .LBB497_67
; %bb.66:
	v_mov_b32_e32 v14, 0
	ds_write_b32 v14, v15 offset:12
.LBB497_67:
	s_or_b64 exec, exec, s[30:31]
	v_mov_b32_e32 v14, 0
	s_waitcnt lgkmcnt(0)
	s_barrier
	ds_read_b32 v15, v14 offset:12
	v_cndmask_b32_e64 v16, v26, v24, s[16:17]
	v_cmp_ne_u32_e32 vcc, 0, v0
	v_cndmask_b32_e32 v16, 0, v16, vcc
	s_waitcnt lgkmcnt(0)
	v_add_u32_e32 v26, v15, v16
	s_barrier
	ds_read_b64 v[14:15], v14 offset:10240
	v_add_u32_e32 v24, v26, v25
	v_add_u32_e32 v22, v24, v27
	;; [unrolled: 1-line block ×4, first 2 shown]
	s_load_dwordx2 s[4:5], s[4:5], 0x28
	v_lshrrev_b64 v[16:17], 24, v[12:13]
	s_branch .LBB497_78
.LBB497_68:
                                        ; implicit-def: $vgpr15
                                        ; implicit-def: $vgpr18
                                        ; implicit-def: $vgpr20
                                        ; implicit-def: $vgpr22
                                        ; implicit-def: $vgpr24
                                        ; implicit-def: $vgpr26
	s_load_dwordx2 s[4:5], s[4:5], 0x28
	v_lshrrev_b64 v[16:17], 24, v[12:13]
	s_cbranch_execz .LBB497_78
; %bb.69:
	s_waitcnt lgkmcnt(0)
	v_mov_b32_dpp v14, v32 row_shr:1 row_mask:0xf bank_mask:0xf
	v_cndmask_b32_e64 v14, v14, 0, s[14:15]
	v_add_u32_e32 v14, v14, v32
	s_nop 1
	v_mov_b32_dpp v15, v14 row_shr:2 row_mask:0xf bank_mask:0xf
	v_cndmask_b32_e64 v15, 0, v15, s[12:13]
	v_add_u32_e32 v14, v14, v15
	s_nop 1
	v_mov_b32_dpp v15, v14 row_shr:4 row_mask:0xf bank_mask:0xf
	v_cndmask_b32_e64 v15, 0, v15, s[10:11]
	v_add_u32_e32 v14, v14, v15
	s_nop 1
	v_mov_b32_dpp v15, v14 row_shr:8 row_mask:0xf bank_mask:0xf
	v_cndmask_b32_e64 v15, 0, v15, s[8:9]
	v_add_u32_e32 v14, v14, v15
	s_nop 1
	v_mov_b32_dpp v15, v14 row_bcast:15 row_mask:0xf bank_mask:0xf
	v_cndmask_b32_e64 v15, v15, 0, s[18:19]
	v_add_u32_e32 v14, v14, v15
	s_nop 1
	v_mov_b32_dpp v15, v14 row_bcast:31 row_mask:0xf bank_mask:0xf
	v_cndmask_b32_e64 v15, 0, v15, s[0:1]
	v_add_u32_e32 v14, v14, v15
	s_and_saveexec_b64 s[0:1], s[2:3]
	s_cbranch_execz .LBB497_71
; %bb.70:
	v_lshlrev_b32_e32 v15, 2, v31
	ds_write_b32 v15, v14
.LBB497_71:
	s_or_b64 exec, exec, s[0:1]
	v_cmp_gt_u32_e32 vcc, 4, v0
	s_waitcnt lgkmcnt(0)
	s_barrier
	s_and_saveexec_b64 s[0:1], vcc
	s_cbranch_execz .LBB497_73
; %bb.72:
	s_movk_i32 s2, 0xffdc
	v_mad_i32_i24 v1, v0, s2, v1
	ds_read_b32 v15, v1
	v_and_b32_e32 v17, 3, v30
	v_cmp_ne_u32_e32 vcc, 0, v17
	s_waitcnt lgkmcnt(0)
	v_mov_b32_dpp v18, v15 row_shr:1 row_mask:0xf bank_mask:0xf
	v_cndmask_b32_e32 v18, 0, v18, vcc
	v_add_u32_e32 v15, v18, v15
	v_cmp_lt_u32_e32 vcc, 1, v17
	s_nop 0
	v_mov_b32_dpp v18, v15 row_shr:2 row_mask:0xf bank_mask:0xf
	v_cndmask_b32_e32 v17, 0, v18, vcc
	v_add_u32_e32 v15, v15, v17
	ds_write_b32 v1, v15
.LBB497_73:
	s_or_b64 exec, exec, s[0:1]
	v_cmp_lt_u32_e32 vcc, 63, v0
	v_mov_b32_e32 v15, 0
	v_mov_b32_e32 v1, 0
	s_waitcnt lgkmcnt(0)
	s_barrier
	s_and_saveexec_b64 s[0:1], vcc
	s_cbranch_execz .LBB497_75
; %bb.74:
	v_lshl_add_u32 v1, v31, 2, -4
	ds_read_b32 v1, v1
.LBB497_75:
	s_or_b64 exec, exec, s[0:1]
	v_add_u32_e32 v17, -1, v30
	v_and_b32_e32 v18, 64, v30
	v_cmp_lt_i32_e32 vcc, v17, v18
	v_cndmask_b32_e32 v17, v17, v30, vcc
	s_waitcnt lgkmcnt(0)
	v_add_u32_e32 v14, v1, v14
	v_lshlrev_b32_e32 v17, 2, v17
	ds_bpermute_b32 v17, v17, v14
	ds_read_b32 v14, v15 offset:12
	v_cmp_eq_u32_e32 vcc, 0, v0
	s_and_saveexec_b64 s[0:1], vcc
	s_cbranch_execz .LBB497_77
; %bb.76:
	v_mov_b32_e32 v18, 0
	v_mov_b32_e32 v15, 2
	s_waitcnt lgkmcnt(0)
	global_store_dwordx2 v18, v[14:15], s[28:29] offset:512
.LBB497_77:
	s_or_b64 exec, exec, s[0:1]
	v_cmp_eq_u32_e64 s[0:1], 0, v30
	s_waitcnt lgkmcnt(1)
	v_cndmask_b32_e64 v1, v17, v1, s[0:1]
	v_cndmask_b32_e64 v26, v1, 0, vcc
	v_add_u32_e32 v24, v26, v25
	v_add_u32_e32 v22, v24, v27
	;; [unrolled: 1-line block ×3, first 2 shown]
	v_mov_b32_e32 v15, 0
	v_add_u32_e32 v18, v20, v29
	s_waitcnt lgkmcnt(0)
	s_barrier
.LBB497_78:
	s_movk_i32 s0, 0x101
	s_waitcnt lgkmcnt(0)
	v_cmp_gt_u32_e32 vcc, s0, v14
	v_lshrrev_b32_e32 v1, 8, v12
	s_mov_b64 s[0:1], -1
	s_cbranch_vccnz .LBB497_82
; %bb.79:
	s_and_b64 vcc, exec, s[0:1]
	s_cbranch_vccnz .LBB497_98
.LBB497_80:
	v_cmp_eq_u32_e32 vcc, 0, v0
	s_and_b64 s[0:1], vcc, s[24:25]
	s_and_saveexec_b64 s[2:3], s[0:1]
	s_cbranch_execnz .LBB497_112
.LBB497_81:
	s_endpgm
.LBB497_82:
	v_add_u32_e32 v17, v15, v14
	v_cmp_lt_u32_e32 vcc, v26, v17
	s_or_b64 s[2:3], s[26:27], vcc
	s_and_saveexec_b64 s[0:1], s[2:3]
	s_cbranch_execz .LBB497_85
; %bb.83:
	v_and_b32_e32 v19, 1, v12
	v_cmp_eq_u32_e32 vcc, 1, v19
	s_and_b64 exec, exec, vcc
	s_cbranch_execz .LBB497_85
; %bb.84:
	s_lshl_b64 s[2:3], s[22:23], 3
	s_add_u32 s2, s4, s2
	v_mov_b32_e32 v27, 0
	s_addc_u32 s3, s5, s3
	v_lshlrev_b64 v[28:29], 3, v[26:27]
	v_mov_b32_e32 v19, s3
	v_add_co_u32_e32 v28, vcc, s2, v28
	v_addc_co_u32_e32 v29, vcc, v19, v29, vcc
	global_store_dwordx2 v[28:29], v[6:7], off
.LBB497_85:
	s_or_b64 exec, exec, s[0:1]
	v_cmp_lt_u32_e32 vcc, v24, v17
	s_or_b64 s[2:3], s[26:27], vcc
	s_and_saveexec_b64 s[0:1], s[2:3]
	s_cbranch_execz .LBB497_88
; %bb.86:
	v_and_b32_e32 v19, 1, v1
	v_cmp_eq_u32_e32 vcc, 1, v19
	s_and_b64 exec, exec, vcc
	s_cbranch_execz .LBB497_88
; %bb.87:
	s_lshl_b64 s[2:3], s[22:23], 3
	s_add_u32 s2, s4, s2
	v_mov_b32_e32 v25, 0
	s_addc_u32 s3, s5, s3
	v_lshlrev_b64 v[28:29], 3, v[24:25]
	v_mov_b32_e32 v19, s3
	v_add_co_u32_e32 v28, vcc, s2, v28
	v_addc_co_u32_e32 v29, vcc, v19, v29, vcc
	global_store_dwordx2 v[28:29], v[8:9], off
.LBB497_88:
	s_or_b64 exec, exec, s[0:1]
	v_cmp_lt_u32_e32 vcc, v22, v17
	s_or_b64 s[2:3], s[26:27], vcc
	s_and_saveexec_b64 s[0:1], s[2:3]
	s_cbranch_execz .LBB497_91
; %bb.89:
	v_mov_b32_e32 v19, 1
	v_and_b32_sdwa v19, v19, v12 dst_sel:DWORD dst_unused:UNUSED_PAD src0_sel:DWORD src1_sel:WORD_1
	v_cmp_eq_u32_e32 vcc, 1, v19
	s_and_b64 exec, exec, vcc
	s_cbranch_execz .LBB497_91
; %bb.90:
	s_lshl_b64 s[2:3], s[22:23], 3
	s_add_u32 s2, s4, s2
	v_mov_b32_e32 v23, 0
	s_addc_u32 s3, s5, s3
	v_lshlrev_b64 v[28:29], 3, v[22:23]
	v_mov_b32_e32 v19, s3
	v_add_co_u32_e32 v28, vcc, s2, v28
	v_addc_co_u32_e32 v29, vcc, v19, v29, vcc
	global_store_dwordx2 v[28:29], v[2:3], off
.LBB497_91:
	s_or_b64 exec, exec, s[0:1]
	v_cmp_lt_u32_e32 vcc, v20, v17
	s_or_b64 s[2:3], s[26:27], vcc
	s_and_saveexec_b64 s[0:1], s[2:3]
	s_cbranch_execz .LBB497_94
; %bb.92:
	v_and_b32_e32 v19, 1, v16
	v_cmp_eq_u32_e32 vcc, 1, v19
	s_and_b64 exec, exec, vcc
	s_cbranch_execz .LBB497_94
; %bb.93:
	s_lshl_b64 s[2:3], s[22:23], 3
	s_add_u32 s2, s4, s2
	v_mov_b32_e32 v21, 0
	s_addc_u32 s3, s5, s3
	v_lshlrev_b64 v[28:29], 3, v[20:21]
	v_mov_b32_e32 v19, s3
	v_add_co_u32_e32 v28, vcc, s2, v28
	v_addc_co_u32_e32 v29, vcc, v19, v29, vcc
	global_store_dwordx2 v[28:29], v[4:5], off
.LBB497_94:
	s_or_b64 exec, exec, s[0:1]
	v_cmp_lt_u32_e32 vcc, v18, v17
	s_or_b64 s[2:3], s[26:27], vcc
	s_and_saveexec_b64 s[0:1], s[2:3]
	s_cbranch_execz .LBB497_97
; %bb.95:
	v_and_b32_e32 v17, 1, v13
	v_cmp_eq_u32_e32 vcc, 1, v17
	s_and_b64 exec, exec, vcc
	s_cbranch_execz .LBB497_97
; %bb.96:
	s_lshl_b64 s[2:3], s[22:23], 3
	s_add_u32 s2, s4, s2
	v_mov_b32_e32 v19, 0
	s_addc_u32 s3, s5, s3
	v_lshlrev_b64 v[28:29], 3, v[18:19]
	v_mov_b32_e32 v17, s3
	v_add_co_u32_e32 v28, vcc, s2, v28
	v_addc_co_u32_e32 v29, vcc, v17, v29, vcc
	global_store_dwordx2 v[28:29], v[10:11], off
.LBB497_97:
	s_or_b64 exec, exec, s[0:1]
	s_branch .LBB497_80
.LBB497_98:
	v_and_b32_e32 v17, 1, v12
	v_cmp_eq_u32_e32 vcc, 1, v17
	s_and_saveexec_b64 s[0:1], vcc
	s_cbranch_execz .LBB497_100
; %bb.99:
	v_sub_u32_e32 v17, v26, v15
	v_lshlrev_b32_e32 v17, 3, v17
	ds_write_b64 v17, v[6:7]
.LBB497_100:
	s_or_b64 exec, exec, s[0:1]
	v_and_b32_e32 v1, 1, v1
	v_cmp_eq_u32_e32 vcc, 1, v1
	s_and_saveexec_b64 s[0:1], vcc
	s_cbranch_execz .LBB497_102
; %bb.101:
	v_sub_u32_e32 v1, v24, v15
	v_lshlrev_b32_e32 v1, 3, v1
	ds_write_b64 v1, v[8:9]
.LBB497_102:
	s_or_b64 exec, exec, s[0:1]
	v_mov_b32_e32 v1, 1
	v_and_b32_sdwa v1, v1, v12 dst_sel:DWORD dst_unused:UNUSED_PAD src0_sel:DWORD src1_sel:WORD_1
	v_cmp_eq_u32_e32 vcc, 1, v1
	s_and_saveexec_b64 s[0:1], vcc
	s_cbranch_execz .LBB497_104
; %bb.103:
	v_sub_u32_e32 v1, v22, v15
	v_lshlrev_b32_e32 v1, 3, v1
	ds_write_b64 v1, v[2:3]
.LBB497_104:
	s_or_b64 exec, exec, s[0:1]
	v_and_b32_e32 v1, 1, v16
	v_cmp_eq_u32_e32 vcc, 1, v1
	s_and_saveexec_b64 s[0:1], vcc
	s_cbranch_execz .LBB497_106
; %bb.105:
	v_sub_u32_e32 v1, v20, v15
	v_lshlrev_b32_e32 v1, 3, v1
	ds_write_b64 v1, v[4:5]
.LBB497_106:
	s_or_b64 exec, exec, s[0:1]
	v_and_b32_e32 v1, 1, v13
	v_cmp_eq_u32_e32 vcc, 1, v1
	s_and_saveexec_b64 s[0:1], vcc
	s_cbranch_execz .LBB497_108
; %bb.107:
	v_sub_u32_e32 v1, v18, v15
	v_lshlrev_b32_e32 v1, 3, v1
	ds_write_b64 v1, v[10:11]
.LBB497_108:
	s_or_b64 exec, exec, s[0:1]
	v_cmp_lt_u32_e32 vcc, v0, v14
	s_waitcnt lgkmcnt(0)
	s_barrier
	s_and_saveexec_b64 s[0:1], vcc
	s_cbranch_execz .LBB497_111
; %bb.109:
	v_mov_b32_e32 v3, 0
	v_mov_b32_e32 v2, v15
	v_lshlrev_b64 v[4:5], 3, v[2:3]
	v_mov_b32_e32 v1, s5
	v_add_co_u32_e32 v2, vcc, s4, v4
	v_addc_co_u32_e32 v4, vcc, v1, v5, vcc
	s_lshl_b64 s[2:3], s[22:23], 3
	v_mov_b32_e32 v5, s3
	v_add_co_u32_e32 v1, vcc, s2, v2
	v_addc_co_u32_e32 v4, vcc, v4, v5, vcc
	v_lshlrev_b32_e32 v5, 3, v0
	s_mov_b64 s[2:3], 0
	v_mov_b32_e32 v2, v0
.LBB497_110:                            ; =>This Inner Loop Header: Depth=1
	ds_read_b64 v[6:7], v5
	v_lshlrev_b64 v[8:9], 3, v[2:3]
	v_add_co_u32_e32 v8, vcc, v1, v8
	v_add_u32_e32 v2, 0x100, v2
	v_addc_co_u32_e32 v9, vcc, v4, v9, vcc
	v_cmp_ge_u32_e32 vcc, v2, v14
	v_add_u32_e32 v5, 0x800, v5
	s_or_b64 s[2:3], vcc, s[2:3]
	s_waitcnt lgkmcnt(0)
	global_store_dwordx2 v[8:9], v[6:7], off
	s_andn2_b64 exec, exec, s[2:3]
	s_cbranch_execnz .LBB497_110
.LBB497_111:
	s_or_b64 exec, exec, s[0:1]
	v_cmp_eq_u32_e32 vcc, 0, v0
	s_and_b64 s[0:1], vcc, s[24:25]
	s_and_saveexec_b64 s[2:3], s[0:1]
	s_cbranch_execz .LBB497_81
.LBB497_112:
	v_mov_b32_e32 v0, s23
	v_add_co_u32_e32 v1, vcc, s22, v14
	v_addc_co_u32_e32 v3, vcc, 0, v0, vcc
	v_add_co_u32_e32 v0, vcc, v1, v15
	v_mov_b32_e32 v2, 0
	v_addc_co_u32_e32 v1, vcc, 0, v3, vcc
	global_store_dwordx2 v2, v[0:1], s[20:21]
	s_endpgm
	.section	.rodata,"a",@progbits
	.p2align	6, 0x0
	.amdhsa_kernel _ZN7rocprim17ROCPRIM_400000_NS6detail17trampoline_kernelINS0_14default_configENS1_25partition_config_selectorILNS1_17partition_subalgoE8ElNS0_10empty_typeEbEEZZNS1_14partition_implILS5_8ELb0ES3_jPKlPS6_PKS6_NS0_5tupleIJPlS6_EEENSE_IJSB_SB_EEENS0_18inequality_wrapperIN6hipcub16HIPCUB_304000_NS8EqualityEEESF_JS6_EEE10hipError_tPvRmT3_T4_T5_T6_T7_T9_mT8_P12ihipStream_tbDpT10_ENKUlT_T0_E_clISt17integral_constantIbLb1EES15_IbLb0EEEEDaS11_S12_EUlS11_E_NS1_11comp_targetILNS1_3genE4ELNS1_11target_archE910ELNS1_3gpuE8ELNS1_3repE0EEENS1_30default_config_static_selectorELNS0_4arch9wavefront6targetE1EEEvT1_
		.amdhsa_group_segment_fixed_size 10248
		.amdhsa_private_segment_fixed_size 0
		.amdhsa_kernarg_size 112
		.amdhsa_user_sgpr_count 6
		.amdhsa_user_sgpr_private_segment_buffer 1
		.amdhsa_user_sgpr_dispatch_ptr 0
		.amdhsa_user_sgpr_queue_ptr 0
		.amdhsa_user_sgpr_kernarg_segment_ptr 1
		.amdhsa_user_sgpr_dispatch_id 0
		.amdhsa_user_sgpr_flat_scratch_init 0
		.amdhsa_user_sgpr_kernarg_preload_length 0
		.amdhsa_user_sgpr_kernarg_preload_offset 0
		.amdhsa_user_sgpr_private_segment_size 0
		.amdhsa_uses_dynamic_stack 0
		.amdhsa_system_sgpr_private_segment_wavefront_offset 0
		.amdhsa_system_sgpr_workgroup_id_x 1
		.amdhsa_system_sgpr_workgroup_id_y 0
		.amdhsa_system_sgpr_workgroup_id_z 0
		.amdhsa_system_sgpr_workgroup_info 0
		.amdhsa_system_vgpr_workitem_id 0
		.amdhsa_next_free_vgpr 47
		.amdhsa_next_free_sgpr 40
		.amdhsa_accum_offset 48
		.amdhsa_reserve_vcc 1
		.amdhsa_reserve_flat_scratch 0
		.amdhsa_float_round_mode_32 0
		.amdhsa_float_round_mode_16_64 0
		.amdhsa_float_denorm_mode_32 3
		.amdhsa_float_denorm_mode_16_64 3
		.amdhsa_dx10_clamp 1
		.amdhsa_ieee_mode 1
		.amdhsa_fp16_overflow 0
		.amdhsa_tg_split 0
		.amdhsa_exception_fp_ieee_invalid_op 0
		.amdhsa_exception_fp_denorm_src 0
		.amdhsa_exception_fp_ieee_div_zero 0
		.amdhsa_exception_fp_ieee_overflow 0
		.amdhsa_exception_fp_ieee_underflow 0
		.amdhsa_exception_fp_ieee_inexact 0
		.amdhsa_exception_int_div_zero 0
	.end_amdhsa_kernel
	.section	.text._ZN7rocprim17ROCPRIM_400000_NS6detail17trampoline_kernelINS0_14default_configENS1_25partition_config_selectorILNS1_17partition_subalgoE8ElNS0_10empty_typeEbEEZZNS1_14partition_implILS5_8ELb0ES3_jPKlPS6_PKS6_NS0_5tupleIJPlS6_EEENSE_IJSB_SB_EEENS0_18inequality_wrapperIN6hipcub16HIPCUB_304000_NS8EqualityEEESF_JS6_EEE10hipError_tPvRmT3_T4_T5_T6_T7_T9_mT8_P12ihipStream_tbDpT10_ENKUlT_T0_E_clISt17integral_constantIbLb1EES15_IbLb0EEEEDaS11_S12_EUlS11_E_NS1_11comp_targetILNS1_3genE4ELNS1_11target_archE910ELNS1_3gpuE8ELNS1_3repE0EEENS1_30default_config_static_selectorELNS0_4arch9wavefront6targetE1EEEvT1_,"axG",@progbits,_ZN7rocprim17ROCPRIM_400000_NS6detail17trampoline_kernelINS0_14default_configENS1_25partition_config_selectorILNS1_17partition_subalgoE8ElNS0_10empty_typeEbEEZZNS1_14partition_implILS5_8ELb0ES3_jPKlPS6_PKS6_NS0_5tupleIJPlS6_EEENSE_IJSB_SB_EEENS0_18inequality_wrapperIN6hipcub16HIPCUB_304000_NS8EqualityEEESF_JS6_EEE10hipError_tPvRmT3_T4_T5_T6_T7_T9_mT8_P12ihipStream_tbDpT10_ENKUlT_T0_E_clISt17integral_constantIbLb1EES15_IbLb0EEEEDaS11_S12_EUlS11_E_NS1_11comp_targetILNS1_3genE4ELNS1_11target_archE910ELNS1_3gpuE8ELNS1_3repE0EEENS1_30default_config_static_selectorELNS0_4arch9wavefront6targetE1EEEvT1_,comdat
.Lfunc_end497:
	.size	_ZN7rocprim17ROCPRIM_400000_NS6detail17trampoline_kernelINS0_14default_configENS1_25partition_config_selectorILNS1_17partition_subalgoE8ElNS0_10empty_typeEbEEZZNS1_14partition_implILS5_8ELb0ES3_jPKlPS6_PKS6_NS0_5tupleIJPlS6_EEENSE_IJSB_SB_EEENS0_18inequality_wrapperIN6hipcub16HIPCUB_304000_NS8EqualityEEESF_JS6_EEE10hipError_tPvRmT3_T4_T5_T6_T7_T9_mT8_P12ihipStream_tbDpT10_ENKUlT_T0_E_clISt17integral_constantIbLb1EES15_IbLb0EEEEDaS11_S12_EUlS11_E_NS1_11comp_targetILNS1_3genE4ELNS1_11target_archE910ELNS1_3gpuE8ELNS1_3repE0EEENS1_30default_config_static_selectorELNS0_4arch9wavefront6targetE1EEEvT1_, .Lfunc_end497-_ZN7rocprim17ROCPRIM_400000_NS6detail17trampoline_kernelINS0_14default_configENS1_25partition_config_selectorILNS1_17partition_subalgoE8ElNS0_10empty_typeEbEEZZNS1_14partition_implILS5_8ELb0ES3_jPKlPS6_PKS6_NS0_5tupleIJPlS6_EEENSE_IJSB_SB_EEENS0_18inequality_wrapperIN6hipcub16HIPCUB_304000_NS8EqualityEEESF_JS6_EEE10hipError_tPvRmT3_T4_T5_T6_T7_T9_mT8_P12ihipStream_tbDpT10_ENKUlT_T0_E_clISt17integral_constantIbLb1EES15_IbLb0EEEEDaS11_S12_EUlS11_E_NS1_11comp_targetILNS1_3genE4ELNS1_11target_archE910ELNS1_3gpuE8ELNS1_3repE0EEENS1_30default_config_static_selectorELNS0_4arch9wavefront6targetE1EEEvT1_
                                        ; -- End function
	.section	.AMDGPU.csdata,"",@progbits
; Kernel info:
; codeLenInByte = 4632
; NumSgprs: 44
; NumVgprs: 47
; NumAgprs: 0
; TotalNumVgprs: 47
; ScratchSize: 0
; MemoryBound: 0
; FloatMode: 240
; IeeeMode: 1
; LDSByteSize: 10248 bytes/workgroup (compile time only)
; SGPRBlocks: 5
; VGPRBlocks: 5
; NumSGPRsForWavesPerEU: 44
; NumVGPRsForWavesPerEU: 47
; AccumOffset: 48
; Occupancy: 6
; WaveLimiterHint : 1
; COMPUTE_PGM_RSRC2:SCRATCH_EN: 0
; COMPUTE_PGM_RSRC2:USER_SGPR: 6
; COMPUTE_PGM_RSRC2:TRAP_HANDLER: 0
; COMPUTE_PGM_RSRC2:TGID_X_EN: 1
; COMPUTE_PGM_RSRC2:TGID_Y_EN: 0
; COMPUTE_PGM_RSRC2:TGID_Z_EN: 0
; COMPUTE_PGM_RSRC2:TIDIG_COMP_CNT: 0
; COMPUTE_PGM_RSRC3_GFX90A:ACCUM_OFFSET: 11
; COMPUTE_PGM_RSRC3_GFX90A:TG_SPLIT: 0
	.section	.text._ZN7rocprim17ROCPRIM_400000_NS6detail17trampoline_kernelINS0_14default_configENS1_25partition_config_selectorILNS1_17partition_subalgoE8ElNS0_10empty_typeEbEEZZNS1_14partition_implILS5_8ELb0ES3_jPKlPS6_PKS6_NS0_5tupleIJPlS6_EEENSE_IJSB_SB_EEENS0_18inequality_wrapperIN6hipcub16HIPCUB_304000_NS8EqualityEEESF_JS6_EEE10hipError_tPvRmT3_T4_T5_T6_T7_T9_mT8_P12ihipStream_tbDpT10_ENKUlT_T0_E_clISt17integral_constantIbLb1EES15_IbLb0EEEEDaS11_S12_EUlS11_E_NS1_11comp_targetILNS1_3genE3ELNS1_11target_archE908ELNS1_3gpuE7ELNS1_3repE0EEENS1_30default_config_static_selectorELNS0_4arch9wavefront6targetE1EEEvT1_,"axG",@progbits,_ZN7rocprim17ROCPRIM_400000_NS6detail17trampoline_kernelINS0_14default_configENS1_25partition_config_selectorILNS1_17partition_subalgoE8ElNS0_10empty_typeEbEEZZNS1_14partition_implILS5_8ELb0ES3_jPKlPS6_PKS6_NS0_5tupleIJPlS6_EEENSE_IJSB_SB_EEENS0_18inequality_wrapperIN6hipcub16HIPCUB_304000_NS8EqualityEEESF_JS6_EEE10hipError_tPvRmT3_T4_T5_T6_T7_T9_mT8_P12ihipStream_tbDpT10_ENKUlT_T0_E_clISt17integral_constantIbLb1EES15_IbLb0EEEEDaS11_S12_EUlS11_E_NS1_11comp_targetILNS1_3genE3ELNS1_11target_archE908ELNS1_3gpuE7ELNS1_3repE0EEENS1_30default_config_static_selectorELNS0_4arch9wavefront6targetE1EEEvT1_,comdat
	.protected	_ZN7rocprim17ROCPRIM_400000_NS6detail17trampoline_kernelINS0_14default_configENS1_25partition_config_selectorILNS1_17partition_subalgoE8ElNS0_10empty_typeEbEEZZNS1_14partition_implILS5_8ELb0ES3_jPKlPS6_PKS6_NS0_5tupleIJPlS6_EEENSE_IJSB_SB_EEENS0_18inequality_wrapperIN6hipcub16HIPCUB_304000_NS8EqualityEEESF_JS6_EEE10hipError_tPvRmT3_T4_T5_T6_T7_T9_mT8_P12ihipStream_tbDpT10_ENKUlT_T0_E_clISt17integral_constantIbLb1EES15_IbLb0EEEEDaS11_S12_EUlS11_E_NS1_11comp_targetILNS1_3genE3ELNS1_11target_archE908ELNS1_3gpuE7ELNS1_3repE0EEENS1_30default_config_static_selectorELNS0_4arch9wavefront6targetE1EEEvT1_ ; -- Begin function _ZN7rocprim17ROCPRIM_400000_NS6detail17trampoline_kernelINS0_14default_configENS1_25partition_config_selectorILNS1_17partition_subalgoE8ElNS0_10empty_typeEbEEZZNS1_14partition_implILS5_8ELb0ES3_jPKlPS6_PKS6_NS0_5tupleIJPlS6_EEENSE_IJSB_SB_EEENS0_18inequality_wrapperIN6hipcub16HIPCUB_304000_NS8EqualityEEESF_JS6_EEE10hipError_tPvRmT3_T4_T5_T6_T7_T9_mT8_P12ihipStream_tbDpT10_ENKUlT_T0_E_clISt17integral_constantIbLb1EES15_IbLb0EEEEDaS11_S12_EUlS11_E_NS1_11comp_targetILNS1_3genE3ELNS1_11target_archE908ELNS1_3gpuE7ELNS1_3repE0EEENS1_30default_config_static_selectorELNS0_4arch9wavefront6targetE1EEEvT1_
	.globl	_ZN7rocprim17ROCPRIM_400000_NS6detail17trampoline_kernelINS0_14default_configENS1_25partition_config_selectorILNS1_17partition_subalgoE8ElNS0_10empty_typeEbEEZZNS1_14partition_implILS5_8ELb0ES3_jPKlPS6_PKS6_NS0_5tupleIJPlS6_EEENSE_IJSB_SB_EEENS0_18inequality_wrapperIN6hipcub16HIPCUB_304000_NS8EqualityEEESF_JS6_EEE10hipError_tPvRmT3_T4_T5_T6_T7_T9_mT8_P12ihipStream_tbDpT10_ENKUlT_T0_E_clISt17integral_constantIbLb1EES15_IbLb0EEEEDaS11_S12_EUlS11_E_NS1_11comp_targetILNS1_3genE3ELNS1_11target_archE908ELNS1_3gpuE7ELNS1_3repE0EEENS1_30default_config_static_selectorELNS0_4arch9wavefront6targetE1EEEvT1_
	.p2align	8
	.type	_ZN7rocprim17ROCPRIM_400000_NS6detail17trampoline_kernelINS0_14default_configENS1_25partition_config_selectorILNS1_17partition_subalgoE8ElNS0_10empty_typeEbEEZZNS1_14partition_implILS5_8ELb0ES3_jPKlPS6_PKS6_NS0_5tupleIJPlS6_EEENSE_IJSB_SB_EEENS0_18inequality_wrapperIN6hipcub16HIPCUB_304000_NS8EqualityEEESF_JS6_EEE10hipError_tPvRmT3_T4_T5_T6_T7_T9_mT8_P12ihipStream_tbDpT10_ENKUlT_T0_E_clISt17integral_constantIbLb1EES15_IbLb0EEEEDaS11_S12_EUlS11_E_NS1_11comp_targetILNS1_3genE3ELNS1_11target_archE908ELNS1_3gpuE7ELNS1_3repE0EEENS1_30default_config_static_selectorELNS0_4arch9wavefront6targetE1EEEvT1_,@function
_ZN7rocprim17ROCPRIM_400000_NS6detail17trampoline_kernelINS0_14default_configENS1_25partition_config_selectorILNS1_17partition_subalgoE8ElNS0_10empty_typeEbEEZZNS1_14partition_implILS5_8ELb0ES3_jPKlPS6_PKS6_NS0_5tupleIJPlS6_EEENSE_IJSB_SB_EEENS0_18inequality_wrapperIN6hipcub16HIPCUB_304000_NS8EqualityEEESF_JS6_EEE10hipError_tPvRmT3_T4_T5_T6_T7_T9_mT8_P12ihipStream_tbDpT10_ENKUlT_T0_E_clISt17integral_constantIbLb1EES15_IbLb0EEEEDaS11_S12_EUlS11_E_NS1_11comp_targetILNS1_3genE3ELNS1_11target_archE908ELNS1_3gpuE7ELNS1_3repE0EEENS1_30default_config_static_selectorELNS0_4arch9wavefront6targetE1EEEvT1_: ; @_ZN7rocprim17ROCPRIM_400000_NS6detail17trampoline_kernelINS0_14default_configENS1_25partition_config_selectorILNS1_17partition_subalgoE8ElNS0_10empty_typeEbEEZZNS1_14partition_implILS5_8ELb0ES3_jPKlPS6_PKS6_NS0_5tupleIJPlS6_EEENSE_IJSB_SB_EEENS0_18inequality_wrapperIN6hipcub16HIPCUB_304000_NS8EqualityEEESF_JS6_EEE10hipError_tPvRmT3_T4_T5_T6_T7_T9_mT8_P12ihipStream_tbDpT10_ENKUlT_T0_E_clISt17integral_constantIbLb1EES15_IbLb0EEEEDaS11_S12_EUlS11_E_NS1_11comp_targetILNS1_3genE3ELNS1_11target_archE908ELNS1_3gpuE7ELNS1_3repE0EEENS1_30default_config_static_selectorELNS0_4arch9wavefront6targetE1EEEvT1_
; %bb.0:
	.section	.rodata,"a",@progbits
	.p2align	6, 0x0
	.amdhsa_kernel _ZN7rocprim17ROCPRIM_400000_NS6detail17trampoline_kernelINS0_14default_configENS1_25partition_config_selectorILNS1_17partition_subalgoE8ElNS0_10empty_typeEbEEZZNS1_14partition_implILS5_8ELb0ES3_jPKlPS6_PKS6_NS0_5tupleIJPlS6_EEENSE_IJSB_SB_EEENS0_18inequality_wrapperIN6hipcub16HIPCUB_304000_NS8EqualityEEESF_JS6_EEE10hipError_tPvRmT3_T4_T5_T6_T7_T9_mT8_P12ihipStream_tbDpT10_ENKUlT_T0_E_clISt17integral_constantIbLb1EES15_IbLb0EEEEDaS11_S12_EUlS11_E_NS1_11comp_targetILNS1_3genE3ELNS1_11target_archE908ELNS1_3gpuE7ELNS1_3repE0EEENS1_30default_config_static_selectorELNS0_4arch9wavefront6targetE1EEEvT1_
		.amdhsa_group_segment_fixed_size 0
		.amdhsa_private_segment_fixed_size 0
		.amdhsa_kernarg_size 112
		.amdhsa_user_sgpr_count 6
		.amdhsa_user_sgpr_private_segment_buffer 1
		.amdhsa_user_sgpr_dispatch_ptr 0
		.amdhsa_user_sgpr_queue_ptr 0
		.amdhsa_user_sgpr_kernarg_segment_ptr 1
		.amdhsa_user_sgpr_dispatch_id 0
		.amdhsa_user_sgpr_flat_scratch_init 0
		.amdhsa_user_sgpr_kernarg_preload_length 0
		.amdhsa_user_sgpr_kernarg_preload_offset 0
		.amdhsa_user_sgpr_private_segment_size 0
		.amdhsa_uses_dynamic_stack 0
		.amdhsa_system_sgpr_private_segment_wavefront_offset 0
		.amdhsa_system_sgpr_workgroup_id_x 1
		.amdhsa_system_sgpr_workgroup_id_y 0
		.amdhsa_system_sgpr_workgroup_id_z 0
		.amdhsa_system_sgpr_workgroup_info 0
		.amdhsa_system_vgpr_workitem_id 0
		.amdhsa_next_free_vgpr 1
		.amdhsa_next_free_sgpr 0
		.amdhsa_accum_offset 4
		.amdhsa_reserve_vcc 0
		.amdhsa_reserve_flat_scratch 0
		.amdhsa_float_round_mode_32 0
		.amdhsa_float_round_mode_16_64 0
		.amdhsa_float_denorm_mode_32 3
		.amdhsa_float_denorm_mode_16_64 3
		.amdhsa_dx10_clamp 1
		.amdhsa_ieee_mode 1
		.amdhsa_fp16_overflow 0
		.amdhsa_tg_split 0
		.amdhsa_exception_fp_ieee_invalid_op 0
		.amdhsa_exception_fp_denorm_src 0
		.amdhsa_exception_fp_ieee_div_zero 0
		.amdhsa_exception_fp_ieee_overflow 0
		.amdhsa_exception_fp_ieee_underflow 0
		.amdhsa_exception_fp_ieee_inexact 0
		.amdhsa_exception_int_div_zero 0
	.end_amdhsa_kernel
	.section	.text._ZN7rocprim17ROCPRIM_400000_NS6detail17trampoline_kernelINS0_14default_configENS1_25partition_config_selectorILNS1_17partition_subalgoE8ElNS0_10empty_typeEbEEZZNS1_14partition_implILS5_8ELb0ES3_jPKlPS6_PKS6_NS0_5tupleIJPlS6_EEENSE_IJSB_SB_EEENS0_18inequality_wrapperIN6hipcub16HIPCUB_304000_NS8EqualityEEESF_JS6_EEE10hipError_tPvRmT3_T4_T5_T6_T7_T9_mT8_P12ihipStream_tbDpT10_ENKUlT_T0_E_clISt17integral_constantIbLb1EES15_IbLb0EEEEDaS11_S12_EUlS11_E_NS1_11comp_targetILNS1_3genE3ELNS1_11target_archE908ELNS1_3gpuE7ELNS1_3repE0EEENS1_30default_config_static_selectorELNS0_4arch9wavefront6targetE1EEEvT1_,"axG",@progbits,_ZN7rocprim17ROCPRIM_400000_NS6detail17trampoline_kernelINS0_14default_configENS1_25partition_config_selectorILNS1_17partition_subalgoE8ElNS0_10empty_typeEbEEZZNS1_14partition_implILS5_8ELb0ES3_jPKlPS6_PKS6_NS0_5tupleIJPlS6_EEENSE_IJSB_SB_EEENS0_18inequality_wrapperIN6hipcub16HIPCUB_304000_NS8EqualityEEESF_JS6_EEE10hipError_tPvRmT3_T4_T5_T6_T7_T9_mT8_P12ihipStream_tbDpT10_ENKUlT_T0_E_clISt17integral_constantIbLb1EES15_IbLb0EEEEDaS11_S12_EUlS11_E_NS1_11comp_targetILNS1_3genE3ELNS1_11target_archE908ELNS1_3gpuE7ELNS1_3repE0EEENS1_30default_config_static_selectorELNS0_4arch9wavefront6targetE1EEEvT1_,comdat
.Lfunc_end498:
	.size	_ZN7rocprim17ROCPRIM_400000_NS6detail17trampoline_kernelINS0_14default_configENS1_25partition_config_selectorILNS1_17partition_subalgoE8ElNS0_10empty_typeEbEEZZNS1_14partition_implILS5_8ELb0ES3_jPKlPS6_PKS6_NS0_5tupleIJPlS6_EEENSE_IJSB_SB_EEENS0_18inequality_wrapperIN6hipcub16HIPCUB_304000_NS8EqualityEEESF_JS6_EEE10hipError_tPvRmT3_T4_T5_T6_T7_T9_mT8_P12ihipStream_tbDpT10_ENKUlT_T0_E_clISt17integral_constantIbLb1EES15_IbLb0EEEEDaS11_S12_EUlS11_E_NS1_11comp_targetILNS1_3genE3ELNS1_11target_archE908ELNS1_3gpuE7ELNS1_3repE0EEENS1_30default_config_static_selectorELNS0_4arch9wavefront6targetE1EEEvT1_, .Lfunc_end498-_ZN7rocprim17ROCPRIM_400000_NS6detail17trampoline_kernelINS0_14default_configENS1_25partition_config_selectorILNS1_17partition_subalgoE8ElNS0_10empty_typeEbEEZZNS1_14partition_implILS5_8ELb0ES3_jPKlPS6_PKS6_NS0_5tupleIJPlS6_EEENSE_IJSB_SB_EEENS0_18inequality_wrapperIN6hipcub16HIPCUB_304000_NS8EqualityEEESF_JS6_EEE10hipError_tPvRmT3_T4_T5_T6_T7_T9_mT8_P12ihipStream_tbDpT10_ENKUlT_T0_E_clISt17integral_constantIbLb1EES15_IbLb0EEEEDaS11_S12_EUlS11_E_NS1_11comp_targetILNS1_3genE3ELNS1_11target_archE908ELNS1_3gpuE7ELNS1_3repE0EEENS1_30default_config_static_selectorELNS0_4arch9wavefront6targetE1EEEvT1_
                                        ; -- End function
	.section	.AMDGPU.csdata,"",@progbits
; Kernel info:
; codeLenInByte = 0
; NumSgprs: 4
; NumVgprs: 0
; NumAgprs: 0
; TotalNumVgprs: 0
; ScratchSize: 0
; MemoryBound: 0
; FloatMode: 240
; IeeeMode: 1
; LDSByteSize: 0 bytes/workgroup (compile time only)
; SGPRBlocks: 0
; VGPRBlocks: 0
; NumSGPRsForWavesPerEU: 4
; NumVGPRsForWavesPerEU: 1
; AccumOffset: 4
; Occupancy: 8
; WaveLimiterHint : 0
; COMPUTE_PGM_RSRC2:SCRATCH_EN: 0
; COMPUTE_PGM_RSRC2:USER_SGPR: 6
; COMPUTE_PGM_RSRC2:TRAP_HANDLER: 0
; COMPUTE_PGM_RSRC2:TGID_X_EN: 1
; COMPUTE_PGM_RSRC2:TGID_Y_EN: 0
; COMPUTE_PGM_RSRC2:TGID_Z_EN: 0
; COMPUTE_PGM_RSRC2:TIDIG_COMP_CNT: 0
; COMPUTE_PGM_RSRC3_GFX90A:ACCUM_OFFSET: 0
; COMPUTE_PGM_RSRC3_GFX90A:TG_SPLIT: 0
	.section	.text._ZN7rocprim17ROCPRIM_400000_NS6detail17trampoline_kernelINS0_14default_configENS1_25partition_config_selectorILNS1_17partition_subalgoE8ElNS0_10empty_typeEbEEZZNS1_14partition_implILS5_8ELb0ES3_jPKlPS6_PKS6_NS0_5tupleIJPlS6_EEENSE_IJSB_SB_EEENS0_18inequality_wrapperIN6hipcub16HIPCUB_304000_NS8EqualityEEESF_JS6_EEE10hipError_tPvRmT3_T4_T5_T6_T7_T9_mT8_P12ihipStream_tbDpT10_ENKUlT_T0_E_clISt17integral_constantIbLb1EES15_IbLb0EEEEDaS11_S12_EUlS11_E_NS1_11comp_targetILNS1_3genE2ELNS1_11target_archE906ELNS1_3gpuE6ELNS1_3repE0EEENS1_30default_config_static_selectorELNS0_4arch9wavefront6targetE1EEEvT1_,"axG",@progbits,_ZN7rocprim17ROCPRIM_400000_NS6detail17trampoline_kernelINS0_14default_configENS1_25partition_config_selectorILNS1_17partition_subalgoE8ElNS0_10empty_typeEbEEZZNS1_14partition_implILS5_8ELb0ES3_jPKlPS6_PKS6_NS0_5tupleIJPlS6_EEENSE_IJSB_SB_EEENS0_18inequality_wrapperIN6hipcub16HIPCUB_304000_NS8EqualityEEESF_JS6_EEE10hipError_tPvRmT3_T4_T5_T6_T7_T9_mT8_P12ihipStream_tbDpT10_ENKUlT_T0_E_clISt17integral_constantIbLb1EES15_IbLb0EEEEDaS11_S12_EUlS11_E_NS1_11comp_targetILNS1_3genE2ELNS1_11target_archE906ELNS1_3gpuE6ELNS1_3repE0EEENS1_30default_config_static_selectorELNS0_4arch9wavefront6targetE1EEEvT1_,comdat
	.protected	_ZN7rocprim17ROCPRIM_400000_NS6detail17trampoline_kernelINS0_14default_configENS1_25partition_config_selectorILNS1_17partition_subalgoE8ElNS0_10empty_typeEbEEZZNS1_14partition_implILS5_8ELb0ES3_jPKlPS6_PKS6_NS0_5tupleIJPlS6_EEENSE_IJSB_SB_EEENS0_18inequality_wrapperIN6hipcub16HIPCUB_304000_NS8EqualityEEESF_JS6_EEE10hipError_tPvRmT3_T4_T5_T6_T7_T9_mT8_P12ihipStream_tbDpT10_ENKUlT_T0_E_clISt17integral_constantIbLb1EES15_IbLb0EEEEDaS11_S12_EUlS11_E_NS1_11comp_targetILNS1_3genE2ELNS1_11target_archE906ELNS1_3gpuE6ELNS1_3repE0EEENS1_30default_config_static_selectorELNS0_4arch9wavefront6targetE1EEEvT1_ ; -- Begin function _ZN7rocprim17ROCPRIM_400000_NS6detail17trampoline_kernelINS0_14default_configENS1_25partition_config_selectorILNS1_17partition_subalgoE8ElNS0_10empty_typeEbEEZZNS1_14partition_implILS5_8ELb0ES3_jPKlPS6_PKS6_NS0_5tupleIJPlS6_EEENSE_IJSB_SB_EEENS0_18inequality_wrapperIN6hipcub16HIPCUB_304000_NS8EqualityEEESF_JS6_EEE10hipError_tPvRmT3_T4_T5_T6_T7_T9_mT8_P12ihipStream_tbDpT10_ENKUlT_T0_E_clISt17integral_constantIbLb1EES15_IbLb0EEEEDaS11_S12_EUlS11_E_NS1_11comp_targetILNS1_3genE2ELNS1_11target_archE906ELNS1_3gpuE6ELNS1_3repE0EEENS1_30default_config_static_selectorELNS0_4arch9wavefront6targetE1EEEvT1_
	.globl	_ZN7rocprim17ROCPRIM_400000_NS6detail17trampoline_kernelINS0_14default_configENS1_25partition_config_selectorILNS1_17partition_subalgoE8ElNS0_10empty_typeEbEEZZNS1_14partition_implILS5_8ELb0ES3_jPKlPS6_PKS6_NS0_5tupleIJPlS6_EEENSE_IJSB_SB_EEENS0_18inequality_wrapperIN6hipcub16HIPCUB_304000_NS8EqualityEEESF_JS6_EEE10hipError_tPvRmT3_T4_T5_T6_T7_T9_mT8_P12ihipStream_tbDpT10_ENKUlT_T0_E_clISt17integral_constantIbLb1EES15_IbLb0EEEEDaS11_S12_EUlS11_E_NS1_11comp_targetILNS1_3genE2ELNS1_11target_archE906ELNS1_3gpuE6ELNS1_3repE0EEENS1_30default_config_static_selectorELNS0_4arch9wavefront6targetE1EEEvT1_
	.p2align	8
	.type	_ZN7rocprim17ROCPRIM_400000_NS6detail17trampoline_kernelINS0_14default_configENS1_25partition_config_selectorILNS1_17partition_subalgoE8ElNS0_10empty_typeEbEEZZNS1_14partition_implILS5_8ELb0ES3_jPKlPS6_PKS6_NS0_5tupleIJPlS6_EEENSE_IJSB_SB_EEENS0_18inequality_wrapperIN6hipcub16HIPCUB_304000_NS8EqualityEEESF_JS6_EEE10hipError_tPvRmT3_T4_T5_T6_T7_T9_mT8_P12ihipStream_tbDpT10_ENKUlT_T0_E_clISt17integral_constantIbLb1EES15_IbLb0EEEEDaS11_S12_EUlS11_E_NS1_11comp_targetILNS1_3genE2ELNS1_11target_archE906ELNS1_3gpuE6ELNS1_3repE0EEENS1_30default_config_static_selectorELNS0_4arch9wavefront6targetE1EEEvT1_,@function
_ZN7rocprim17ROCPRIM_400000_NS6detail17trampoline_kernelINS0_14default_configENS1_25partition_config_selectorILNS1_17partition_subalgoE8ElNS0_10empty_typeEbEEZZNS1_14partition_implILS5_8ELb0ES3_jPKlPS6_PKS6_NS0_5tupleIJPlS6_EEENSE_IJSB_SB_EEENS0_18inequality_wrapperIN6hipcub16HIPCUB_304000_NS8EqualityEEESF_JS6_EEE10hipError_tPvRmT3_T4_T5_T6_T7_T9_mT8_P12ihipStream_tbDpT10_ENKUlT_T0_E_clISt17integral_constantIbLb1EES15_IbLb0EEEEDaS11_S12_EUlS11_E_NS1_11comp_targetILNS1_3genE2ELNS1_11target_archE906ELNS1_3gpuE6ELNS1_3repE0EEENS1_30default_config_static_selectorELNS0_4arch9wavefront6targetE1EEEvT1_: ; @_ZN7rocprim17ROCPRIM_400000_NS6detail17trampoline_kernelINS0_14default_configENS1_25partition_config_selectorILNS1_17partition_subalgoE8ElNS0_10empty_typeEbEEZZNS1_14partition_implILS5_8ELb0ES3_jPKlPS6_PKS6_NS0_5tupleIJPlS6_EEENSE_IJSB_SB_EEENS0_18inequality_wrapperIN6hipcub16HIPCUB_304000_NS8EqualityEEESF_JS6_EEE10hipError_tPvRmT3_T4_T5_T6_T7_T9_mT8_P12ihipStream_tbDpT10_ENKUlT_T0_E_clISt17integral_constantIbLb1EES15_IbLb0EEEEDaS11_S12_EUlS11_E_NS1_11comp_targetILNS1_3genE2ELNS1_11target_archE906ELNS1_3gpuE6ELNS1_3repE0EEENS1_30default_config_static_selectorELNS0_4arch9wavefront6targetE1EEEvT1_
; %bb.0:
	.section	.rodata,"a",@progbits
	.p2align	6, 0x0
	.amdhsa_kernel _ZN7rocprim17ROCPRIM_400000_NS6detail17trampoline_kernelINS0_14default_configENS1_25partition_config_selectorILNS1_17partition_subalgoE8ElNS0_10empty_typeEbEEZZNS1_14partition_implILS5_8ELb0ES3_jPKlPS6_PKS6_NS0_5tupleIJPlS6_EEENSE_IJSB_SB_EEENS0_18inequality_wrapperIN6hipcub16HIPCUB_304000_NS8EqualityEEESF_JS6_EEE10hipError_tPvRmT3_T4_T5_T6_T7_T9_mT8_P12ihipStream_tbDpT10_ENKUlT_T0_E_clISt17integral_constantIbLb1EES15_IbLb0EEEEDaS11_S12_EUlS11_E_NS1_11comp_targetILNS1_3genE2ELNS1_11target_archE906ELNS1_3gpuE6ELNS1_3repE0EEENS1_30default_config_static_selectorELNS0_4arch9wavefront6targetE1EEEvT1_
		.amdhsa_group_segment_fixed_size 0
		.amdhsa_private_segment_fixed_size 0
		.amdhsa_kernarg_size 112
		.amdhsa_user_sgpr_count 6
		.amdhsa_user_sgpr_private_segment_buffer 1
		.amdhsa_user_sgpr_dispatch_ptr 0
		.amdhsa_user_sgpr_queue_ptr 0
		.amdhsa_user_sgpr_kernarg_segment_ptr 1
		.amdhsa_user_sgpr_dispatch_id 0
		.amdhsa_user_sgpr_flat_scratch_init 0
		.amdhsa_user_sgpr_kernarg_preload_length 0
		.amdhsa_user_sgpr_kernarg_preload_offset 0
		.amdhsa_user_sgpr_private_segment_size 0
		.amdhsa_uses_dynamic_stack 0
		.amdhsa_system_sgpr_private_segment_wavefront_offset 0
		.amdhsa_system_sgpr_workgroup_id_x 1
		.amdhsa_system_sgpr_workgroup_id_y 0
		.amdhsa_system_sgpr_workgroup_id_z 0
		.amdhsa_system_sgpr_workgroup_info 0
		.amdhsa_system_vgpr_workitem_id 0
		.amdhsa_next_free_vgpr 1
		.amdhsa_next_free_sgpr 0
		.amdhsa_accum_offset 4
		.amdhsa_reserve_vcc 0
		.amdhsa_reserve_flat_scratch 0
		.amdhsa_float_round_mode_32 0
		.amdhsa_float_round_mode_16_64 0
		.amdhsa_float_denorm_mode_32 3
		.amdhsa_float_denorm_mode_16_64 3
		.amdhsa_dx10_clamp 1
		.amdhsa_ieee_mode 1
		.amdhsa_fp16_overflow 0
		.amdhsa_tg_split 0
		.amdhsa_exception_fp_ieee_invalid_op 0
		.amdhsa_exception_fp_denorm_src 0
		.amdhsa_exception_fp_ieee_div_zero 0
		.amdhsa_exception_fp_ieee_overflow 0
		.amdhsa_exception_fp_ieee_underflow 0
		.amdhsa_exception_fp_ieee_inexact 0
		.amdhsa_exception_int_div_zero 0
	.end_amdhsa_kernel
	.section	.text._ZN7rocprim17ROCPRIM_400000_NS6detail17trampoline_kernelINS0_14default_configENS1_25partition_config_selectorILNS1_17partition_subalgoE8ElNS0_10empty_typeEbEEZZNS1_14partition_implILS5_8ELb0ES3_jPKlPS6_PKS6_NS0_5tupleIJPlS6_EEENSE_IJSB_SB_EEENS0_18inequality_wrapperIN6hipcub16HIPCUB_304000_NS8EqualityEEESF_JS6_EEE10hipError_tPvRmT3_T4_T5_T6_T7_T9_mT8_P12ihipStream_tbDpT10_ENKUlT_T0_E_clISt17integral_constantIbLb1EES15_IbLb0EEEEDaS11_S12_EUlS11_E_NS1_11comp_targetILNS1_3genE2ELNS1_11target_archE906ELNS1_3gpuE6ELNS1_3repE0EEENS1_30default_config_static_selectorELNS0_4arch9wavefront6targetE1EEEvT1_,"axG",@progbits,_ZN7rocprim17ROCPRIM_400000_NS6detail17trampoline_kernelINS0_14default_configENS1_25partition_config_selectorILNS1_17partition_subalgoE8ElNS0_10empty_typeEbEEZZNS1_14partition_implILS5_8ELb0ES3_jPKlPS6_PKS6_NS0_5tupleIJPlS6_EEENSE_IJSB_SB_EEENS0_18inequality_wrapperIN6hipcub16HIPCUB_304000_NS8EqualityEEESF_JS6_EEE10hipError_tPvRmT3_T4_T5_T6_T7_T9_mT8_P12ihipStream_tbDpT10_ENKUlT_T0_E_clISt17integral_constantIbLb1EES15_IbLb0EEEEDaS11_S12_EUlS11_E_NS1_11comp_targetILNS1_3genE2ELNS1_11target_archE906ELNS1_3gpuE6ELNS1_3repE0EEENS1_30default_config_static_selectorELNS0_4arch9wavefront6targetE1EEEvT1_,comdat
.Lfunc_end499:
	.size	_ZN7rocprim17ROCPRIM_400000_NS6detail17trampoline_kernelINS0_14default_configENS1_25partition_config_selectorILNS1_17partition_subalgoE8ElNS0_10empty_typeEbEEZZNS1_14partition_implILS5_8ELb0ES3_jPKlPS6_PKS6_NS0_5tupleIJPlS6_EEENSE_IJSB_SB_EEENS0_18inequality_wrapperIN6hipcub16HIPCUB_304000_NS8EqualityEEESF_JS6_EEE10hipError_tPvRmT3_T4_T5_T6_T7_T9_mT8_P12ihipStream_tbDpT10_ENKUlT_T0_E_clISt17integral_constantIbLb1EES15_IbLb0EEEEDaS11_S12_EUlS11_E_NS1_11comp_targetILNS1_3genE2ELNS1_11target_archE906ELNS1_3gpuE6ELNS1_3repE0EEENS1_30default_config_static_selectorELNS0_4arch9wavefront6targetE1EEEvT1_, .Lfunc_end499-_ZN7rocprim17ROCPRIM_400000_NS6detail17trampoline_kernelINS0_14default_configENS1_25partition_config_selectorILNS1_17partition_subalgoE8ElNS0_10empty_typeEbEEZZNS1_14partition_implILS5_8ELb0ES3_jPKlPS6_PKS6_NS0_5tupleIJPlS6_EEENSE_IJSB_SB_EEENS0_18inequality_wrapperIN6hipcub16HIPCUB_304000_NS8EqualityEEESF_JS6_EEE10hipError_tPvRmT3_T4_T5_T6_T7_T9_mT8_P12ihipStream_tbDpT10_ENKUlT_T0_E_clISt17integral_constantIbLb1EES15_IbLb0EEEEDaS11_S12_EUlS11_E_NS1_11comp_targetILNS1_3genE2ELNS1_11target_archE906ELNS1_3gpuE6ELNS1_3repE0EEENS1_30default_config_static_selectorELNS0_4arch9wavefront6targetE1EEEvT1_
                                        ; -- End function
	.section	.AMDGPU.csdata,"",@progbits
; Kernel info:
; codeLenInByte = 0
; NumSgprs: 4
; NumVgprs: 0
; NumAgprs: 0
; TotalNumVgprs: 0
; ScratchSize: 0
; MemoryBound: 0
; FloatMode: 240
; IeeeMode: 1
; LDSByteSize: 0 bytes/workgroup (compile time only)
; SGPRBlocks: 0
; VGPRBlocks: 0
; NumSGPRsForWavesPerEU: 4
; NumVGPRsForWavesPerEU: 1
; AccumOffset: 4
; Occupancy: 8
; WaveLimiterHint : 0
; COMPUTE_PGM_RSRC2:SCRATCH_EN: 0
; COMPUTE_PGM_RSRC2:USER_SGPR: 6
; COMPUTE_PGM_RSRC2:TRAP_HANDLER: 0
; COMPUTE_PGM_RSRC2:TGID_X_EN: 1
; COMPUTE_PGM_RSRC2:TGID_Y_EN: 0
; COMPUTE_PGM_RSRC2:TGID_Z_EN: 0
; COMPUTE_PGM_RSRC2:TIDIG_COMP_CNT: 0
; COMPUTE_PGM_RSRC3_GFX90A:ACCUM_OFFSET: 0
; COMPUTE_PGM_RSRC3_GFX90A:TG_SPLIT: 0
	.section	.text._ZN7rocprim17ROCPRIM_400000_NS6detail17trampoline_kernelINS0_14default_configENS1_25partition_config_selectorILNS1_17partition_subalgoE8ElNS0_10empty_typeEbEEZZNS1_14partition_implILS5_8ELb0ES3_jPKlPS6_PKS6_NS0_5tupleIJPlS6_EEENSE_IJSB_SB_EEENS0_18inequality_wrapperIN6hipcub16HIPCUB_304000_NS8EqualityEEESF_JS6_EEE10hipError_tPvRmT3_T4_T5_T6_T7_T9_mT8_P12ihipStream_tbDpT10_ENKUlT_T0_E_clISt17integral_constantIbLb1EES15_IbLb0EEEEDaS11_S12_EUlS11_E_NS1_11comp_targetILNS1_3genE10ELNS1_11target_archE1200ELNS1_3gpuE4ELNS1_3repE0EEENS1_30default_config_static_selectorELNS0_4arch9wavefront6targetE1EEEvT1_,"axG",@progbits,_ZN7rocprim17ROCPRIM_400000_NS6detail17trampoline_kernelINS0_14default_configENS1_25partition_config_selectorILNS1_17partition_subalgoE8ElNS0_10empty_typeEbEEZZNS1_14partition_implILS5_8ELb0ES3_jPKlPS6_PKS6_NS0_5tupleIJPlS6_EEENSE_IJSB_SB_EEENS0_18inequality_wrapperIN6hipcub16HIPCUB_304000_NS8EqualityEEESF_JS6_EEE10hipError_tPvRmT3_T4_T5_T6_T7_T9_mT8_P12ihipStream_tbDpT10_ENKUlT_T0_E_clISt17integral_constantIbLb1EES15_IbLb0EEEEDaS11_S12_EUlS11_E_NS1_11comp_targetILNS1_3genE10ELNS1_11target_archE1200ELNS1_3gpuE4ELNS1_3repE0EEENS1_30default_config_static_selectorELNS0_4arch9wavefront6targetE1EEEvT1_,comdat
	.protected	_ZN7rocprim17ROCPRIM_400000_NS6detail17trampoline_kernelINS0_14default_configENS1_25partition_config_selectorILNS1_17partition_subalgoE8ElNS0_10empty_typeEbEEZZNS1_14partition_implILS5_8ELb0ES3_jPKlPS6_PKS6_NS0_5tupleIJPlS6_EEENSE_IJSB_SB_EEENS0_18inequality_wrapperIN6hipcub16HIPCUB_304000_NS8EqualityEEESF_JS6_EEE10hipError_tPvRmT3_T4_T5_T6_T7_T9_mT8_P12ihipStream_tbDpT10_ENKUlT_T0_E_clISt17integral_constantIbLb1EES15_IbLb0EEEEDaS11_S12_EUlS11_E_NS1_11comp_targetILNS1_3genE10ELNS1_11target_archE1200ELNS1_3gpuE4ELNS1_3repE0EEENS1_30default_config_static_selectorELNS0_4arch9wavefront6targetE1EEEvT1_ ; -- Begin function _ZN7rocprim17ROCPRIM_400000_NS6detail17trampoline_kernelINS0_14default_configENS1_25partition_config_selectorILNS1_17partition_subalgoE8ElNS0_10empty_typeEbEEZZNS1_14partition_implILS5_8ELb0ES3_jPKlPS6_PKS6_NS0_5tupleIJPlS6_EEENSE_IJSB_SB_EEENS0_18inequality_wrapperIN6hipcub16HIPCUB_304000_NS8EqualityEEESF_JS6_EEE10hipError_tPvRmT3_T4_T5_T6_T7_T9_mT8_P12ihipStream_tbDpT10_ENKUlT_T0_E_clISt17integral_constantIbLb1EES15_IbLb0EEEEDaS11_S12_EUlS11_E_NS1_11comp_targetILNS1_3genE10ELNS1_11target_archE1200ELNS1_3gpuE4ELNS1_3repE0EEENS1_30default_config_static_selectorELNS0_4arch9wavefront6targetE1EEEvT1_
	.globl	_ZN7rocprim17ROCPRIM_400000_NS6detail17trampoline_kernelINS0_14default_configENS1_25partition_config_selectorILNS1_17partition_subalgoE8ElNS0_10empty_typeEbEEZZNS1_14partition_implILS5_8ELb0ES3_jPKlPS6_PKS6_NS0_5tupleIJPlS6_EEENSE_IJSB_SB_EEENS0_18inequality_wrapperIN6hipcub16HIPCUB_304000_NS8EqualityEEESF_JS6_EEE10hipError_tPvRmT3_T4_T5_T6_T7_T9_mT8_P12ihipStream_tbDpT10_ENKUlT_T0_E_clISt17integral_constantIbLb1EES15_IbLb0EEEEDaS11_S12_EUlS11_E_NS1_11comp_targetILNS1_3genE10ELNS1_11target_archE1200ELNS1_3gpuE4ELNS1_3repE0EEENS1_30default_config_static_selectorELNS0_4arch9wavefront6targetE1EEEvT1_
	.p2align	8
	.type	_ZN7rocprim17ROCPRIM_400000_NS6detail17trampoline_kernelINS0_14default_configENS1_25partition_config_selectorILNS1_17partition_subalgoE8ElNS0_10empty_typeEbEEZZNS1_14partition_implILS5_8ELb0ES3_jPKlPS6_PKS6_NS0_5tupleIJPlS6_EEENSE_IJSB_SB_EEENS0_18inequality_wrapperIN6hipcub16HIPCUB_304000_NS8EqualityEEESF_JS6_EEE10hipError_tPvRmT3_T4_T5_T6_T7_T9_mT8_P12ihipStream_tbDpT10_ENKUlT_T0_E_clISt17integral_constantIbLb1EES15_IbLb0EEEEDaS11_S12_EUlS11_E_NS1_11comp_targetILNS1_3genE10ELNS1_11target_archE1200ELNS1_3gpuE4ELNS1_3repE0EEENS1_30default_config_static_selectorELNS0_4arch9wavefront6targetE1EEEvT1_,@function
_ZN7rocprim17ROCPRIM_400000_NS6detail17trampoline_kernelINS0_14default_configENS1_25partition_config_selectorILNS1_17partition_subalgoE8ElNS0_10empty_typeEbEEZZNS1_14partition_implILS5_8ELb0ES3_jPKlPS6_PKS6_NS0_5tupleIJPlS6_EEENSE_IJSB_SB_EEENS0_18inequality_wrapperIN6hipcub16HIPCUB_304000_NS8EqualityEEESF_JS6_EEE10hipError_tPvRmT3_T4_T5_T6_T7_T9_mT8_P12ihipStream_tbDpT10_ENKUlT_T0_E_clISt17integral_constantIbLb1EES15_IbLb0EEEEDaS11_S12_EUlS11_E_NS1_11comp_targetILNS1_3genE10ELNS1_11target_archE1200ELNS1_3gpuE4ELNS1_3repE0EEENS1_30default_config_static_selectorELNS0_4arch9wavefront6targetE1EEEvT1_: ; @_ZN7rocprim17ROCPRIM_400000_NS6detail17trampoline_kernelINS0_14default_configENS1_25partition_config_selectorILNS1_17partition_subalgoE8ElNS0_10empty_typeEbEEZZNS1_14partition_implILS5_8ELb0ES3_jPKlPS6_PKS6_NS0_5tupleIJPlS6_EEENSE_IJSB_SB_EEENS0_18inequality_wrapperIN6hipcub16HIPCUB_304000_NS8EqualityEEESF_JS6_EEE10hipError_tPvRmT3_T4_T5_T6_T7_T9_mT8_P12ihipStream_tbDpT10_ENKUlT_T0_E_clISt17integral_constantIbLb1EES15_IbLb0EEEEDaS11_S12_EUlS11_E_NS1_11comp_targetILNS1_3genE10ELNS1_11target_archE1200ELNS1_3gpuE4ELNS1_3repE0EEENS1_30default_config_static_selectorELNS0_4arch9wavefront6targetE1EEEvT1_
; %bb.0:
	.section	.rodata,"a",@progbits
	.p2align	6, 0x0
	.amdhsa_kernel _ZN7rocprim17ROCPRIM_400000_NS6detail17trampoline_kernelINS0_14default_configENS1_25partition_config_selectorILNS1_17partition_subalgoE8ElNS0_10empty_typeEbEEZZNS1_14partition_implILS5_8ELb0ES3_jPKlPS6_PKS6_NS0_5tupleIJPlS6_EEENSE_IJSB_SB_EEENS0_18inequality_wrapperIN6hipcub16HIPCUB_304000_NS8EqualityEEESF_JS6_EEE10hipError_tPvRmT3_T4_T5_T6_T7_T9_mT8_P12ihipStream_tbDpT10_ENKUlT_T0_E_clISt17integral_constantIbLb1EES15_IbLb0EEEEDaS11_S12_EUlS11_E_NS1_11comp_targetILNS1_3genE10ELNS1_11target_archE1200ELNS1_3gpuE4ELNS1_3repE0EEENS1_30default_config_static_selectorELNS0_4arch9wavefront6targetE1EEEvT1_
		.amdhsa_group_segment_fixed_size 0
		.amdhsa_private_segment_fixed_size 0
		.amdhsa_kernarg_size 112
		.amdhsa_user_sgpr_count 6
		.amdhsa_user_sgpr_private_segment_buffer 1
		.amdhsa_user_sgpr_dispatch_ptr 0
		.amdhsa_user_sgpr_queue_ptr 0
		.amdhsa_user_sgpr_kernarg_segment_ptr 1
		.amdhsa_user_sgpr_dispatch_id 0
		.amdhsa_user_sgpr_flat_scratch_init 0
		.amdhsa_user_sgpr_kernarg_preload_length 0
		.amdhsa_user_sgpr_kernarg_preload_offset 0
		.amdhsa_user_sgpr_private_segment_size 0
		.amdhsa_uses_dynamic_stack 0
		.amdhsa_system_sgpr_private_segment_wavefront_offset 0
		.amdhsa_system_sgpr_workgroup_id_x 1
		.amdhsa_system_sgpr_workgroup_id_y 0
		.amdhsa_system_sgpr_workgroup_id_z 0
		.amdhsa_system_sgpr_workgroup_info 0
		.amdhsa_system_vgpr_workitem_id 0
		.amdhsa_next_free_vgpr 1
		.amdhsa_next_free_sgpr 0
		.amdhsa_accum_offset 4
		.amdhsa_reserve_vcc 0
		.amdhsa_reserve_flat_scratch 0
		.amdhsa_float_round_mode_32 0
		.amdhsa_float_round_mode_16_64 0
		.amdhsa_float_denorm_mode_32 3
		.amdhsa_float_denorm_mode_16_64 3
		.amdhsa_dx10_clamp 1
		.amdhsa_ieee_mode 1
		.amdhsa_fp16_overflow 0
		.amdhsa_tg_split 0
		.amdhsa_exception_fp_ieee_invalid_op 0
		.amdhsa_exception_fp_denorm_src 0
		.amdhsa_exception_fp_ieee_div_zero 0
		.amdhsa_exception_fp_ieee_overflow 0
		.amdhsa_exception_fp_ieee_underflow 0
		.amdhsa_exception_fp_ieee_inexact 0
		.amdhsa_exception_int_div_zero 0
	.end_amdhsa_kernel
	.section	.text._ZN7rocprim17ROCPRIM_400000_NS6detail17trampoline_kernelINS0_14default_configENS1_25partition_config_selectorILNS1_17partition_subalgoE8ElNS0_10empty_typeEbEEZZNS1_14partition_implILS5_8ELb0ES3_jPKlPS6_PKS6_NS0_5tupleIJPlS6_EEENSE_IJSB_SB_EEENS0_18inequality_wrapperIN6hipcub16HIPCUB_304000_NS8EqualityEEESF_JS6_EEE10hipError_tPvRmT3_T4_T5_T6_T7_T9_mT8_P12ihipStream_tbDpT10_ENKUlT_T0_E_clISt17integral_constantIbLb1EES15_IbLb0EEEEDaS11_S12_EUlS11_E_NS1_11comp_targetILNS1_3genE10ELNS1_11target_archE1200ELNS1_3gpuE4ELNS1_3repE0EEENS1_30default_config_static_selectorELNS0_4arch9wavefront6targetE1EEEvT1_,"axG",@progbits,_ZN7rocprim17ROCPRIM_400000_NS6detail17trampoline_kernelINS0_14default_configENS1_25partition_config_selectorILNS1_17partition_subalgoE8ElNS0_10empty_typeEbEEZZNS1_14partition_implILS5_8ELb0ES3_jPKlPS6_PKS6_NS0_5tupleIJPlS6_EEENSE_IJSB_SB_EEENS0_18inequality_wrapperIN6hipcub16HIPCUB_304000_NS8EqualityEEESF_JS6_EEE10hipError_tPvRmT3_T4_T5_T6_T7_T9_mT8_P12ihipStream_tbDpT10_ENKUlT_T0_E_clISt17integral_constantIbLb1EES15_IbLb0EEEEDaS11_S12_EUlS11_E_NS1_11comp_targetILNS1_3genE10ELNS1_11target_archE1200ELNS1_3gpuE4ELNS1_3repE0EEENS1_30default_config_static_selectorELNS0_4arch9wavefront6targetE1EEEvT1_,comdat
.Lfunc_end500:
	.size	_ZN7rocprim17ROCPRIM_400000_NS6detail17trampoline_kernelINS0_14default_configENS1_25partition_config_selectorILNS1_17partition_subalgoE8ElNS0_10empty_typeEbEEZZNS1_14partition_implILS5_8ELb0ES3_jPKlPS6_PKS6_NS0_5tupleIJPlS6_EEENSE_IJSB_SB_EEENS0_18inequality_wrapperIN6hipcub16HIPCUB_304000_NS8EqualityEEESF_JS6_EEE10hipError_tPvRmT3_T4_T5_T6_T7_T9_mT8_P12ihipStream_tbDpT10_ENKUlT_T0_E_clISt17integral_constantIbLb1EES15_IbLb0EEEEDaS11_S12_EUlS11_E_NS1_11comp_targetILNS1_3genE10ELNS1_11target_archE1200ELNS1_3gpuE4ELNS1_3repE0EEENS1_30default_config_static_selectorELNS0_4arch9wavefront6targetE1EEEvT1_, .Lfunc_end500-_ZN7rocprim17ROCPRIM_400000_NS6detail17trampoline_kernelINS0_14default_configENS1_25partition_config_selectorILNS1_17partition_subalgoE8ElNS0_10empty_typeEbEEZZNS1_14partition_implILS5_8ELb0ES3_jPKlPS6_PKS6_NS0_5tupleIJPlS6_EEENSE_IJSB_SB_EEENS0_18inequality_wrapperIN6hipcub16HIPCUB_304000_NS8EqualityEEESF_JS6_EEE10hipError_tPvRmT3_T4_T5_T6_T7_T9_mT8_P12ihipStream_tbDpT10_ENKUlT_T0_E_clISt17integral_constantIbLb1EES15_IbLb0EEEEDaS11_S12_EUlS11_E_NS1_11comp_targetILNS1_3genE10ELNS1_11target_archE1200ELNS1_3gpuE4ELNS1_3repE0EEENS1_30default_config_static_selectorELNS0_4arch9wavefront6targetE1EEEvT1_
                                        ; -- End function
	.section	.AMDGPU.csdata,"",@progbits
; Kernel info:
; codeLenInByte = 0
; NumSgprs: 4
; NumVgprs: 0
; NumAgprs: 0
; TotalNumVgprs: 0
; ScratchSize: 0
; MemoryBound: 0
; FloatMode: 240
; IeeeMode: 1
; LDSByteSize: 0 bytes/workgroup (compile time only)
; SGPRBlocks: 0
; VGPRBlocks: 0
; NumSGPRsForWavesPerEU: 4
; NumVGPRsForWavesPerEU: 1
; AccumOffset: 4
; Occupancy: 8
; WaveLimiterHint : 0
; COMPUTE_PGM_RSRC2:SCRATCH_EN: 0
; COMPUTE_PGM_RSRC2:USER_SGPR: 6
; COMPUTE_PGM_RSRC2:TRAP_HANDLER: 0
; COMPUTE_PGM_RSRC2:TGID_X_EN: 1
; COMPUTE_PGM_RSRC2:TGID_Y_EN: 0
; COMPUTE_PGM_RSRC2:TGID_Z_EN: 0
; COMPUTE_PGM_RSRC2:TIDIG_COMP_CNT: 0
; COMPUTE_PGM_RSRC3_GFX90A:ACCUM_OFFSET: 0
; COMPUTE_PGM_RSRC3_GFX90A:TG_SPLIT: 0
	.section	.text._ZN7rocprim17ROCPRIM_400000_NS6detail17trampoline_kernelINS0_14default_configENS1_25partition_config_selectorILNS1_17partition_subalgoE8ElNS0_10empty_typeEbEEZZNS1_14partition_implILS5_8ELb0ES3_jPKlPS6_PKS6_NS0_5tupleIJPlS6_EEENSE_IJSB_SB_EEENS0_18inequality_wrapperIN6hipcub16HIPCUB_304000_NS8EqualityEEESF_JS6_EEE10hipError_tPvRmT3_T4_T5_T6_T7_T9_mT8_P12ihipStream_tbDpT10_ENKUlT_T0_E_clISt17integral_constantIbLb1EES15_IbLb0EEEEDaS11_S12_EUlS11_E_NS1_11comp_targetILNS1_3genE9ELNS1_11target_archE1100ELNS1_3gpuE3ELNS1_3repE0EEENS1_30default_config_static_selectorELNS0_4arch9wavefront6targetE1EEEvT1_,"axG",@progbits,_ZN7rocprim17ROCPRIM_400000_NS6detail17trampoline_kernelINS0_14default_configENS1_25partition_config_selectorILNS1_17partition_subalgoE8ElNS0_10empty_typeEbEEZZNS1_14partition_implILS5_8ELb0ES3_jPKlPS6_PKS6_NS0_5tupleIJPlS6_EEENSE_IJSB_SB_EEENS0_18inequality_wrapperIN6hipcub16HIPCUB_304000_NS8EqualityEEESF_JS6_EEE10hipError_tPvRmT3_T4_T5_T6_T7_T9_mT8_P12ihipStream_tbDpT10_ENKUlT_T0_E_clISt17integral_constantIbLb1EES15_IbLb0EEEEDaS11_S12_EUlS11_E_NS1_11comp_targetILNS1_3genE9ELNS1_11target_archE1100ELNS1_3gpuE3ELNS1_3repE0EEENS1_30default_config_static_selectorELNS0_4arch9wavefront6targetE1EEEvT1_,comdat
	.protected	_ZN7rocprim17ROCPRIM_400000_NS6detail17trampoline_kernelINS0_14default_configENS1_25partition_config_selectorILNS1_17partition_subalgoE8ElNS0_10empty_typeEbEEZZNS1_14partition_implILS5_8ELb0ES3_jPKlPS6_PKS6_NS0_5tupleIJPlS6_EEENSE_IJSB_SB_EEENS0_18inequality_wrapperIN6hipcub16HIPCUB_304000_NS8EqualityEEESF_JS6_EEE10hipError_tPvRmT3_T4_T5_T6_T7_T9_mT8_P12ihipStream_tbDpT10_ENKUlT_T0_E_clISt17integral_constantIbLb1EES15_IbLb0EEEEDaS11_S12_EUlS11_E_NS1_11comp_targetILNS1_3genE9ELNS1_11target_archE1100ELNS1_3gpuE3ELNS1_3repE0EEENS1_30default_config_static_selectorELNS0_4arch9wavefront6targetE1EEEvT1_ ; -- Begin function _ZN7rocprim17ROCPRIM_400000_NS6detail17trampoline_kernelINS0_14default_configENS1_25partition_config_selectorILNS1_17partition_subalgoE8ElNS0_10empty_typeEbEEZZNS1_14partition_implILS5_8ELb0ES3_jPKlPS6_PKS6_NS0_5tupleIJPlS6_EEENSE_IJSB_SB_EEENS0_18inequality_wrapperIN6hipcub16HIPCUB_304000_NS8EqualityEEESF_JS6_EEE10hipError_tPvRmT3_T4_T5_T6_T7_T9_mT8_P12ihipStream_tbDpT10_ENKUlT_T0_E_clISt17integral_constantIbLb1EES15_IbLb0EEEEDaS11_S12_EUlS11_E_NS1_11comp_targetILNS1_3genE9ELNS1_11target_archE1100ELNS1_3gpuE3ELNS1_3repE0EEENS1_30default_config_static_selectorELNS0_4arch9wavefront6targetE1EEEvT1_
	.globl	_ZN7rocprim17ROCPRIM_400000_NS6detail17trampoline_kernelINS0_14default_configENS1_25partition_config_selectorILNS1_17partition_subalgoE8ElNS0_10empty_typeEbEEZZNS1_14partition_implILS5_8ELb0ES3_jPKlPS6_PKS6_NS0_5tupleIJPlS6_EEENSE_IJSB_SB_EEENS0_18inequality_wrapperIN6hipcub16HIPCUB_304000_NS8EqualityEEESF_JS6_EEE10hipError_tPvRmT3_T4_T5_T6_T7_T9_mT8_P12ihipStream_tbDpT10_ENKUlT_T0_E_clISt17integral_constantIbLb1EES15_IbLb0EEEEDaS11_S12_EUlS11_E_NS1_11comp_targetILNS1_3genE9ELNS1_11target_archE1100ELNS1_3gpuE3ELNS1_3repE0EEENS1_30default_config_static_selectorELNS0_4arch9wavefront6targetE1EEEvT1_
	.p2align	8
	.type	_ZN7rocprim17ROCPRIM_400000_NS6detail17trampoline_kernelINS0_14default_configENS1_25partition_config_selectorILNS1_17partition_subalgoE8ElNS0_10empty_typeEbEEZZNS1_14partition_implILS5_8ELb0ES3_jPKlPS6_PKS6_NS0_5tupleIJPlS6_EEENSE_IJSB_SB_EEENS0_18inequality_wrapperIN6hipcub16HIPCUB_304000_NS8EqualityEEESF_JS6_EEE10hipError_tPvRmT3_T4_T5_T6_T7_T9_mT8_P12ihipStream_tbDpT10_ENKUlT_T0_E_clISt17integral_constantIbLb1EES15_IbLb0EEEEDaS11_S12_EUlS11_E_NS1_11comp_targetILNS1_3genE9ELNS1_11target_archE1100ELNS1_3gpuE3ELNS1_3repE0EEENS1_30default_config_static_selectorELNS0_4arch9wavefront6targetE1EEEvT1_,@function
_ZN7rocprim17ROCPRIM_400000_NS6detail17trampoline_kernelINS0_14default_configENS1_25partition_config_selectorILNS1_17partition_subalgoE8ElNS0_10empty_typeEbEEZZNS1_14partition_implILS5_8ELb0ES3_jPKlPS6_PKS6_NS0_5tupleIJPlS6_EEENSE_IJSB_SB_EEENS0_18inequality_wrapperIN6hipcub16HIPCUB_304000_NS8EqualityEEESF_JS6_EEE10hipError_tPvRmT3_T4_T5_T6_T7_T9_mT8_P12ihipStream_tbDpT10_ENKUlT_T0_E_clISt17integral_constantIbLb1EES15_IbLb0EEEEDaS11_S12_EUlS11_E_NS1_11comp_targetILNS1_3genE9ELNS1_11target_archE1100ELNS1_3gpuE3ELNS1_3repE0EEENS1_30default_config_static_selectorELNS0_4arch9wavefront6targetE1EEEvT1_: ; @_ZN7rocprim17ROCPRIM_400000_NS6detail17trampoline_kernelINS0_14default_configENS1_25partition_config_selectorILNS1_17partition_subalgoE8ElNS0_10empty_typeEbEEZZNS1_14partition_implILS5_8ELb0ES3_jPKlPS6_PKS6_NS0_5tupleIJPlS6_EEENSE_IJSB_SB_EEENS0_18inequality_wrapperIN6hipcub16HIPCUB_304000_NS8EqualityEEESF_JS6_EEE10hipError_tPvRmT3_T4_T5_T6_T7_T9_mT8_P12ihipStream_tbDpT10_ENKUlT_T0_E_clISt17integral_constantIbLb1EES15_IbLb0EEEEDaS11_S12_EUlS11_E_NS1_11comp_targetILNS1_3genE9ELNS1_11target_archE1100ELNS1_3gpuE3ELNS1_3repE0EEENS1_30default_config_static_selectorELNS0_4arch9wavefront6targetE1EEEvT1_
; %bb.0:
	.section	.rodata,"a",@progbits
	.p2align	6, 0x0
	.amdhsa_kernel _ZN7rocprim17ROCPRIM_400000_NS6detail17trampoline_kernelINS0_14default_configENS1_25partition_config_selectorILNS1_17partition_subalgoE8ElNS0_10empty_typeEbEEZZNS1_14partition_implILS5_8ELb0ES3_jPKlPS6_PKS6_NS0_5tupleIJPlS6_EEENSE_IJSB_SB_EEENS0_18inequality_wrapperIN6hipcub16HIPCUB_304000_NS8EqualityEEESF_JS6_EEE10hipError_tPvRmT3_T4_T5_T6_T7_T9_mT8_P12ihipStream_tbDpT10_ENKUlT_T0_E_clISt17integral_constantIbLb1EES15_IbLb0EEEEDaS11_S12_EUlS11_E_NS1_11comp_targetILNS1_3genE9ELNS1_11target_archE1100ELNS1_3gpuE3ELNS1_3repE0EEENS1_30default_config_static_selectorELNS0_4arch9wavefront6targetE1EEEvT1_
		.amdhsa_group_segment_fixed_size 0
		.amdhsa_private_segment_fixed_size 0
		.amdhsa_kernarg_size 112
		.amdhsa_user_sgpr_count 6
		.amdhsa_user_sgpr_private_segment_buffer 1
		.amdhsa_user_sgpr_dispatch_ptr 0
		.amdhsa_user_sgpr_queue_ptr 0
		.amdhsa_user_sgpr_kernarg_segment_ptr 1
		.amdhsa_user_sgpr_dispatch_id 0
		.amdhsa_user_sgpr_flat_scratch_init 0
		.amdhsa_user_sgpr_kernarg_preload_length 0
		.amdhsa_user_sgpr_kernarg_preload_offset 0
		.amdhsa_user_sgpr_private_segment_size 0
		.amdhsa_uses_dynamic_stack 0
		.amdhsa_system_sgpr_private_segment_wavefront_offset 0
		.amdhsa_system_sgpr_workgroup_id_x 1
		.amdhsa_system_sgpr_workgroup_id_y 0
		.amdhsa_system_sgpr_workgroup_id_z 0
		.amdhsa_system_sgpr_workgroup_info 0
		.amdhsa_system_vgpr_workitem_id 0
		.amdhsa_next_free_vgpr 1
		.amdhsa_next_free_sgpr 0
		.amdhsa_accum_offset 4
		.amdhsa_reserve_vcc 0
		.amdhsa_reserve_flat_scratch 0
		.amdhsa_float_round_mode_32 0
		.amdhsa_float_round_mode_16_64 0
		.amdhsa_float_denorm_mode_32 3
		.amdhsa_float_denorm_mode_16_64 3
		.amdhsa_dx10_clamp 1
		.amdhsa_ieee_mode 1
		.amdhsa_fp16_overflow 0
		.amdhsa_tg_split 0
		.amdhsa_exception_fp_ieee_invalid_op 0
		.amdhsa_exception_fp_denorm_src 0
		.amdhsa_exception_fp_ieee_div_zero 0
		.amdhsa_exception_fp_ieee_overflow 0
		.amdhsa_exception_fp_ieee_underflow 0
		.amdhsa_exception_fp_ieee_inexact 0
		.amdhsa_exception_int_div_zero 0
	.end_amdhsa_kernel
	.section	.text._ZN7rocprim17ROCPRIM_400000_NS6detail17trampoline_kernelINS0_14default_configENS1_25partition_config_selectorILNS1_17partition_subalgoE8ElNS0_10empty_typeEbEEZZNS1_14partition_implILS5_8ELb0ES3_jPKlPS6_PKS6_NS0_5tupleIJPlS6_EEENSE_IJSB_SB_EEENS0_18inequality_wrapperIN6hipcub16HIPCUB_304000_NS8EqualityEEESF_JS6_EEE10hipError_tPvRmT3_T4_T5_T6_T7_T9_mT8_P12ihipStream_tbDpT10_ENKUlT_T0_E_clISt17integral_constantIbLb1EES15_IbLb0EEEEDaS11_S12_EUlS11_E_NS1_11comp_targetILNS1_3genE9ELNS1_11target_archE1100ELNS1_3gpuE3ELNS1_3repE0EEENS1_30default_config_static_selectorELNS0_4arch9wavefront6targetE1EEEvT1_,"axG",@progbits,_ZN7rocprim17ROCPRIM_400000_NS6detail17trampoline_kernelINS0_14default_configENS1_25partition_config_selectorILNS1_17partition_subalgoE8ElNS0_10empty_typeEbEEZZNS1_14partition_implILS5_8ELb0ES3_jPKlPS6_PKS6_NS0_5tupleIJPlS6_EEENSE_IJSB_SB_EEENS0_18inequality_wrapperIN6hipcub16HIPCUB_304000_NS8EqualityEEESF_JS6_EEE10hipError_tPvRmT3_T4_T5_T6_T7_T9_mT8_P12ihipStream_tbDpT10_ENKUlT_T0_E_clISt17integral_constantIbLb1EES15_IbLb0EEEEDaS11_S12_EUlS11_E_NS1_11comp_targetILNS1_3genE9ELNS1_11target_archE1100ELNS1_3gpuE3ELNS1_3repE0EEENS1_30default_config_static_selectorELNS0_4arch9wavefront6targetE1EEEvT1_,comdat
.Lfunc_end501:
	.size	_ZN7rocprim17ROCPRIM_400000_NS6detail17trampoline_kernelINS0_14default_configENS1_25partition_config_selectorILNS1_17partition_subalgoE8ElNS0_10empty_typeEbEEZZNS1_14partition_implILS5_8ELb0ES3_jPKlPS6_PKS6_NS0_5tupleIJPlS6_EEENSE_IJSB_SB_EEENS0_18inequality_wrapperIN6hipcub16HIPCUB_304000_NS8EqualityEEESF_JS6_EEE10hipError_tPvRmT3_T4_T5_T6_T7_T9_mT8_P12ihipStream_tbDpT10_ENKUlT_T0_E_clISt17integral_constantIbLb1EES15_IbLb0EEEEDaS11_S12_EUlS11_E_NS1_11comp_targetILNS1_3genE9ELNS1_11target_archE1100ELNS1_3gpuE3ELNS1_3repE0EEENS1_30default_config_static_selectorELNS0_4arch9wavefront6targetE1EEEvT1_, .Lfunc_end501-_ZN7rocprim17ROCPRIM_400000_NS6detail17trampoline_kernelINS0_14default_configENS1_25partition_config_selectorILNS1_17partition_subalgoE8ElNS0_10empty_typeEbEEZZNS1_14partition_implILS5_8ELb0ES3_jPKlPS6_PKS6_NS0_5tupleIJPlS6_EEENSE_IJSB_SB_EEENS0_18inequality_wrapperIN6hipcub16HIPCUB_304000_NS8EqualityEEESF_JS6_EEE10hipError_tPvRmT3_T4_T5_T6_T7_T9_mT8_P12ihipStream_tbDpT10_ENKUlT_T0_E_clISt17integral_constantIbLb1EES15_IbLb0EEEEDaS11_S12_EUlS11_E_NS1_11comp_targetILNS1_3genE9ELNS1_11target_archE1100ELNS1_3gpuE3ELNS1_3repE0EEENS1_30default_config_static_selectorELNS0_4arch9wavefront6targetE1EEEvT1_
                                        ; -- End function
	.section	.AMDGPU.csdata,"",@progbits
; Kernel info:
; codeLenInByte = 0
; NumSgprs: 4
; NumVgprs: 0
; NumAgprs: 0
; TotalNumVgprs: 0
; ScratchSize: 0
; MemoryBound: 0
; FloatMode: 240
; IeeeMode: 1
; LDSByteSize: 0 bytes/workgroup (compile time only)
; SGPRBlocks: 0
; VGPRBlocks: 0
; NumSGPRsForWavesPerEU: 4
; NumVGPRsForWavesPerEU: 1
; AccumOffset: 4
; Occupancy: 8
; WaveLimiterHint : 0
; COMPUTE_PGM_RSRC2:SCRATCH_EN: 0
; COMPUTE_PGM_RSRC2:USER_SGPR: 6
; COMPUTE_PGM_RSRC2:TRAP_HANDLER: 0
; COMPUTE_PGM_RSRC2:TGID_X_EN: 1
; COMPUTE_PGM_RSRC2:TGID_Y_EN: 0
; COMPUTE_PGM_RSRC2:TGID_Z_EN: 0
; COMPUTE_PGM_RSRC2:TIDIG_COMP_CNT: 0
; COMPUTE_PGM_RSRC3_GFX90A:ACCUM_OFFSET: 0
; COMPUTE_PGM_RSRC3_GFX90A:TG_SPLIT: 0
	.section	.text._ZN7rocprim17ROCPRIM_400000_NS6detail17trampoline_kernelINS0_14default_configENS1_25partition_config_selectorILNS1_17partition_subalgoE8ElNS0_10empty_typeEbEEZZNS1_14partition_implILS5_8ELb0ES3_jPKlPS6_PKS6_NS0_5tupleIJPlS6_EEENSE_IJSB_SB_EEENS0_18inequality_wrapperIN6hipcub16HIPCUB_304000_NS8EqualityEEESF_JS6_EEE10hipError_tPvRmT3_T4_T5_T6_T7_T9_mT8_P12ihipStream_tbDpT10_ENKUlT_T0_E_clISt17integral_constantIbLb1EES15_IbLb0EEEEDaS11_S12_EUlS11_E_NS1_11comp_targetILNS1_3genE8ELNS1_11target_archE1030ELNS1_3gpuE2ELNS1_3repE0EEENS1_30default_config_static_selectorELNS0_4arch9wavefront6targetE1EEEvT1_,"axG",@progbits,_ZN7rocprim17ROCPRIM_400000_NS6detail17trampoline_kernelINS0_14default_configENS1_25partition_config_selectorILNS1_17partition_subalgoE8ElNS0_10empty_typeEbEEZZNS1_14partition_implILS5_8ELb0ES3_jPKlPS6_PKS6_NS0_5tupleIJPlS6_EEENSE_IJSB_SB_EEENS0_18inequality_wrapperIN6hipcub16HIPCUB_304000_NS8EqualityEEESF_JS6_EEE10hipError_tPvRmT3_T4_T5_T6_T7_T9_mT8_P12ihipStream_tbDpT10_ENKUlT_T0_E_clISt17integral_constantIbLb1EES15_IbLb0EEEEDaS11_S12_EUlS11_E_NS1_11comp_targetILNS1_3genE8ELNS1_11target_archE1030ELNS1_3gpuE2ELNS1_3repE0EEENS1_30default_config_static_selectorELNS0_4arch9wavefront6targetE1EEEvT1_,comdat
	.protected	_ZN7rocprim17ROCPRIM_400000_NS6detail17trampoline_kernelINS0_14default_configENS1_25partition_config_selectorILNS1_17partition_subalgoE8ElNS0_10empty_typeEbEEZZNS1_14partition_implILS5_8ELb0ES3_jPKlPS6_PKS6_NS0_5tupleIJPlS6_EEENSE_IJSB_SB_EEENS0_18inequality_wrapperIN6hipcub16HIPCUB_304000_NS8EqualityEEESF_JS6_EEE10hipError_tPvRmT3_T4_T5_T6_T7_T9_mT8_P12ihipStream_tbDpT10_ENKUlT_T0_E_clISt17integral_constantIbLb1EES15_IbLb0EEEEDaS11_S12_EUlS11_E_NS1_11comp_targetILNS1_3genE8ELNS1_11target_archE1030ELNS1_3gpuE2ELNS1_3repE0EEENS1_30default_config_static_selectorELNS0_4arch9wavefront6targetE1EEEvT1_ ; -- Begin function _ZN7rocprim17ROCPRIM_400000_NS6detail17trampoline_kernelINS0_14default_configENS1_25partition_config_selectorILNS1_17partition_subalgoE8ElNS0_10empty_typeEbEEZZNS1_14partition_implILS5_8ELb0ES3_jPKlPS6_PKS6_NS0_5tupleIJPlS6_EEENSE_IJSB_SB_EEENS0_18inequality_wrapperIN6hipcub16HIPCUB_304000_NS8EqualityEEESF_JS6_EEE10hipError_tPvRmT3_T4_T5_T6_T7_T9_mT8_P12ihipStream_tbDpT10_ENKUlT_T0_E_clISt17integral_constantIbLb1EES15_IbLb0EEEEDaS11_S12_EUlS11_E_NS1_11comp_targetILNS1_3genE8ELNS1_11target_archE1030ELNS1_3gpuE2ELNS1_3repE0EEENS1_30default_config_static_selectorELNS0_4arch9wavefront6targetE1EEEvT1_
	.globl	_ZN7rocprim17ROCPRIM_400000_NS6detail17trampoline_kernelINS0_14default_configENS1_25partition_config_selectorILNS1_17partition_subalgoE8ElNS0_10empty_typeEbEEZZNS1_14partition_implILS5_8ELb0ES3_jPKlPS6_PKS6_NS0_5tupleIJPlS6_EEENSE_IJSB_SB_EEENS0_18inequality_wrapperIN6hipcub16HIPCUB_304000_NS8EqualityEEESF_JS6_EEE10hipError_tPvRmT3_T4_T5_T6_T7_T9_mT8_P12ihipStream_tbDpT10_ENKUlT_T0_E_clISt17integral_constantIbLb1EES15_IbLb0EEEEDaS11_S12_EUlS11_E_NS1_11comp_targetILNS1_3genE8ELNS1_11target_archE1030ELNS1_3gpuE2ELNS1_3repE0EEENS1_30default_config_static_selectorELNS0_4arch9wavefront6targetE1EEEvT1_
	.p2align	8
	.type	_ZN7rocprim17ROCPRIM_400000_NS6detail17trampoline_kernelINS0_14default_configENS1_25partition_config_selectorILNS1_17partition_subalgoE8ElNS0_10empty_typeEbEEZZNS1_14partition_implILS5_8ELb0ES3_jPKlPS6_PKS6_NS0_5tupleIJPlS6_EEENSE_IJSB_SB_EEENS0_18inequality_wrapperIN6hipcub16HIPCUB_304000_NS8EqualityEEESF_JS6_EEE10hipError_tPvRmT3_T4_T5_T6_T7_T9_mT8_P12ihipStream_tbDpT10_ENKUlT_T0_E_clISt17integral_constantIbLb1EES15_IbLb0EEEEDaS11_S12_EUlS11_E_NS1_11comp_targetILNS1_3genE8ELNS1_11target_archE1030ELNS1_3gpuE2ELNS1_3repE0EEENS1_30default_config_static_selectorELNS0_4arch9wavefront6targetE1EEEvT1_,@function
_ZN7rocprim17ROCPRIM_400000_NS6detail17trampoline_kernelINS0_14default_configENS1_25partition_config_selectorILNS1_17partition_subalgoE8ElNS0_10empty_typeEbEEZZNS1_14partition_implILS5_8ELb0ES3_jPKlPS6_PKS6_NS0_5tupleIJPlS6_EEENSE_IJSB_SB_EEENS0_18inequality_wrapperIN6hipcub16HIPCUB_304000_NS8EqualityEEESF_JS6_EEE10hipError_tPvRmT3_T4_T5_T6_T7_T9_mT8_P12ihipStream_tbDpT10_ENKUlT_T0_E_clISt17integral_constantIbLb1EES15_IbLb0EEEEDaS11_S12_EUlS11_E_NS1_11comp_targetILNS1_3genE8ELNS1_11target_archE1030ELNS1_3gpuE2ELNS1_3repE0EEENS1_30default_config_static_selectorELNS0_4arch9wavefront6targetE1EEEvT1_: ; @_ZN7rocprim17ROCPRIM_400000_NS6detail17trampoline_kernelINS0_14default_configENS1_25partition_config_selectorILNS1_17partition_subalgoE8ElNS0_10empty_typeEbEEZZNS1_14partition_implILS5_8ELb0ES3_jPKlPS6_PKS6_NS0_5tupleIJPlS6_EEENSE_IJSB_SB_EEENS0_18inequality_wrapperIN6hipcub16HIPCUB_304000_NS8EqualityEEESF_JS6_EEE10hipError_tPvRmT3_T4_T5_T6_T7_T9_mT8_P12ihipStream_tbDpT10_ENKUlT_T0_E_clISt17integral_constantIbLb1EES15_IbLb0EEEEDaS11_S12_EUlS11_E_NS1_11comp_targetILNS1_3genE8ELNS1_11target_archE1030ELNS1_3gpuE2ELNS1_3repE0EEENS1_30default_config_static_selectorELNS0_4arch9wavefront6targetE1EEEvT1_
; %bb.0:
	.section	.rodata,"a",@progbits
	.p2align	6, 0x0
	.amdhsa_kernel _ZN7rocprim17ROCPRIM_400000_NS6detail17trampoline_kernelINS0_14default_configENS1_25partition_config_selectorILNS1_17partition_subalgoE8ElNS0_10empty_typeEbEEZZNS1_14partition_implILS5_8ELb0ES3_jPKlPS6_PKS6_NS0_5tupleIJPlS6_EEENSE_IJSB_SB_EEENS0_18inequality_wrapperIN6hipcub16HIPCUB_304000_NS8EqualityEEESF_JS6_EEE10hipError_tPvRmT3_T4_T5_T6_T7_T9_mT8_P12ihipStream_tbDpT10_ENKUlT_T0_E_clISt17integral_constantIbLb1EES15_IbLb0EEEEDaS11_S12_EUlS11_E_NS1_11comp_targetILNS1_3genE8ELNS1_11target_archE1030ELNS1_3gpuE2ELNS1_3repE0EEENS1_30default_config_static_selectorELNS0_4arch9wavefront6targetE1EEEvT1_
		.amdhsa_group_segment_fixed_size 0
		.amdhsa_private_segment_fixed_size 0
		.amdhsa_kernarg_size 112
		.amdhsa_user_sgpr_count 6
		.amdhsa_user_sgpr_private_segment_buffer 1
		.amdhsa_user_sgpr_dispatch_ptr 0
		.amdhsa_user_sgpr_queue_ptr 0
		.amdhsa_user_sgpr_kernarg_segment_ptr 1
		.amdhsa_user_sgpr_dispatch_id 0
		.amdhsa_user_sgpr_flat_scratch_init 0
		.amdhsa_user_sgpr_kernarg_preload_length 0
		.amdhsa_user_sgpr_kernarg_preload_offset 0
		.amdhsa_user_sgpr_private_segment_size 0
		.amdhsa_uses_dynamic_stack 0
		.amdhsa_system_sgpr_private_segment_wavefront_offset 0
		.amdhsa_system_sgpr_workgroup_id_x 1
		.amdhsa_system_sgpr_workgroup_id_y 0
		.amdhsa_system_sgpr_workgroup_id_z 0
		.amdhsa_system_sgpr_workgroup_info 0
		.amdhsa_system_vgpr_workitem_id 0
		.amdhsa_next_free_vgpr 1
		.amdhsa_next_free_sgpr 0
		.amdhsa_accum_offset 4
		.amdhsa_reserve_vcc 0
		.amdhsa_reserve_flat_scratch 0
		.amdhsa_float_round_mode_32 0
		.amdhsa_float_round_mode_16_64 0
		.amdhsa_float_denorm_mode_32 3
		.amdhsa_float_denorm_mode_16_64 3
		.amdhsa_dx10_clamp 1
		.amdhsa_ieee_mode 1
		.amdhsa_fp16_overflow 0
		.amdhsa_tg_split 0
		.amdhsa_exception_fp_ieee_invalid_op 0
		.amdhsa_exception_fp_denorm_src 0
		.amdhsa_exception_fp_ieee_div_zero 0
		.amdhsa_exception_fp_ieee_overflow 0
		.amdhsa_exception_fp_ieee_underflow 0
		.amdhsa_exception_fp_ieee_inexact 0
		.amdhsa_exception_int_div_zero 0
	.end_amdhsa_kernel
	.section	.text._ZN7rocprim17ROCPRIM_400000_NS6detail17trampoline_kernelINS0_14default_configENS1_25partition_config_selectorILNS1_17partition_subalgoE8ElNS0_10empty_typeEbEEZZNS1_14partition_implILS5_8ELb0ES3_jPKlPS6_PKS6_NS0_5tupleIJPlS6_EEENSE_IJSB_SB_EEENS0_18inequality_wrapperIN6hipcub16HIPCUB_304000_NS8EqualityEEESF_JS6_EEE10hipError_tPvRmT3_T4_T5_T6_T7_T9_mT8_P12ihipStream_tbDpT10_ENKUlT_T0_E_clISt17integral_constantIbLb1EES15_IbLb0EEEEDaS11_S12_EUlS11_E_NS1_11comp_targetILNS1_3genE8ELNS1_11target_archE1030ELNS1_3gpuE2ELNS1_3repE0EEENS1_30default_config_static_selectorELNS0_4arch9wavefront6targetE1EEEvT1_,"axG",@progbits,_ZN7rocprim17ROCPRIM_400000_NS6detail17trampoline_kernelINS0_14default_configENS1_25partition_config_selectorILNS1_17partition_subalgoE8ElNS0_10empty_typeEbEEZZNS1_14partition_implILS5_8ELb0ES3_jPKlPS6_PKS6_NS0_5tupleIJPlS6_EEENSE_IJSB_SB_EEENS0_18inequality_wrapperIN6hipcub16HIPCUB_304000_NS8EqualityEEESF_JS6_EEE10hipError_tPvRmT3_T4_T5_T6_T7_T9_mT8_P12ihipStream_tbDpT10_ENKUlT_T0_E_clISt17integral_constantIbLb1EES15_IbLb0EEEEDaS11_S12_EUlS11_E_NS1_11comp_targetILNS1_3genE8ELNS1_11target_archE1030ELNS1_3gpuE2ELNS1_3repE0EEENS1_30default_config_static_selectorELNS0_4arch9wavefront6targetE1EEEvT1_,comdat
.Lfunc_end502:
	.size	_ZN7rocprim17ROCPRIM_400000_NS6detail17trampoline_kernelINS0_14default_configENS1_25partition_config_selectorILNS1_17partition_subalgoE8ElNS0_10empty_typeEbEEZZNS1_14partition_implILS5_8ELb0ES3_jPKlPS6_PKS6_NS0_5tupleIJPlS6_EEENSE_IJSB_SB_EEENS0_18inequality_wrapperIN6hipcub16HIPCUB_304000_NS8EqualityEEESF_JS6_EEE10hipError_tPvRmT3_T4_T5_T6_T7_T9_mT8_P12ihipStream_tbDpT10_ENKUlT_T0_E_clISt17integral_constantIbLb1EES15_IbLb0EEEEDaS11_S12_EUlS11_E_NS1_11comp_targetILNS1_3genE8ELNS1_11target_archE1030ELNS1_3gpuE2ELNS1_3repE0EEENS1_30default_config_static_selectorELNS0_4arch9wavefront6targetE1EEEvT1_, .Lfunc_end502-_ZN7rocprim17ROCPRIM_400000_NS6detail17trampoline_kernelINS0_14default_configENS1_25partition_config_selectorILNS1_17partition_subalgoE8ElNS0_10empty_typeEbEEZZNS1_14partition_implILS5_8ELb0ES3_jPKlPS6_PKS6_NS0_5tupleIJPlS6_EEENSE_IJSB_SB_EEENS0_18inequality_wrapperIN6hipcub16HIPCUB_304000_NS8EqualityEEESF_JS6_EEE10hipError_tPvRmT3_T4_T5_T6_T7_T9_mT8_P12ihipStream_tbDpT10_ENKUlT_T0_E_clISt17integral_constantIbLb1EES15_IbLb0EEEEDaS11_S12_EUlS11_E_NS1_11comp_targetILNS1_3genE8ELNS1_11target_archE1030ELNS1_3gpuE2ELNS1_3repE0EEENS1_30default_config_static_selectorELNS0_4arch9wavefront6targetE1EEEvT1_
                                        ; -- End function
	.section	.AMDGPU.csdata,"",@progbits
; Kernel info:
; codeLenInByte = 0
; NumSgprs: 4
; NumVgprs: 0
; NumAgprs: 0
; TotalNumVgprs: 0
; ScratchSize: 0
; MemoryBound: 0
; FloatMode: 240
; IeeeMode: 1
; LDSByteSize: 0 bytes/workgroup (compile time only)
; SGPRBlocks: 0
; VGPRBlocks: 0
; NumSGPRsForWavesPerEU: 4
; NumVGPRsForWavesPerEU: 1
; AccumOffset: 4
; Occupancy: 8
; WaveLimiterHint : 0
; COMPUTE_PGM_RSRC2:SCRATCH_EN: 0
; COMPUTE_PGM_RSRC2:USER_SGPR: 6
; COMPUTE_PGM_RSRC2:TRAP_HANDLER: 0
; COMPUTE_PGM_RSRC2:TGID_X_EN: 1
; COMPUTE_PGM_RSRC2:TGID_Y_EN: 0
; COMPUTE_PGM_RSRC2:TGID_Z_EN: 0
; COMPUTE_PGM_RSRC2:TIDIG_COMP_CNT: 0
; COMPUTE_PGM_RSRC3_GFX90A:ACCUM_OFFSET: 0
; COMPUTE_PGM_RSRC3_GFX90A:TG_SPLIT: 0
	.section	.text._ZN7rocprim17ROCPRIM_400000_NS6detail17trampoline_kernelINS0_14default_configENS1_25partition_config_selectorILNS1_17partition_subalgoE8ElNS0_10empty_typeEbEEZZNS1_14partition_implILS5_8ELb0ES3_jPKlPS6_PKS6_NS0_5tupleIJPlS6_EEENSE_IJSB_SB_EEENS0_18inequality_wrapperIN6hipcub16HIPCUB_304000_NS8EqualityEEESF_JS6_EEE10hipError_tPvRmT3_T4_T5_T6_T7_T9_mT8_P12ihipStream_tbDpT10_ENKUlT_T0_E_clISt17integral_constantIbLb0EES15_IbLb1EEEEDaS11_S12_EUlS11_E_NS1_11comp_targetILNS1_3genE0ELNS1_11target_archE4294967295ELNS1_3gpuE0ELNS1_3repE0EEENS1_30default_config_static_selectorELNS0_4arch9wavefront6targetE1EEEvT1_,"axG",@progbits,_ZN7rocprim17ROCPRIM_400000_NS6detail17trampoline_kernelINS0_14default_configENS1_25partition_config_selectorILNS1_17partition_subalgoE8ElNS0_10empty_typeEbEEZZNS1_14partition_implILS5_8ELb0ES3_jPKlPS6_PKS6_NS0_5tupleIJPlS6_EEENSE_IJSB_SB_EEENS0_18inequality_wrapperIN6hipcub16HIPCUB_304000_NS8EqualityEEESF_JS6_EEE10hipError_tPvRmT3_T4_T5_T6_T7_T9_mT8_P12ihipStream_tbDpT10_ENKUlT_T0_E_clISt17integral_constantIbLb0EES15_IbLb1EEEEDaS11_S12_EUlS11_E_NS1_11comp_targetILNS1_3genE0ELNS1_11target_archE4294967295ELNS1_3gpuE0ELNS1_3repE0EEENS1_30default_config_static_selectorELNS0_4arch9wavefront6targetE1EEEvT1_,comdat
	.protected	_ZN7rocprim17ROCPRIM_400000_NS6detail17trampoline_kernelINS0_14default_configENS1_25partition_config_selectorILNS1_17partition_subalgoE8ElNS0_10empty_typeEbEEZZNS1_14partition_implILS5_8ELb0ES3_jPKlPS6_PKS6_NS0_5tupleIJPlS6_EEENSE_IJSB_SB_EEENS0_18inequality_wrapperIN6hipcub16HIPCUB_304000_NS8EqualityEEESF_JS6_EEE10hipError_tPvRmT3_T4_T5_T6_T7_T9_mT8_P12ihipStream_tbDpT10_ENKUlT_T0_E_clISt17integral_constantIbLb0EES15_IbLb1EEEEDaS11_S12_EUlS11_E_NS1_11comp_targetILNS1_3genE0ELNS1_11target_archE4294967295ELNS1_3gpuE0ELNS1_3repE0EEENS1_30default_config_static_selectorELNS0_4arch9wavefront6targetE1EEEvT1_ ; -- Begin function _ZN7rocprim17ROCPRIM_400000_NS6detail17trampoline_kernelINS0_14default_configENS1_25partition_config_selectorILNS1_17partition_subalgoE8ElNS0_10empty_typeEbEEZZNS1_14partition_implILS5_8ELb0ES3_jPKlPS6_PKS6_NS0_5tupleIJPlS6_EEENSE_IJSB_SB_EEENS0_18inequality_wrapperIN6hipcub16HIPCUB_304000_NS8EqualityEEESF_JS6_EEE10hipError_tPvRmT3_T4_T5_T6_T7_T9_mT8_P12ihipStream_tbDpT10_ENKUlT_T0_E_clISt17integral_constantIbLb0EES15_IbLb1EEEEDaS11_S12_EUlS11_E_NS1_11comp_targetILNS1_3genE0ELNS1_11target_archE4294967295ELNS1_3gpuE0ELNS1_3repE0EEENS1_30default_config_static_selectorELNS0_4arch9wavefront6targetE1EEEvT1_
	.globl	_ZN7rocprim17ROCPRIM_400000_NS6detail17trampoline_kernelINS0_14default_configENS1_25partition_config_selectorILNS1_17partition_subalgoE8ElNS0_10empty_typeEbEEZZNS1_14partition_implILS5_8ELb0ES3_jPKlPS6_PKS6_NS0_5tupleIJPlS6_EEENSE_IJSB_SB_EEENS0_18inequality_wrapperIN6hipcub16HIPCUB_304000_NS8EqualityEEESF_JS6_EEE10hipError_tPvRmT3_T4_T5_T6_T7_T9_mT8_P12ihipStream_tbDpT10_ENKUlT_T0_E_clISt17integral_constantIbLb0EES15_IbLb1EEEEDaS11_S12_EUlS11_E_NS1_11comp_targetILNS1_3genE0ELNS1_11target_archE4294967295ELNS1_3gpuE0ELNS1_3repE0EEENS1_30default_config_static_selectorELNS0_4arch9wavefront6targetE1EEEvT1_
	.p2align	8
	.type	_ZN7rocprim17ROCPRIM_400000_NS6detail17trampoline_kernelINS0_14default_configENS1_25partition_config_selectorILNS1_17partition_subalgoE8ElNS0_10empty_typeEbEEZZNS1_14partition_implILS5_8ELb0ES3_jPKlPS6_PKS6_NS0_5tupleIJPlS6_EEENSE_IJSB_SB_EEENS0_18inequality_wrapperIN6hipcub16HIPCUB_304000_NS8EqualityEEESF_JS6_EEE10hipError_tPvRmT3_T4_T5_T6_T7_T9_mT8_P12ihipStream_tbDpT10_ENKUlT_T0_E_clISt17integral_constantIbLb0EES15_IbLb1EEEEDaS11_S12_EUlS11_E_NS1_11comp_targetILNS1_3genE0ELNS1_11target_archE4294967295ELNS1_3gpuE0ELNS1_3repE0EEENS1_30default_config_static_selectorELNS0_4arch9wavefront6targetE1EEEvT1_,@function
_ZN7rocprim17ROCPRIM_400000_NS6detail17trampoline_kernelINS0_14default_configENS1_25partition_config_selectorILNS1_17partition_subalgoE8ElNS0_10empty_typeEbEEZZNS1_14partition_implILS5_8ELb0ES3_jPKlPS6_PKS6_NS0_5tupleIJPlS6_EEENSE_IJSB_SB_EEENS0_18inequality_wrapperIN6hipcub16HIPCUB_304000_NS8EqualityEEESF_JS6_EEE10hipError_tPvRmT3_T4_T5_T6_T7_T9_mT8_P12ihipStream_tbDpT10_ENKUlT_T0_E_clISt17integral_constantIbLb0EES15_IbLb1EEEEDaS11_S12_EUlS11_E_NS1_11comp_targetILNS1_3genE0ELNS1_11target_archE4294967295ELNS1_3gpuE0ELNS1_3repE0EEENS1_30default_config_static_selectorELNS0_4arch9wavefront6targetE1EEEvT1_: ; @_ZN7rocprim17ROCPRIM_400000_NS6detail17trampoline_kernelINS0_14default_configENS1_25partition_config_selectorILNS1_17partition_subalgoE8ElNS0_10empty_typeEbEEZZNS1_14partition_implILS5_8ELb0ES3_jPKlPS6_PKS6_NS0_5tupleIJPlS6_EEENSE_IJSB_SB_EEENS0_18inequality_wrapperIN6hipcub16HIPCUB_304000_NS8EqualityEEESF_JS6_EEE10hipError_tPvRmT3_T4_T5_T6_T7_T9_mT8_P12ihipStream_tbDpT10_ENKUlT_T0_E_clISt17integral_constantIbLb0EES15_IbLb1EEEEDaS11_S12_EUlS11_E_NS1_11comp_targetILNS1_3genE0ELNS1_11target_archE4294967295ELNS1_3gpuE0ELNS1_3repE0EEENS1_30default_config_static_selectorELNS0_4arch9wavefront6targetE1EEEvT1_
; %bb.0:
	.section	.rodata,"a",@progbits
	.p2align	6, 0x0
	.amdhsa_kernel _ZN7rocprim17ROCPRIM_400000_NS6detail17trampoline_kernelINS0_14default_configENS1_25partition_config_selectorILNS1_17partition_subalgoE8ElNS0_10empty_typeEbEEZZNS1_14partition_implILS5_8ELb0ES3_jPKlPS6_PKS6_NS0_5tupleIJPlS6_EEENSE_IJSB_SB_EEENS0_18inequality_wrapperIN6hipcub16HIPCUB_304000_NS8EqualityEEESF_JS6_EEE10hipError_tPvRmT3_T4_T5_T6_T7_T9_mT8_P12ihipStream_tbDpT10_ENKUlT_T0_E_clISt17integral_constantIbLb0EES15_IbLb1EEEEDaS11_S12_EUlS11_E_NS1_11comp_targetILNS1_3genE0ELNS1_11target_archE4294967295ELNS1_3gpuE0ELNS1_3repE0EEENS1_30default_config_static_selectorELNS0_4arch9wavefront6targetE1EEEvT1_
		.amdhsa_group_segment_fixed_size 0
		.amdhsa_private_segment_fixed_size 0
		.amdhsa_kernarg_size 128
		.amdhsa_user_sgpr_count 6
		.amdhsa_user_sgpr_private_segment_buffer 1
		.amdhsa_user_sgpr_dispatch_ptr 0
		.amdhsa_user_sgpr_queue_ptr 0
		.amdhsa_user_sgpr_kernarg_segment_ptr 1
		.amdhsa_user_sgpr_dispatch_id 0
		.amdhsa_user_sgpr_flat_scratch_init 0
		.amdhsa_user_sgpr_kernarg_preload_length 0
		.amdhsa_user_sgpr_kernarg_preload_offset 0
		.amdhsa_user_sgpr_private_segment_size 0
		.amdhsa_uses_dynamic_stack 0
		.amdhsa_system_sgpr_private_segment_wavefront_offset 0
		.amdhsa_system_sgpr_workgroup_id_x 1
		.amdhsa_system_sgpr_workgroup_id_y 0
		.amdhsa_system_sgpr_workgroup_id_z 0
		.amdhsa_system_sgpr_workgroup_info 0
		.amdhsa_system_vgpr_workitem_id 0
		.amdhsa_next_free_vgpr 1
		.amdhsa_next_free_sgpr 0
		.amdhsa_accum_offset 4
		.amdhsa_reserve_vcc 0
		.amdhsa_reserve_flat_scratch 0
		.amdhsa_float_round_mode_32 0
		.amdhsa_float_round_mode_16_64 0
		.amdhsa_float_denorm_mode_32 3
		.amdhsa_float_denorm_mode_16_64 3
		.amdhsa_dx10_clamp 1
		.amdhsa_ieee_mode 1
		.amdhsa_fp16_overflow 0
		.amdhsa_tg_split 0
		.amdhsa_exception_fp_ieee_invalid_op 0
		.amdhsa_exception_fp_denorm_src 0
		.amdhsa_exception_fp_ieee_div_zero 0
		.amdhsa_exception_fp_ieee_overflow 0
		.amdhsa_exception_fp_ieee_underflow 0
		.amdhsa_exception_fp_ieee_inexact 0
		.amdhsa_exception_int_div_zero 0
	.end_amdhsa_kernel
	.section	.text._ZN7rocprim17ROCPRIM_400000_NS6detail17trampoline_kernelINS0_14default_configENS1_25partition_config_selectorILNS1_17partition_subalgoE8ElNS0_10empty_typeEbEEZZNS1_14partition_implILS5_8ELb0ES3_jPKlPS6_PKS6_NS0_5tupleIJPlS6_EEENSE_IJSB_SB_EEENS0_18inequality_wrapperIN6hipcub16HIPCUB_304000_NS8EqualityEEESF_JS6_EEE10hipError_tPvRmT3_T4_T5_T6_T7_T9_mT8_P12ihipStream_tbDpT10_ENKUlT_T0_E_clISt17integral_constantIbLb0EES15_IbLb1EEEEDaS11_S12_EUlS11_E_NS1_11comp_targetILNS1_3genE0ELNS1_11target_archE4294967295ELNS1_3gpuE0ELNS1_3repE0EEENS1_30default_config_static_selectorELNS0_4arch9wavefront6targetE1EEEvT1_,"axG",@progbits,_ZN7rocprim17ROCPRIM_400000_NS6detail17trampoline_kernelINS0_14default_configENS1_25partition_config_selectorILNS1_17partition_subalgoE8ElNS0_10empty_typeEbEEZZNS1_14partition_implILS5_8ELb0ES3_jPKlPS6_PKS6_NS0_5tupleIJPlS6_EEENSE_IJSB_SB_EEENS0_18inequality_wrapperIN6hipcub16HIPCUB_304000_NS8EqualityEEESF_JS6_EEE10hipError_tPvRmT3_T4_T5_T6_T7_T9_mT8_P12ihipStream_tbDpT10_ENKUlT_T0_E_clISt17integral_constantIbLb0EES15_IbLb1EEEEDaS11_S12_EUlS11_E_NS1_11comp_targetILNS1_3genE0ELNS1_11target_archE4294967295ELNS1_3gpuE0ELNS1_3repE0EEENS1_30default_config_static_selectorELNS0_4arch9wavefront6targetE1EEEvT1_,comdat
.Lfunc_end503:
	.size	_ZN7rocprim17ROCPRIM_400000_NS6detail17trampoline_kernelINS0_14default_configENS1_25partition_config_selectorILNS1_17partition_subalgoE8ElNS0_10empty_typeEbEEZZNS1_14partition_implILS5_8ELb0ES3_jPKlPS6_PKS6_NS0_5tupleIJPlS6_EEENSE_IJSB_SB_EEENS0_18inequality_wrapperIN6hipcub16HIPCUB_304000_NS8EqualityEEESF_JS6_EEE10hipError_tPvRmT3_T4_T5_T6_T7_T9_mT8_P12ihipStream_tbDpT10_ENKUlT_T0_E_clISt17integral_constantIbLb0EES15_IbLb1EEEEDaS11_S12_EUlS11_E_NS1_11comp_targetILNS1_3genE0ELNS1_11target_archE4294967295ELNS1_3gpuE0ELNS1_3repE0EEENS1_30default_config_static_selectorELNS0_4arch9wavefront6targetE1EEEvT1_, .Lfunc_end503-_ZN7rocprim17ROCPRIM_400000_NS6detail17trampoline_kernelINS0_14default_configENS1_25partition_config_selectorILNS1_17partition_subalgoE8ElNS0_10empty_typeEbEEZZNS1_14partition_implILS5_8ELb0ES3_jPKlPS6_PKS6_NS0_5tupleIJPlS6_EEENSE_IJSB_SB_EEENS0_18inequality_wrapperIN6hipcub16HIPCUB_304000_NS8EqualityEEESF_JS6_EEE10hipError_tPvRmT3_T4_T5_T6_T7_T9_mT8_P12ihipStream_tbDpT10_ENKUlT_T0_E_clISt17integral_constantIbLb0EES15_IbLb1EEEEDaS11_S12_EUlS11_E_NS1_11comp_targetILNS1_3genE0ELNS1_11target_archE4294967295ELNS1_3gpuE0ELNS1_3repE0EEENS1_30default_config_static_selectorELNS0_4arch9wavefront6targetE1EEEvT1_
                                        ; -- End function
	.section	.AMDGPU.csdata,"",@progbits
; Kernel info:
; codeLenInByte = 0
; NumSgprs: 4
; NumVgprs: 0
; NumAgprs: 0
; TotalNumVgprs: 0
; ScratchSize: 0
; MemoryBound: 0
; FloatMode: 240
; IeeeMode: 1
; LDSByteSize: 0 bytes/workgroup (compile time only)
; SGPRBlocks: 0
; VGPRBlocks: 0
; NumSGPRsForWavesPerEU: 4
; NumVGPRsForWavesPerEU: 1
; AccumOffset: 4
; Occupancy: 8
; WaveLimiterHint : 0
; COMPUTE_PGM_RSRC2:SCRATCH_EN: 0
; COMPUTE_PGM_RSRC2:USER_SGPR: 6
; COMPUTE_PGM_RSRC2:TRAP_HANDLER: 0
; COMPUTE_PGM_RSRC2:TGID_X_EN: 1
; COMPUTE_PGM_RSRC2:TGID_Y_EN: 0
; COMPUTE_PGM_RSRC2:TGID_Z_EN: 0
; COMPUTE_PGM_RSRC2:TIDIG_COMP_CNT: 0
; COMPUTE_PGM_RSRC3_GFX90A:ACCUM_OFFSET: 0
; COMPUTE_PGM_RSRC3_GFX90A:TG_SPLIT: 0
	.section	.text._ZN7rocprim17ROCPRIM_400000_NS6detail17trampoline_kernelINS0_14default_configENS1_25partition_config_selectorILNS1_17partition_subalgoE8ElNS0_10empty_typeEbEEZZNS1_14partition_implILS5_8ELb0ES3_jPKlPS6_PKS6_NS0_5tupleIJPlS6_EEENSE_IJSB_SB_EEENS0_18inequality_wrapperIN6hipcub16HIPCUB_304000_NS8EqualityEEESF_JS6_EEE10hipError_tPvRmT3_T4_T5_T6_T7_T9_mT8_P12ihipStream_tbDpT10_ENKUlT_T0_E_clISt17integral_constantIbLb0EES15_IbLb1EEEEDaS11_S12_EUlS11_E_NS1_11comp_targetILNS1_3genE5ELNS1_11target_archE942ELNS1_3gpuE9ELNS1_3repE0EEENS1_30default_config_static_selectorELNS0_4arch9wavefront6targetE1EEEvT1_,"axG",@progbits,_ZN7rocprim17ROCPRIM_400000_NS6detail17trampoline_kernelINS0_14default_configENS1_25partition_config_selectorILNS1_17partition_subalgoE8ElNS0_10empty_typeEbEEZZNS1_14partition_implILS5_8ELb0ES3_jPKlPS6_PKS6_NS0_5tupleIJPlS6_EEENSE_IJSB_SB_EEENS0_18inequality_wrapperIN6hipcub16HIPCUB_304000_NS8EqualityEEESF_JS6_EEE10hipError_tPvRmT3_T4_T5_T6_T7_T9_mT8_P12ihipStream_tbDpT10_ENKUlT_T0_E_clISt17integral_constantIbLb0EES15_IbLb1EEEEDaS11_S12_EUlS11_E_NS1_11comp_targetILNS1_3genE5ELNS1_11target_archE942ELNS1_3gpuE9ELNS1_3repE0EEENS1_30default_config_static_selectorELNS0_4arch9wavefront6targetE1EEEvT1_,comdat
	.protected	_ZN7rocprim17ROCPRIM_400000_NS6detail17trampoline_kernelINS0_14default_configENS1_25partition_config_selectorILNS1_17partition_subalgoE8ElNS0_10empty_typeEbEEZZNS1_14partition_implILS5_8ELb0ES3_jPKlPS6_PKS6_NS0_5tupleIJPlS6_EEENSE_IJSB_SB_EEENS0_18inequality_wrapperIN6hipcub16HIPCUB_304000_NS8EqualityEEESF_JS6_EEE10hipError_tPvRmT3_T4_T5_T6_T7_T9_mT8_P12ihipStream_tbDpT10_ENKUlT_T0_E_clISt17integral_constantIbLb0EES15_IbLb1EEEEDaS11_S12_EUlS11_E_NS1_11comp_targetILNS1_3genE5ELNS1_11target_archE942ELNS1_3gpuE9ELNS1_3repE0EEENS1_30default_config_static_selectorELNS0_4arch9wavefront6targetE1EEEvT1_ ; -- Begin function _ZN7rocprim17ROCPRIM_400000_NS6detail17trampoline_kernelINS0_14default_configENS1_25partition_config_selectorILNS1_17partition_subalgoE8ElNS0_10empty_typeEbEEZZNS1_14partition_implILS5_8ELb0ES3_jPKlPS6_PKS6_NS0_5tupleIJPlS6_EEENSE_IJSB_SB_EEENS0_18inequality_wrapperIN6hipcub16HIPCUB_304000_NS8EqualityEEESF_JS6_EEE10hipError_tPvRmT3_T4_T5_T6_T7_T9_mT8_P12ihipStream_tbDpT10_ENKUlT_T0_E_clISt17integral_constantIbLb0EES15_IbLb1EEEEDaS11_S12_EUlS11_E_NS1_11comp_targetILNS1_3genE5ELNS1_11target_archE942ELNS1_3gpuE9ELNS1_3repE0EEENS1_30default_config_static_selectorELNS0_4arch9wavefront6targetE1EEEvT1_
	.globl	_ZN7rocprim17ROCPRIM_400000_NS6detail17trampoline_kernelINS0_14default_configENS1_25partition_config_selectorILNS1_17partition_subalgoE8ElNS0_10empty_typeEbEEZZNS1_14partition_implILS5_8ELb0ES3_jPKlPS6_PKS6_NS0_5tupleIJPlS6_EEENSE_IJSB_SB_EEENS0_18inequality_wrapperIN6hipcub16HIPCUB_304000_NS8EqualityEEESF_JS6_EEE10hipError_tPvRmT3_T4_T5_T6_T7_T9_mT8_P12ihipStream_tbDpT10_ENKUlT_T0_E_clISt17integral_constantIbLb0EES15_IbLb1EEEEDaS11_S12_EUlS11_E_NS1_11comp_targetILNS1_3genE5ELNS1_11target_archE942ELNS1_3gpuE9ELNS1_3repE0EEENS1_30default_config_static_selectorELNS0_4arch9wavefront6targetE1EEEvT1_
	.p2align	8
	.type	_ZN7rocprim17ROCPRIM_400000_NS6detail17trampoline_kernelINS0_14default_configENS1_25partition_config_selectorILNS1_17partition_subalgoE8ElNS0_10empty_typeEbEEZZNS1_14partition_implILS5_8ELb0ES3_jPKlPS6_PKS6_NS0_5tupleIJPlS6_EEENSE_IJSB_SB_EEENS0_18inequality_wrapperIN6hipcub16HIPCUB_304000_NS8EqualityEEESF_JS6_EEE10hipError_tPvRmT3_T4_T5_T6_T7_T9_mT8_P12ihipStream_tbDpT10_ENKUlT_T0_E_clISt17integral_constantIbLb0EES15_IbLb1EEEEDaS11_S12_EUlS11_E_NS1_11comp_targetILNS1_3genE5ELNS1_11target_archE942ELNS1_3gpuE9ELNS1_3repE0EEENS1_30default_config_static_selectorELNS0_4arch9wavefront6targetE1EEEvT1_,@function
_ZN7rocprim17ROCPRIM_400000_NS6detail17trampoline_kernelINS0_14default_configENS1_25partition_config_selectorILNS1_17partition_subalgoE8ElNS0_10empty_typeEbEEZZNS1_14partition_implILS5_8ELb0ES3_jPKlPS6_PKS6_NS0_5tupleIJPlS6_EEENSE_IJSB_SB_EEENS0_18inequality_wrapperIN6hipcub16HIPCUB_304000_NS8EqualityEEESF_JS6_EEE10hipError_tPvRmT3_T4_T5_T6_T7_T9_mT8_P12ihipStream_tbDpT10_ENKUlT_T0_E_clISt17integral_constantIbLb0EES15_IbLb1EEEEDaS11_S12_EUlS11_E_NS1_11comp_targetILNS1_3genE5ELNS1_11target_archE942ELNS1_3gpuE9ELNS1_3repE0EEENS1_30default_config_static_selectorELNS0_4arch9wavefront6targetE1EEEvT1_: ; @_ZN7rocprim17ROCPRIM_400000_NS6detail17trampoline_kernelINS0_14default_configENS1_25partition_config_selectorILNS1_17partition_subalgoE8ElNS0_10empty_typeEbEEZZNS1_14partition_implILS5_8ELb0ES3_jPKlPS6_PKS6_NS0_5tupleIJPlS6_EEENSE_IJSB_SB_EEENS0_18inequality_wrapperIN6hipcub16HIPCUB_304000_NS8EqualityEEESF_JS6_EEE10hipError_tPvRmT3_T4_T5_T6_T7_T9_mT8_P12ihipStream_tbDpT10_ENKUlT_T0_E_clISt17integral_constantIbLb0EES15_IbLb1EEEEDaS11_S12_EUlS11_E_NS1_11comp_targetILNS1_3genE5ELNS1_11target_archE942ELNS1_3gpuE9ELNS1_3repE0EEENS1_30default_config_static_selectorELNS0_4arch9wavefront6targetE1EEEvT1_
; %bb.0:
	.section	.rodata,"a",@progbits
	.p2align	6, 0x0
	.amdhsa_kernel _ZN7rocprim17ROCPRIM_400000_NS6detail17trampoline_kernelINS0_14default_configENS1_25partition_config_selectorILNS1_17partition_subalgoE8ElNS0_10empty_typeEbEEZZNS1_14partition_implILS5_8ELb0ES3_jPKlPS6_PKS6_NS0_5tupleIJPlS6_EEENSE_IJSB_SB_EEENS0_18inequality_wrapperIN6hipcub16HIPCUB_304000_NS8EqualityEEESF_JS6_EEE10hipError_tPvRmT3_T4_T5_T6_T7_T9_mT8_P12ihipStream_tbDpT10_ENKUlT_T0_E_clISt17integral_constantIbLb0EES15_IbLb1EEEEDaS11_S12_EUlS11_E_NS1_11comp_targetILNS1_3genE5ELNS1_11target_archE942ELNS1_3gpuE9ELNS1_3repE0EEENS1_30default_config_static_selectorELNS0_4arch9wavefront6targetE1EEEvT1_
		.amdhsa_group_segment_fixed_size 0
		.amdhsa_private_segment_fixed_size 0
		.amdhsa_kernarg_size 128
		.amdhsa_user_sgpr_count 6
		.amdhsa_user_sgpr_private_segment_buffer 1
		.amdhsa_user_sgpr_dispatch_ptr 0
		.amdhsa_user_sgpr_queue_ptr 0
		.amdhsa_user_sgpr_kernarg_segment_ptr 1
		.amdhsa_user_sgpr_dispatch_id 0
		.amdhsa_user_sgpr_flat_scratch_init 0
		.amdhsa_user_sgpr_kernarg_preload_length 0
		.amdhsa_user_sgpr_kernarg_preload_offset 0
		.amdhsa_user_sgpr_private_segment_size 0
		.amdhsa_uses_dynamic_stack 0
		.amdhsa_system_sgpr_private_segment_wavefront_offset 0
		.amdhsa_system_sgpr_workgroup_id_x 1
		.amdhsa_system_sgpr_workgroup_id_y 0
		.amdhsa_system_sgpr_workgroup_id_z 0
		.amdhsa_system_sgpr_workgroup_info 0
		.amdhsa_system_vgpr_workitem_id 0
		.amdhsa_next_free_vgpr 1
		.amdhsa_next_free_sgpr 0
		.amdhsa_accum_offset 4
		.amdhsa_reserve_vcc 0
		.amdhsa_reserve_flat_scratch 0
		.amdhsa_float_round_mode_32 0
		.amdhsa_float_round_mode_16_64 0
		.amdhsa_float_denorm_mode_32 3
		.amdhsa_float_denorm_mode_16_64 3
		.amdhsa_dx10_clamp 1
		.amdhsa_ieee_mode 1
		.amdhsa_fp16_overflow 0
		.amdhsa_tg_split 0
		.amdhsa_exception_fp_ieee_invalid_op 0
		.amdhsa_exception_fp_denorm_src 0
		.amdhsa_exception_fp_ieee_div_zero 0
		.amdhsa_exception_fp_ieee_overflow 0
		.amdhsa_exception_fp_ieee_underflow 0
		.amdhsa_exception_fp_ieee_inexact 0
		.amdhsa_exception_int_div_zero 0
	.end_amdhsa_kernel
	.section	.text._ZN7rocprim17ROCPRIM_400000_NS6detail17trampoline_kernelINS0_14default_configENS1_25partition_config_selectorILNS1_17partition_subalgoE8ElNS0_10empty_typeEbEEZZNS1_14partition_implILS5_8ELb0ES3_jPKlPS6_PKS6_NS0_5tupleIJPlS6_EEENSE_IJSB_SB_EEENS0_18inequality_wrapperIN6hipcub16HIPCUB_304000_NS8EqualityEEESF_JS6_EEE10hipError_tPvRmT3_T4_T5_T6_T7_T9_mT8_P12ihipStream_tbDpT10_ENKUlT_T0_E_clISt17integral_constantIbLb0EES15_IbLb1EEEEDaS11_S12_EUlS11_E_NS1_11comp_targetILNS1_3genE5ELNS1_11target_archE942ELNS1_3gpuE9ELNS1_3repE0EEENS1_30default_config_static_selectorELNS0_4arch9wavefront6targetE1EEEvT1_,"axG",@progbits,_ZN7rocprim17ROCPRIM_400000_NS6detail17trampoline_kernelINS0_14default_configENS1_25partition_config_selectorILNS1_17partition_subalgoE8ElNS0_10empty_typeEbEEZZNS1_14partition_implILS5_8ELb0ES3_jPKlPS6_PKS6_NS0_5tupleIJPlS6_EEENSE_IJSB_SB_EEENS0_18inequality_wrapperIN6hipcub16HIPCUB_304000_NS8EqualityEEESF_JS6_EEE10hipError_tPvRmT3_T4_T5_T6_T7_T9_mT8_P12ihipStream_tbDpT10_ENKUlT_T0_E_clISt17integral_constantIbLb0EES15_IbLb1EEEEDaS11_S12_EUlS11_E_NS1_11comp_targetILNS1_3genE5ELNS1_11target_archE942ELNS1_3gpuE9ELNS1_3repE0EEENS1_30default_config_static_selectorELNS0_4arch9wavefront6targetE1EEEvT1_,comdat
.Lfunc_end504:
	.size	_ZN7rocprim17ROCPRIM_400000_NS6detail17trampoline_kernelINS0_14default_configENS1_25partition_config_selectorILNS1_17partition_subalgoE8ElNS0_10empty_typeEbEEZZNS1_14partition_implILS5_8ELb0ES3_jPKlPS6_PKS6_NS0_5tupleIJPlS6_EEENSE_IJSB_SB_EEENS0_18inequality_wrapperIN6hipcub16HIPCUB_304000_NS8EqualityEEESF_JS6_EEE10hipError_tPvRmT3_T4_T5_T6_T7_T9_mT8_P12ihipStream_tbDpT10_ENKUlT_T0_E_clISt17integral_constantIbLb0EES15_IbLb1EEEEDaS11_S12_EUlS11_E_NS1_11comp_targetILNS1_3genE5ELNS1_11target_archE942ELNS1_3gpuE9ELNS1_3repE0EEENS1_30default_config_static_selectorELNS0_4arch9wavefront6targetE1EEEvT1_, .Lfunc_end504-_ZN7rocprim17ROCPRIM_400000_NS6detail17trampoline_kernelINS0_14default_configENS1_25partition_config_selectorILNS1_17partition_subalgoE8ElNS0_10empty_typeEbEEZZNS1_14partition_implILS5_8ELb0ES3_jPKlPS6_PKS6_NS0_5tupleIJPlS6_EEENSE_IJSB_SB_EEENS0_18inequality_wrapperIN6hipcub16HIPCUB_304000_NS8EqualityEEESF_JS6_EEE10hipError_tPvRmT3_T4_T5_T6_T7_T9_mT8_P12ihipStream_tbDpT10_ENKUlT_T0_E_clISt17integral_constantIbLb0EES15_IbLb1EEEEDaS11_S12_EUlS11_E_NS1_11comp_targetILNS1_3genE5ELNS1_11target_archE942ELNS1_3gpuE9ELNS1_3repE0EEENS1_30default_config_static_selectorELNS0_4arch9wavefront6targetE1EEEvT1_
                                        ; -- End function
	.section	.AMDGPU.csdata,"",@progbits
; Kernel info:
; codeLenInByte = 0
; NumSgprs: 4
; NumVgprs: 0
; NumAgprs: 0
; TotalNumVgprs: 0
; ScratchSize: 0
; MemoryBound: 0
; FloatMode: 240
; IeeeMode: 1
; LDSByteSize: 0 bytes/workgroup (compile time only)
; SGPRBlocks: 0
; VGPRBlocks: 0
; NumSGPRsForWavesPerEU: 4
; NumVGPRsForWavesPerEU: 1
; AccumOffset: 4
; Occupancy: 8
; WaveLimiterHint : 0
; COMPUTE_PGM_RSRC2:SCRATCH_EN: 0
; COMPUTE_PGM_RSRC2:USER_SGPR: 6
; COMPUTE_PGM_RSRC2:TRAP_HANDLER: 0
; COMPUTE_PGM_RSRC2:TGID_X_EN: 1
; COMPUTE_PGM_RSRC2:TGID_Y_EN: 0
; COMPUTE_PGM_RSRC2:TGID_Z_EN: 0
; COMPUTE_PGM_RSRC2:TIDIG_COMP_CNT: 0
; COMPUTE_PGM_RSRC3_GFX90A:ACCUM_OFFSET: 0
; COMPUTE_PGM_RSRC3_GFX90A:TG_SPLIT: 0
	.section	.text._ZN7rocprim17ROCPRIM_400000_NS6detail17trampoline_kernelINS0_14default_configENS1_25partition_config_selectorILNS1_17partition_subalgoE8ElNS0_10empty_typeEbEEZZNS1_14partition_implILS5_8ELb0ES3_jPKlPS6_PKS6_NS0_5tupleIJPlS6_EEENSE_IJSB_SB_EEENS0_18inequality_wrapperIN6hipcub16HIPCUB_304000_NS8EqualityEEESF_JS6_EEE10hipError_tPvRmT3_T4_T5_T6_T7_T9_mT8_P12ihipStream_tbDpT10_ENKUlT_T0_E_clISt17integral_constantIbLb0EES15_IbLb1EEEEDaS11_S12_EUlS11_E_NS1_11comp_targetILNS1_3genE4ELNS1_11target_archE910ELNS1_3gpuE8ELNS1_3repE0EEENS1_30default_config_static_selectorELNS0_4arch9wavefront6targetE1EEEvT1_,"axG",@progbits,_ZN7rocprim17ROCPRIM_400000_NS6detail17trampoline_kernelINS0_14default_configENS1_25partition_config_selectorILNS1_17partition_subalgoE8ElNS0_10empty_typeEbEEZZNS1_14partition_implILS5_8ELb0ES3_jPKlPS6_PKS6_NS0_5tupleIJPlS6_EEENSE_IJSB_SB_EEENS0_18inequality_wrapperIN6hipcub16HIPCUB_304000_NS8EqualityEEESF_JS6_EEE10hipError_tPvRmT3_T4_T5_T6_T7_T9_mT8_P12ihipStream_tbDpT10_ENKUlT_T0_E_clISt17integral_constantIbLb0EES15_IbLb1EEEEDaS11_S12_EUlS11_E_NS1_11comp_targetILNS1_3genE4ELNS1_11target_archE910ELNS1_3gpuE8ELNS1_3repE0EEENS1_30default_config_static_selectorELNS0_4arch9wavefront6targetE1EEEvT1_,comdat
	.protected	_ZN7rocprim17ROCPRIM_400000_NS6detail17trampoline_kernelINS0_14default_configENS1_25partition_config_selectorILNS1_17partition_subalgoE8ElNS0_10empty_typeEbEEZZNS1_14partition_implILS5_8ELb0ES3_jPKlPS6_PKS6_NS0_5tupleIJPlS6_EEENSE_IJSB_SB_EEENS0_18inequality_wrapperIN6hipcub16HIPCUB_304000_NS8EqualityEEESF_JS6_EEE10hipError_tPvRmT3_T4_T5_T6_T7_T9_mT8_P12ihipStream_tbDpT10_ENKUlT_T0_E_clISt17integral_constantIbLb0EES15_IbLb1EEEEDaS11_S12_EUlS11_E_NS1_11comp_targetILNS1_3genE4ELNS1_11target_archE910ELNS1_3gpuE8ELNS1_3repE0EEENS1_30default_config_static_selectorELNS0_4arch9wavefront6targetE1EEEvT1_ ; -- Begin function _ZN7rocprim17ROCPRIM_400000_NS6detail17trampoline_kernelINS0_14default_configENS1_25partition_config_selectorILNS1_17partition_subalgoE8ElNS0_10empty_typeEbEEZZNS1_14partition_implILS5_8ELb0ES3_jPKlPS6_PKS6_NS0_5tupleIJPlS6_EEENSE_IJSB_SB_EEENS0_18inequality_wrapperIN6hipcub16HIPCUB_304000_NS8EqualityEEESF_JS6_EEE10hipError_tPvRmT3_T4_T5_T6_T7_T9_mT8_P12ihipStream_tbDpT10_ENKUlT_T0_E_clISt17integral_constantIbLb0EES15_IbLb1EEEEDaS11_S12_EUlS11_E_NS1_11comp_targetILNS1_3genE4ELNS1_11target_archE910ELNS1_3gpuE8ELNS1_3repE0EEENS1_30default_config_static_selectorELNS0_4arch9wavefront6targetE1EEEvT1_
	.globl	_ZN7rocprim17ROCPRIM_400000_NS6detail17trampoline_kernelINS0_14default_configENS1_25partition_config_selectorILNS1_17partition_subalgoE8ElNS0_10empty_typeEbEEZZNS1_14partition_implILS5_8ELb0ES3_jPKlPS6_PKS6_NS0_5tupleIJPlS6_EEENSE_IJSB_SB_EEENS0_18inequality_wrapperIN6hipcub16HIPCUB_304000_NS8EqualityEEESF_JS6_EEE10hipError_tPvRmT3_T4_T5_T6_T7_T9_mT8_P12ihipStream_tbDpT10_ENKUlT_T0_E_clISt17integral_constantIbLb0EES15_IbLb1EEEEDaS11_S12_EUlS11_E_NS1_11comp_targetILNS1_3genE4ELNS1_11target_archE910ELNS1_3gpuE8ELNS1_3repE0EEENS1_30default_config_static_selectorELNS0_4arch9wavefront6targetE1EEEvT1_
	.p2align	8
	.type	_ZN7rocprim17ROCPRIM_400000_NS6detail17trampoline_kernelINS0_14default_configENS1_25partition_config_selectorILNS1_17partition_subalgoE8ElNS0_10empty_typeEbEEZZNS1_14partition_implILS5_8ELb0ES3_jPKlPS6_PKS6_NS0_5tupleIJPlS6_EEENSE_IJSB_SB_EEENS0_18inequality_wrapperIN6hipcub16HIPCUB_304000_NS8EqualityEEESF_JS6_EEE10hipError_tPvRmT3_T4_T5_T6_T7_T9_mT8_P12ihipStream_tbDpT10_ENKUlT_T0_E_clISt17integral_constantIbLb0EES15_IbLb1EEEEDaS11_S12_EUlS11_E_NS1_11comp_targetILNS1_3genE4ELNS1_11target_archE910ELNS1_3gpuE8ELNS1_3repE0EEENS1_30default_config_static_selectorELNS0_4arch9wavefront6targetE1EEEvT1_,@function
_ZN7rocprim17ROCPRIM_400000_NS6detail17trampoline_kernelINS0_14default_configENS1_25partition_config_selectorILNS1_17partition_subalgoE8ElNS0_10empty_typeEbEEZZNS1_14partition_implILS5_8ELb0ES3_jPKlPS6_PKS6_NS0_5tupleIJPlS6_EEENSE_IJSB_SB_EEENS0_18inequality_wrapperIN6hipcub16HIPCUB_304000_NS8EqualityEEESF_JS6_EEE10hipError_tPvRmT3_T4_T5_T6_T7_T9_mT8_P12ihipStream_tbDpT10_ENKUlT_T0_E_clISt17integral_constantIbLb0EES15_IbLb1EEEEDaS11_S12_EUlS11_E_NS1_11comp_targetILNS1_3genE4ELNS1_11target_archE910ELNS1_3gpuE8ELNS1_3repE0EEENS1_30default_config_static_selectorELNS0_4arch9wavefront6targetE1EEEvT1_: ; @_ZN7rocprim17ROCPRIM_400000_NS6detail17trampoline_kernelINS0_14default_configENS1_25partition_config_selectorILNS1_17partition_subalgoE8ElNS0_10empty_typeEbEEZZNS1_14partition_implILS5_8ELb0ES3_jPKlPS6_PKS6_NS0_5tupleIJPlS6_EEENSE_IJSB_SB_EEENS0_18inequality_wrapperIN6hipcub16HIPCUB_304000_NS8EqualityEEESF_JS6_EEE10hipError_tPvRmT3_T4_T5_T6_T7_T9_mT8_P12ihipStream_tbDpT10_ENKUlT_T0_E_clISt17integral_constantIbLb0EES15_IbLb1EEEEDaS11_S12_EUlS11_E_NS1_11comp_targetILNS1_3genE4ELNS1_11target_archE910ELNS1_3gpuE8ELNS1_3repE0EEENS1_30default_config_static_selectorELNS0_4arch9wavefront6targetE1EEEvT1_
; %bb.0:
	s_load_dwordx2 s[18:19], s[4:5], 0x28
	s_load_dwordx4 s[20:23], s[4:5], 0x40
	s_load_dwordx2 s[6:7], s[4:5], 0x50
	s_load_dwordx2 s[28:29], s[4:5], 0x60
	v_cmp_ne_u32_e64 s[2:3], 0, v0
	v_cmp_eq_u32_e64 s[0:1], 0, v0
	s_and_saveexec_b64 s[8:9], s[0:1]
	s_cbranch_execz .LBB505_4
; %bb.1:
	s_mov_b64 s[12:13], exec
	v_mbcnt_lo_u32_b32 v1, s12, 0
	v_mbcnt_hi_u32_b32 v1, s13, v1
	v_cmp_eq_u32_e32 vcc, 0, v1
                                        ; implicit-def: $vgpr2
	s_and_saveexec_b64 s[10:11], vcc
	s_cbranch_execz .LBB505_3
; %bb.2:
	s_load_dwordx2 s[14:15], s[4:5], 0x70
	s_bcnt1_i32_b64 s12, s[12:13]
	v_mov_b32_e32 v2, 0
	v_mov_b32_e32 v3, s12
	s_waitcnt lgkmcnt(0)
	global_atomic_add v2, v2, v3, s[14:15] glc
.LBB505_3:
	s_or_b64 exec, exec, s[10:11]
	s_waitcnt vmcnt(0)
	v_readfirstlane_b32 s10, v2
	v_add_u32_e32 v1, s10, v1
	v_mov_b32_e32 v2, 0
	ds_write_b32 v2, v1
.LBB505_4:
	s_or_b64 exec, exec, s[8:9]
	v_mov_b32_e32 v3, 0
	s_load_dwordx4 s[8:11], s[4:5], 0x8
	s_load_dword s12, s[4:5], 0x68
	s_waitcnt lgkmcnt(0)
	s_barrier
	ds_read_b32 v1, v3
	s_waitcnt lgkmcnt(0)
	s_barrier
	global_load_dwordx2 v[4:5], v3, s[22:23]
	s_lshl_b64 s[4:5], s[10:11], 3
	s_mul_i32 s13, s12, 0x500
	s_add_u32 s8, s8, s4
	s_addc_u32 s4, s9, s5
	s_add_i32 s5, s13, s10
	s_add_i32 s12, s12, -1
	s_sub_i32 s30, s6, s5
	v_mov_b32_e32 v8, s4
	s_add_u32 s4, s10, s13
	s_addc_u32 s5, s11, 0
	v_readfirstlane_b32 s33, v1
	v_mov_b32_e32 v6, s6
	v_mov_b32_e32 v7, s7
	s_movk_i32 s7, 0x500
	s_cmp_eq_u32 s33, s12
	v_mul_lo_u32 v2, v1, s7
	v_cmp_ge_u64_e32 vcc, s[4:5], v[6:7]
	s_cselect_b64 s[24:25], -1, 0
	v_lshlrev_b64 v[2:3], 3, v[2:3]
	s_and_b64 s[12:13], vcc, s[24:25]
	v_add_co_u32_e64 v18, s[4:5], s8, v2
	s_xor_b64 s[26:27], s[12:13], -1
	s_mov_b64 s[14:15], -1
	v_addc_co_u32_e64 v19, s[4:5], v8, v3, s[4:5]
	s_and_b64 vcc, exec, s[26:27]
	s_waitcnt vmcnt(0)
	v_readfirstlane_b32 s22, v4
	v_readfirstlane_b32 s23, v5
	s_cbranch_vccz .LBB505_6
; %bb.5:
	v_lshlrev_b32_e32 v1, 3, v0
	v_add_co_u32_e32 v12, vcc, v18, v1
	v_addc_co_u32_e32 v13, vcc, 0, v19, vcc
	v_add_co_u32_e32 v2, vcc, 0x1000, v12
	v_readfirstlane_b32 s4, v18
	v_readfirstlane_b32 s5, v19
	v_addc_co_u32_e32 v3, vcc, 0, v13, vcc
	s_nop 3
	global_load_dwordx2 v[4:5], v1, s[4:5]
	global_load_dwordx2 v[6:7], v1, s[4:5] offset:2048
	global_load_dwordx2 v[8:9], v[2:3], off
	global_load_dwordx2 v[10:11], v[2:3], off offset:2048
	v_add_co_u32_e32 v2, vcc, 0x2000, v12
	v_addc_co_u32_e32 v3, vcc, 0, v13, vcc
	global_load_dwordx2 v[2:3], v[2:3], off
	s_mov_b64 s[14:15], 0
	s_waitcnt vmcnt(3)
	ds_write2st64_b64 v1, v[4:5], v[6:7] offset1:4
	s_waitcnt vmcnt(1)
	ds_write2st64_b64 v1, v[8:9], v[10:11] offset0:8 offset1:12
	s_waitcnt vmcnt(0)
	ds_write_b64 v1, v[2:3] offset:8192
	s_waitcnt lgkmcnt(0)
	s_barrier
.LBB505_6:
	s_andn2_b64 vcc, exec, s[14:15]
	s_addk_i32 s30, 0x500
	s_cbranch_vccnz .LBB505_18
; %bb.7:
	v_cmp_gt_u32_e32 vcc, s30, v0
                                        ; implicit-def: $vgpr2_vgpr3_vgpr4_vgpr5_vgpr6_vgpr7_vgpr8_vgpr9_vgpr10_vgpr11_vgpr12_vgpr13_vgpr14_vgpr15_vgpr16_vgpr17
	s_and_saveexec_b64 s[4:5], vcc
	s_cbranch_execz .LBB505_9
; %bb.8:
	v_lshlrev_b32_e32 v1, 3, v0
	v_readfirstlane_b32 s6, v18
	v_readfirstlane_b32 s7, v19
	s_nop 4
	global_load_dwordx2 v[2:3], v1, s[6:7]
.LBB505_9:
	s_or_b64 exec, exec, s[4:5]
	v_or_b32_e32 v1, 0x100, v0
	v_cmp_gt_u32_e32 vcc, s30, v1
	s_and_saveexec_b64 s[4:5], vcc
	s_cbranch_execz .LBB505_11
; %bb.10:
	v_lshlrev_b32_e32 v1, 3, v0
	v_readfirstlane_b32 s6, v18
	v_readfirstlane_b32 s7, v19
	s_nop 4
	global_load_dwordx2 v[4:5], v1, s[6:7] offset:2048
.LBB505_11:
	s_or_b64 exec, exec, s[4:5]
	v_or_b32_e32 v1, 0x200, v0
	v_cmp_gt_u32_e32 vcc, s30, v1
	s_and_saveexec_b64 s[4:5], vcc
	s_cbranch_execz .LBB505_13
; %bb.12:
	v_lshlrev_b32_e32 v1, 3, v1
	v_readfirstlane_b32 s6, v18
	v_readfirstlane_b32 s7, v19
	s_nop 4
	global_load_dwordx2 v[6:7], v1, s[6:7]
.LBB505_13:
	s_or_b64 exec, exec, s[4:5]
	v_or_b32_e32 v1, 0x300, v0
	v_cmp_gt_u32_e32 vcc, s30, v1
	s_and_saveexec_b64 s[4:5], vcc
	s_cbranch_execz .LBB505_15
; %bb.14:
	v_lshlrev_b32_e32 v1, 3, v1
	v_readfirstlane_b32 s6, v18
	v_readfirstlane_b32 s7, v19
	s_nop 4
	global_load_dwordx2 v[8:9], v1, s[6:7]
.LBB505_15:
	;; [unrolled: 12-line block ×3, first 2 shown]
	s_or_b64 exec, exec, s[4:5]
	v_lshlrev_b32_e32 v1, 3, v0
	s_waitcnt vmcnt(0)
	ds_write2st64_b64 v1, v[2:3], v[4:5] offset1:4
	ds_write2st64_b64 v1, v[6:7], v[8:9] offset0:8 offset1:12
	ds_write_b64 v1, v[10:11] offset:8192
	s_waitcnt lgkmcnt(0)
	s_barrier
.LBB505_18:
	v_mul_u32_u24_e32 v20, 5, v0
	v_lshlrev_b32_e32 v1, 3, v20
	ds_read2_b64 v[6:9], v1 offset1:1
	ds_read2_b64 v[2:5], v1 offset0:2 offset1:3
	ds_read_b64 v[10:11], v1 offset:32
	s_cmp_lg_u32 s33, 0
	s_cselect_b64 s[16:17], -1, 0
	s_cmp_lg_u64 s[10:11], 0
	s_cselect_b64 s[4:5], -1, 0
	s_or_b64 s[4:5], s[4:5], s[16:17]
	v_mad_u32_u24 v23, v0, 5, 1
	v_mad_u32_u24 v21, v0, 5, 2
	;; [unrolled: 1-line block ×4, first 2 shown]
	s_mov_b64 s[14:15], 0
	s_and_b64 vcc, exec, s[4:5]
	s_waitcnt lgkmcnt(0)
	s_barrier
	s_cbranch_vccz .LBB505_23
; %bb.19:
	global_load_dwordx2 v[14:15], v[18:19], off offset:-8
	v_lshlrev_b32_e32 v12, 3, v0
	s_and_b64 vcc, exec, s[26:27]
	ds_write_b64 v12, v[10:11]
	s_cbranch_vccz .LBB505_24
; %bb.20:
	s_waitcnt vmcnt(0)
	v_pk_mov_b32 v[16:17], v[14:15], v[14:15] op_sel:[0,1]
	s_waitcnt lgkmcnt(0)
	s_barrier
	s_and_saveexec_b64 s[4:5], s[2:3]
	s_cbranch_execz .LBB505_22
; %bb.21:
	v_add_u32_e32 v13, -8, v12
	ds_read_b64 v[16:17], v13
.LBB505_22:
	s_or_b64 exec, exec, s[4:5]
	v_cmp_ne_u64_e32 vcc, v[4:5], v[10:11]
	v_cndmask_b32_e64 v13, 0, 1, vcc
	v_cmp_ne_u64_e32 vcc, v[2:3], v[4:5]
	v_cndmask_b32_e64 v18, 0, 1, vcc
	;; [unrolled: 2-line block ×4, first 2 shown]
	s_waitcnt lgkmcnt(0)
	v_cmp_ne_u64_e64 s[4:5], v[16:17], v[6:7]
	v_lshlrev_b16_e32 v16, 8, v18
	v_or_b32_sdwa v16, v19, v16 dst_sel:WORD_1 dst_unused:UNUSED_PAD src0_sel:DWORD src1_sel:DWORD
	v_lshlrev_b16_e32 v17, 8, v25
	v_or_b32_e32 v16, v17, v16
	s_branch .LBB505_28
.LBB505_23:
                                        ; implicit-def: $sgpr4_sgpr5
                                        ; implicit-def: $vgpr13
                                        ; implicit-def: $vgpr16
	s_branch .LBB505_29
.LBB505_24:
                                        ; implicit-def: $sgpr4_sgpr5
                                        ; implicit-def: $vgpr13
                                        ; implicit-def: $vgpr16
	s_cbranch_execz .LBB505_28
; %bb.25:
	s_waitcnt lgkmcnt(0)
	s_barrier
	s_and_saveexec_b64 s[4:5], s[2:3]
	s_cbranch_execz .LBB505_27
; %bb.26:
	v_add_u32_e32 v12, -8, v12
	s_waitcnt vmcnt(0)
	ds_read_b64 v[14:15], v12
.LBB505_27:
	s_or_b64 exec, exec, s[4:5]
	v_cmp_gt_u32_e32 vcc, s30, v22
	v_cmp_ne_u64_e64 s[4:5], v[4:5], v[10:11]
	s_and_b64 s[4:5], vcc, s[4:5]
	v_cndmask_b32_e64 v13, 0, 1, s[4:5]
	v_cmp_gt_u32_e32 vcc, s30, v24
	v_cmp_ne_u64_e64 s[4:5], v[2:3], v[4:5]
	s_and_b64 s[4:5], vcc, s[4:5]
	v_cndmask_b32_e64 v12, 0, 1, s[4:5]
	;; [unrolled: 4-line block ×4, first 2 shown]
	v_lshlrev_b16_e32 v12, 8, v12
	v_cmp_gt_u32_e32 vcc, s30, v20
	s_waitcnt vmcnt(0) lgkmcnt(0)
	v_cmp_ne_u64_e64 s[4:5], v[14:15], v[6:7]
	v_or_b32_sdwa v12, v16, v12 dst_sel:WORD_1 dst_unused:UNUSED_PAD src0_sel:DWORD src1_sel:DWORD
	v_lshlrev_b16_e32 v14, 8, v17
	s_and_b64 s[4:5], vcc, s[4:5]
	v_or_b32_e32 v16, v14, v12
.LBB505_28:
	s_mov_b64 s[14:15], -1
	s_cbranch_execnz .LBB505_37
.LBB505_29:
	v_lshlrev_b32_e32 v12, 5, v0
	s_waitcnt vmcnt(0)
	v_sub_u32_e32 v14, v1, v12
	s_and_b64 vcc, exec, s[26:27]
	v_cmp_ne_u64_e64 s[4:5], v[4:5], v[10:11]
	v_cmp_ne_u64_e64 s[6:7], v[2:3], v[4:5]
	;; [unrolled: 1-line block ×4, first 2 shown]
	ds_write_b64 v14, v[10:11]
	s_cbranch_vccz .LBB505_33
; %bb.30:
	v_cndmask_b32_e64 v12, 0, 1, s[6:7]
	v_cndmask_b32_e64 v13, 0, 1, s[8:9]
	;; [unrolled: 1-line block ×3, first 2 shown]
	v_lshlrev_b16_e32 v12, 8, v12
	v_or_b32_sdwa v12, v13, v12 dst_sel:WORD_1 dst_unused:UNUSED_PAD src0_sel:DWORD src1_sel:DWORD
	v_lshlrev_b16_e32 v13, 8, v15
	v_or_b32_e32 v13, 1, v13
	v_or_b32_sdwa v12, v13, v12 dst_sel:DWORD dst_unused:UNUSED_PAD src0_sel:WORD_0 src1_sel:DWORD
	v_cndmask_b32_e64 v13, 0, 1, s[4:5]
	s_waitcnt lgkmcnt(0)
	s_barrier
	s_waitcnt lgkmcnt(0)
                                        ; implicit-def: $sgpr4_sgpr5
                                        ; implicit-def: $vgpr16
	s_and_saveexec_b64 s[6:7], s[2:3]
	s_xor_b64 s[6:7], exec, s[6:7]
	s_cbranch_execz .LBB505_32
; %bb.31:
	v_add_u32_e32 v15, -8, v14
	ds_read_b64 v[18:19], v15
	s_mov_b32 s4, 0x3020104
	v_perm_b32 v16, v12, v12, s4
	s_or_b64 s[14:15], s[14:15], exec
	s_waitcnt lgkmcnt(0)
	v_cmp_ne_u64_e32 vcc, v[18:19], v[6:7]
	s_and_b64 s[4:5], vcc, exec
.LBB505_32:
	s_or_b64 exec, exec, s[6:7]
	s_branch .LBB505_37
.LBB505_33:
                                        ; implicit-def: $sgpr4_sgpr5
                                        ; implicit-def: $vgpr13
                                        ; implicit-def: $vgpr16
	s_cbranch_execz .LBB505_37
; %bb.34:
	v_cmp_gt_u32_e64 s[6:7], s30, v24
	v_cmp_ne_u64_e64 s[8:9], v[2:3], v[4:5]
	s_and_b64 s[6:7], s[6:7], s[8:9]
	v_cndmask_b32_e64 v12, 0, 1, s[6:7]
	v_cmp_gt_u32_e64 s[6:7], s30, v21
	v_cmp_ne_u64_e64 s[8:9], v[8:9], v[2:3]
	s_and_b64 s[6:7], s[6:7], s[8:9]
	v_cndmask_b32_e64 v13, 0, 1, s[6:7]
	;; [unrolled: 4-line block ×3, first 2 shown]
	v_lshlrev_b16_e32 v12, 8, v12
	v_cmp_gt_u32_e32 vcc, s30, v22
	v_cmp_ne_u64_e64 s[4:5], v[4:5], v[10:11]
	v_or_b32_sdwa v12, v13, v12 dst_sel:WORD_1 dst_unused:UNUSED_PAD src0_sel:DWORD src1_sel:DWORD
	v_lshlrev_b16_e32 v13, 8, v15
	v_or_b32_e32 v13, 1, v13
	s_and_b64 s[4:5], vcc, s[4:5]
	v_or_b32_sdwa v12, v13, v12 dst_sel:DWORD dst_unused:UNUSED_PAD src0_sel:WORD_0 src1_sel:DWORD
	v_cndmask_b32_e64 v13, 0, 1, s[4:5]
	s_waitcnt lgkmcnt(0)
	s_barrier
	s_waitcnt lgkmcnt(0)
                                        ; implicit-def: $sgpr4_sgpr5
                                        ; implicit-def: $vgpr16
	s_and_saveexec_b64 s[6:7], s[2:3]
	s_cbranch_execz .LBB505_36
; %bb.35:
	v_add_u32_e32 v14, -8, v14
	ds_read_b64 v[14:15], v14
	s_mov_b32 s2, 0x3020104
	v_cmp_gt_u32_e32 vcc, s30, v20
	v_perm_b32 v16, v12, v12, s2
	s_or_b64 s[14:15], s[14:15], exec
	s_waitcnt lgkmcnt(0)
	v_cmp_ne_u64_e64 s[2:3], v[14:15], v[6:7]
	s_and_b64 s[2:3], vcc, s[2:3]
	s_and_b64 s[4:5], s[2:3], exec
.LBB505_36:
	s_or_b64 exec, exec, s[6:7]
.LBB505_37:
	s_and_saveexec_b64 s[2:3], s[14:15]
	s_cbranch_execz .LBB505_39
; %bb.38:
	v_cndmask_b32_e64 v12, 0, 1, s[4:5]
	s_waitcnt vmcnt(0)
	v_lshrrev_b32_e32 v14, 24, v16
	s_movk_i32 s4, 0xff
	v_lshlrev_b16_e32 v14, 8, v14
	v_and_b32_sdwa v15, v16, s4 dst_sel:DWORD dst_unused:UNUSED_PAD src0_sel:WORD_1 src1_sel:DWORD
	v_or_b32_sdwa v14, v15, v14 dst_sel:WORD_1 dst_unused:UNUSED_PAD src0_sel:DWORD src1_sel:DWORD
	v_mov_b32_e32 v15, 8
	v_lshrrev_b32_sdwa v15, v15, v16 dst_sel:BYTE_1 dst_unused:UNUSED_PAD src0_sel:DWORD src1_sel:DWORD
	v_or_b32_e32 v12, v12, v15
	s_mov_b32 s4, 0xffff
	v_or_b32_sdwa v12, v12, v14 dst_sel:DWORD dst_unused:UNUSED_PAD src0_sel:WORD_0 src1_sel:DWORD
	v_and_b32_sdwa v13, s4, v13 dst_sel:DWORD dst_unused:UNUSED_PAD src0_sel:DWORD src1_sel:BYTE_0
.LBB505_39:
	s_or_b64 exec, exec, s[2:3]
	s_andn2_b64 vcc, exec, s[12:13]
	s_cbranch_vccnz .LBB505_41
; %bb.40:
	v_cmp_gt_u32_e32 vcc, s30, v20
	s_waitcnt vmcnt(0)
	v_cndmask_b32_e32 v14, 0, v12, vcc
	v_and_b32_e32 v14, 0xffff00ff, v14
	v_cmp_gt_u32_e64 s[2:3], s30, v23
	v_cndmask_b32_e64 v14, v14, v12, s[2:3]
	v_lshrrev_b32_e32 v15, 24, v14
	s_mov_b32 s4, 0x40c0100
	v_perm_b32 v14, v15, v14, s4
	v_cmp_gt_u32_e64 s[4:5], s30, v21
	v_cmp_gt_u32_e64 s[6:7], s30, v24
	v_cndmask_b32_e64 v14, v14, v12, s[4:5]
	s_or_b64 s[4:5], s[6:7], s[4:5]
	s_or_b64 s[2:3], s[4:5], s[2:3]
	s_or_b64 vcc, s[2:3], vcc
	v_and_b32_e32 v14, 0xffffff, v14
	v_cndmask_b32_e32 v15, 0, v13, vcc
	v_cndmask_b32_e64 v14, v14, v12, s[6:7]
	v_and_b32_e32 v15, 0xffffff00, v15
	v_cmp_gt_u32_e32 vcc, s30, v22
	v_cndmask_b32_e32 v12, v14, v12, vcc
	v_cndmask_b32_e32 v13, v15, v13, vcc
	s_mov_b32 s2, 0x3020104
	v_and_b32_e32 v13, 0xff, v13
	v_perm_b32 v12, v12, v12, s2
.LBB505_41:
	v_and_b32_e32 v25, 0xff, v12
	v_bfe_u32 v27, v12, 8, 8
	v_bfe_u32 v28, v12, 16, 8
	s_waitcnt vmcnt(0)
	v_alignbit_b32 v14, v13, v12, 24
	v_and_b32_e32 v29, 0xff, v14
	v_and_b32_e32 v14, 0xff, v13
	v_add3_u32 v15, v27, v25, v28
	v_add3_u32 v32, v15, v29, v14
	v_mbcnt_lo_u32_b32 v14, -1, 0
	v_mbcnt_hi_u32_b32 v30, -1, v14
	v_and_b32_e32 v14, 15, v30
	v_cmp_eq_u32_e64 s[14:15], 0, v14
	v_cmp_lt_u32_e64 s[12:13], 1, v14
	v_cmp_lt_u32_e64 s[10:11], 3, v14
	v_cmp_lt_u32_e64 s[8:9], 7, v14
	v_and_b32_e32 v14, 16, v30
	v_cmp_eq_u32_e64 s[6:7], 0, v14
	v_or_b32_e32 v14, 63, v0
	v_cmp_lt_u32_e64 s[2:3], 31, v30
	v_lshrrev_b32_e32 v31, 6, v0
	v_cmp_eq_u32_e64 s[4:5], v14, v0
	s_and_b64 vcc, exec, s[16:17]
	s_waitcnt lgkmcnt(0)
	s_barrier
	s_cbranch_vccz .LBB505_68
; %bb.42:
	v_mov_b32_dpp v14, v32 row_shr:1 row_mask:0xf bank_mask:0xf
	v_cndmask_b32_e64 v14, v14, 0, s[14:15]
	v_add_u32_e32 v14, v14, v32
	s_nop 1
	v_mov_b32_dpp v15, v14 row_shr:2 row_mask:0xf bank_mask:0xf
	v_cndmask_b32_e64 v15, 0, v15, s[12:13]
	v_add_u32_e32 v14, v14, v15
	s_nop 1
	v_mov_b32_dpp v15, v14 row_shr:4 row_mask:0xf bank_mask:0xf
	v_cndmask_b32_e64 v15, 0, v15, s[10:11]
	v_add_u32_e32 v14, v14, v15
	s_nop 1
	v_mov_b32_dpp v15, v14 row_shr:8 row_mask:0xf bank_mask:0xf
	v_cndmask_b32_e64 v15, 0, v15, s[8:9]
	v_add_u32_e32 v14, v14, v15
	s_nop 1
	v_mov_b32_dpp v15, v14 row_bcast:15 row_mask:0xf bank_mask:0xf
	v_cndmask_b32_e64 v15, v15, 0, s[6:7]
	v_add_u32_e32 v14, v14, v15
	s_nop 1
	v_mov_b32_dpp v15, v14 row_bcast:31 row_mask:0xf bank_mask:0xf
	v_cndmask_b32_e64 v15, 0, v15, s[2:3]
	v_add_u32_e32 v14, v14, v15
	s_and_saveexec_b64 s[16:17], s[4:5]
	s_cbranch_execz .LBB505_44
; %bb.43:
	v_lshlrev_b32_e32 v15, 2, v31
	ds_write_b32 v15, v14
.LBB505_44:
	s_or_b64 exec, exec, s[16:17]
	v_cmp_gt_u32_e32 vcc, 4, v0
	s_waitcnt lgkmcnt(0)
	s_barrier
	s_and_saveexec_b64 s[16:17], vcc
	s_cbranch_execz .LBB505_46
; %bb.45:
	v_lshlrev_b32_e32 v15, 2, v0
	ds_read_b32 v16, v15
	v_and_b32_e32 v17, 3, v30
	v_cmp_ne_u32_e32 vcc, 0, v17
	s_waitcnt lgkmcnt(0)
	v_mov_b32_dpp v18, v16 row_shr:1 row_mask:0xf bank_mask:0xf
	v_cndmask_b32_e32 v18, 0, v18, vcc
	v_add_u32_e32 v16, v18, v16
	v_cmp_lt_u32_e32 vcc, 1, v17
	s_nop 0
	v_mov_b32_dpp v18, v16 row_shr:2 row_mask:0xf bank_mask:0xf
	v_cndmask_b32_e32 v17, 0, v18, vcc
	v_add_u32_e32 v16, v16, v17
	ds_write_b32 v15, v16
.LBB505_46:
	s_or_b64 exec, exec, s[16:17]
	v_cmp_gt_u32_e32 vcc, 64, v0
	v_cmp_lt_u32_e64 s[16:17], 63, v0
	s_waitcnt lgkmcnt(0)
	s_barrier
	s_waitcnt lgkmcnt(0)
                                        ; implicit-def: $vgpr24
	s_and_saveexec_b64 s[30:31], s[16:17]
	s_cbranch_execz .LBB505_48
; %bb.47:
	v_lshl_add_u32 v15, v31, 2, -4
	ds_read_b32 v24, v15
	s_waitcnt lgkmcnt(0)
	v_add_u32_e32 v14, v24, v14
.LBB505_48:
	s_or_b64 exec, exec, s[30:31]
	v_add_u32_e32 v15, -1, v30
	v_and_b32_e32 v16, 64, v30
	v_cmp_lt_i32_e64 s[16:17], v15, v16
	v_cndmask_b32_e64 v15, v15, v30, s[16:17]
	v_lshlrev_b32_e32 v15, 2, v15
	ds_bpermute_b32 v26, v15, v14
	v_cmp_eq_u32_e64 s[16:17], 0, v30
	s_and_saveexec_b64 s[30:31], vcc
	s_cbranch_execz .LBB505_67
; %bb.49:
	v_mov_b32_e32 v21, 0
	ds_read_b32 v14, v21 offset:12
	s_and_saveexec_b64 s[34:35], s[16:17]
	s_cbranch_execz .LBB505_51
; %bb.50:
	s_add_i32 s36, s33, 64
	s_mov_b32 s37, 0
	s_lshl_b64 s[36:37], s[36:37], 3
	s_add_u32 s36, s28, s36
	v_mov_b32_e32 v15, 1
	s_addc_u32 s37, s29, s37
	s_waitcnt lgkmcnt(0)
	global_store_dwordx2 v21, v[14:15], s[36:37]
.LBB505_51:
	s_or_b64 exec, exec, s[34:35]
	v_xad_u32 v16, v30, -1, s33
	v_add_u32_e32 v20, 64, v16
	v_lshlrev_b64 v[18:19], 3, v[20:21]
	v_mov_b32_e32 v15, s29
	v_add_co_u32_e32 v22, vcc, s28, v18
	v_addc_co_u32_e32 v23, vcc, v15, v19, vcc
	global_load_dwordx2 v[18:19], v[22:23], off glc
	s_waitcnt vmcnt(0)
	v_cmp_eq_u16_sdwa s[36:37], v19, v21 src0_sel:BYTE_0 src1_sel:DWORD
	s_and_saveexec_b64 s[34:35], s[36:37]
	s_cbranch_execz .LBB505_55
; %bb.52:
	s_mov_b64 s[36:37], 0
	v_mov_b32_e32 v15, 0
.LBB505_53:                             ; =>This Inner Loop Header: Depth=1
	global_load_dwordx2 v[18:19], v[22:23], off glc
	s_waitcnt vmcnt(0)
	v_cmp_ne_u16_sdwa s[38:39], v19, v15 src0_sel:BYTE_0 src1_sel:DWORD
	s_or_b64 s[36:37], s[38:39], s[36:37]
	s_andn2_b64 exec, exec, s[36:37]
	s_cbranch_execnz .LBB505_53
; %bb.54:
	s_or_b64 exec, exec, s[36:37]
.LBB505_55:
	s_or_b64 exec, exec, s[34:35]
	v_and_b32_e32 v34, 63, v30
	v_mov_b32_e32 v33, 2
	v_cmp_ne_u32_e32 vcc, 63, v34
	v_cmp_eq_u16_sdwa s[34:35], v19, v33 src0_sel:BYTE_0 src1_sel:DWORD
	v_lshlrev_b64 v[20:21], v30, -1
	v_addc_co_u32_e32 v22, vcc, 0, v30, vcc
	v_and_b32_e32 v15, s35, v21
	v_lshlrev_b32_e32 v35, 2, v22
	v_or_b32_e32 v15, 0x80000000, v15
	ds_bpermute_b32 v22, v35, v18
	v_and_b32_e32 v17, s34, v20
	v_ffbl_b32_e32 v15, v15
	v_add_u32_e32 v15, 32, v15
	v_ffbl_b32_e32 v17, v17
	v_min_u32_e32 v15, v17, v15
	v_cmp_lt_u32_e32 vcc, v34, v15
	s_waitcnt lgkmcnt(0)
	v_cndmask_b32_e32 v17, 0, v22, vcc
	v_cmp_gt_u32_e32 vcc, 62, v34
	v_add_u32_e32 v17, v17, v18
	v_cndmask_b32_e64 v18, 0, 1, vcc
	v_lshlrev_b32_e32 v18, 1, v18
	v_add_lshl_u32 v36, v18, v30, 2
	ds_bpermute_b32 v18, v36, v17
	v_add_u32_e32 v37, 2, v34
	v_cmp_le_u32_e32 vcc, v37, v15
	v_add_u32_e32 v39, 4, v34
	v_add_u32_e32 v41, 8, v34
	s_waitcnt lgkmcnt(0)
	v_cndmask_b32_e32 v18, 0, v18, vcc
	v_cmp_gt_u32_e32 vcc, 60, v34
	v_add_u32_e32 v17, v17, v18
	v_cndmask_b32_e64 v18, 0, 1, vcc
	v_lshlrev_b32_e32 v18, 2, v18
	v_add_lshl_u32 v38, v18, v30, 2
	ds_bpermute_b32 v18, v38, v17
	v_cmp_le_u32_e32 vcc, v39, v15
	v_add_u32_e32 v43, 16, v34
	v_add_u32_e32 v45, 32, v34
	s_waitcnt lgkmcnt(0)
	v_cndmask_b32_e32 v18, 0, v18, vcc
	v_cmp_gt_u32_e32 vcc, 56, v34
	v_add_u32_e32 v17, v17, v18
	v_cndmask_b32_e64 v18, 0, 1, vcc
	v_lshlrev_b32_e32 v18, 3, v18
	v_add_lshl_u32 v40, v18, v30, 2
	ds_bpermute_b32 v18, v40, v17
	v_cmp_le_u32_e32 vcc, v41, v15
	s_waitcnt lgkmcnt(0)
	v_cndmask_b32_e32 v18, 0, v18, vcc
	v_cmp_gt_u32_e32 vcc, 48, v34
	v_add_u32_e32 v17, v17, v18
	v_cndmask_b32_e64 v18, 0, 1, vcc
	v_lshlrev_b32_e32 v18, 4, v18
	v_add_lshl_u32 v42, v18, v30, 2
	ds_bpermute_b32 v18, v42, v17
	v_cmp_le_u32_e32 vcc, v43, v15
	;; [unrolled: 9-line block ×3, first 2 shown]
	s_waitcnt lgkmcnt(0)
	v_cndmask_b32_e32 v15, 0, v18, vcc
	v_add_u32_e32 v18, v17, v15
	v_mov_b32_e32 v17, 0
	s_branch .LBB505_57
.LBB505_56:                             ;   in Loop: Header=BB505_57 Depth=1
	s_or_b64 exec, exec, s[34:35]
	v_cmp_eq_u16_sdwa s[34:35], v19, v33 src0_sel:BYTE_0 src1_sel:DWORD
	v_and_b32_e32 v22, s35, v21
	v_or_b32_e32 v22, 0x80000000, v22
	ds_bpermute_b32 v46, v35, v18
	v_and_b32_e32 v23, s34, v20
	v_ffbl_b32_e32 v22, v22
	v_add_u32_e32 v22, 32, v22
	v_ffbl_b32_e32 v23, v23
	v_min_u32_e32 v22, v23, v22
	v_cmp_lt_u32_e32 vcc, v34, v22
	s_waitcnt lgkmcnt(0)
	v_cndmask_b32_e32 v23, 0, v46, vcc
	v_add_u32_e32 v18, v23, v18
	ds_bpermute_b32 v23, v36, v18
	v_cmp_le_u32_e32 vcc, v37, v22
	v_subrev_u32_e32 v16, 64, v16
	s_waitcnt lgkmcnt(0)
	v_cndmask_b32_e32 v23, 0, v23, vcc
	v_add_u32_e32 v18, v18, v23
	ds_bpermute_b32 v23, v38, v18
	v_cmp_le_u32_e32 vcc, v39, v22
	s_waitcnt lgkmcnt(0)
	v_cndmask_b32_e32 v23, 0, v23, vcc
	v_add_u32_e32 v18, v18, v23
	ds_bpermute_b32 v23, v40, v18
	v_cmp_le_u32_e32 vcc, v41, v22
	;; [unrolled: 5-line block ×4, first 2 shown]
	s_waitcnt lgkmcnt(0)
	v_cndmask_b32_e32 v22, 0, v23, vcc
	v_add3_u32 v18, v22, v15, v18
.LBB505_57:                             ; =>This Loop Header: Depth=1
                                        ;     Child Loop BB505_60 Depth 2
	v_cmp_ne_u16_sdwa s[34:35], v19, v33 src0_sel:BYTE_0 src1_sel:DWORD
	v_cndmask_b32_e64 v15, 0, 1, s[34:35]
	;;#ASMSTART
	;;#ASMEND
	v_cmp_ne_u32_e32 vcc, 0, v15
	s_cmp_lg_u64 vcc, exec
	v_mov_b32_e32 v15, v18
	s_cbranch_scc1 .LBB505_62
; %bb.58:                               ;   in Loop: Header=BB505_57 Depth=1
	v_lshlrev_b64 v[18:19], 3, v[16:17]
	v_mov_b32_e32 v23, s29
	v_add_co_u32_e32 v22, vcc, s28, v18
	v_addc_co_u32_e32 v23, vcc, v23, v19, vcc
	global_load_dwordx2 v[18:19], v[22:23], off glc
	s_waitcnt vmcnt(0)
	v_cmp_eq_u16_sdwa s[36:37], v19, v17 src0_sel:BYTE_0 src1_sel:DWORD
	s_and_saveexec_b64 s[34:35], s[36:37]
	s_cbranch_execz .LBB505_56
; %bb.59:                               ;   in Loop: Header=BB505_57 Depth=1
	s_mov_b64 s[36:37], 0
.LBB505_60:                             ;   Parent Loop BB505_57 Depth=1
                                        ; =>  This Inner Loop Header: Depth=2
	global_load_dwordx2 v[18:19], v[22:23], off glc
	s_waitcnt vmcnt(0)
	v_cmp_ne_u16_sdwa s[38:39], v19, v17 src0_sel:BYTE_0 src1_sel:DWORD
	s_or_b64 s[36:37], s[38:39], s[36:37]
	s_andn2_b64 exec, exec, s[36:37]
	s_cbranch_execnz .LBB505_60
; %bb.61:                               ;   in Loop: Header=BB505_57 Depth=1
	s_or_b64 exec, exec, s[36:37]
	s_branch .LBB505_56
.LBB505_62:                             ;   in Loop: Header=BB505_57 Depth=1
                                        ; implicit-def: $vgpr18
                                        ; implicit-def: $vgpr19
	s_cbranch_execz .LBB505_57
; %bb.63:
	s_and_saveexec_b64 s[34:35], s[16:17]
	s_cbranch_execz .LBB505_65
; %bb.64:
	s_add_i32 s36, s33, 64
	s_mov_b32 s37, 0
	s_lshl_b64 s[36:37], s[36:37], 3
	s_add_u32 s36, s28, s36
	v_add_u32_e32 v16, v15, v14
	v_mov_b32_e32 v17, 2
	s_addc_u32 s37, s29, s37
	v_mov_b32_e32 v18, 0
	global_store_dwordx2 v18, v[16:17], s[36:37]
	ds_write_b64 v18, v[14:15] offset:10240
.LBB505_65:
	s_or_b64 exec, exec, s[34:35]
	s_and_b64 exec, exec, s[0:1]
	s_cbranch_execz .LBB505_67
; %bb.66:
	v_mov_b32_e32 v14, 0
	ds_write_b32 v14, v15 offset:12
.LBB505_67:
	s_or_b64 exec, exec, s[30:31]
	v_mov_b32_e32 v14, 0
	s_waitcnt lgkmcnt(0)
	s_barrier
	ds_read_b32 v15, v14 offset:12
	v_cndmask_b32_e64 v16, v26, v24, s[16:17]
	v_cndmask_b32_e64 v16, v16, 0, s[0:1]
	s_waitcnt lgkmcnt(0)
	s_barrier
	v_add_u32_e32 v26, v15, v16
	ds_read_b64 v[14:15], v14 offset:10240
	v_add_u32_e32 v24, v26, v25
	v_add_u32_e32 v22, v24, v27
	v_add_u32_e32 v20, v22, v28
	v_add_u32_e32 v18, v20, v29
	v_lshrrev_b64 v[16:17], 24, v[12:13]
	s_branch .LBB505_78
.LBB505_68:
                                        ; implicit-def: $vgpr15
                                        ; implicit-def: $vgpr18
                                        ; implicit-def: $vgpr20
                                        ; implicit-def: $vgpr22
                                        ; implicit-def: $vgpr24
                                        ; implicit-def: $vgpr26
	v_lshrrev_b64 v[16:17], 24, v[12:13]
	s_cbranch_execz .LBB505_78
; %bb.69:
	s_waitcnt lgkmcnt(0)
	v_mov_b32_dpp v14, v32 row_shr:1 row_mask:0xf bank_mask:0xf
	v_cndmask_b32_e64 v14, v14, 0, s[14:15]
	v_add_u32_e32 v14, v14, v32
	s_nop 1
	v_mov_b32_dpp v15, v14 row_shr:2 row_mask:0xf bank_mask:0xf
	v_cndmask_b32_e64 v15, 0, v15, s[12:13]
	v_add_u32_e32 v14, v14, v15
	s_nop 1
	;; [unrolled: 4-line block ×4, first 2 shown]
	v_mov_b32_dpp v15, v14 row_bcast:15 row_mask:0xf bank_mask:0xf
	v_cndmask_b32_e64 v15, v15, 0, s[6:7]
	v_add_u32_e32 v14, v14, v15
	s_nop 1
	v_mov_b32_dpp v15, v14 row_bcast:31 row_mask:0xf bank_mask:0xf
	v_cndmask_b32_e64 v15, 0, v15, s[2:3]
	v_add_u32_e32 v14, v14, v15
	s_and_saveexec_b64 s[2:3], s[4:5]
	s_cbranch_execz .LBB505_71
; %bb.70:
	v_lshlrev_b32_e32 v15, 2, v31
	ds_write_b32 v15, v14
.LBB505_71:
	s_or_b64 exec, exec, s[2:3]
	v_cmp_gt_u32_e32 vcc, 4, v0
	s_waitcnt lgkmcnt(0)
	s_barrier
	s_and_saveexec_b64 s[2:3], vcc
	s_cbranch_execz .LBB505_73
; %bb.72:
	s_movk_i32 s4, 0xffdc
	v_mad_i32_i24 v1, v0, s4, v1
	ds_read_b32 v15, v1
	v_and_b32_e32 v17, 3, v30
	v_cmp_ne_u32_e32 vcc, 0, v17
	s_waitcnt lgkmcnt(0)
	v_mov_b32_dpp v18, v15 row_shr:1 row_mask:0xf bank_mask:0xf
	v_cndmask_b32_e32 v18, 0, v18, vcc
	v_add_u32_e32 v15, v18, v15
	v_cmp_lt_u32_e32 vcc, 1, v17
	s_nop 0
	v_mov_b32_dpp v18, v15 row_shr:2 row_mask:0xf bank_mask:0xf
	v_cndmask_b32_e32 v17, 0, v18, vcc
	v_add_u32_e32 v15, v15, v17
	ds_write_b32 v1, v15
.LBB505_73:
	s_or_b64 exec, exec, s[2:3]
	v_cmp_lt_u32_e32 vcc, 63, v0
	v_mov_b32_e32 v15, 0
	v_mov_b32_e32 v1, 0
	s_waitcnt lgkmcnt(0)
	s_barrier
	s_and_saveexec_b64 s[2:3], vcc
	s_cbranch_execz .LBB505_75
; %bb.74:
	v_lshl_add_u32 v1, v31, 2, -4
	ds_read_b32 v1, v1
.LBB505_75:
	s_or_b64 exec, exec, s[2:3]
	v_add_u32_e32 v17, -1, v30
	v_and_b32_e32 v18, 64, v30
	v_cmp_lt_i32_e32 vcc, v17, v18
	v_cndmask_b32_e32 v17, v17, v30, vcc
	s_waitcnt lgkmcnt(0)
	v_add_u32_e32 v14, v1, v14
	v_lshlrev_b32_e32 v17, 2, v17
	ds_bpermute_b32 v17, v17, v14
	ds_read_b32 v14, v15 offset:12
	s_and_saveexec_b64 s[2:3], s[0:1]
	s_cbranch_execz .LBB505_77
; %bb.76:
	v_mov_b32_e32 v18, 0
	v_mov_b32_e32 v15, 2
	s_waitcnt lgkmcnt(0)
	global_store_dwordx2 v18, v[14:15], s[28:29] offset:512
.LBB505_77:
	s_or_b64 exec, exec, s[2:3]
	v_cmp_eq_u32_e32 vcc, 0, v30
	s_waitcnt lgkmcnt(1)
	v_cndmask_b32_e32 v1, v17, v1, vcc
	v_cndmask_b32_e64 v26, v1, 0, s[0:1]
	v_add_u32_e32 v24, v26, v25
	v_add_u32_e32 v22, v24, v27
	;; [unrolled: 1-line block ×3, first 2 shown]
	v_mov_b32_e32 v15, 0
	v_add_u32_e32 v18, v20, v29
	s_waitcnt lgkmcnt(0)
	s_barrier
.LBB505_78:
	s_movk_i32 s2, 0x101
	s_waitcnt lgkmcnt(0)
	v_cmp_gt_u32_e32 vcc, s2, v14
	v_lshrrev_b32_e32 v1, 8, v12
	s_mov_b64 s[2:3], -1
	s_cbranch_vccnz .LBB505_82
; %bb.79:
	s_and_b64 vcc, exec, s[2:3]
	s_cbranch_vccnz .LBB505_98
.LBB505_80:
	s_and_b64 s[0:1], s[0:1], s[24:25]
	s_and_saveexec_b64 s[2:3], s[0:1]
	s_cbranch_execnz .LBB505_112
.LBB505_81:
	s_endpgm
.LBB505_82:
	v_add_u32_e32 v17, v15, v14
	v_cmp_lt_u32_e32 vcc, v26, v17
	s_or_b64 s[4:5], s[26:27], vcc
	s_and_saveexec_b64 s[2:3], s[4:5]
	s_cbranch_execz .LBB505_85
; %bb.83:
	v_and_b32_e32 v19, 1, v12
	v_cmp_eq_u32_e32 vcc, 1, v19
	s_and_b64 exec, exec, vcc
	s_cbranch_execz .LBB505_85
; %bb.84:
	s_lshl_b64 s[4:5], s[22:23], 3
	s_add_u32 s4, s18, s4
	v_mov_b32_e32 v27, 0
	s_addc_u32 s5, s19, s5
	v_lshlrev_b64 v[28:29], 3, v[26:27]
	v_mov_b32_e32 v19, s5
	v_add_co_u32_e32 v28, vcc, s4, v28
	v_addc_co_u32_e32 v29, vcc, v19, v29, vcc
	global_store_dwordx2 v[28:29], v[6:7], off
.LBB505_85:
	s_or_b64 exec, exec, s[2:3]
	v_cmp_lt_u32_e32 vcc, v24, v17
	s_or_b64 s[4:5], s[26:27], vcc
	s_and_saveexec_b64 s[2:3], s[4:5]
	s_cbranch_execz .LBB505_88
; %bb.86:
	v_and_b32_e32 v19, 1, v1
	v_cmp_eq_u32_e32 vcc, 1, v19
	s_and_b64 exec, exec, vcc
	s_cbranch_execz .LBB505_88
; %bb.87:
	s_lshl_b64 s[4:5], s[22:23], 3
	s_add_u32 s4, s18, s4
	v_mov_b32_e32 v25, 0
	s_addc_u32 s5, s19, s5
	v_lshlrev_b64 v[28:29], 3, v[24:25]
	v_mov_b32_e32 v19, s5
	v_add_co_u32_e32 v28, vcc, s4, v28
	v_addc_co_u32_e32 v29, vcc, v19, v29, vcc
	global_store_dwordx2 v[28:29], v[8:9], off
.LBB505_88:
	s_or_b64 exec, exec, s[2:3]
	v_cmp_lt_u32_e32 vcc, v22, v17
	s_or_b64 s[4:5], s[26:27], vcc
	s_and_saveexec_b64 s[2:3], s[4:5]
	s_cbranch_execz .LBB505_91
; %bb.89:
	v_mov_b32_e32 v19, 1
	v_and_b32_sdwa v19, v19, v12 dst_sel:DWORD dst_unused:UNUSED_PAD src0_sel:DWORD src1_sel:WORD_1
	v_cmp_eq_u32_e32 vcc, 1, v19
	s_and_b64 exec, exec, vcc
	s_cbranch_execz .LBB505_91
; %bb.90:
	s_lshl_b64 s[4:5], s[22:23], 3
	s_add_u32 s4, s18, s4
	v_mov_b32_e32 v23, 0
	s_addc_u32 s5, s19, s5
	v_lshlrev_b64 v[28:29], 3, v[22:23]
	v_mov_b32_e32 v19, s5
	v_add_co_u32_e32 v28, vcc, s4, v28
	v_addc_co_u32_e32 v29, vcc, v19, v29, vcc
	global_store_dwordx2 v[28:29], v[2:3], off
.LBB505_91:
	s_or_b64 exec, exec, s[2:3]
	v_cmp_lt_u32_e32 vcc, v20, v17
	s_or_b64 s[4:5], s[26:27], vcc
	s_and_saveexec_b64 s[2:3], s[4:5]
	s_cbranch_execz .LBB505_94
; %bb.92:
	v_and_b32_e32 v19, 1, v16
	v_cmp_eq_u32_e32 vcc, 1, v19
	s_and_b64 exec, exec, vcc
	s_cbranch_execz .LBB505_94
; %bb.93:
	s_lshl_b64 s[4:5], s[22:23], 3
	s_add_u32 s4, s18, s4
	v_mov_b32_e32 v21, 0
	s_addc_u32 s5, s19, s5
	v_lshlrev_b64 v[28:29], 3, v[20:21]
	v_mov_b32_e32 v19, s5
	v_add_co_u32_e32 v28, vcc, s4, v28
	v_addc_co_u32_e32 v29, vcc, v19, v29, vcc
	global_store_dwordx2 v[28:29], v[4:5], off
.LBB505_94:
	s_or_b64 exec, exec, s[2:3]
	v_cmp_lt_u32_e32 vcc, v18, v17
	s_or_b64 s[4:5], s[26:27], vcc
	s_and_saveexec_b64 s[2:3], s[4:5]
	s_cbranch_execz .LBB505_97
; %bb.95:
	v_and_b32_e32 v17, 1, v13
	v_cmp_eq_u32_e32 vcc, 1, v17
	s_and_b64 exec, exec, vcc
	s_cbranch_execz .LBB505_97
; %bb.96:
	s_lshl_b64 s[4:5], s[22:23], 3
	s_add_u32 s4, s18, s4
	v_mov_b32_e32 v19, 0
	s_addc_u32 s5, s19, s5
	v_lshlrev_b64 v[28:29], 3, v[18:19]
	v_mov_b32_e32 v17, s5
	v_add_co_u32_e32 v28, vcc, s4, v28
	v_addc_co_u32_e32 v29, vcc, v17, v29, vcc
	global_store_dwordx2 v[28:29], v[10:11], off
.LBB505_97:
	s_or_b64 exec, exec, s[2:3]
	s_branch .LBB505_80
.LBB505_98:
	v_and_b32_e32 v17, 1, v12
	v_cmp_eq_u32_e32 vcc, 1, v17
	s_and_saveexec_b64 s[2:3], vcc
	s_cbranch_execz .LBB505_100
; %bb.99:
	v_sub_u32_e32 v17, v26, v15
	v_lshlrev_b32_e32 v17, 3, v17
	ds_write_b64 v17, v[6:7]
.LBB505_100:
	s_or_b64 exec, exec, s[2:3]
	v_and_b32_e32 v1, 1, v1
	v_cmp_eq_u32_e32 vcc, 1, v1
	s_and_saveexec_b64 s[2:3], vcc
	s_cbranch_execz .LBB505_102
; %bb.101:
	v_sub_u32_e32 v1, v24, v15
	v_lshlrev_b32_e32 v1, 3, v1
	ds_write_b64 v1, v[8:9]
.LBB505_102:
	s_or_b64 exec, exec, s[2:3]
	v_mov_b32_e32 v1, 1
	v_and_b32_sdwa v1, v1, v12 dst_sel:DWORD dst_unused:UNUSED_PAD src0_sel:DWORD src1_sel:WORD_1
	v_cmp_eq_u32_e32 vcc, 1, v1
	s_and_saveexec_b64 s[2:3], vcc
	s_cbranch_execz .LBB505_104
; %bb.103:
	v_sub_u32_e32 v1, v22, v15
	v_lshlrev_b32_e32 v1, 3, v1
	ds_write_b64 v1, v[2:3]
.LBB505_104:
	s_or_b64 exec, exec, s[2:3]
	v_and_b32_e32 v1, 1, v16
	v_cmp_eq_u32_e32 vcc, 1, v1
	s_and_saveexec_b64 s[2:3], vcc
	s_cbranch_execz .LBB505_106
; %bb.105:
	v_sub_u32_e32 v1, v20, v15
	v_lshlrev_b32_e32 v1, 3, v1
	ds_write_b64 v1, v[4:5]
.LBB505_106:
	s_or_b64 exec, exec, s[2:3]
	v_and_b32_e32 v1, 1, v13
	v_cmp_eq_u32_e32 vcc, 1, v1
	s_and_saveexec_b64 s[2:3], vcc
	s_cbranch_execz .LBB505_108
; %bb.107:
	v_sub_u32_e32 v1, v18, v15
	v_lshlrev_b32_e32 v1, 3, v1
	ds_write_b64 v1, v[10:11]
.LBB505_108:
	s_or_b64 exec, exec, s[2:3]
	v_cmp_lt_u32_e32 vcc, v0, v14
	s_waitcnt lgkmcnt(0)
	s_barrier
	s_and_saveexec_b64 s[2:3], vcc
	s_cbranch_execz .LBB505_111
; %bb.109:
	v_mov_b32_e32 v1, 0
	v_mov_b32_e32 v2, v15
	;; [unrolled: 1-line block ×3, first 2 shown]
	v_lshlrev_b64 v[2:3], 3, v[2:3]
	v_mov_b32_e32 v4, s19
	v_add_co_u32_e32 v2, vcc, s18, v2
	v_addc_co_u32_e32 v3, vcc, v4, v3, vcc
	s_lshl_b64 s[4:5], s[22:23], 3
	v_mov_b32_e32 v4, s5
	v_add_co_u32_e32 v2, vcc, s4, v2
	v_addc_co_u32_e32 v3, vcc, v3, v4, vcc
	v_lshlrev_b32_e32 v4, 3, v0
	s_mov_b64 s[4:5], 0
.LBB505_110:                            ; =>This Inner Loop Header: Depth=1
	ds_read_b64 v[6:7], v4
	v_lshlrev_b64 v[8:9], 3, v[0:1]
	v_add_co_u32_e32 v8, vcc, v2, v8
	v_add_u32_e32 v0, 0x100, v0
	v_addc_co_u32_e32 v9, vcc, v3, v9, vcc
	v_cmp_ge_u32_e32 vcc, v0, v14
	v_add_u32_e32 v4, 0x800, v4
	s_or_b64 s[4:5], vcc, s[4:5]
	s_waitcnt lgkmcnt(0)
	global_store_dwordx2 v[8:9], v[6:7], off
	s_andn2_b64 exec, exec, s[4:5]
	s_cbranch_execnz .LBB505_110
.LBB505_111:
	s_or_b64 exec, exec, s[2:3]
	s_and_b64 s[0:1], s[0:1], s[24:25]
	s_and_saveexec_b64 s[2:3], s[0:1]
	s_cbranch_execz .LBB505_81
.LBB505_112:
	v_mov_b32_e32 v0, s23
	v_add_co_u32_e32 v1, vcc, s22, v14
	v_addc_co_u32_e32 v3, vcc, 0, v0, vcc
	v_add_co_u32_e32 v0, vcc, v1, v15
	v_mov_b32_e32 v2, 0
	v_addc_co_u32_e32 v1, vcc, 0, v3, vcc
	global_store_dwordx2 v2, v[0:1], s[20:21]
	s_endpgm
	.section	.rodata,"a",@progbits
	.p2align	6, 0x0
	.amdhsa_kernel _ZN7rocprim17ROCPRIM_400000_NS6detail17trampoline_kernelINS0_14default_configENS1_25partition_config_selectorILNS1_17partition_subalgoE8ElNS0_10empty_typeEbEEZZNS1_14partition_implILS5_8ELb0ES3_jPKlPS6_PKS6_NS0_5tupleIJPlS6_EEENSE_IJSB_SB_EEENS0_18inequality_wrapperIN6hipcub16HIPCUB_304000_NS8EqualityEEESF_JS6_EEE10hipError_tPvRmT3_T4_T5_T6_T7_T9_mT8_P12ihipStream_tbDpT10_ENKUlT_T0_E_clISt17integral_constantIbLb0EES15_IbLb1EEEEDaS11_S12_EUlS11_E_NS1_11comp_targetILNS1_3genE4ELNS1_11target_archE910ELNS1_3gpuE8ELNS1_3repE0EEENS1_30default_config_static_selectorELNS0_4arch9wavefront6targetE1EEEvT1_
		.amdhsa_group_segment_fixed_size 10248
		.amdhsa_private_segment_fixed_size 0
		.amdhsa_kernarg_size 128
		.amdhsa_user_sgpr_count 6
		.amdhsa_user_sgpr_private_segment_buffer 1
		.amdhsa_user_sgpr_dispatch_ptr 0
		.amdhsa_user_sgpr_queue_ptr 0
		.amdhsa_user_sgpr_kernarg_segment_ptr 1
		.amdhsa_user_sgpr_dispatch_id 0
		.amdhsa_user_sgpr_flat_scratch_init 0
		.amdhsa_user_sgpr_kernarg_preload_length 0
		.amdhsa_user_sgpr_kernarg_preload_offset 0
		.amdhsa_user_sgpr_private_segment_size 0
		.amdhsa_uses_dynamic_stack 0
		.amdhsa_system_sgpr_private_segment_wavefront_offset 0
		.amdhsa_system_sgpr_workgroup_id_x 1
		.amdhsa_system_sgpr_workgroup_id_y 0
		.amdhsa_system_sgpr_workgroup_id_z 0
		.amdhsa_system_sgpr_workgroup_info 0
		.amdhsa_system_vgpr_workitem_id 0
		.amdhsa_next_free_vgpr 47
		.amdhsa_next_free_sgpr 40
		.amdhsa_accum_offset 48
		.amdhsa_reserve_vcc 1
		.amdhsa_reserve_flat_scratch 0
		.amdhsa_float_round_mode_32 0
		.amdhsa_float_round_mode_16_64 0
		.amdhsa_float_denorm_mode_32 3
		.amdhsa_float_denorm_mode_16_64 3
		.amdhsa_dx10_clamp 1
		.amdhsa_ieee_mode 1
		.amdhsa_fp16_overflow 0
		.amdhsa_tg_split 0
		.amdhsa_exception_fp_ieee_invalid_op 0
		.amdhsa_exception_fp_denorm_src 0
		.amdhsa_exception_fp_ieee_div_zero 0
		.amdhsa_exception_fp_ieee_overflow 0
		.amdhsa_exception_fp_ieee_underflow 0
		.amdhsa_exception_fp_ieee_inexact 0
		.amdhsa_exception_int_div_zero 0
	.end_amdhsa_kernel
	.section	.text._ZN7rocprim17ROCPRIM_400000_NS6detail17trampoline_kernelINS0_14default_configENS1_25partition_config_selectorILNS1_17partition_subalgoE8ElNS0_10empty_typeEbEEZZNS1_14partition_implILS5_8ELb0ES3_jPKlPS6_PKS6_NS0_5tupleIJPlS6_EEENSE_IJSB_SB_EEENS0_18inequality_wrapperIN6hipcub16HIPCUB_304000_NS8EqualityEEESF_JS6_EEE10hipError_tPvRmT3_T4_T5_T6_T7_T9_mT8_P12ihipStream_tbDpT10_ENKUlT_T0_E_clISt17integral_constantIbLb0EES15_IbLb1EEEEDaS11_S12_EUlS11_E_NS1_11comp_targetILNS1_3genE4ELNS1_11target_archE910ELNS1_3gpuE8ELNS1_3repE0EEENS1_30default_config_static_selectorELNS0_4arch9wavefront6targetE1EEEvT1_,"axG",@progbits,_ZN7rocprim17ROCPRIM_400000_NS6detail17trampoline_kernelINS0_14default_configENS1_25partition_config_selectorILNS1_17partition_subalgoE8ElNS0_10empty_typeEbEEZZNS1_14partition_implILS5_8ELb0ES3_jPKlPS6_PKS6_NS0_5tupleIJPlS6_EEENSE_IJSB_SB_EEENS0_18inequality_wrapperIN6hipcub16HIPCUB_304000_NS8EqualityEEESF_JS6_EEE10hipError_tPvRmT3_T4_T5_T6_T7_T9_mT8_P12ihipStream_tbDpT10_ENKUlT_T0_E_clISt17integral_constantIbLb0EES15_IbLb1EEEEDaS11_S12_EUlS11_E_NS1_11comp_targetILNS1_3genE4ELNS1_11target_archE910ELNS1_3gpuE8ELNS1_3repE0EEENS1_30default_config_static_selectorELNS0_4arch9wavefront6targetE1EEEvT1_,comdat
.Lfunc_end505:
	.size	_ZN7rocprim17ROCPRIM_400000_NS6detail17trampoline_kernelINS0_14default_configENS1_25partition_config_selectorILNS1_17partition_subalgoE8ElNS0_10empty_typeEbEEZZNS1_14partition_implILS5_8ELb0ES3_jPKlPS6_PKS6_NS0_5tupleIJPlS6_EEENSE_IJSB_SB_EEENS0_18inequality_wrapperIN6hipcub16HIPCUB_304000_NS8EqualityEEESF_JS6_EEE10hipError_tPvRmT3_T4_T5_T6_T7_T9_mT8_P12ihipStream_tbDpT10_ENKUlT_T0_E_clISt17integral_constantIbLb0EES15_IbLb1EEEEDaS11_S12_EUlS11_E_NS1_11comp_targetILNS1_3genE4ELNS1_11target_archE910ELNS1_3gpuE8ELNS1_3repE0EEENS1_30default_config_static_selectorELNS0_4arch9wavefront6targetE1EEEvT1_, .Lfunc_end505-_ZN7rocprim17ROCPRIM_400000_NS6detail17trampoline_kernelINS0_14default_configENS1_25partition_config_selectorILNS1_17partition_subalgoE8ElNS0_10empty_typeEbEEZZNS1_14partition_implILS5_8ELb0ES3_jPKlPS6_PKS6_NS0_5tupleIJPlS6_EEENSE_IJSB_SB_EEENS0_18inequality_wrapperIN6hipcub16HIPCUB_304000_NS8EqualityEEESF_JS6_EEE10hipError_tPvRmT3_T4_T5_T6_T7_T9_mT8_P12ihipStream_tbDpT10_ENKUlT_T0_E_clISt17integral_constantIbLb0EES15_IbLb1EEEEDaS11_S12_EUlS11_E_NS1_11comp_targetILNS1_3genE4ELNS1_11target_archE910ELNS1_3gpuE8ELNS1_3repE0EEENS1_30default_config_static_selectorELNS0_4arch9wavefront6targetE1EEEvT1_
                                        ; -- End function
	.section	.AMDGPU.csdata,"",@progbits
; Kernel info:
; codeLenInByte = 4748
; NumSgprs: 44
; NumVgprs: 47
; NumAgprs: 0
; TotalNumVgprs: 47
; ScratchSize: 0
; MemoryBound: 0
; FloatMode: 240
; IeeeMode: 1
; LDSByteSize: 10248 bytes/workgroup (compile time only)
; SGPRBlocks: 5
; VGPRBlocks: 5
; NumSGPRsForWavesPerEU: 44
; NumVGPRsForWavesPerEU: 47
; AccumOffset: 48
; Occupancy: 6
; WaveLimiterHint : 1
; COMPUTE_PGM_RSRC2:SCRATCH_EN: 0
; COMPUTE_PGM_RSRC2:USER_SGPR: 6
; COMPUTE_PGM_RSRC2:TRAP_HANDLER: 0
; COMPUTE_PGM_RSRC2:TGID_X_EN: 1
; COMPUTE_PGM_RSRC2:TGID_Y_EN: 0
; COMPUTE_PGM_RSRC2:TGID_Z_EN: 0
; COMPUTE_PGM_RSRC2:TIDIG_COMP_CNT: 0
; COMPUTE_PGM_RSRC3_GFX90A:ACCUM_OFFSET: 11
; COMPUTE_PGM_RSRC3_GFX90A:TG_SPLIT: 0
	.section	.text._ZN7rocprim17ROCPRIM_400000_NS6detail17trampoline_kernelINS0_14default_configENS1_25partition_config_selectorILNS1_17partition_subalgoE8ElNS0_10empty_typeEbEEZZNS1_14partition_implILS5_8ELb0ES3_jPKlPS6_PKS6_NS0_5tupleIJPlS6_EEENSE_IJSB_SB_EEENS0_18inequality_wrapperIN6hipcub16HIPCUB_304000_NS8EqualityEEESF_JS6_EEE10hipError_tPvRmT3_T4_T5_T6_T7_T9_mT8_P12ihipStream_tbDpT10_ENKUlT_T0_E_clISt17integral_constantIbLb0EES15_IbLb1EEEEDaS11_S12_EUlS11_E_NS1_11comp_targetILNS1_3genE3ELNS1_11target_archE908ELNS1_3gpuE7ELNS1_3repE0EEENS1_30default_config_static_selectorELNS0_4arch9wavefront6targetE1EEEvT1_,"axG",@progbits,_ZN7rocprim17ROCPRIM_400000_NS6detail17trampoline_kernelINS0_14default_configENS1_25partition_config_selectorILNS1_17partition_subalgoE8ElNS0_10empty_typeEbEEZZNS1_14partition_implILS5_8ELb0ES3_jPKlPS6_PKS6_NS0_5tupleIJPlS6_EEENSE_IJSB_SB_EEENS0_18inequality_wrapperIN6hipcub16HIPCUB_304000_NS8EqualityEEESF_JS6_EEE10hipError_tPvRmT3_T4_T5_T6_T7_T9_mT8_P12ihipStream_tbDpT10_ENKUlT_T0_E_clISt17integral_constantIbLb0EES15_IbLb1EEEEDaS11_S12_EUlS11_E_NS1_11comp_targetILNS1_3genE3ELNS1_11target_archE908ELNS1_3gpuE7ELNS1_3repE0EEENS1_30default_config_static_selectorELNS0_4arch9wavefront6targetE1EEEvT1_,comdat
	.protected	_ZN7rocprim17ROCPRIM_400000_NS6detail17trampoline_kernelINS0_14default_configENS1_25partition_config_selectorILNS1_17partition_subalgoE8ElNS0_10empty_typeEbEEZZNS1_14partition_implILS5_8ELb0ES3_jPKlPS6_PKS6_NS0_5tupleIJPlS6_EEENSE_IJSB_SB_EEENS0_18inequality_wrapperIN6hipcub16HIPCUB_304000_NS8EqualityEEESF_JS6_EEE10hipError_tPvRmT3_T4_T5_T6_T7_T9_mT8_P12ihipStream_tbDpT10_ENKUlT_T0_E_clISt17integral_constantIbLb0EES15_IbLb1EEEEDaS11_S12_EUlS11_E_NS1_11comp_targetILNS1_3genE3ELNS1_11target_archE908ELNS1_3gpuE7ELNS1_3repE0EEENS1_30default_config_static_selectorELNS0_4arch9wavefront6targetE1EEEvT1_ ; -- Begin function _ZN7rocprim17ROCPRIM_400000_NS6detail17trampoline_kernelINS0_14default_configENS1_25partition_config_selectorILNS1_17partition_subalgoE8ElNS0_10empty_typeEbEEZZNS1_14partition_implILS5_8ELb0ES3_jPKlPS6_PKS6_NS0_5tupleIJPlS6_EEENSE_IJSB_SB_EEENS0_18inequality_wrapperIN6hipcub16HIPCUB_304000_NS8EqualityEEESF_JS6_EEE10hipError_tPvRmT3_T4_T5_T6_T7_T9_mT8_P12ihipStream_tbDpT10_ENKUlT_T0_E_clISt17integral_constantIbLb0EES15_IbLb1EEEEDaS11_S12_EUlS11_E_NS1_11comp_targetILNS1_3genE3ELNS1_11target_archE908ELNS1_3gpuE7ELNS1_3repE0EEENS1_30default_config_static_selectorELNS0_4arch9wavefront6targetE1EEEvT1_
	.globl	_ZN7rocprim17ROCPRIM_400000_NS6detail17trampoline_kernelINS0_14default_configENS1_25partition_config_selectorILNS1_17partition_subalgoE8ElNS0_10empty_typeEbEEZZNS1_14partition_implILS5_8ELb0ES3_jPKlPS6_PKS6_NS0_5tupleIJPlS6_EEENSE_IJSB_SB_EEENS0_18inequality_wrapperIN6hipcub16HIPCUB_304000_NS8EqualityEEESF_JS6_EEE10hipError_tPvRmT3_T4_T5_T6_T7_T9_mT8_P12ihipStream_tbDpT10_ENKUlT_T0_E_clISt17integral_constantIbLb0EES15_IbLb1EEEEDaS11_S12_EUlS11_E_NS1_11comp_targetILNS1_3genE3ELNS1_11target_archE908ELNS1_3gpuE7ELNS1_3repE0EEENS1_30default_config_static_selectorELNS0_4arch9wavefront6targetE1EEEvT1_
	.p2align	8
	.type	_ZN7rocprim17ROCPRIM_400000_NS6detail17trampoline_kernelINS0_14default_configENS1_25partition_config_selectorILNS1_17partition_subalgoE8ElNS0_10empty_typeEbEEZZNS1_14partition_implILS5_8ELb0ES3_jPKlPS6_PKS6_NS0_5tupleIJPlS6_EEENSE_IJSB_SB_EEENS0_18inequality_wrapperIN6hipcub16HIPCUB_304000_NS8EqualityEEESF_JS6_EEE10hipError_tPvRmT3_T4_T5_T6_T7_T9_mT8_P12ihipStream_tbDpT10_ENKUlT_T0_E_clISt17integral_constantIbLb0EES15_IbLb1EEEEDaS11_S12_EUlS11_E_NS1_11comp_targetILNS1_3genE3ELNS1_11target_archE908ELNS1_3gpuE7ELNS1_3repE0EEENS1_30default_config_static_selectorELNS0_4arch9wavefront6targetE1EEEvT1_,@function
_ZN7rocprim17ROCPRIM_400000_NS6detail17trampoline_kernelINS0_14default_configENS1_25partition_config_selectorILNS1_17partition_subalgoE8ElNS0_10empty_typeEbEEZZNS1_14partition_implILS5_8ELb0ES3_jPKlPS6_PKS6_NS0_5tupleIJPlS6_EEENSE_IJSB_SB_EEENS0_18inequality_wrapperIN6hipcub16HIPCUB_304000_NS8EqualityEEESF_JS6_EEE10hipError_tPvRmT3_T4_T5_T6_T7_T9_mT8_P12ihipStream_tbDpT10_ENKUlT_T0_E_clISt17integral_constantIbLb0EES15_IbLb1EEEEDaS11_S12_EUlS11_E_NS1_11comp_targetILNS1_3genE3ELNS1_11target_archE908ELNS1_3gpuE7ELNS1_3repE0EEENS1_30default_config_static_selectorELNS0_4arch9wavefront6targetE1EEEvT1_: ; @_ZN7rocprim17ROCPRIM_400000_NS6detail17trampoline_kernelINS0_14default_configENS1_25partition_config_selectorILNS1_17partition_subalgoE8ElNS0_10empty_typeEbEEZZNS1_14partition_implILS5_8ELb0ES3_jPKlPS6_PKS6_NS0_5tupleIJPlS6_EEENSE_IJSB_SB_EEENS0_18inequality_wrapperIN6hipcub16HIPCUB_304000_NS8EqualityEEESF_JS6_EEE10hipError_tPvRmT3_T4_T5_T6_T7_T9_mT8_P12ihipStream_tbDpT10_ENKUlT_T0_E_clISt17integral_constantIbLb0EES15_IbLb1EEEEDaS11_S12_EUlS11_E_NS1_11comp_targetILNS1_3genE3ELNS1_11target_archE908ELNS1_3gpuE7ELNS1_3repE0EEENS1_30default_config_static_selectorELNS0_4arch9wavefront6targetE1EEEvT1_
; %bb.0:
	.section	.rodata,"a",@progbits
	.p2align	6, 0x0
	.amdhsa_kernel _ZN7rocprim17ROCPRIM_400000_NS6detail17trampoline_kernelINS0_14default_configENS1_25partition_config_selectorILNS1_17partition_subalgoE8ElNS0_10empty_typeEbEEZZNS1_14partition_implILS5_8ELb0ES3_jPKlPS6_PKS6_NS0_5tupleIJPlS6_EEENSE_IJSB_SB_EEENS0_18inequality_wrapperIN6hipcub16HIPCUB_304000_NS8EqualityEEESF_JS6_EEE10hipError_tPvRmT3_T4_T5_T6_T7_T9_mT8_P12ihipStream_tbDpT10_ENKUlT_T0_E_clISt17integral_constantIbLb0EES15_IbLb1EEEEDaS11_S12_EUlS11_E_NS1_11comp_targetILNS1_3genE3ELNS1_11target_archE908ELNS1_3gpuE7ELNS1_3repE0EEENS1_30default_config_static_selectorELNS0_4arch9wavefront6targetE1EEEvT1_
		.amdhsa_group_segment_fixed_size 0
		.amdhsa_private_segment_fixed_size 0
		.amdhsa_kernarg_size 128
		.amdhsa_user_sgpr_count 6
		.amdhsa_user_sgpr_private_segment_buffer 1
		.amdhsa_user_sgpr_dispatch_ptr 0
		.amdhsa_user_sgpr_queue_ptr 0
		.amdhsa_user_sgpr_kernarg_segment_ptr 1
		.amdhsa_user_sgpr_dispatch_id 0
		.amdhsa_user_sgpr_flat_scratch_init 0
		.amdhsa_user_sgpr_kernarg_preload_length 0
		.amdhsa_user_sgpr_kernarg_preload_offset 0
		.amdhsa_user_sgpr_private_segment_size 0
		.amdhsa_uses_dynamic_stack 0
		.amdhsa_system_sgpr_private_segment_wavefront_offset 0
		.amdhsa_system_sgpr_workgroup_id_x 1
		.amdhsa_system_sgpr_workgroup_id_y 0
		.amdhsa_system_sgpr_workgroup_id_z 0
		.amdhsa_system_sgpr_workgroup_info 0
		.amdhsa_system_vgpr_workitem_id 0
		.amdhsa_next_free_vgpr 1
		.amdhsa_next_free_sgpr 0
		.amdhsa_accum_offset 4
		.amdhsa_reserve_vcc 0
		.amdhsa_reserve_flat_scratch 0
		.amdhsa_float_round_mode_32 0
		.amdhsa_float_round_mode_16_64 0
		.amdhsa_float_denorm_mode_32 3
		.amdhsa_float_denorm_mode_16_64 3
		.amdhsa_dx10_clamp 1
		.amdhsa_ieee_mode 1
		.amdhsa_fp16_overflow 0
		.amdhsa_tg_split 0
		.amdhsa_exception_fp_ieee_invalid_op 0
		.amdhsa_exception_fp_denorm_src 0
		.amdhsa_exception_fp_ieee_div_zero 0
		.amdhsa_exception_fp_ieee_overflow 0
		.amdhsa_exception_fp_ieee_underflow 0
		.amdhsa_exception_fp_ieee_inexact 0
		.amdhsa_exception_int_div_zero 0
	.end_amdhsa_kernel
	.section	.text._ZN7rocprim17ROCPRIM_400000_NS6detail17trampoline_kernelINS0_14default_configENS1_25partition_config_selectorILNS1_17partition_subalgoE8ElNS0_10empty_typeEbEEZZNS1_14partition_implILS5_8ELb0ES3_jPKlPS6_PKS6_NS0_5tupleIJPlS6_EEENSE_IJSB_SB_EEENS0_18inequality_wrapperIN6hipcub16HIPCUB_304000_NS8EqualityEEESF_JS6_EEE10hipError_tPvRmT3_T4_T5_T6_T7_T9_mT8_P12ihipStream_tbDpT10_ENKUlT_T0_E_clISt17integral_constantIbLb0EES15_IbLb1EEEEDaS11_S12_EUlS11_E_NS1_11comp_targetILNS1_3genE3ELNS1_11target_archE908ELNS1_3gpuE7ELNS1_3repE0EEENS1_30default_config_static_selectorELNS0_4arch9wavefront6targetE1EEEvT1_,"axG",@progbits,_ZN7rocprim17ROCPRIM_400000_NS6detail17trampoline_kernelINS0_14default_configENS1_25partition_config_selectorILNS1_17partition_subalgoE8ElNS0_10empty_typeEbEEZZNS1_14partition_implILS5_8ELb0ES3_jPKlPS6_PKS6_NS0_5tupleIJPlS6_EEENSE_IJSB_SB_EEENS0_18inequality_wrapperIN6hipcub16HIPCUB_304000_NS8EqualityEEESF_JS6_EEE10hipError_tPvRmT3_T4_T5_T6_T7_T9_mT8_P12ihipStream_tbDpT10_ENKUlT_T0_E_clISt17integral_constantIbLb0EES15_IbLb1EEEEDaS11_S12_EUlS11_E_NS1_11comp_targetILNS1_3genE3ELNS1_11target_archE908ELNS1_3gpuE7ELNS1_3repE0EEENS1_30default_config_static_selectorELNS0_4arch9wavefront6targetE1EEEvT1_,comdat
.Lfunc_end506:
	.size	_ZN7rocprim17ROCPRIM_400000_NS6detail17trampoline_kernelINS0_14default_configENS1_25partition_config_selectorILNS1_17partition_subalgoE8ElNS0_10empty_typeEbEEZZNS1_14partition_implILS5_8ELb0ES3_jPKlPS6_PKS6_NS0_5tupleIJPlS6_EEENSE_IJSB_SB_EEENS0_18inequality_wrapperIN6hipcub16HIPCUB_304000_NS8EqualityEEESF_JS6_EEE10hipError_tPvRmT3_T4_T5_T6_T7_T9_mT8_P12ihipStream_tbDpT10_ENKUlT_T0_E_clISt17integral_constantIbLb0EES15_IbLb1EEEEDaS11_S12_EUlS11_E_NS1_11comp_targetILNS1_3genE3ELNS1_11target_archE908ELNS1_3gpuE7ELNS1_3repE0EEENS1_30default_config_static_selectorELNS0_4arch9wavefront6targetE1EEEvT1_, .Lfunc_end506-_ZN7rocprim17ROCPRIM_400000_NS6detail17trampoline_kernelINS0_14default_configENS1_25partition_config_selectorILNS1_17partition_subalgoE8ElNS0_10empty_typeEbEEZZNS1_14partition_implILS5_8ELb0ES3_jPKlPS6_PKS6_NS0_5tupleIJPlS6_EEENSE_IJSB_SB_EEENS0_18inequality_wrapperIN6hipcub16HIPCUB_304000_NS8EqualityEEESF_JS6_EEE10hipError_tPvRmT3_T4_T5_T6_T7_T9_mT8_P12ihipStream_tbDpT10_ENKUlT_T0_E_clISt17integral_constantIbLb0EES15_IbLb1EEEEDaS11_S12_EUlS11_E_NS1_11comp_targetILNS1_3genE3ELNS1_11target_archE908ELNS1_3gpuE7ELNS1_3repE0EEENS1_30default_config_static_selectorELNS0_4arch9wavefront6targetE1EEEvT1_
                                        ; -- End function
	.section	.AMDGPU.csdata,"",@progbits
; Kernel info:
; codeLenInByte = 0
; NumSgprs: 4
; NumVgprs: 0
; NumAgprs: 0
; TotalNumVgprs: 0
; ScratchSize: 0
; MemoryBound: 0
; FloatMode: 240
; IeeeMode: 1
; LDSByteSize: 0 bytes/workgroup (compile time only)
; SGPRBlocks: 0
; VGPRBlocks: 0
; NumSGPRsForWavesPerEU: 4
; NumVGPRsForWavesPerEU: 1
; AccumOffset: 4
; Occupancy: 8
; WaveLimiterHint : 0
; COMPUTE_PGM_RSRC2:SCRATCH_EN: 0
; COMPUTE_PGM_RSRC2:USER_SGPR: 6
; COMPUTE_PGM_RSRC2:TRAP_HANDLER: 0
; COMPUTE_PGM_RSRC2:TGID_X_EN: 1
; COMPUTE_PGM_RSRC2:TGID_Y_EN: 0
; COMPUTE_PGM_RSRC2:TGID_Z_EN: 0
; COMPUTE_PGM_RSRC2:TIDIG_COMP_CNT: 0
; COMPUTE_PGM_RSRC3_GFX90A:ACCUM_OFFSET: 0
; COMPUTE_PGM_RSRC3_GFX90A:TG_SPLIT: 0
	.section	.text._ZN7rocprim17ROCPRIM_400000_NS6detail17trampoline_kernelINS0_14default_configENS1_25partition_config_selectorILNS1_17partition_subalgoE8ElNS0_10empty_typeEbEEZZNS1_14partition_implILS5_8ELb0ES3_jPKlPS6_PKS6_NS0_5tupleIJPlS6_EEENSE_IJSB_SB_EEENS0_18inequality_wrapperIN6hipcub16HIPCUB_304000_NS8EqualityEEESF_JS6_EEE10hipError_tPvRmT3_T4_T5_T6_T7_T9_mT8_P12ihipStream_tbDpT10_ENKUlT_T0_E_clISt17integral_constantIbLb0EES15_IbLb1EEEEDaS11_S12_EUlS11_E_NS1_11comp_targetILNS1_3genE2ELNS1_11target_archE906ELNS1_3gpuE6ELNS1_3repE0EEENS1_30default_config_static_selectorELNS0_4arch9wavefront6targetE1EEEvT1_,"axG",@progbits,_ZN7rocprim17ROCPRIM_400000_NS6detail17trampoline_kernelINS0_14default_configENS1_25partition_config_selectorILNS1_17partition_subalgoE8ElNS0_10empty_typeEbEEZZNS1_14partition_implILS5_8ELb0ES3_jPKlPS6_PKS6_NS0_5tupleIJPlS6_EEENSE_IJSB_SB_EEENS0_18inequality_wrapperIN6hipcub16HIPCUB_304000_NS8EqualityEEESF_JS6_EEE10hipError_tPvRmT3_T4_T5_T6_T7_T9_mT8_P12ihipStream_tbDpT10_ENKUlT_T0_E_clISt17integral_constantIbLb0EES15_IbLb1EEEEDaS11_S12_EUlS11_E_NS1_11comp_targetILNS1_3genE2ELNS1_11target_archE906ELNS1_3gpuE6ELNS1_3repE0EEENS1_30default_config_static_selectorELNS0_4arch9wavefront6targetE1EEEvT1_,comdat
	.protected	_ZN7rocprim17ROCPRIM_400000_NS6detail17trampoline_kernelINS0_14default_configENS1_25partition_config_selectorILNS1_17partition_subalgoE8ElNS0_10empty_typeEbEEZZNS1_14partition_implILS5_8ELb0ES3_jPKlPS6_PKS6_NS0_5tupleIJPlS6_EEENSE_IJSB_SB_EEENS0_18inequality_wrapperIN6hipcub16HIPCUB_304000_NS8EqualityEEESF_JS6_EEE10hipError_tPvRmT3_T4_T5_T6_T7_T9_mT8_P12ihipStream_tbDpT10_ENKUlT_T0_E_clISt17integral_constantIbLb0EES15_IbLb1EEEEDaS11_S12_EUlS11_E_NS1_11comp_targetILNS1_3genE2ELNS1_11target_archE906ELNS1_3gpuE6ELNS1_3repE0EEENS1_30default_config_static_selectorELNS0_4arch9wavefront6targetE1EEEvT1_ ; -- Begin function _ZN7rocprim17ROCPRIM_400000_NS6detail17trampoline_kernelINS0_14default_configENS1_25partition_config_selectorILNS1_17partition_subalgoE8ElNS0_10empty_typeEbEEZZNS1_14partition_implILS5_8ELb0ES3_jPKlPS6_PKS6_NS0_5tupleIJPlS6_EEENSE_IJSB_SB_EEENS0_18inequality_wrapperIN6hipcub16HIPCUB_304000_NS8EqualityEEESF_JS6_EEE10hipError_tPvRmT3_T4_T5_T6_T7_T9_mT8_P12ihipStream_tbDpT10_ENKUlT_T0_E_clISt17integral_constantIbLb0EES15_IbLb1EEEEDaS11_S12_EUlS11_E_NS1_11comp_targetILNS1_3genE2ELNS1_11target_archE906ELNS1_3gpuE6ELNS1_3repE0EEENS1_30default_config_static_selectorELNS0_4arch9wavefront6targetE1EEEvT1_
	.globl	_ZN7rocprim17ROCPRIM_400000_NS6detail17trampoline_kernelINS0_14default_configENS1_25partition_config_selectorILNS1_17partition_subalgoE8ElNS0_10empty_typeEbEEZZNS1_14partition_implILS5_8ELb0ES3_jPKlPS6_PKS6_NS0_5tupleIJPlS6_EEENSE_IJSB_SB_EEENS0_18inequality_wrapperIN6hipcub16HIPCUB_304000_NS8EqualityEEESF_JS6_EEE10hipError_tPvRmT3_T4_T5_T6_T7_T9_mT8_P12ihipStream_tbDpT10_ENKUlT_T0_E_clISt17integral_constantIbLb0EES15_IbLb1EEEEDaS11_S12_EUlS11_E_NS1_11comp_targetILNS1_3genE2ELNS1_11target_archE906ELNS1_3gpuE6ELNS1_3repE0EEENS1_30default_config_static_selectorELNS0_4arch9wavefront6targetE1EEEvT1_
	.p2align	8
	.type	_ZN7rocprim17ROCPRIM_400000_NS6detail17trampoline_kernelINS0_14default_configENS1_25partition_config_selectorILNS1_17partition_subalgoE8ElNS0_10empty_typeEbEEZZNS1_14partition_implILS5_8ELb0ES3_jPKlPS6_PKS6_NS0_5tupleIJPlS6_EEENSE_IJSB_SB_EEENS0_18inequality_wrapperIN6hipcub16HIPCUB_304000_NS8EqualityEEESF_JS6_EEE10hipError_tPvRmT3_T4_T5_T6_T7_T9_mT8_P12ihipStream_tbDpT10_ENKUlT_T0_E_clISt17integral_constantIbLb0EES15_IbLb1EEEEDaS11_S12_EUlS11_E_NS1_11comp_targetILNS1_3genE2ELNS1_11target_archE906ELNS1_3gpuE6ELNS1_3repE0EEENS1_30default_config_static_selectorELNS0_4arch9wavefront6targetE1EEEvT1_,@function
_ZN7rocprim17ROCPRIM_400000_NS6detail17trampoline_kernelINS0_14default_configENS1_25partition_config_selectorILNS1_17partition_subalgoE8ElNS0_10empty_typeEbEEZZNS1_14partition_implILS5_8ELb0ES3_jPKlPS6_PKS6_NS0_5tupleIJPlS6_EEENSE_IJSB_SB_EEENS0_18inequality_wrapperIN6hipcub16HIPCUB_304000_NS8EqualityEEESF_JS6_EEE10hipError_tPvRmT3_T4_T5_T6_T7_T9_mT8_P12ihipStream_tbDpT10_ENKUlT_T0_E_clISt17integral_constantIbLb0EES15_IbLb1EEEEDaS11_S12_EUlS11_E_NS1_11comp_targetILNS1_3genE2ELNS1_11target_archE906ELNS1_3gpuE6ELNS1_3repE0EEENS1_30default_config_static_selectorELNS0_4arch9wavefront6targetE1EEEvT1_: ; @_ZN7rocprim17ROCPRIM_400000_NS6detail17trampoline_kernelINS0_14default_configENS1_25partition_config_selectorILNS1_17partition_subalgoE8ElNS0_10empty_typeEbEEZZNS1_14partition_implILS5_8ELb0ES3_jPKlPS6_PKS6_NS0_5tupleIJPlS6_EEENSE_IJSB_SB_EEENS0_18inequality_wrapperIN6hipcub16HIPCUB_304000_NS8EqualityEEESF_JS6_EEE10hipError_tPvRmT3_T4_T5_T6_T7_T9_mT8_P12ihipStream_tbDpT10_ENKUlT_T0_E_clISt17integral_constantIbLb0EES15_IbLb1EEEEDaS11_S12_EUlS11_E_NS1_11comp_targetILNS1_3genE2ELNS1_11target_archE906ELNS1_3gpuE6ELNS1_3repE0EEENS1_30default_config_static_selectorELNS0_4arch9wavefront6targetE1EEEvT1_
; %bb.0:
	.section	.rodata,"a",@progbits
	.p2align	6, 0x0
	.amdhsa_kernel _ZN7rocprim17ROCPRIM_400000_NS6detail17trampoline_kernelINS0_14default_configENS1_25partition_config_selectorILNS1_17partition_subalgoE8ElNS0_10empty_typeEbEEZZNS1_14partition_implILS5_8ELb0ES3_jPKlPS6_PKS6_NS0_5tupleIJPlS6_EEENSE_IJSB_SB_EEENS0_18inequality_wrapperIN6hipcub16HIPCUB_304000_NS8EqualityEEESF_JS6_EEE10hipError_tPvRmT3_T4_T5_T6_T7_T9_mT8_P12ihipStream_tbDpT10_ENKUlT_T0_E_clISt17integral_constantIbLb0EES15_IbLb1EEEEDaS11_S12_EUlS11_E_NS1_11comp_targetILNS1_3genE2ELNS1_11target_archE906ELNS1_3gpuE6ELNS1_3repE0EEENS1_30default_config_static_selectorELNS0_4arch9wavefront6targetE1EEEvT1_
		.amdhsa_group_segment_fixed_size 0
		.amdhsa_private_segment_fixed_size 0
		.amdhsa_kernarg_size 128
		.amdhsa_user_sgpr_count 6
		.amdhsa_user_sgpr_private_segment_buffer 1
		.amdhsa_user_sgpr_dispatch_ptr 0
		.amdhsa_user_sgpr_queue_ptr 0
		.amdhsa_user_sgpr_kernarg_segment_ptr 1
		.amdhsa_user_sgpr_dispatch_id 0
		.amdhsa_user_sgpr_flat_scratch_init 0
		.amdhsa_user_sgpr_kernarg_preload_length 0
		.amdhsa_user_sgpr_kernarg_preload_offset 0
		.amdhsa_user_sgpr_private_segment_size 0
		.amdhsa_uses_dynamic_stack 0
		.amdhsa_system_sgpr_private_segment_wavefront_offset 0
		.amdhsa_system_sgpr_workgroup_id_x 1
		.amdhsa_system_sgpr_workgroup_id_y 0
		.amdhsa_system_sgpr_workgroup_id_z 0
		.amdhsa_system_sgpr_workgroup_info 0
		.amdhsa_system_vgpr_workitem_id 0
		.amdhsa_next_free_vgpr 1
		.amdhsa_next_free_sgpr 0
		.amdhsa_accum_offset 4
		.amdhsa_reserve_vcc 0
		.amdhsa_reserve_flat_scratch 0
		.amdhsa_float_round_mode_32 0
		.amdhsa_float_round_mode_16_64 0
		.amdhsa_float_denorm_mode_32 3
		.amdhsa_float_denorm_mode_16_64 3
		.amdhsa_dx10_clamp 1
		.amdhsa_ieee_mode 1
		.amdhsa_fp16_overflow 0
		.amdhsa_tg_split 0
		.amdhsa_exception_fp_ieee_invalid_op 0
		.amdhsa_exception_fp_denorm_src 0
		.amdhsa_exception_fp_ieee_div_zero 0
		.amdhsa_exception_fp_ieee_overflow 0
		.amdhsa_exception_fp_ieee_underflow 0
		.amdhsa_exception_fp_ieee_inexact 0
		.amdhsa_exception_int_div_zero 0
	.end_amdhsa_kernel
	.section	.text._ZN7rocprim17ROCPRIM_400000_NS6detail17trampoline_kernelINS0_14default_configENS1_25partition_config_selectorILNS1_17partition_subalgoE8ElNS0_10empty_typeEbEEZZNS1_14partition_implILS5_8ELb0ES3_jPKlPS6_PKS6_NS0_5tupleIJPlS6_EEENSE_IJSB_SB_EEENS0_18inequality_wrapperIN6hipcub16HIPCUB_304000_NS8EqualityEEESF_JS6_EEE10hipError_tPvRmT3_T4_T5_T6_T7_T9_mT8_P12ihipStream_tbDpT10_ENKUlT_T0_E_clISt17integral_constantIbLb0EES15_IbLb1EEEEDaS11_S12_EUlS11_E_NS1_11comp_targetILNS1_3genE2ELNS1_11target_archE906ELNS1_3gpuE6ELNS1_3repE0EEENS1_30default_config_static_selectorELNS0_4arch9wavefront6targetE1EEEvT1_,"axG",@progbits,_ZN7rocprim17ROCPRIM_400000_NS6detail17trampoline_kernelINS0_14default_configENS1_25partition_config_selectorILNS1_17partition_subalgoE8ElNS0_10empty_typeEbEEZZNS1_14partition_implILS5_8ELb0ES3_jPKlPS6_PKS6_NS0_5tupleIJPlS6_EEENSE_IJSB_SB_EEENS0_18inequality_wrapperIN6hipcub16HIPCUB_304000_NS8EqualityEEESF_JS6_EEE10hipError_tPvRmT3_T4_T5_T6_T7_T9_mT8_P12ihipStream_tbDpT10_ENKUlT_T0_E_clISt17integral_constantIbLb0EES15_IbLb1EEEEDaS11_S12_EUlS11_E_NS1_11comp_targetILNS1_3genE2ELNS1_11target_archE906ELNS1_3gpuE6ELNS1_3repE0EEENS1_30default_config_static_selectorELNS0_4arch9wavefront6targetE1EEEvT1_,comdat
.Lfunc_end507:
	.size	_ZN7rocprim17ROCPRIM_400000_NS6detail17trampoline_kernelINS0_14default_configENS1_25partition_config_selectorILNS1_17partition_subalgoE8ElNS0_10empty_typeEbEEZZNS1_14partition_implILS5_8ELb0ES3_jPKlPS6_PKS6_NS0_5tupleIJPlS6_EEENSE_IJSB_SB_EEENS0_18inequality_wrapperIN6hipcub16HIPCUB_304000_NS8EqualityEEESF_JS6_EEE10hipError_tPvRmT3_T4_T5_T6_T7_T9_mT8_P12ihipStream_tbDpT10_ENKUlT_T0_E_clISt17integral_constantIbLb0EES15_IbLb1EEEEDaS11_S12_EUlS11_E_NS1_11comp_targetILNS1_3genE2ELNS1_11target_archE906ELNS1_3gpuE6ELNS1_3repE0EEENS1_30default_config_static_selectorELNS0_4arch9wavefront6targetE1EEEvT1_, .Lfunc_end507-_ZN7rocprim17ROCPRIM_400000_NS6detail17trampoline_kernelINS0_14default_configENS1_25partition_config_selectorILNS1_17partition_subalgoE8ElNS0_10empty_typeEbEEZZNS1_14partition_implILS5_8ELb0ES3_jPKlPS6_PKS6_NS0_5tupleIJPlS6_EEENSE_IJSB_SB_EEENS0_18inequality_wrapperIN6hipcub16HIPCUB_304000_NS8EqualityEEESF_JS6_EEE10hipError_tPvRmT3_T4_T5_T6_T7_T9_mT8_P12ihipStream_tbDpT10_ENKUlT_T0_E_clISt17integral_constantIbLb0EES15_IbLb1EEEEDaS11_S12_EUlS11_E_NS1_11comp_targetILNS1_3genE2ELNS1_11target_archE906ELNS1_3gpuE6ELNS1_3repE0EEENS1_30default_config_static_selectorELNS0_4arch9wavefront6targetE1EEEvT1_
                                        ; -- End function
	.section	.AMDGPU.csdata,"",@progbits
; Kernel info:
; codeLenInByte = 0
; NumSgprs: 4
; NumVgprs: 0
; NumAgprs: 0
; TotalNumVgprs: 0
; ScratchSize: 0
; MemoryBound: 0
; FloatMode: 240
; IeeeMode: 1
; LDSByteSize: 0 bytes/workgroup (compile time only)
; SGPRBlocks: 0
; VGPRBlocks: 0
; NumSGPRsForWavesPerEU: 4
; NumVGPRsForWavesPerEU: 1
; AccumOffset: 4
; Occupancy: 8
; WaveLimiterHint : 0
; COMPUTE_PGM_RSRC2:SCRATCH_EN: 0
; COMPUTE_PGM_RSRC2:USER_SGPR: 6
; COMPUTE_PGM_RSRC2:TRAP_HANDLER: 0
; COMPUTE_PGM_RSRC2:TGID_X_EN: 1
; COMPUTE_PGM_RSRC2:TGID_Y_EN: 0
; COMPUTE_PGM_RSRC2:TGID_Z_EN: 0
; COMPUTE_PGM_RSRC2:TIDIG_COMP_CNT: 0
; COMPUTE_PGM_RSRC3_GFX90A:ACCUM_OFFSET: 0
; COMPUTE_PGM_RSRC3_GFX90A:TG_SPLIT: 0
	.section	.text._ZN7rocprim17ROCPRIM_400000_NS6detail17trampoline_kernelINS0_14default_configENS1_25partition_config_selectorILNS1_17partition_subalgoE8ElNS0_10empty_typeEbEEZZNS1_14partition_implILS5_8ELb0ES3_jPKlPS6_PKS6_NS0_5tupleIJPlS6_EEENSE_IJSB_SB_EEENS0_18inequality_wrapperIN6hipcub16HIPCUB_304000_NS8EqualityEEESF_JS6_EEE10hipError_tPvRmT3_T4_T5_T6_T7_T9_mT8_P12ihipStream_tbDpT10_ENKUlT_T0_E_clISt17integral_constantIbLb0EES15_IbLb1EEEEDaS11_S12_EUlS11_E_NS1_11comp_targetILNS1_3genE10ELNS1_11target_archE1200ELNS1_3gpuE4ELNS1_3repE0EEENS1_30default_config_static_selectorELNS0_4arch9wavefront6targetE1EEEvT1_,"axG",@progbits,_ZN7rocprim17ROCPRIM_400000_NS6detail17trampoline_kernelINS0_14default_configENS1_25partition_config_selectorILNS1_17partition_subalgoE8ElNS0_10empty_typeEbEEZZNS1_14partition_implILS5_8ELb0ES3_jPKlPS6_PKS6_NS0_5tupleIJPlS6_EEENSE_IJSB_SB_EEENS0_18inequality_wrapperIN6hipcub16HIPCUB_304000_NS8EqualityEEESF_JS6_EEE10hipError_tPvRmT3_T4_T5_T6_T7_T9_mT8_P12ihipStream_tbDpT10_ENKUlT_T0_E_clISt17integral_constantIbLb0EES15_IbLb1EEEEDaS11_S12_EUlS11_E_NS1_11comp_targetILNS1_3genE10ELNS1_11target_archE1200ELNS1_3gpuE4ELNS1_3repE0EEENS1_30default_config_static_selectorELNS0_4arch9wavefront6targetE1EEEvT1_,comdat
	.protected	_ZN7rocprim17ROCPRIM_400000_NS6detail17trampoline_kernelINS0_14default_configENS1_25partition_config_selectorILNS1_17partition_subalgoE8ElNS0_10empty_typeEbEEZZNS1_14partition_implILS5_8ELb0ES3_jPKlPS6_PKS6_NS0_5tupleIJPlS6_EEENSE_IJSB_SB_EEENS0_18inequality_wrapperIN6hipcub16HIPCUB_304000_NS8EqualityEEESF_JS6_EEE10hipError_tPvRmT3_T4_T5_T6_T7_T9_mT8_P12ihipStream_tbDpT10_ENKUlT_T0_E_clISt17integral_constantIbLb0EES15_IbLb1EEEEDaS11_S12_EUlS11_E_NS1_11comp_targetILNS1_3genE10ELNS1_11target_archE1200ELNS1_3gpuE4ELNS1_3repE0EEENS1_30default_config_static_selectorELNS0_4arch9wavefront6targetE1EEEvT1_ ; -- Begin function _ZN7rocprim17ROCPRIM_400000_NS6detail17trampoline_kernelINS0_14default_configENS1_25partition_config_selectorILNS1_17partition_subalgoE8ElNS0_10empty_typeEbEEZZNS1_14partition_implILS5_8ELb0ES3_jPKlPS6_PKS6_NS0_5tupleIJPlS6_EEENSE_IJSB_SB_EEENS0_18inequality_wrapperIN6hipcub16HIPCUB_304000_NS8EqualityEEESF_JS6_EEE10hipError_tPvRmT3_T4_T5_T6_T7_T9_mT8_P12ihipStream_tbDpT10_ENKUlT_T0_E_clISt17integral_constantIbLb0EES15_IbLb1EEEEDaS11_S12_EUlS11_E_NS1_11comp_targetILNS1_3genE10ELNS1_11target_archE1200ELNS1_3gpuE4ELNS1_3repE0EEENS1_30default_config_static_selectorELNS0_4arch9wavefront6targetE1EEEvT1_
	.globl	_ZN7rocprim17ROCPRIM_400000_NS6detail17trampoline_kernelINS0_14default_configENS1_25partition_config_selectorILNS1_17partition_subalgoE8ElNS0_10empty_typeEbEEZZNS1_14partition_implILS5_8ELb0ES3_jPKlPS6_PKS6_NS0_5tupleIJPlS6_EEENSE_IJSB_SB_EEENS0_18inequality_wrapperIN6hipcub16HIPCUB_304000_NS8EqualityEEESF_JS6_EEE10hipError_tPvRmT3_T4_T5_T6_T7_T9_mT8_P12ihipStream_tbDpT10_ENKUlT_T0_E_clISt17integral_constantIbLb0EES15_IbLb1EEEEDaS11_S12_EUlS11_E_NS1_11comp_targetILNS1_3genE10ELNS1_11target_archE1200ELNS1_3gpuE4ELNS1_3repE0EEENS1_30default_config_static_selectorELNS0_4arch9wavefront6targetE1EEEvT1_
	.p2align	8
	.type	_ZN7rocprim17ROCPRIM_400000_NS6detail17trampoline_kernelINS0_14default_configENS1_25partition_config_selectorILNS1_17partition_subalgoE8ElNS0_10empty_typeEbEEZZNS1_14partition_implILS5_8ELb0ES3_jPKlPS6_PKS6_NS0_5tupleIJPlS6_EEENSE_IJSB_SB_EEENS0_18inequality_wrapperIN6hipcub16HIPCUB_304000_NS8EqualityEEESF_JS6_EEE10hipError_tPvRmT3_T4_T5_T6_T7_T9_mT8_P12ihipStream_tbDpT10_ENKUlT_T0_E_clISt17integral_constantIbLb0EES15_IbLb1EEEEDaS11_S12_EUlS11_E_NS1_11comp_targetILNS1_3genE10ELNS1_11target_archE1200ELNS1_3gpuE4ELNS1_3repE0EEENS1_30default_config_static_selectorELNS0_4arch9wavefront6targetE1EEEvT1_,@function
_ZN7rocprim17ROCPRIM_400000_NS6detail17trampoline_kernelINS0_14default_configENS1_25partition_config_selectorILNS1_17partition_subalgoE8ElNS0_10empty_typeEbEEZZNS1_14partition_implILS5_8ELb0ES3_jPKlPS6_PKS6_NS0_5tupleIJPlS6_EEENSE_IJSB_SB_EEENS0_18inequality_wrapperIN6hipcub16HIPCUB_304000_NS8EqualityEEESF_JS6_EEE10hipError_tPvRmT3_T4_T5_T6_T7_T9_mT8_P12ihipStream_tbDpT10_ENKUlT_T0_E_clISt17integral_constantIbLb0EES15_IbLb1EEEEDaS11_S12_EUlS11_E_NS1_11comp_targetILNS1_3genE10ELNS1_11target_archE1200ELNS1_3gpuE4ELNS1_3repE0EEENS1_30default_config_static_selectorELNS0_4arch9wavefront6targetE1EEEvT1_: ; @_ZN7rocprim17ROCPRIM_400000_NS6detail17trampoline_kernelINS0_14default_configENS1_25partition_config_selectorILNS1_17partition_subalgoE8ElNS0_10empty_typeEbEEZZNS1_14partition_implILS5_8ELb0ES3_jPKlPS6_PKS6_NS0_5tupleIJPlS6_EEENSE_IJSB_SB_EEENS0_18inequality_wrapperIN6hipcub16HIPCUB_304000_NS8EqualityEEESF_JS6_EEE10hipError_tPvRmT3_T4_T5_T6_T7_T9_mT8_P12ihipStream_tbDpT10_ENKUlT_T0_E_clISt17integral_constantIbLb0EES15_IbLb1EEEEDaS11_S12_EUlS11_E_NS1_11comp_targetILNS1_3genE10ELNS1_11target_archE1200ELNS1_3gpuE4ELNS1_3repE0EEENS1_30default_config_static_selectorELNS0_4arch9wavefront6targetE1EEEvT1_
; %bb.0:
	.section	.rodata,"a",@progbits
	.p2align	6, 0x0
	.amdhsa_kernel _ZN7rocprim17ROCPRIM_400000_NS6detail17trampoline_kernelINS0_14default_configENS1_25partition_config_selectorILNS1_17partition_subalgoE8ElNS0_10empty_typeEbEEZZNS1_14partition_implILS5_8ELb0ES3_jPKlPS6_PKS6_NS0_5tupleIJPlS6_EEENSE_IJSB_SB_EEENS0_18inequality_wrapperIN6hipcub16HIPCUB_304000_NS8EqualityEEESF_JS6_EEE10hipError_tPvRmT3_T4_T5_T6_T7_T9_mT8_P12ihipStream_tbDpT10_ENKUlT_T0_E_clISt17integral_constantIbLb0EES15_IbLb1EEEEDaS11_S12_EUlS11_E_NS1_11comp_targetILNS1_3genE10ELNS1_11target_archE1200ELNS1_3gpuE4ELNS1_3repE0EEENS1_30default_config_static_selectorELNS0_4arch9wavefront6targetE1EEEvT1_
		.amdhsa_group_segment_fixed_size 0
		.amdhsa_private_segment_fixed_size 0
		.amdhsa_kernarg_size 128
		.amdhsa_user_sgpr_count 6
		.amdhsa_user_sgpr_private_segment_buffer 1
		.amdhsa_user_sgpr_dispatch_ptr 0
		.amdhsa_user_sgpr_queue_ptr 0
		.amdhsa_user_sgpr_kernarg_segment_ptr 1
		.amdhsa_user_sgpr_dispatch_id 0
		.amdhsa_user_sgpr_flat_scratch_init 0
		.amdhsa_user_sgpr_kernarg_preload_length 0
		.amdhsa_user_sgpr_kernarg_preload_offset 0
		.amdhsa_user_sgpr_private_segment_size 0
		.amdhsa_uses_dynamic_stack 0
		.amdhsa_system_sgpr_private_segment_wavefront_offset 0
		.amdhsa_system_sgpr_workgroup_id_x 1
		.amdhsa_system_sgpr_workgroup_id_y 0
		.amdhsa_system_sgpr_workgroup_id_z 0
		.amdhsa_system_sgpr_workgroup_info 0
		.amdhsa_system_vgpr_workitem_id 0
		.amdhsa_next_free_vgpr 1
		.amdhsa_next_free_sgpr 0
		.amdhsa_accum_offset 4
		.amdhsa_reserve_vcc 0
		.amdhsa_reserve_flat_scratch 0
		.amdhsa_float_round_mode_32 0
		.amdhsa_float_round_mode_16_64 0
		.amdhsa_float_denorm_mode_32 3
		.amdhsa_float_denorm_mode_16_64 3
		.amdhsa_dx10_clamp 1
		.amdhsa_ieee_mode 1
		.amdhsa_fp16_overflow 0
		.amdhsa_tg_split 0
		.amdhsa_exception_fp_ieee_invalid_op 0
		.amdhsa_exception_fp_denorm_src 0
		.amdhsa_exception_fp_ieee_div_zero 0
		.amdhsa_exception_fp_ieee_overflow 0
		.amdhsa_exception_fp_ieee_underflow 0
		.amdhsa_exception_fp_ieee_inexact 0
		.amdhsa_exception_int_div_zero 0
	.end_amdhsa_kernel
	.section	.text._ZN7rocprim17ROCPRIM_400000_NS6detail17trampoline_kernelINS0_14default_configENS1_25partition_config_selectorILNS1_17partition_subalgoE8ElNS0_10empty_typeEbEEZZNS1_14partition_implILS5_8ELb0ES3_jPKlPS6_PKS6_NS0_5tupleIJPlS6_EEENSE_IJSB_SB_EEENS0_18inequality_wrapperIN6hipcub16HIPCUB_304000_NS8EqualityEEESF_JS6_EEE10hipError_tPvRmT3_T4_T5_T6_T7_T9_mT8_P12ihipStream_tbDpT10_ENKUlT_T0_E_clISt17integral_constantIbLb0EES15_IbLb1EEEEDaS11_S12_EUlS11_E_NS1_11comp_targetILNS1_3genE10ELNS1_11target_archE1200ELNS1_3gpuE4ELNS1_3repE0EEENS1_30default_config_static_selectorELNS0_4arch9wavefront6targetE1EEEvT1_,"axG",@progbits,_ZN7rocprim17ROCPRIM_400000_NS6detail17trampoline_kernelINS0_14default_configENS1_25partition_config_selectorILNS1_17partition_subalgoE8ElNS0_10empty_typeEbEEZZNS1_14partition_implILS5_8ELb0ES3_jPKlPS6_PKS6_NS0_5tupleIJPlS6_EEENSE_IJSB_SB_EEENS0_18inequality_wrapperIN6hipcub16HIPCUB_304000_NS8EqualityEEESF_JS6_EEE10hipError_tPvRmT3_T4_T5_T6_T7_T9_mT8_P12ihipStream_tbDpT10_ENKUlT_T0_E_clISt17integral_constantIbLb0EES15_IbLb1EEEEDaS11_S12_EUlS11_E_NS1_11comp_targetILNS1_3genE10ELNS1_11target_archE1200ELNS1_3gpuE4ELNS1_3repE0EEENS1_30default_config_static_selectorELNS0_4arch9wavefront6targetE1EEEvT1_,comdat
.Lfunc_end508:
	.size	_ZN7rocprim17ROCPRIM_400000_NS6detail17trampoline_kernelINS0_14default_configENS1_25partition_config_selectorILNS1_17partition_subalgoE8ElNS0_10empty_typeEbEEZZNS1_14partition_implILS5_8ELb0ES3_jPKlPS6_PKS6_NS0_5tupleIJPlS6_EEENSE_IJSB_SB_EEENS0_18inequality_wrapperIN6hipcub16HIPCUB_304000_NS8EqualityEEESF_JS6_EEE10hipError_tPvRmT3_T4_T5_T6_T7_T9_mT8_P12ihipStream_tbDpT10_ENKUlT_T0_E_clISt17integral_constantIbLb0EES15_IbLb1EEEEDaS11_S12_EUlS11_E_NS1_11comp_targetILNS1_3genE10ELNS1_11target_archE1200ELNS1_3gpuE4ELNS1_3repE0EEENS1_30default_config_static_selectorELNS0_4arch9wavefront6targetE1EEEvT1_, .Lfunc_end508-_ZN7rocprim17ROCPRIM_400000_NS6detail17trampoline_kernelINS0_14default_configENS1_25partition_config_selectorILNS1_17partition_subalgoE8ElNS0_10empty_typeEbEEZZNS1_14partition_implILS5_8ELb0ES3_jPKlPS6_PKS6_NS0_5tupleIJPlS6_EEENSE_IJSB_SB_EEENS0_18inequality_wrapperIN6hipcub16HIPCUB_304000_NS8EqualityEEESF_JS6_EEE10hipError_tPvRmT3_T4_T5_T6_T7_T9_mT8_P12ihipStream_tbDpT10_ENKUlT_T0_E_clISt17integral_constantIbLb0EES15_IbLb1EEEEDaS11_S12_EUlS11_E_NS1_11comp_targetILNS1_3genE10ELNS1_11target_archE1200ELNS1_3gpuE4ELNS1_3repE0EEENS1_30default_config_static_selectorELNS0_4arch9wavefront6targetE1EEEvT1_
                                        ; -- End function
	.section	.AMDGPU.csdata,"",@progbits
; Kernel info:
; codeLenInByte = 0
; NumSgprs: 4
; NumVgprs: 0
; NumAgprs: 0
; TotalNumVgprs: 0
; ScratchSize: 0
; MemoryBound: 0
; FloatMode: 240
; IeeeMode: 1
; LDSByteSize: 0 bytes/workgroup (compile time only)
; SGPRBlocks: 0
; VGPRBlocks: 0
; NumSGPRsForWavesPerEU: 4
; NumVGPRsForWavesPerEU: 1
; AccumOffset: 4
; Occupancy: 8
; WaveLimiterHint : 0
; COMPUTE_PGM_RSRC2:SCRATCH_EN: 0
; COMPUTE_PGM_RSRC2:USER_SGPR: 6
; COMPUTE_PGM_RSRC2:TRAP_HANDLER: 0
; COMPUTE_PGM_RSRC2:TGID_X_EN: 1
; COMPUTE_PGM_RSRC2:TGID_Y_EN: 0
; COMPUTE_PGM_RSRC2:TGID_Z_EN: 0
; COMPUTE_PGM_RSRC2:TIDIG_COMP_CNT: 0
; COMPUTE_PGM_RSRC3_GFX90A:ACCUM_OFFSET: 0
; COMPUTE_PGM_RSRC3_GFX90A:TG_SPLIT: 0
	.section	.text._ZN7rocprim17ROCPRIM_400000_NS6detail17trampoline_kernelINS0_14default_configENS1_25partition_config_selectorILNS1_17partition_subalgoE8ElNS0_10empty_typeEbEEZZNS1_14partition_implILS5_8ELb0ES3_jPKlPS6_PKS6_NS0_5tupleIJPlS6_EEENSE_IJSB_SB_EEENS0_18inequality_wrapperIN6hipcub16HIPCUB_304000_NS8EqualityEEESF_JS6_EEE10hipError_tPvRmT3_T4_T5_T6_T7_T9_mT8_P12ihipStream_tbDpT10_ENKUlT_T0_E_clISt17integral_constantIbLb0EES15_IbLb1EEEEDaS11_S12_EUlS11_E_NS1_11comp_targetILNS1_3genE9ELNS1_11target_archE1100ELNS1_3gpuE3ELNS1_3repE0EEENS1_30default_config_static_selectorELNS0_4arch9wavefront6targetE1EEEvT1_,"axG",@progbits,_ZN7rocprim17ROCPRIM_400000_NS6detail17trampoline_kernelINS0_14default_configENS1_25partition_config_selectorILNS1_17partition_subalgoE8ElNS0_10empty_typeEbEEZZNS1_14partition_implILS5_8ELb0ES3_jPKlPS6_PKS6_NS0_5tupleIJPlS6_EEENSE_IJSB_SB_EEENS0_18inequality_wrapperIN6hipcub16HIPCUB_304000_NS8EqualityEEESF_JS6_EEE10hipError_tPvRmT3_T4_T5_T6_T7_T9_mT8_P12ihipStream_tbDpT10_ENKUlT_T0_E_clISt17integral_constantIbLb0EES15_IbLb1EEEEDaS11_S12_EUlS11_E_NS1_11comp_targetILNS1_3genE9ELNS1_11target_archE1100ELNS1_3gpuE3ELNS1_3repE0EEENS1_30default_config_static_selectorELNS0_4arch9wavefront6targetE1EEEvT1_,comdat
	.protected	_ZN7rocprim17ROCPRIM_400000_NS6detail17trampoline_kernelINS0_14default_configENS1_25partition_config_selectorILNS1_17partition_subalgoE8ElNS0_10empty_typeEbEEZZNS1_14partition_implILS5_8ELb0ES3_jPKlPS6_PKS6_NS0_5tupleIJPlS6_EEENSE_IJSB_SB_EEENS0_18inequality_wrapperIN6hipcub16HIPCUB_304000_NS8EqualityEEESF_JS6_EEE10hipError_tPvRmT3_T4_T5_T6_T7_T9_mT8_P12ihipStream_tbDpT10_ENKUlT_T0_E_clISt17integral_constantIbLb0EES15_IbLb1EEEEDaS11_S12_EUlS11_E_NS1_11comp_targetILNS1_3genE9ELNS1_11target_archE1100ELNS1_3gpuE3ELNS1_3repE0EEENS1_30default_config_static_selectorELNS0_4arch9wavefront6targetE1EEEvT1_ ; -- Begin function _ZN7rocprim17ROCPRIM_400000_NS6detail17trampoline_kernelINS0_14default_configENS1_25partition_config_selectorILNS1_17partition_subalgoE8ElNS0_10empty_typeEbEEZZNS1_14partition_implILS5_8ELb0ES3_jPKlPS6_PKS6_NS0_5tupleIJPlS6_EEENSE_IJSB_SB_EEENS0_18inequality_wrapperIN6hipcub16HIPCUB_304000_NS8EqualityEEESF_JS6_EEE10hipError_tPvRmT3_T4_T5_T6_T7_T9_mT8_P12ihipStream_tbDpT10_ENKUlT_T0_E_clISt17integral_constantIbLb0EES15_IbLb1EEEEDaS11_S12_EUlS11_E_NS1_11comp_targetILNS1_3genE9ELNS1_11target_archE1100ELNS1_3gpuE3ELNS1_3repE0EEENS1_30default_config_static_selectorELNS0_4arch9wavefront6targetE1EEEvT1_
	.globl	_ZN7rocprim17ROCPRIM_400000_NS6detail17trampoline_kernelINS0_14default_configENS1_25partition_config_selectorILNS1_17partition_subalgoE8ElNS0_10empty_typeEbEEZZNS1_14partition_implILS5_8ELb0ES3_jPKlPS6_PKS6_NS0_5tupleIJPlS6_EEENSE_IJSB_SB_EEENS0_18inequality_wrapperIN6hipcub16HIPCUB_304000_NS8EqualityEEESF_JS6_EEE10hipError_tPvRmT3_T4_T5_T6_T7_T9_mT8_P12ihipStream_tbDpT10_ENKUlT_T0_E_clISt17integral_constantIbLb0EES15_IbLb1EEEEDaS11_S12_EUlS11_E_NS1_11comp_targetILNS1_3genE9ELNS1_11target_archE1100ELNS1_3gpuE3ELNS1_3repE0EEENS1_30default_config_static_selectorELNS0_4arch9wavefront6targetE1EEEvT1_
	.p2align	8
	.type	_ZN7rocprim17ROCPRIM_400000_NS6detail17trampoline_kernelINS0_14default_configENS1_25partition_config_selectorILNS1_17partition_subalgoE8ElNS0_10empty_typeEbEEZZNS1_14partition_implILS5_8ELb0ES3_jPKlPS6_PKS6_NS0_5tupleIJPlS6_EEENSE_IJSB_SB_EEENS0_18inequality_wrapperIN6hipcub16HIPCUB_304000_NS8EqualityEEESF_JS6_EEE10hipError_tPvRmT3_T4_T5_T6_T7_T9_mT8_P12ihipStream_tbDpT10_ENKUlT_T0_E_clISt17integral_constantIbLb0EES15_IbLb1EEEEDaS11_S12_EUlS11_E_NS1_11comp_targetILNS1_3genE9ELNS1_11target_archE1100ELNS1_3gpuE3ELNS1_3repE0EEENS1_30default_config_static_selectorELNS0_4arch9wavefront6targetE1EEEvT1_,@function
_ZN7rocprim17ROCPRIM_400000_NS6detail17trampoline_kernelINS0_14default_configENS1_25partition_config_selectorILNS1_17partition_subalgoE8ElNS0_10empty_typeEbEEZZNS1_14partition_implILS5_8ELb0ES3_jPKlPS6_PKS6_NS0_5tupleIJPlS6_EEENSE_IJSB_SB_EEENS0_18inequality_wrapperIN6hipcub16HIPCUB_304000_NS8EqualityEEESF_JS6_EEE10hipError_tPvRmT3_T4_T5_T6_T7_T9_mT8_P12ihipStream_tbDpT10_ENKUlT_T0_E_clISt17integral_constantIbLb0EES15_IbLb1EEEEDaS11_S12_EUlS11_E_NS1_11comp_targetILNS1_3genE9ELNS1_11target_archE1100ELNS1_3gpuE3ELNS1_3repE0EEENS1_30default_config_static_selectorELNS0_4arch9wavefront6targetE1EEEvT1_: ; @_ZN7rocprim17ROCPRIM_400000_NS6detail17trampoline_kernelINS0_14default_configENS1_25partition_config_selectorILNS1_17partition_subalgoE8ElNS0_10empty_typeEbEEZZNS1_14partition_implILS5_8ELb0ES3_jPKlPS6_PKS6_NS0_5tupleIJPlS6_EEENSE_IJSB_SB_EEENS0_18inequality_wrapperIN6hipcub16HIPCUB_304000_NS8EqualityEEESF_JS6_EEE10hipError_tPvRmT3_T4_T5_T6_T7_T9_mT8_P12ihipStream_tbDpT10_ENKUlT_T0_E_clISt17integral_constantIbLb0EES15_IbLb1EEEEDaS11_S12_EUlS11_E_NS1_11comp_targetILNS1_3genE9ELNS1_11target_archE1100ELNS1_3gpuE3ELNS1_3repE0EEENS1_30default_config_static_selectorELNS0_4arch9wavefront6targetE1EEEvT1_
; %bb.0:
	.section	.rodata,"a",@progbits
	.p2align	6, 0x0
	.amdhsa_kernel _ZN7rocprim17ROCPRIM_400000_NS6detail17trampoline_kernelINS0_14default_configENS1_25partition_config_selectorILNS1_17partition_subalgoE8ElNS0_10empty_typeEbEEZZNS1_14partition_implILS5_8ELb0ES3_jPKlPS6_PKS6_NS0_5tupleIJPlS6_EEENSE_IJSB_SB_EEENS0_18inequality_wrapperIN6hipcub16HIPCUB_304000_NS8EqualityEEESF_JS6_EEE10hipError_tPvRmT3_T4_T5_T6_T7_T9_mT8_P12ihipStream_tbDpT10_ENKUlT_T0_E_clISt17integral_constantIbLb0EES15_IbLb1EEEEDaS11_S12_EUlS11_E_NS1_11comp_targetILNS1_3genE9ELNS1_11target_archE1100ELNS1_3gpuE3ELNS1_3repE0EEENS1_30default_config_static_selectorELNS0_4arch9wavefront6targetE1EEEvT1_
		.amdhsa_group_segment_fixed_size 0
		.amdhsa_private_segment_fixed_size 0
		.amdhsa_kernarg_size 128
		.amdhsa_user_sgpr_count 6
		.amdhsa_user_sgpr_private_segment_buffer 1
		.amdhsa_user_sgpr_dispatch_ptr 0
		.amdhsa_user_sgpr_queue_ptr 0
		.amdhsa_user_sgpr_kernarg_segment_ptr 1
		.amdhsa_user_sgpr_dispatch_id 0
		.amdhsa_user_sgpr_flat_scratch_init 0
		.amdhsa_user_sgpr_kernarg_preload_length 0
		.amdhsa_user_sgpr_kernarg_preload_offset 0
		.amdhsa_user_sgpr_private_segment_size 0
		.amdhsa_uses_dynamic_stack 0
		.amdhsa_system_sgpr_private_segment_wavefront_offset 0
		.amdhsa_system_sgpr_workgroup_id_x 1
		.amdhsa_system_sgpr_workgroup_id_y 0
		.amdhsa_system_sgpr_workgroup_id_z 0
		.amdhsa_system_sgpr_workgroup_info 0
		.amdhsa_system_vgpr_workitem_id 0
		.amdhsa_next_free_vgpr 1
		.amdhsa_next_free_sgpr 0
		.amdhsa_accum_offset 4
		.amdhsa_reserve_vcc 0
		.amdhsa_reserve_flat_scratch 0
		.amdhsa_float_round_mode_32 0
		.amdhsa_float_round_mode_16_64 0
		.amdhsa_float_denorm_mode_32 3
		.amdhsa_float_denorm_mode_16_64 3
		.amdhsa_dx10_clamp 1
		.amdhsa_ieee_mode 1
		.amdhsa_fp16_overflow 0
		.amdhsa_tg_split 0
		.amdhsa_exception_fp_ieee_invalid_op 0
		.amdhsa_exception_fp_denorm_src 0
		.amdhsa_exception_fp_ieee_div_zero 0
		.amdhsa_exception_fp_ieee_overflow 0
		.amdhsa_exception_fp_ieee_underflow 0
		.amdhsa_exception_fp_ieee_inexact 0
		.amdhsa_exception_int_div_zero 0
	.end_amdhsa_kernel
	.section	.text._ZN7rocprim17ROCPRIM_400000_NS6detail17trampoline_kernelINS0_14default_configENS1_25partition_config_selectorILNS1_17partition_subalgoE8ElNS0_10empty_typeEbEEZZNS1_14partition_implILS5_8ELb0ES3_jPKlPS6_PKS6_NS0_5tupleIJPlS6_EEENSE_IJSB_SB_EEENS0_18inequality_wrapperIN6hipcub16HIPCUB_304000_NS8EqualityEEESF_JS6_EEE10hipError_tPvRmT3_T4_T5_T6_T7_T9_mT8_P12ihipStream_tbDpT10_ENKUlT_T0_E_clISt17integral_constantIbLb0EES15_IbLb1EEEEDaS11_S12_EUlS11_E_NS1_11comp_targetILNS1_3genE9ELNS1_11target_archE1100ELNS1_3gpuE3ELNS1_3repE0EEENS1_30default_config_static_selectorELNS0_4arch9wavefront6targetE1EEEvT1_,"axG",@progbits,_ZN7rocprim17ROCPRIM_400000_NS6detail17trampoline_kernelINS0_14default_configENS1_25partition_config_selectorILNS1_17partition_subalgoE8ElNS0_10empty_typeEbEEZZNS1_14partition_implILS5_8ELb0ES3_jPKlPS6_PKS6_NS0_5tupleIJPlS6_EEENSE_IJSB_SB_EEENS0_18inequality_wrapperIN6hipcub16HIPCUB_304000_NS8EqualityEEESF_JS6_EEE10hipError_tPvRmT3_T4_T5_T6_T7_T9_mT8_P12ihipStream_tbDpT10_ENKUlT_T0_E_clISt17integral_constantIbLb0EES15_IbLb1EEEEDaS11_S12_EUlS11_E_NS1_11comp_targetILNS1_3genE9ELNS1_11target_archE1100ELNS1_3gpuE3ELNS1_3repE0EEENS1_30default_config_static_selectorELNS0_4arch9wavefront6targetE1EEEvT1_,comdat
.Lfunc_end509:
	.size	_ZN7rocprim17ROCPRIM_400000_NS6detail17trampoline_kernelINS0_14default_configENS1_25partition_config_selectorILNS1_17partition_subalgoE8ElNS0_10empty_typeEbEEZZNS1_14partition_implILS5_8ELb0ES3_jPKlPS6_PKS6_NS0_5tupleIJPlS6_EEENSE_IJSB_SB_EEENS0_18inequality_wrapperIN6hipcub16HIPCUB_304000_NS8EqualityEEESF_JS6_EEE10hipError_tPvRmT3_T4_T5_T6_T7_T9_mT8_P12ihipStream_tbDpT10_ENKUlT_T0_E_clISt17integral_constantIbLb0EES15_IbLb1EEEEDaS11_S12_EUlS11_E_NS1_11comp_targetILNS1_3genE9ELNS1_11target_archE1100ELNS1_3gpuE3ELNS1_3repE0EEENS1_30default_config_static_selectorELNS0_4arch9wavefront6targetE1EEEvT1_, .Lfunc_end509-_ZN7rocprim17ROCPRIM_400000_NS6detail17trampoline_kernelINS0_14default_configENS1_25partition_config_selectorILNS1_17partition_subalgoE8ElNS0_10empty_typeEbEEZZNS1_14partition_implILS5_8ELb0ES3_jPKlPS6_PKS6_NS0_5tupleIJPlS6_EEENSE_IJSB_SB_EEENS0_18inequality_wrapperIN6hipcub16HIPCUB_304000_NS8EqualityEEESF_JS6_EEE10hipError_tPvRmT3_T4_T5_T6_T7_T9_mT8_P12ihipStream_tbDpT10_ENKUlT_T0_E_clISt17integral_constantIbLb0EES15_IbLb1EEEEDaS11_S12_EUlS11_E_NS1_11comp_targetILNS1_3genE9ELNS1_11target_archE1100ELNS1_3gpuE3ELNS1_3repE0EEENS1_30default_config_static_selectorELNS0_4arch9wavefront6targetE1EEEvT1_
                                        ; -- End function
	.section	.AMDGPU.csdata,"",@progbits
; Kernel info:
; codeLenInByte = 0
; NumSgprs: 4
; NumVgprs: 0
; NumAgprs: 0
; TotalNumVgprs: 0
; ScratchSize: 0
; MemoryBound: 0
; FloatMode: 240
; IeeeMode: 1
; LDSByteSize: 0 bytes/workgroup (compile time only)
; SGPRBlocks: 0
; VGPRBlocks: 0
; NumSGPRsForWavesPerEU: 4
; NumVGPRsForWavesPerEU: 1
; AccumOffset: 4
; Occupancy: 8
; WaveLimiterHint : 0
; COMPUTE_PGM_RSRC2:SCRATCH_EN: 0
; COMPUTE_PGM_RSRC2:USER_SGPR: 6
; COMPUTE_PGM_RSRC2:TRAP_HANDLER: 0
; COMPUTE_PGM_RSRC2:TGID_X_EN: 1
; COMPUTE_PGM_RSRC2:TGID_Y_EN: 0
; COMPUTE_PGM_RSRC2:TGID_Z_EN: 0
; COMPUTE_PGM_RSRC2:TIDIG_COMP_CNT: 0
; COMPUTE_PGM_RSRC3_GFX90A:ACCUM_OFFSET: 0
; COMPUTE_PGM_RSRC3_GFX90A:TG_SPLIT: 0
	.section	.text._ZN7rocprim17ROCPRIM_400000_NS6detail17trampoline_kernelINS0_14default_configENS1_25partition_config_selectorILNS1_17partition_subalgoE8ElNS0_10empty_typeEbEEZZNS1_14partition_implILS5_8ELb0ES3_jPKlPS6_PKS6_NS0_5tupleIJPlS6_EEENSE_IJSB_SB_EEENS0_18inequality_wrapperIN6hipcub16HIPCUB_304000_NS8EqualityEEESF_JS6_EEE10hipError_tPvRmT3_T4_T5_T6_T7_T9_mT8_P12ihipStream_tbDpT10_ENKUlT_T0_E_clISt17integral_constantIbLb0EES15_IbLb1EEEEDaS11_S12_EUlS11_E_NS1_11comp_targetILNS1_3genE8ELNS1_11target_archE1030ELNS1_3gpuE2ELNS1_3repE0EEENS1_30default_config_static_selectorELNS0_4arch9wavefront6targetE1EEEvT1_,"axG",@progbits,_ZN7rocprim17ROCPRIM_400000_NS6detail17trampoline_kernelINS0_14default_configENS1_25partition_config_selectorILNS1_17partition_subalgoE8ElNS0_10empty_typeEbEEZZNS1_14partition_implILS5_8ELb0ES3_jPKlPS6_PKS6_NS0_5tupleIJPlS6_EEENSE_IJSB_SB_EEENS0_18inequality_wrapperIN6hipcub16HIPCUB_304000_NS8EqualityEEESF_JS6_EEE10hipError_tPvRmT3_T4_T5_T6_T7_T9_mT8_P12ihipStream_tbDpT10_ENKUlT_T0_E_clISt17integral_constantIbLb0EES15_IbLb1EEEEDaS11_S12_EUlS11_E_NS1_11comp_targetILNS1_3genE8ELNS1_11target_archE1030ELNS1_3gpuE2ELNS1_3repE0EEENS1_30default_config_static_selectorELNS0_4arch9wavefront6targetE1EEEvT1_,comdat
	.protected	_ZN7rocprim17ROCPRIM_400000_NS6detail17trampoline_kernelINS0_14default_configENS1_25partition_config_selectorILNS1_17partition_subalgoE8ElNS0_10empty_typeEbEEZZNS1_14partition_implILS5_8ELb0ES3_jPKlPS6_PKS6_NS0_5tupleIJPlS6_EEENSE_IJSB_SB_EEENS0_18inequality_wrapperIN6hipcub16HIPCUB_304000_NS8EqualityEEESF_JS6_EEE10hipError_tPvRmT3_T4_T5_T6_T7_T9_mT8_P12ihipStream_tbDpT10_ENKUlT_T0_E_clISt17integral_constantIbLb0EES15_IbLb1EEEEDaS11_S12_EUlS11_E_NS1_11comp_targetILNS1_3genE8ELNS1_11target_archE1030ELNS1_3gpuE2ELNS1_3repE0EEENS1_30default_config_static_selectorELNS0_4arch9wavefront6targetE1EEEvT1_ ; -- Begin function _ZN7rocprim17ROCPRIM_400000_NS6detail17trampoline_kernelINS0_14default_configENS1_25partition_config_selectorILNS1_17partition_subalgoE8ElNS0_10empty_typeEbEEZZNS1_14partition_implILS5_8ELb0ES3_jPKlPS6_PKS6_NS0_5tupleIJPlS6_EEENSE_IJSB_SB_EEENS0_18inequality_wrapperIN6hipcub16HIPCUB_304000_NS8EqualityEEESF_JS6_EEE10hipError_tPvRmT3_T4_T5_T6_T7_T9_mT8_P12ihipStream_tbDpT10_ENKUlT_T0_E_clISt17integral_constantIbLb0EES15_IbLb1EEEEDaS11_S12_EUlS11_E_NS1_11comp_targetILNS1_3genE8ELNS1_11target_archE1030ELNS1_3gpuE2ELNS1_3repE0EEENS1_30default_config_static_selectorELNS0_4arch9wavefront6targetE1EEEvT1_
	.globl	_ZN7rocprim17ROCPRIM_400000_NS6detail17trampoline_kernelINS0_14default_configENS1_25partition_config_selectorILNS1_17partition_subalgoE8ElNS0_10empty_typeEbEEZZNS1_14partition_implILS5_8ELb0ES3_jPKlPS6_PKS6_NS0_5tupleIJPlS6_EEENSE_IJSB_SB_EEENS0_18inequality_wrapperIN6hipcub16HIPCUB_304000_NS8EqualityEEESF_JS6_EEE10hipError_tPvRmT3_T4_T5_T6_T7_T9_mT8_P12ihipStream_tbDpT10_ENKUlT_T0_E_clISt17integral_constantIbLb0EES15_IbLb1EEEEDaS11_S12_EUlS11_E_NS1_11comp_targetILNS1_3genE8ELNS1_11target_archE1030ELNS1_3gpuE2ELNS1_3repE0EEENS1_30default_config_static_selectorELNS0_4arch9wavefront6targetE1EEEvT1_
	.p2align	8
	.type	_ZN7rocprim17ROCPRIM_400000_NS6detail17trampoline_kernelINS0_14default_configENS1_25partition_config_selectorILNS1_17partition_subalgoE8ElNS0_10empty_typeEbEEZZNS1_14partition_implILS5_8ELb0ES3_jPKlPS6_PKS6_NS0_5tupleIJPlS6_EEENSE_IJSB_SB_EEENS0_18inequality_wrapperIN6hipcub16HIPCUB_304000_NS8EqualityEEESF_JS6_EEE10hipError_tPvRmT3_T4_T5_T6_T7_T9_mT8_P12ihipStream_tbDpT10_ENKUlT_T0_E_clISt17integral_constantIbLb0EES15_IbLb1EEEEDaS11_S12_EUlS11_E_NS1_11comp_targetILNS1_3genE8ELNS1_11target_archE1030ELNS1_3gpuE2ELNS1_3repE0EEENS1_30default_config_static_selectorELNS0_4arch9wavefront6targetE1EEEvT1_,@function
_ZN7rocprim17ROCPRIM_400000_NS6detail17trampoline_kernelINS0_14default_configENS1_25partition_config_selectorILNS1_17partition_subalgoE8ElNS0_10empty_typeEbEEZZNS1_14partition_implILS5_8ELb0ES3_jPKlPS6_PKS6_NS0_5tupleIJPlS6_EEENSE_IJSB_SB_EEENS0_18inequality_wrapperIN6hipcub16HIPCUB_304000_NS8EqualityEEESF_JS6_EEE10hipError_tPvRmT3_T4_T5_T6_T7_T9_mT8_P12ihipStream_tbDpT10_ENKUlT_T0_E_clISt17integral_constantIbLb0EES15_IbLb1EEEEDaS11_S12_EUlS11_E_NS1_11comp_targetILNS1_3genE8ELNS1_11target_archE1030ELNS1_3gpuE2ELNS1_3repE0EEENS1_30default_config_static_selectorELNS0_4arch9wavefront6targetE1EEEvT1_: ; @_ZN7rocprim17ROCPRIM_400000_NS6detail17trampoline_kernelINS0_14default_configENS1_25partition_config_selectorILNS1_17partition_subalgoE8ElNS0_10empty_typeEbEEZZNS1_14partition_implILS5_8ELb0ES3_jPKlPS6_PKS6_NS0_5tupleIJPlS6_EEENSE_IJSB_SB_EEENS0_18inequality_wrapperIN6hipcub16HIPCUB_304000_NS8EqualityEEESF_JS6_EEE10hipError_tPvRmT3_T4_T5_T6_T7_T9_mT8_P12ihipStream_tbDpT10_ENKUlT_T0_E_clISt17integral_constantIbLb0EES15_IbLb1EEEEDaS11_S12_EUlS11_E_NS1_11comp_targetILNS1_3genE8ELNS1_11target_archE1030ELNS1_3gpuE2ELNS1_3repE0EEENS1_30default_config_static_selectorELNS0_4arch9wavefront6targetE1EEEvT1_
; %bb.0:
	.section	.rodata,"a",@progbits
	.p2align	6, 0x0
	.amdhsa_kernel _ZN7rocprim17ROCPRIM_400000_NS6detail17trampoline_kernelINS0_14default_configENS1_25partition_config_selectorILNS1_17partition_subalgoE8ElNS0_10empty_typeEbEEZZNS1_14partition_implILS5_8ELb0ES3_jPKlPS6_PKS6_NS0_5tupleIJPlS6_EEENSE_IJSB_SB_EEENS0_18inequality_wrapperIN6hipcub16HIPCUB_304000_NS8EqualityEEESF_JS6_EEE10hipError_tPvRmT3_T4_T5_T6_T7_T9_mT8_P12ihipStream_tbDpT10_ENKUlT_T0_E_clISt17integral_constantIbLb0EES15_IbLb1EEEEDaS11_S12_EUlS11_E_NS1_11comp_targetILNS1_3genE8ELNS1_11target_archE1030ELNS1_3gpuE2ELNS1_3repE0EEENS1_30default_config_static_selectorELNS0_4arch9wavefront6targetE1EEEvT1_
		.amdhsa_group_segment_fixed_size 0
		.amdhsa_private_segment_fixed_size 0
		.amdhsa_kernarg_size 128
		.amdhsa_user_sgpr_count 6
		.amdhsa_user_sgpr_private_segment_buffer 1
		.amdhsa_user_sgpr_dispatch_ptr 0
		.amdhsa_user_sgpr_queue_ptr 0
		.amdhsa_user_sgpr_kernarg_segment_ptr 1
		.amdhsa_user_sgpr_dispatch_id 0
		.amdhsa_user_sgpr_flat_scratch_init 0
		.amdhsa_user_sgpr_kernarg_preload_length 0
		.amdhsa_user_sgpr_kernarg_preload_offset 0
		.amdhsa_user_sgpr_private_segment_size 0
		.amdhsa_uses_dynamic_stack 0
		.amdhsa_system_sgpr_private_segment_wavefront_offset 0
		.amdhsa_system_sgpr_workgroup_id_x 1
		.amdhsa_system_sgpr_workgroup_id_y 0
		.amdhsa_system_sgpr_workgroup_id_z 0
		.amdhsa_system_sgpr_workgroup_info 0
		.amdhsa_system_vgpr_workitem_id 0
		.amdhsa_next_free_vgpr 1
		.amdhsa_next_free_sgpr 0
		.amdhsa_accum_offset 4
		.amdhsa_reserve_vcc 0
		.amdhsa_reserve_flat_scratch 0
		.amdhsa_float_round_mode_32 0
		.amdhsa_float_round_mode_16_64 0
		.amdhsa_float_denorm_mode_32 3
		.amdhsa_float_denorm_mode_16_64 3
		.amdhsa_dx10_clamp 1
		.amdhsa_ieee_mode 1
		.amdhsa_fp16_overflow 0
		.amdhsa_tg_split 0
		.amdhsa_exception_fp_ieee_invalid_op 0
		.amdhsa_exception_fp_denorm_src 0
		.amdhsa_exception_fp_ieee_div_zero 0
		.amdhsa_exception_fp_ieee_overflow 0
		.amdhsa_exception_fp_ieee_underflow 0
		.amdhsa_exception_fp_ieee_inexact 0
		.amdhsa_exception_int_div_zero 0
	.end_amdhsa_kernel
	.section	.text._ZN7rocprim17ROCPRIM_400000_NS6detail17trampoline_kernelINS0_14default_configENS1_25partition_config_selectorILNS1_17partition_subalgoE8ElNS0_10empty_typeEbEEZZNS1_14partition_implILS5_8ELb0ES3_jPKlPS6_PKS6_NS0_5tupleIJPlS6_EEENSE_IJSB_SB_EEENS0_18inequality_wrapperIN6hipcub16HIPCUB_304000_NS8EqualityEEESF_JS6_EEE10hipError_tPvRmT3_T4_T5_T6_T7_T9_mT8_P12ihipStream_tbDpT10_ENKUlT_T0_E_clISt17integral_constantIbLb0EES15_IbLb1EEEEDaS11_S12_EUlS11_E_NS1_11comp_targetILNS1_3genE8ELNS1_11target_archE1030ELNS1_3gpuE2ELNS1_3repE0EEENS1_30default_config_static_selectorELNS0_4arch9wavefront6targetE1EEEvT1_,"axG",@progbits,_ZN7rocprim17ROCPRIM_400000_NS6detail17trampoline_kernelINS0_14default_configENS1_25partition_config_selectorILNS1_17partition_subalgoE8ElNS0_10empty_typeEbEEZZNS1_14partition_implILS5_8ELb0ES3_jPKlPS6_PKS6_NS0_5tupleIJPlS6_EEENSE_IJSB_SB_EEENS0_18inequality_wrapperIN6hipcub16HIPCUB_304000_NS8EqualityEEESF_JS6_EEE10hipError_tPvRmT3_T4_T5_T6_T7_T9_mT8_P12ihipStream_tbDpT10_ENKUlT_T0_E_clISt17integral_constantIbLb0EES15_IbLb1EEEEDaS11_S12_EUlS11_E_NS1_11comp_targetILNS1_3genE8ELNS1_11target_archE1030ELNS1_3gpuE2ELNS1_3repE0EEENS1_30default_config_static_selectorELNS0_4arch9wavefront6targetE1EEEvT1_,comdat
.Lfunc_end510:
	.size	_ZN7rocprim17ROCPRIM_400000_NS6detail17trampoline_kernelINS0_14default_configENS1_25partition_config_selectorILNS1_17partition_subalgoE8ElNS0_10empty_typeEbEEZZNS1_14partition_implILS5_8ELb0ES3_jPKlPS6_PKS6_NS0_5tupleIJPlS6_EEENSE_IJSB_SB_EEENS0_18inequality_wrapperIN6hipcub16HIPCUB_304000_NS8EqualityEEESF_JS6_EEE10hipError_tPvRmT3_T4_T5_T6_T7_T9_mT8_P12ihipStream_tbDpT10_ENKUlT_T0_E_clISt17integral_constantIbLb0EES15_IbLb1EEEEDaS11_S12_EUlS11_E_NS1_11comp_targetILNS1_3genE8ELNS1_11target_archE1030ELNS1_3gpuE2ELNS1_3repE0EEENS1_30default_config_static_selectorELNS0_4arch9wavefront6targetE1EEEvT1_, .Lfunc_end510-_ZN7rocprim17ROCPRIM_400000_NS6detail17trampoline_kernelINS0_14default_configENS1_25partition_config_selectorILNS1_17partition_subalgoE8ElNS0_10empty_typeEbEEZZNS1_14partition_implILS5_8ELb0ES3_jPKlPS6_PKS6_NS0_5tupleIJPlS6_EEENSE_IJSB_SB_EEENS0_18inequality_wrapperIN6hipcub16HIPCUB_304000_NS8EqualityEEESF_JS6_EEE10hipError_tPvRmT3_T4_T5_T6_T7_T9_mT8_P12ihipStream_tbDpT10_ENKUlT_T0_E_clISt17integral_constantIbLb0EES15_IbLb1EEEEDaS11_S12_EUlS11_E_NS1_11comp_targetILNS1_3genE8ELNS1_11target_archE1030ELNS1_3gpuE2ELNS1_3repE0EEENS1_30default_config_static_selectorELNS0_4arch9wavefront6targetE1EEEvT1_
                                        ; -- End function
	.section	.AMDGPU.csdata,"",@progbits
; Kernel info:
; codeLenInByte = 0
; NumSgprs: 4
; NumVgprs: 0
; NumAgprs: 0
; TotalNumVgprs: 0
; ScratchSize: 0
; MemoryBound: 0
; FloatMode: 240
; IeeeMode: 1
; LDSByteSize: 0 bytes/workgroup (compile time only)
; SGPRBlocks: 0
; VGPRBlocks: 0
; NumSGPRsForWavesPerEU: 4
; NumVGPRsForWavesPerEU: 1
; AccumOffset: 4
; Occupancy: 8
; WaveLimiterHint : 0
; COMPUTE_PGM_RSRC2:SCRATCH_EN: 0
; COMPUTE_PGM_RSRC2:USER_SGPR: 6
; COMPUTE_PGM_RSRC2:TRAP_HANDLER: 0
; COMPUTE_PGM_RSRC2:TGID_X_EN: 1
; COMPUTE_PGM_RSRC2:TGID_Y_EN: 0
; COMPUTE_PGM_RSRC2:TGID_Z_EN: 0
; COMPUTE_PGM_RSRC2:TIDIG_COMP_CNT: 0
; COMPUTE_PGM_RSRC3_GFX90A:ACCUM_OFFSET: 0
; COMPUTE_PGM_RSRC3_GFX90A:TG_SPLIT: 0
	.section	.text._ZN7rocprim17ROCPRIM_400000_NS6detail17trampoline_kernelINS0_14default_configENS1_33run_length_encode_config_selectorIljNS0_4plusIjEEEEZZNS1_33reduce_by_key_impl_wrapped_configILNS1_25lookback_scan_determinismE0ES3_S7_PKlNS0_17constant_iteratorIjlEEPlSE_SE_S6_NS0_8equal_toIlEEEE10hipError_tPvRmT2_T3_mT4_T5_T6_T7_T8_P12ihipStream_tbENKUlT_T0_E_clISt17integral_constantIbLb0EESY_EEDaST_SU_EUlST_E_NS1_11comp_targetILNS1_3genE0ELNS1_11target_archE4294967295ELNS1_3gpuE0ELNS1_3repE0EEENS1_30default_config_static_selectorELNS0_4arch9wavefront6targetE1EEEvT1_,"axG",@progbits,_ZN7rocprim17ROCPRIM_400000_NS6detail17trampoline_kernelINS0_14default_configENS1_33run_length_encode_config_selectorIljNS0_4plusIjEEEEZZNS1_33reduce_by_key_impl_wrapped_configILNS1_25lookback_scan_determinismE0ES3_S7_PKlNS0_17constant_iteratorIjlEEPlSE_SE_S6_NS0_8equal_toIlEEEE10hipError_tPvRmT2_T3_mT4_T5_T6_T7_T8_P12ihipStream_tbENKUlT_T0_E_clISt17integral_constantIbLb0EESY_EEDaST_SU_EUlST_E_NS1_11comp_targetILNS1_3genE0ELNS1_11target_archE4294967295ELNS1_3gpuE0ELNS1_3repE0EEENS1_30default_config_static_selectorELNS0_4arch9wavefront6targetE1EEEvT1_,comdat
	.protected	_ZN7rocprim17ROCPRIM_400000_NS6detail17trampoline_kernelINS0_14default_configENS1_33run_length_encode_config_selectorIljNS0_4plusIjEEEEZZNS1_33reduce_by_key_impl_wrapped_configILNS1_25lookback_scan_determinismE0ES3_S7_PKlNS0_17constant_iteratorIjlEEPlSE_SE_S6_NS0_8equal_toIlEEEE10hipError_tPvRmT2_T3_mT4_T5_T6_T7_T8_P12ihipStream_tbENKUlT_T0_E_clISt17integral_constantIbLb0EESY_EEDaST_SU_EUlST_E_NS1_11comp_targetILNS1_3genE0ELNS1_11target_archE4294967295ELNS1_3gpuE0ELNS1_3repE0EEENS1_30default_config_static_selectorELNS0_4arch9wavefront6targetE1EEEvT1_ ; -- Begin function _ZN7rocprim17ROCPRIM_400000_NS6detail17trampoline_kernelINS0_14default_configENS1_33run_length_encode_config_selectorIljNS0_4plusIjEEEEZZNS1_33reduce_by_key_impl_wrapped_configILNS1_25lookback_scan_determinismE0ES3_S7_PKlNS0_17constant_iteratorIjlEEPlSE_SE_S6_NS0_8equal_toIlEEEE10hipError_tPvRmT2_T3_mT4_T5_T6_T7_T8_P12ihipStream_tbENKUlT_T0_E_clISt17integral_constantIbLb0EESY_EEDaST_SU_EUlST_E_NS1_11comp_targetILNS1_3genE0ELNS1_11target_archE4294967295ELNS1_3gpuE0ELNS1_3repE0EEENS1_30default_config_static_selectorELNS0_4arch9wavefront6targetE1EEEvT1_
	.globl	_ZN7rocprim17ROCPRIM_400000_NS6detail17trampoline_kernelINS0_14default_configENS1_33run_length_encode_config_selectorIljNS0_4plusIjEEEEZZNS1_33reduce_by_key_impl_wrapped_configILNS1_25lookback_scan_determinismE0ES3_S7_PKlNS0_17constant_iteratorIjlEEPlSE_SE_S6_NS0_8equal_toIlEEEE10hipError_tPvRmT2_T3_mT4_T5_T6_T7_T8_P12ihipStream_tbENKUlT_T0_E_clISt17integral_constantIbLb0EESY_EEDaST_SU_EUlST_E_NS1_11comp_targetILNS1_3genE0ELNS1_11target_archE4294967295ELNS1_3gpuE0ELNS1_3repE0EEENS1_30default_config_static_selectorELNS0_4arch9wavefront6targetE1EEEvT1_
	.p2align	8
	.type	_ZN7rocprim17ROCPRIM_400000_NS6detail17trampoline_kernelINS0_14default_configENS1_33run_length_encode_config_selectorIljNS0_4plusIjEEEEZZNS1_33reduce_by_key_impl_wrapped_configILNS1_25lookback_scan_determinismE0ES3_S7_PKlNS0_17constant_iteratorIjlEEPlSE_SE_S6_NS0_8equal_toIlEEEE10hipError_tPvRmT2_T3_mT4_T5_T6_T7_T8_P12ihipStream_tbENKUlT_T0_E_clISt17integral_constantIbLb0EESY_EEDaST_SU_EUlST_E_NS1_11comp_targetILNS1_3genE0ELNS1_11target_archE4294967295ELNS1_3gpuE0ELNS1_3repE0EEENS1_30default_config_static_selectorELNS0_4arch9wavefront6targetE1EEEvT1_,@function
_ZN7rocprim17ROCPRIM_400000_NS6detail17trampoline_kernelINS0_14default_configENS1_33run_length_encode_config_selectorIljNS0_4plusIjEEEEZZNS1_33reduce_by_key_impl_wrapped_configILNS1_25lookback_scan_determinismE0ES3_S7_PKlNS0_17constant_iteratorIjlEEPlSE_SE_S6_NS0_8equal_toIlEEEE10hipError_tPvRmT2_T3_mT4_T5_T6_T7_T8_P12ihipStream_tbENKUlT_T0_E_clISt17integral_constantIbLb0EESY_EEDaST_SU_EUlST_E_NS1_11comp_targetILNS1_3genE0ELNS1_11target_archE4294967295ELNS1_3gpuE0ELNS1_3repE0EEENS1_30default_config_static_selectorELNS0_4arch9wavefront6targetE1EEEvT1_: ; @_ZN7rocprim17ROCPRIM_400000_NS6detail17trampoline_kernelINS0_14default_configENS1_33run_length_encode_config_selectorIljNS0_4plusIjEEEEZZNS1_33reduce_by_key_impl_wrapped_configILNS1_25lookback_scan_determinismE0ES3_S7_PKlNS0_17constant_iteratorIjlEEPlSE_SE_S6_NS0_8equal_toIlEEEE10hipError_tPvRmT2_T3_mT4_T5_T6_T7_T8_P12ihipStream_tbENKUlT_T0_E_clISt17integral_constantIbLb0EESY_EEDaST_SU_EUlST_E_NS1_11comp_targetILNS1_3genE0ELNS1_11target_archE4294967295ELNS1_3gpuE0ELNS1_3repE0EEENS1_30default_config_static_selectorELNS0_4arch9wavefront6targetE1EEEvT1_
; %bb.0:
	.section	.rodata,"a",@progbits
	.p2align	6, 0x0
	.amdhsa_kernel _ZN7rocprim17ROCPRIM_400000_NS6detail17trampoline_kernelINS0_14default_configENS1_33run_length_encode_config_selectorIljNS0_4plusIjEEEEZZNS1_33reduce_by_key_impl_wrapped_configILNS1_25lookback_scan_determinismE0ES3_S7_PKlNS0_17constant_iteratorIjlEEPlSE_SE_S6_NS0_8equal_toIlEEEE10hipError_tPvRmT2_T3_mT4_T5_T6_T7_T8_P12ihipStream_tbENKUlT_T0_E_clISt17integral_constantIbLb0EESY_EEDaST_SU_EUlST_E_NS1_11comp_targetILNS1_3genE0ELNS1_11target_archE4294967295ELNS1_3gpuE0ELNS1_3repE0EEENS1_30default_config_static_selectorELNS0_4arch9wavefront6targetE1EEEvT1_
		.amdhsa_group_segment_fixed_size 0
		.amdhsa_private_segment_fixed_size 0
		.amdhsa_kernarg_size 128
		.amdhsa_user_sgpr_count 6
		.amdhsa_user_sgpr_private_segment_buffer 1
		.amdhsa_user_sgpr_dispatch_ptr 0
		.amdhsa_user_sgpr_queue_ptr 0
		.amdhsa_user_sgpr_kernarg_segment_ptr 1
		.amdhsa_user_sgpr_dispatch_id 0
		.amdhsa_user_sgpr_flat_scratch_init 0
		.amdhsa_user_sgpr_kernarg_preload_length 0
		.amdhsa_user_sgpr_kernarg_preload_offset 0
		.amdhsa_user_sgpr_private_segment_size 0
		.amdhsa_uses_dynamic_stack 0
		.amdhsa_system_sgpr_private_segment_wavefront_offset 0
		.amdhsa_system_sgpr_workgroup_id_x 1
		.amdhsa_system_sgpr_workgroup_id_y 0
		.amdhsa_system_sgpr_workgroup_id_z 0
		.amdhsa_system_sgpr_workgroup_info 0
		.amdhsa_system_vgpr_workitem_id 0
		.amdhsa_next_free_vgpr 1
		.amdhsa_next_free_sgpr 0
		.amdhsa_accum_offset 4
		.amdhsa_reserve_vcc 0
		.amdhsa_reserve_flat_scratch 0
		.amdhsa_float_round_mode_32 0
		.amdhsa_float_round_mode_16_64 0
		.amdhsa_float_denorm_mode_32 3
		.amdhsa_float_denorm_mode_16_64 3
		.amdhsa_dx10_clamp 1
		.amdhsa_ieee_mode 1
		.amdhsa_fp16_overflow 0
		.amdhsa_tg_split 0
		.amdhsa_exception_fp_ieee_invalid_op 0
		.amdhsa_exception_fp_denorm_src 0
		.amdhsa_exception_fp_ieee_div_zero 0
		.amdhsa_exception_fp_ieee_overflow 0
		.amdhsa_exception_fp_ieee_underflow 0
		.amdhsa_exception_fp_ieee_inexact 0
		.amdhsa_exception_int_div_zero 0
	.end_amdhsa_kernel
	.section	.text._ZN7rocprim17ROCPRIM_400000_NS6detail17trampoline_kernelINS0_14default_configENS1_33run_length_encode_config_selectorIljNS0_4plusIjEEEEZZNS1_33reduce_by_key_impl_wrapped_configILNS1_25lookback_scan_determinismE0ES3_S7_PKlNS0_17constant_iteratorIjlEEPlSE_SE_S6_NS0_8equal_toIlEEEE10hipError_tPvRmT2_T3_mT4_T5_T6_T7_T8_P12ihipStream_tbENKUlT_T0_E_clISt17integral_constantIbLb0EESY_EEDaST_SU_EUlST_E_NS1_11comp_targetILNS1_3genE0ELNS1_11target_archE4294967295ELNS1_3gpuE0ELNS1_3repE0EEENS1_30default_config_static_selectorELNS0_4arch9wavefront6targetE1EEEvT1_,"axG",@progbits,_ZN7rocprim17ROCPRIM_400000_NS6detail17trampoline_kernelINS0_14default_configENS1_33run_length_encode_config_selectorIljNS0_4plusIjEEEEZZNS1_33reduce_by_key_impl_wrapped_configILNS1_25lookback_scan_determinismE0ES3_S7_PKlNS0_17constant_iteratorIjlEEPlSE_SE_S6_NS0_8equal_toIlEEEE10hipError_tPvRmT2_T3_mT4_T5_T6_T7_T8_P12ihipStream_tbENKUlT_T0_E_clISt17integral_constantIbLb0EESY_EEDaST_SU_EUlST_E_NS1_11comp_targetILNS1_3genE0ELNS1_11target_archE4294967295ELNS1_3gpuE0ELNS1_3repE0EEENS1_30default_config_static_selectorELNS0_4arch9wavefront6targetE1EEEvT1_,comdat
.Lfunc_end511:
	.size	_ZN7rocprim17ROCPRIM_400000_NS6detail17trampoline_kernelINS0_14default_configENS1_33run_length_encode_config_selectorIljNS0_4plusIjEEEEZZNS1_33reduce_by_key_impl_wrapped_configILNS1_25lookback_scan_determinismE0ES3_S7_PKlNS0_17constant_iteratorIjlEEPlSE_SE_S6_NS0_8equal_toIlEEEE10hipError_tPvRmT2_T3_mT4_T5_T6_T7_T8_P12ihipStream_tbENKUlT_T0_E_clISt17integral_constantIbLb0EESY_EEDaST_SU_EUlST_E_NS1_11comp_targetILNS1_3genE0ELNS1_11target_archE4294967295ELNS1_3gpuE0ELNS1_3repE0EEENS1_30default_config_static_selectorELNS0_4arch9wavefront6targetE1EEEvT1_, .Lfunc_end511-_ZN7rocprim17ROCPRIM_400000_NS6detail17trampoline_kernelINS0_14default_configENS1_33run_length_encode_config_selectorIljNS0_4plusIjEEEEZZNS1_33reduce_by_key_impl_wrapped_configILNS1_25lookback_scan_determinismE0ES3_S7_PKlNS0_17constant_iteratorIjlEEPlSE_SE_S6_NS0_8equal_toIlEEEE10hipError_tPvRmT2_T3_mT4_T5_T6_T7_T8_P12ihipStream_tbENKUlT_T0_E_clISt17integral_constantIbLb0EESY_EEDaST_SU_EUlST_E_NS1_11comp_targetILNS1_3genE0ELNS1_11target_archE4294967295ELNS1_3gpuE0ELNS1_3repE0EEENS1_30default_config_static_selectorELNS0_4arch9wavefront6targetE1EEEvT1_
                                        ; -- End function
	.section	.AMDGPU.csdata,"",@progbits
; Kernel info:
; codeLenInByte = 0
; NumSgprs: 4
; NumVgprs: 0
; NumAgprs: 0
; TotalNumVgprs: 0
; ScratchSize: 0
; MemoryBound: 0
; FloatMode: 240
; IeeeMode: 1
; LDSByteSize: 0 bytes/workgroup (compile time only)
; SGPRBlocks: 0
; VGPRBlocks: 0
; NumSGPRsForWavesPerEU: 4
; NumVGPRsForWavesPerEU: 1
; AccumOffset: 4
; Occupancy: 8
; WaveLimiterHint : 0
; COMPUTE_PGM_RSRC2:SCRATCH_EN: 0
; COMPUTE_PGM_RSRC2:USER_SGPR: 6
; COMPUTE_PGM_RSRC2:TRAP_HANDLER: 0
; COMPUTE_PGM_RSRC2:TGID_X_EN: 1
; COMPUTE_PGM_RSRC2:TGID_Y_EN: 0
; COMPUTE_PGM_RSRC2:TGID_Z_EN: 0
; COMPUTE_PGM_RSRC2:TIDIG_COMP_CNT: 0
; COMPUTE_PGM_RSRC3_GFX90A:ACCUM_OFFSET: 0
; COMPUTE_PGM_RSRC3_GFX90A:TG_SPLIT: 0
	.section	.text._ZN7rocprim17ROCPRIM_400000_NS6detail17trampoline_kernelINS0_14default_configENS1_33run_length_encode_config_selectorIljNS0_4plusIjEEEEZZNS1_33reduce_by_key_impl_wrapped_configILNS1_25lookback_scan_determinismE0ES3_S7_PKlNS0_17constant_iteratorIjlEEPlSE_SE_S6_NS0_8equal_toIlEEEE10hipError_tPvRmT2_T3_mT4_T5_T6_T7_T8_P12ihipStream_tbENKUlT_T0_E_clISt17integral_constantIbLb0EESY_EEDaST_SU_EUlST_E_NS1_11comp_targetILNS1_3genE5ELNS1_11target_archE942ELNS1_3gpuE9ELNS1_3repE0EEENS1_30default_config_static_selectorELNS0_4arch9wavefront6targetE1EEEvT1_,"axG",@progbits,_ZN7rocprim17ROCPRIM_400000_NS6detail17trampoline_kernelINS0_14default_configENS1_33run_length_encode_config_selectorIljNS0_4plusIjEEEEZZNS1_33reduce_by_key_impl_wrapped_configILNS1_25lookback_scan_determinismE0ES3_S7_PKlNS0_17constant_iteratorIjlEEPlSE_SE_S6_NS0_8equal_toIlEEEE10hipError_tPvRmT2_T3_mT4_T5_T6_T7_T8_P12ihipStream_tbENKUlT_T0_E_clISt17integral_constantIbLb0EESY_EEDaST_SU_EUlST_E_NS1_11comp_targetILNS1_3genE5ELNS1_11target_archE942ELNS1_3gpuE9ELNS1_3repE0EEENS1_30default_config_static_selectorELNS0_4arch9wavefront6targetE1EEEvT1_,comdat
	.protected	_ZN7rocprim17ROCPRIM_400000_NS6detail17trampoline_kernelINS0_14default_configENS1_33run_length_encode_config_selectorIljNS0_4plusIjEEEEZZNS1_33reduce_by_key_impl_wrapped_configILNS1_25lookback_scan_determinismE0ES3_S7_PKlNS0_17constant_iteratorIjlEEPlSE_SE_S6_NS0_8equal_toIlEEEE10hipError_tPvRmT2_T3_mT4_T5_T6_T7_T8_P12ihipStream_tbENKUlT_T0_E_clISt17integral_constantIbLb0EESY_EEDaST_SU_EUlST_E_NS1_11comp_targetILNS1_3genE5ELNS1_11target_archE942ELNS1_3gpuE9ELNS1_3repE0EEENS1_30default_config_static_selectorELNS0_4arch9wavefront6targetE1EEEvT1_ ; -- Begin function _ZN7rocprim17ROCPRIM_400000_NS6detail17trampoline_kernelINS0_14default_configENS1_33run_length_encode_config_selectorIljNS0_4plusIjEEEEZZNS1_33reduce_by_key_impl_wrapped_configILNS1_25lookback_scan_determinismE0ES3_S7_PKlNS0_17constant_iteratorIjlEEPlSE_SE_S6_NS0_8equal_toIlEEEE10hipError_tPvRmT2_T3_mT4_T5_T6_T7_T8_P12ihipStream_tbENKUlT_T0_E_clISt17integral_constantIbLb0EESY_EEDaST_SU_EUlST_E_NS1_11comp_targetILNS1_3genE5ELNS1_11target_archE942ELNS1_3gpuE9ELNS1_3repE0EEENS1_30default_config_static_selectorELNS0_4arch9wavefront6targetE1EEEvT1_
	.globl	_ZN7rocprim17ROCPRIM_400000_NS6detail17trampoline_kernelINS0_14default_configENS1_33run_length_encode_config_selectorIljNS0_4plusIjEEEEZZNS1_33reduce_by_key_impl_wrapped_configILNS1_25lookback_scan_determinismE0ES3_S7_PKlNS0_17constant_iteratorIjlEEPlSE_SE_S6_NS0_8equal_toIlEEEE10hipError_tPvRmT2_T3_mT4_T5_T6_T7_T8_P12ihipStream_tbENKUlT_T0_E_clISt17integral_constantIbLb0EESY_EEDaST_SU_EUlST_E_NS1_11comp_targetILNS1_3genE5ELNS1_11target_archE942ELNS1_3gpuE9ELNS1_3repE0EEENS1_30default_config_static_selectorELNS0_4arch9wavefront6targetE1EEEvT1_
	.p2align	8
	.type	_ZN7rocprim17ROCPRIM_400000_NS6detail17trampoline_kernelINS0_14default_configENS1_33run_length_encode_config_selectorIljNS0_4plusIjEEEEZZNS1_33reduce_by_key_impl_wrapped_configILNS1_25lookback_scan_determinismE0ES3_S7_PKlNS0_17constant_iteratorIjlEEPlSE_SE_S6_NS0_8equal_toIlEEEE10hipError_tPvRmT2_T3_mT4_T5_T6_T7_T8_P12ihipStream_tbENKUlT_T0_E_clISt17integral_constantIbLb0EESY_EEDaST_SU_EUlST_E_NS1_11comp_targetILNS1_3genE5ELNS1_11target_archE942ELNS1_3gpuE9ELNS1_3repE0EEENS1_30default_config_static_selectorELNS0_4arch9wavefront6targetE1EEEvT1_,@function
_ZN7rocprim17ROCPRIM_400000_NS6detail17trampoline_kernelINS0_14default_configENS1_33run_length_encode_config_selectorIljNS0_4plusIjEEEEZZNS1_33reduce_by_key_impl_wrapped_configILNS1_25lookback_scan_determinismE0ES3_S7_PKlNS0_17constant_iteratorIjlEEPlSE_SE_S6_NS0_8equal_toIlEEEE10hipError_tPvRmT2_T3_mT4_T5_T6_T7_T8_P12ihipStream_tbENKUlT_T0_E_clISt17integral_constantIbLb0EESY_EEDaST_SU_EUlST_E_NS1_11comp_targetILNS1_3genE5ELNS1_11target_archE942ELNS1_3gpuE9ELNS1_3repE0EEENS1_30default_config_static_selectorELNS0_4arch9wavefront6targetE1EEEvT1_: ; @_ZN7rocprim17ROCPRIM_400000_NS6detail17trampoline_kernelINS0_14default_configENS1_33run_length_encode_config_selectorIljNS0_4plusIjEEEEZZNS1_33reduce_by_key_impl_wrapped_configILNS1_25lookback_scan_determinismE0ES3_S7_PKlNS0_17constant_iteratorIjlEEPlSE_SE_S6_NS0_8equal_toIlEEEE10hipError_tPvRmT2_T3_mT4_T5_T6_T7_T8_P12ihipStream_tbENKUlT_T0_E_clISt17integral_constantIbLb0EESY_EEDaST_SU_EUlST_E_NS1_11comp_targetILNS1_3genE5ELNS1_11target_archE942ELNS1_3gpuE9ELNS1_3repE0EEENS1_30default_config_static_selectorELNS0_4arch9wavefront6targetE1EEEvT1_
; %bb.0:
	.section	.rodata,"a",@progbits
	.p2align	6, 0x0
	.amdhsa_kernel _ZN7rocprim17ROCPRIM_400000_NS6detail17trampoline_kernelINS0_14default_configENS1_33run_length_encode_config_selectorIljNS0_4plusIjEEEEZZNS1_33reduce_by_key_impl_wrapped_configILNS1_25lookback_scan_determinismE0ES3_S7_PKlNS0_17constant_iteratorIjlEEPlSE_SE_S6_NS0_8equal_toIlEEEE10hipError_tPvRmT2_T3_mT4_T5_T6_T7_T8_P12ihipStream_tbENKUlT_T0_E_clISt17integral_constantIbLb0EESY_EEDaST_SU_EUlST_E_NS1_11comp_targetILNS1_3genE5ELNS1_11target_archE942ELNS1_3gpuE9ELNS1_3repE0EEENS1_30default_config_static_selectorELNS0_4arch9wavefront6targetE1EEEvT1_
		.amdhsa_group_segment_fixed_size 0
		.amdhsa_private_segment_fixed_size 0
		.amdhsa_kernarg_size 128
		.amdhsa_user_sgpr_count 6
		.amdhsa_user_sgpr_private_segment_buffer 1
		.amdhsa_user_sgpr_dispatch_ptr 0
		.amdhsa_user_sgpr_queue_ptr 0
		.amdhsa_user_sgpr_kernarg_segment_ptr 1
		.amdhsa_user_sgpr_dispatch_id 0
		.amdhsa_user_sgpr_flat_scratch_init 0
		.amdhsa_user_sgpr_kernarg_preload_length 0
		.amdhsa_user_sgpr_kernarg_preload_offset 0
		.amdhsa_user_sgpr_private_segment_size 0
		.amdhsa_uses_dynamic_stack 0
		.amdhsa_system_sgpr_private_segment_wavefront_offset 0
		.amdhsa_system_sgpr_workgroup_id_x 1
		.amdhsa_system_sgpr_workgroup_id_y 0
		.amdhsa_system_sgpr_workgroup_id_z 0
		.amdhsa_system_sgpr_workgroup_info 0
		.amdhsa_system_vgpr_workitem_id 0
		.amdhsa_next_free_vgpr 1
		.amdhsa_next_free_sgpr 0
		.amdhsa_accum_offset 4
		.amdhsa_reserve_vcc 0
		.amdhsa_reserve_flat_scratch 0
		.amdhsa_float_round_mode_32 0
		.amdhsa_float_round_mode_16_64 0
		.amdhsa_float_denorm_mode_32 3
		.amdhsa_float_denorm_mode_16_64 3
		.amdhsa_dx10_clamp 1
		.amdhsa_ieee_mode 1
		.amdhsa_fp16_overflow 0
		.amdhsa_tg_split 0
		.amdhsa_exception_fp_ieee_invalid_op 0
		.amdhsa_exception_fp_denorm_src 0
		.amdhsa_exception_fp_ieee_div_zero 0
		.amdhsa_exception_fp_ieee_overflow 0
		.amdhsa_exception_fp_ieee_underflow 0
		.amdhsa_exception_fp_ieee_inexact 0
		.amdhsa_exception_int_div_zero 0
	.end_amdhsa_kernel
	.section	.text._ZN7rocprim17ROCPRIM_400000_NS6detail17trampoline_kernelINS0_14default_configENS1_33run_length_encode_config_selectorIljNS0_4plusIjEEEEZZNS1_33reduce_by_key_impl_wrapped_configILNS1_25lookback_scan_determinismE0ES3_S7_PKlNS0_17constant_iteratorIjlEEPlSE_SE_S6_NS0_8equal_toIlEEEE10hipError_tPvRmT2_T3_mT4_T5_T6_T7_T8_P12ihipStream_tbENKUlT_T0_E_clISt17integral_constantIbLb0EESY_EEDaST_SU_EUlST_E_NS1_11comp_targetILNS1_3genE5ELNS1_11target_archE942ELNS1_3gpuE9ELNS1_3repE0EEENS1_30default_config_static_selectorELNS0_4arch9wavefront6targetE1EEEvT1_,"axG",@progbits,_ZN7rocprim17ROCPRIM_400000_NS6detail17trampoline_kernelINS0_14default_configENS1_33run_length_encode_config_selectorIljNS0_4plusIjEEEEZZNS1_33reduce_by_key_impl_wrapped_configILNS1_25lookback_scan_determinismE0ES3_S7_PKlNS0_17constant_iteratorIjlEEPlSE_SE_S6_NS0_8equal_toIlEEEE10hipError_tPvRmT2_T3_mT4_T5_T6_T7_T8_P12ihipStream_tbENKUlT_T0_E_clISt17integral_constantIbLb0EESY_EEDaST_SU_EUlST_E_NS1_11comp_targetILNS1_3genE5ELNS1_11target_archE942ELNS1_3gpuE9ELNS1_3repE0EEENS1_30default_config_static_selectorELNS0_4arch9wavefront6targetE1EEEvT1_,comdat
.Lfunc_end512:
	.size	_ZN7rocprim17ROCPRIM_400000_NS6detail17trampoline_kernelINS0_14default_configENS1_33run_length_encode_config_selectorIljNS0_4plusIjEEEEZZNS1_33reduce_by_key_impl_wrapped_configILNS1_25lookback_scan_determinismE0ES3_S7_PKlNS0_17constant_iteratorIjlEEPlSE_SE_S6_NS0_8equal_toIlEEEE10hipError_tPvRmT2_T3_mT4_T5_T6_T7_T8_P12ihipStream_tbENKUlT_T0_E_clISt17integral_constantIbLb0EESY_EEDaST_SU_EUlST_E_NS1_11comp_targetILNS1_3genE5ELNS1_11target_archE942ELNS1_3gpuE9ELNS1_3repE0EEENS1_30default_config_static_selectorELNS0_4arch9wavefront6targetE1EEEvT1_, .Lfunc_end512-_ZN7rocprim17ROCPRIM_400000_NS6detail17trampoline_kernelINS0_14default_configENS1_33run_length_encode_config_selectorIljNS0_4plusIjEEEEZZNS1_33reduce_by_key_impl_wrapped_configILNS1_25lookback_scan_determinismE0ES3_S7_PKlNS0_17constant_iteratorIjlEEPlSE_SE_S6_NS0_8equal_toIlEEEE10hipError_tPvRmT2_T3_mT4_T5_T6_T7_T8_P12ihipStream_tbENKUlT_T0_E_clISt17integral_constantIbLb0EESY_EEDaST_SU_EUlST_E_NS1_11comp_targetILNS1_3genE5ELNS1_11target_archE942ELNS1_3gpuE9ELNS1_3repE0EEENS1_30default_config_static_selectorELNS0_4arch9wavefront6targetE1EEEvT1_
                                        ; -- End function
	.section	.AMDGPU.csdata,"",@progbits
; Kernel info:
; codeLenInByte = 0
; NumSgprs: 4
; NumVgprs: 0
; NumAgprs: 0
; TotalNumVgprs: 0
; ScratchSize: 0
; MemoryBound: 0
; FloatMode: 240
; IeeeMode: 1
; LDSByteSize: 0 bytes/workgroup (compile time only)
; SGPRBlocks: 0
; VGPRBlocks: 0
; NumSGPRsForWavesPerEU: 4
; NumVGPRsForWavesPerEU: 1
; AccumOffset: 4
; Occupancy: 8
; WaveLimiterHint : 0
; COMPUTE_PGM_RSRC2:SCRATCH_EN: 0
; COMPUTE_PGM_RSRC2:USER_SGPR: 6
; COMPUTE_PGM_RSRC2:TRAP_HANDLER: 0
; COMPUTE_PGM_RSRC2:TGID_X_EN: 1
; COMPUTE_PGM_RSRC2:TGID_Y_EN: 0
; COMPUTE_PGM_RSRC2:TGID_Z_EN: 0
; COMPUTE_PGM_RSRC2:TIDIG_COMP_CNT: 0
; COMPUTE_PGM_RSRC3_GFX90A:ACCUM_OFFSET: 0
; COMPUTE_PGM_RSRC3_GFX90A:TG_SPLIT: 0
	.section	.text._ZN7rocprim17ROCPRIM_400000_NS6detail17trampoline_kernelINS0_14default_configENS1_33run_length_encode_config_selectorIljNS0_4plusIjEEEEZZNS1_33reduce_by_key_impl_wrapped_configILNS1_25lookback_scan_determinismE0ES3_S7_PKlNS0_17constant_iteratorIjlEEPlSE_SE_S6_NS0_8equal_toIlEEEE10hipError_tPvRmT2_T3_mT4_T5_T6_T7_T8_P12ihipStream_tbENKUlT_T0_E_clISt17integral_constantIbLb0EESY_EEDaST_SU_EUlST_E_NS1_11comp_targetILNS1_3genE4ELNS1_11target_archE910ELNS1_3gpuE8ELNS1_3repE0EEENS1_30default_config_static_selectorELNS0_4arch9wavefront6targetE1EEEvT1_,"axG",@progbits,_ZN7rocprim17ROCPRIM_400000_NS6detail17trampoline_kernelINS0_14default_configENS1_33run_length_encode_config_selectorIljNS0_4plusIjEEEEZZNS1_33reduce_by_key_impl_wrapped_configILNS1_25lookback_scan_determinismE0ES3_S7_PKlNS0_17constant_iteratorIjlEEPlSE_SE_S6_NS0_8equal_toIlEEEE10hipError_tPvRmT2_T3_mT4_T5_T6_T7_T8_P12ihipStream_tbENKUlT_T0_E_clISt17integral_constantIbLb0EESY_EEDaST_SU_EUlST_E_NS1_11comp_targetILNS1_3genE4ELNS1_11target_archE910ELNS1_3gpuE8ELNS1_3repE0EEENS1_30default_config_static_selectorELNS0_4arch9wavefront6targetE1EEEvT1_,comdat
	.protected	_ZN7rocprim17ROCPRIM_400000_NS6detail17trampoline_kernelINS0_14default_configENS1_33run_length_encode_config_selectorIljNS0_4plusIjEEEEZZNS1_33reduce_by_key_impl_wrapped_configILNS1_25lookback_scan_determinismE0ES3_S7_PKlNS0_17constant_iteratorIjlEEPlSE_SE_S6_NS0_8equal_toIlEEEE10hipError_tPvRmT2_T3_mT4_T5_T6_T7_T8_P12ihipStream_tbENKUlT_T0_E_clISt17integral_constantIbLb0EESY_EEDaST_SU_EUlST_E_NS1_11comp_targetILNS1_3genE4ELNS1_11target_archE910ELNS1_3gpuE8ELNS1_3repE0EEENS1_30default_config_static_selectorELNS0_4arch9wavefront6targetE1EEEvT1_ ; -- Begin function _ZN7rocprim17ROCPRIM_400000_NS6detail17trampoline_kernelINS0_14default_configENS1_33run_length_encode_config_selectorIljNS0_4plusIjEEEEZZNS1_33reduce_by_key_impl_wrapped_configILNS1_25lookback_scan_determinismE0ES3_S7_PKlNS0_17constant_iteratorIjlEEPlSE_SE_S6_NS0_8equal_toIlEEEE10hipError_tPvRmT2_T3_mT4_T5_T6_T7_T8_P12ihipStream_tbENKUlT_T0_E_clISt17integral_constantIbLb0EESY_EEDaST_SU_EUlST_E_NS1_11comp_targetILNS1_3genE4ELNS1_11target_archE910ELNS1_3gpuE8ELNS1_3repE0EEENS1_30default_config_static_selectorELNS0_4arch9wavefront6targetE1EEEvT1_
	.globl	_ZN7rocprim17ROCPRIM_400000_NS6detail17trampoline_kernelINS0_14default_configENS1_33run_length_encode_config_selectorIljNS0_4plusIjEEEEZZNS1_33reduce_by_key_impl_wrapped_configILNS1_25lookback_scan_determinismE0ES3_S7_PKlNS0_17constant_iteratorIjlEEPlSE_SE_S6_NS0_8equal_toIlEEEE10hipError_tPvRmT2_T3_mT4_T5_T6_T7_T8_P12ihipStream_tbENKUlT_T0_E_clISt17integral_constantIbLb0EESY_EEDaST_SU_EUlST_E_NS1_11comp_targetILNS1_3genE4ELNS1_11target_archE910ELNS1_3gpuE8ELNS1_3repE0EEENS1_30default_config_static_selectorELNS0_4arch9wavefront6targetE1EEEvT1_
	.p2align	8
	.type	_ZN7rocprim17ROCPRIM_400000_NS6detail17trampoline_kernelINS0_14default_configENS1_33run_length_encode_config_selectorIljNS0_4plusIjEEEEZZNS1_33reduce_by_key_impl_wrapped_configILNS1_25lookback_scan_determinismE0ES3_S7_PKlNS0_17constant_iteratorIjlEEPlSE_SE_S6_NS0_8equal_toIlEEEE10hipError_tPvRmT2_T3_mT4_T5_T6_T7_T8_P12ihipStream_tbENKUlT_T0_E_clISt17integral_constantIbLb0EESY_EEDaST_SU_EUlST_E_NS1_11comp_targetILNS1_3genE4ELNS1_11target_archE910ELNS1_3gpuE8ELNS1_3repE0EEENS1_30default_config_static_selectorELNS0_4arch9wavefront6targetE1EEEvT1_,@function
_ZN7rocprim17ROCPRIM_400000_NS6detail17trampoline_kernelINS0_14default_configENS1_33run_length_encode_config_selectorIljNS0_4plusIjEEEEZZNS1_33reduce_by_key_impl_wrapped_configILNS1_25lookback_scan_determinismE0ES3_S7_PKlNS0_17constant_iteratorIjlEEPlSE_SE_S6_NS0_8equal_toIlEEEE10hipError_tPvRmT2_T3_mT4_T5_T6_T7_T8_P12ihipStream_tbENKUlT_T0_E_clISt17integral_constantIbLb0EESY_EEDaST_SU_EUlST_E_NS1_11comp_targetILNS1_3genE4ELNS1_11target_archE910ELNS1_3gpuE8ELNS1_3repE0EEENS1_30default_config_static_selectorELNS0_4arch9wavefront6targetE1EEEvT1_: ; @_ZN7rocprim17ROCPRIM_400000_NS6detail17trampoline_kernelINS0_14default_configENS1_33run_length_encode_config_selectorIljNS0_4plusIjEEEEZZNS1_33reduce_by_key_impl_wrapped_configILNS1_25lookback_scan_determinismE0ES3_S7_PKlNS0_17constant_iteratorIjlEEPlSE_SE_S6_NS0_8equal_toIlEEEE10hipError_tPvRmT2_T3_mT4_T5_T6_T7_T8_P12ihipStream_tbENKUlT_T0_E_clISt17integral_constantIbLb0EESY_EEDaST_SU_EUlST_E_NS1_11comp_targetILNS1_3genE4ELNS1_11target_archE910ELNS1_3gpuE8ELNS1_3repE0EEENS1_30default_config_static_selectorELNS0_4arch9wavefront6targetE1EEEvT1_
; %bb.0:
	s_load_dwordx8 s[24:31], s[4:5], 0x40
	s_load_dwordx4 s[0:3], s[4:5], 0x0
	s_load_dword s7, s[4:5], 0x10
	s_load_dwordx4 s[36:39], s[4:5], 0x60
	s_waitcnt lgkmcnt(0)
	s_mul_i32 s8, s28, s27
	s_mul_hi_u32 s9, s28, s26
	s_add_i32 s8, s9, s8
	s_mul_i32 s9, s29, s26
	s_add_i32 s8, s8, s9
	s_lshl_b64 s[2:3], s[2:3], 3
	s_add_u32 s2, s0, s2
	s_addc_u32 s3, s1, s3
	s_mul_i32 s0, s6, 0xa00
	s_mov_b32 s1, 0
	s_lshl_b64 s[0:1], s[0:1], 3
	s_mul_i32 s9, s28, s26
	s_add_u32 s28, s2, s0
	s_addc_u32 s29, s3, s1
	s_add_u32 s22, s9, s6
	s_addc_u32 s23, s8, 0
	s_add_u32 s2, s30, -1
	s_addc_u32 s3, s31, -1
	s_cmp_eq_u64 s[22:23], s[2:3]
	s_cselect_b64 s[34:35], -1, 0
	s_cmp_lg_u64 s[22:23], s[2:3]
	s_mov_b64 s[8:9], -1
	s_cselect_b64 s[0:1], -1, 0
	s_mul_i32 s33, s2, 0xfffff600
	s_and_b64 vcc, exec, s[34:35]
	s_cbranch_vccnz .LBB513_2
; %bb.1:
	v_lshlrev_b32_e32 v1, 3, v0
	v_mov_b32_e32 v2, s29
	v_add_co_u32_e32 v22, vcc, s28, v1
	v_addc_co_u32_e32 v23, vcc, 0, v2, vcc
	v_add_co_u32_e32 v2, vcc, 0x1000, v22
	v_addc_co_u32_e32 v3, vcc, 0, v23, vcc
	global_load_dwordx2 v[4:5], v1, s[28:29]
	global_load_dwordx2 v[6:7], v1, s[28:29] offset:2048
	global_load_dwordx2 v[8:9], v[2:3], off
	global_load_dwordx2 v[10:11], v[2:3], off offset:2048
	v_add_co_u32_e32 v2, vcc, 0x2000, v22
	v_addc_co_u32_e32 v3, vcc, 0, v23, vcc
	v_add_co_u32_e32 v12, vcc, 0x3000, v22
	v_addc_co_u32_e32 v13, vcc, 0, v23, vcc
	global_load_dwordx2 v[14:15], v[2:3], off
	global_load_dwordx2 v[16:17], v[2:3], off offset:2048
	global_load_dwordx2 v[18:19], v[12:13], off
	global_load_dwordx2 v[20:21], v[12:13], off offset:2048
	v_add_co_u32_e32 v2, vcc, 0x4000, v22
	v_addc_co_u32_e32 v3, vcc, 0, v23, vcc
	global_load_dwordx2 v[12:13], v[2:3], off
	global_load_dwordx2 v[22:23], v[2:3], off offset:2048
	s_movk_i32 s2, 0x48
	v_mad_u32_u24 v24, v0, s2, v1
	s_mov_b64 s[2:3], -1
	s_waitcnt vmcnt(8)
	ds_write2st64_b64 v1, v[4:5], v[6:7] offset1:4
	s_waitcnt vmcnt(6)
	ds_write2st64_b64 v1, v[8:9], v[10:11] offset0:8 offset1:12
	s_waitcnt vmcnt(4)
	ds_write2st64_b64 v1, v[14:15], v[16:17] offset0:16 offset1:20
	;; [unrolled: 2-line block ×4, first 2 shown]
	s_waitcnt lgkmcnt(0)
	s_barrier
	ds_read_b128 v[18:21], v24
	ds_read_b128 v[14:17], v24 offset:16
	ds_read_b128 v[10:13], v24 offset:32
	;; [unrolled: 1-line block ×4, first 2 shown]
	s_waitcnt lgkmcnt(4)
	v_mov_b32_e32 v26, v18
	v_mov_b32_e32 v27, v19
	s_waitcnt lgkmcnt(3)
	v_mov_b32_e32 v28, v14
	v_mov_b32_e32 v29, v15
	;; [unrolled: 3-line block ×4, first 2 shown]
	s_add_i32 s33, s33, s36
	s_cbranch_execz .LBB513_3
	s_branch .LBB513_24
.LBB513_2:
	s_mov_b64 s[2:3], 0
                                        ; implicit-def: $vgpr2_vgpr3
                                        ; implicit-def: $vgpr10_vgpr11
                                        ; implicit-def: $vgpr14_vgpr15
                                        ; implicit-def: $vgpr18_vgpr19
                                        ; implicit-def: $vgpr6_vgpr7
                                        ; implicit-def: $vgpr22_vgpr23_vgpr24_vgpr25
                                        ; implicit-def: $vgpr26_vgpr27_vgpr28_vgpr29
	s_add_i32 s33, s33, s36
	s_andn2_b64 vcc, exec, s[8:9]
	s_cbranch_vccnz .LBB513_24
.LBB513_3:
	v_cmp_gt_u32_e32 vcc, s33, v0
                                        ; implicit-def: $vgpr2_vgpr3
	s_and_saveexec_b64 s[2:3], vcc
	s_cbranch_execz .LBB513_5
; %bb.4:
	v_lshlrev_b32_e32 v1, 3, v0
	global_load_dwordx2 v[2:3], v1, s[28:29]
.LBB513_5:
	s_or_b64 exec, exec, s[2:3]
	v_or_b32_e32 v1, 0x100, v0
	v_cmp_gt_u32_e32 vcc, s33, v1
                                        ; implicit-def: $vgpr4_vgpr5
	s_and_saveexec_b64 s[2:3], vcc
	s_cbranch_execz .LBB513_7
; %bb.6:
	v_lshlrev_b32_e32 v1, 3, v0
	global_load_dwordx2 v[4:5], v1, s[28:29] offset:2048
.LBB513_7:
	s_or_b64 exec, exec, s[2:3]
	v_or_b32_e32 v1, 0x200, v0
	v_cmp_gt_u32_e32 vcc, s33, v1
                                        ; implicit-def: $vgpr6_vgpr7
	s_and_saveexec_b64 s[2:3], vcc
	s_cbranch_execz .LBB513_9
; %bb.8:
	v_lshlrev_b32_e32 v1, 3, v1
	s_waitcnt lgkmcnt(0)
	global_load_dwordx2 v[6:7], v1, s[28:29]
.LBB513_9:
	s_or_b64 exec, exec, s[2:3]
	v_or_b32_e32 v1, 0x300, v0
	v_cmp_gt_u32_e32 vcc, s33, v1
                                        ; implicit-def: $vgpr8_vgpr9
	s_and_saveexec_b64 s[2:3], vcc
	s_cbranch_execz .LBB513_11
; %bb.10:
	v_lshlrev_b32_e32 v1, 3, v1
	s_waitcnt lgkmcnt(0)
	global_load_dwordx2 v[8:9], v1, s[28:29]
.LBB513_11:
	s_or_b64 exec, exec, s[2:3]
	v_or_b32_e32 v1, 0x400, v0
	v_cmp_gt_u32_e32 vcc, s33, v1
                                        ; implicit-def: $vgpr10_vgpr11
	s_and_saveexec_b64 s[2:3], vcc
	s_cbranch_execz .LBB513_13
; %bb.12:
	v_lshlrev_b32_e32 v1, 3, v1
	global_load_dwordx2 v[10:11], v1, s[28:29]
.LBB513_13:
	s_or_b64 exec, exec, s[2:3]
	v_or_b32_e32 v1, 0x500, v0
	v_cmp_gt_u32_e32 vcc, s33, v1
                                        ; implicit-def: $vgpr12_vgpr13
	s_and_saveexec_b64 s[2:3], vcc
	s_cbranch_execz .LBB513_15
; %bb.14:
	v_lshlrev_b32_e32 v1, 3, v1
	global_load_dwordx2 v[12:13], v1, s[28:29]
.LBB513_15:
	s_or_b64 exec, exec, s[2:3]
	v_or_b32_e32 v1, 0x600, v0
	v_cmp_gt_u32_e32 vcc, s33, v1
                                        ; implicit-def: $vgpr14_vgpr15
	s_and_saveexec_b64 s[2:3], vcc
	s_cbranch_execz .LBB513_17
; %bb.16:
	v_lshlrev_b32_e32 v1, 3, v1
	global_load_dwordx2 v[14:15], v1, s[28:29]
.LBB513_17:
	s_or_b64 exec, exec, s[2:3]
	v_or_b32_e32 v1, 0x700, v0
	v_cmp_gt_u32_e32 vcc, s33, v1
                                        ; implicit-def: $vgpr16_vgpr17
	s_and_saveexec_b64 s[2:3], vcc
	s_cbranch_execz .LBB513_19
; %bb.18:
	v_lshlrev_b32_e32 v1, 3, v1
	global_load_dwordx2 v[16:17], v1, s[28:29]
.LBB513_19:
	s_or_b64 exec, exec, s[2:3]
	v_or_b32_e32 v1, 0x800, v0
	v_cmp_gt_u32_e32 vcc, s33, v1
                                        ; implicit-def: $vgpr18_vgpr19
	s_and_saveexec_b64 s[2:3], vcc
	s_cbranch_execz .LBB513_21
; %bb.20:
	v_lshlrev_b32_e32 v1, 3, v1
	global_load_dwordx2 v[18:19], v1, s[28:29]
.LBB513_21:
	s_or_b64 exec, exec, s[2:3]
	v_or_b32_e32 v1, 0x900, v0
	v_cmp_gt_u32_e32 vcc, s33, v1
                                        ; implicit-def: $vgpr20_vgpr21
	s_and_saveexec_b64 s[2:3], vcc
	s_cbranch_execz .LBB513_23
; %bb.22:
	v_lshlrev_b32_e32 v1, 3, v1
	global_load_dwordx2 v[20:21], v1, s[28:29]
.LBB513_23:
	s_or_b64 exec, exec, s[2:3]
	v_lshlrev_b32_e32 v1, 3, v0
	s_movk_i32 s2, 0x48
	s_waitcnt vmcnt(0)
	ds_write2st64_b64 v1, v[2:3], v[4:5] offset1:4
	s_waitcnt lgkmcnt(1)
	ds_write2st64_b64 v1, v[6:7], v[8:9] offset0:8 offset1:12
	ds_write2st64_b64 v1, v[10:11], v[12:13] offset0:16 offset1:20
	;; [unrolled: 1-line block ×4, first 2 shown]
	v_mad_u32_u24 v1, v0, s2, v1
	s_waitcnt lgkmcnt(0)
	s_barrier
	ds_read_b128 v[18:21], v1
	ds_read_b128 v[14:17], v1 offset:16
	ds_read_b128 v[10:13], v1 offset:32
	;; [unrolled: 1-line block ×4, first 2 shown]
	v_mad_u32_u24 v1, v0, 10, 9
	v_cmp_gt_u32_e64 s[2:3], s33, v1
	s_waitcnt lgkmcnt(4)
	v_mov_b32_e32 v26, v18
	v_mov_b32_e32 v27, v19
	s_waitcnt lgkmcnt(3)
	v_mov_b32_e32 v28, v14
	v_mov_b32_e32 v29, v15
	;; [unrolled: 3-line block ×4, first 2 shown]
.LBB513_24:
	v_mov_b32_e32 v48, s7
                                        ; implicit-def: $vgpr49
	s_and_saveexec_b64 s[8:9], s[2:3]
; %bb.25:
	v_mov_b32_e32 v49, s7
; %bb.26:
	s_or_b64 exec, exec, s[8:9]
	s_load_dwordx2 s[42:43], s[4:5], 0x70
	s_cmp_eq_u64 s[22:23], 0
	s_cselect_b64 s[40:41], -1, 0
	s_cmp_lg_u64 s[22:23], 0
	s_mov_b64 s[30:31], 0
	s_cselect_b64 s[44:45], -1, 0
	s_and_b64 vcc, exec, s[0:1]
	s_waitcnt lgkmcnt(0)
	s_barrier
	s_cbranch_vccz .LBB513_32
; %bb.27:
	s_and_b64 vcc, exec, s[44:45]
	s_cbranch_vccz .LBB513_33
; %bb.28:
	s_add_u32 s0, s28, -8
	s_addc_u32 s1, s29, -1
	s_load_dwordx2 s[30:31], s[0:1], 0x0
	v_lshlrev_b32_e32 v1, 3, v0
	v_cmp_ne_u64_e32 vcc, v[6:7], v[8:9]
	v_cmp_ne_u64_e64 s[0:1], v[4:5], v[6:7]
	v_cmp_ne_u64_e64 s[2:3], v[2:3], v[4:5]
	;; [unrolled: 1-line block ×8, first 2 shown]
	v_cmp_ne_u32_e64 s[20:21], 0, v0
	s_waitcnt lgkmcnt(0)
	v_pk_mov_b32 v[30:31], s[30:31], s[30:31] op_sel:[0,1]
	ds_write_b64 v1, v[8:9]
	s_waitcnt lgkmcnt(0)
	s_barrier
	s_and_saveexec_b64 s[30:31], s[20:21]
	s_cbranch_execz .LBB513_30
; %bb.29:
	v_add_u32_e32 v1, -8, v1
	ds_read_b64 v[30:31], v1
.LBB513_30:
	s_or_b64 exec, exec, s[30:31]
	v_cndmask_b32_e64 v1, 0, 1, vcc
	v_cndmask_b32_e64 v54, 0, 1, s[0:1]
	v_cndmask_b32_e64 v55, 0, 1, s[2:3]
	;; [unrolled: 1-line block ×8, first 2 shown]
	s_waitcnt lgkmcnt(0)
	v_cmp_ne_u64_e64 s[0:1], v[30:31], v[18:19]
	s_mov_b64 s[30:31], -1
.LBB513_31:
                                        ; implicit-def: $sgpr7
	s_branch .LBB513_45
.LBB513_32:
                                        ; implicit-def: $sgpr0_sgpr1
                                        ; implicit-def: $vgpr1
                                        ; implicit-def: $vgpr54
                                        ; implicit-def: $vgpr55
                                        ; implicit-def: $vgpr56
                                        ; implicit-def: $vgpr57
                                        ; implicit-def: $vgpr58
                                        ; implicit-def: $vgpr59
                                        ; implicit-def: $vgpr60
                                        ; implicit-def: $vgpr61
                                        ; implicit-def: $sgpr7
	s_cbranch_execnz .LBB513_37
	s_branch .LBB513_45
.LBB513_33:
                                        ; implicit-def: $sgpr0_sgpr1
                                        ; implicit-def: $vgpr1
                                        ; implicit-def: $vgpr54
                                        ; implicit-def: $vgpr55
                                        ; implicit-def: $vgpr56
                                        ; implicit-def: $vgpr57
                                        ; implicit-def: $vgpr58
                                        ; implicit-def: $vgpr59
                                        ; implicit-def: $vgpr60
                                        ; implicit-def: $vgpr61
	s_cbranch_execz .LBB513_31
; %bb.34:
	v_cmp_ne_u64_e32 vcc, v[6:7], v[8:9]
	v_cndmask_b32_e64 v1, 0, 1, vcc
	v_cmp_ne_u64_e32 vcc, v[20:21], v[26:27]
	v_cndmask_b32_e64 v61, 0, 1, vcc
	;; [unrolled: 2-line block ×8, first 2 shown]
	v_cmp_ne_u64_e32 vcc, v[6:7], v[4:5]
	v_lshlrev_b32_e32 v30, 3, v0
	v_cndmask_b32_e64 v54, 0, 1, vcc
	v_cmp_ne_u32_e32 vcc, 0, v0
	ds_write_b64 v30, v[8:9]
	s_waitcnt lgkmcnt(0)
	s_barrier
	s_waitcnt lgkmcnt(0)
                                        ; implicit-def: $sgpr0_sgpr1
	s_and_saveexec_b64 s[2:3], vcc
	s_xor_b64 s[2:3], exec, s[2:3]
	s_cbranch_execz .LBB513_36
; %bb.35:
	v_add_u32_e32 v22, -8, v30
	ds_read_b64 v[22:23], v22
	s_or_b64 s[30:31], s[30:31], exec
	s_waitcnt lgkmcnt(0)
	v_cmp_ne_u64_e32 vcc, v[22:23], v[18:19]
	s_and_b64 s[0:1], vcc, exec
.LBB513_36:
	s_or_b64 exec, exec, s[2:3]
	s_mov_b32 s7, 1
	s_branch .LBB513_45
.LBB513_37:
	s_mul_hi_u32 s1, s22, 0xfffff600
	s_mul_i32 s0, s23, 0xfffff600
	s_sub_i32 s1, s1, s22
	s_add_i32 s1, s1, s0
	s_mul_i32 s0, s22, 0xfffff600
	s_add_u32 s36, s0, s36
	s_addc_u32 s37, s1, s37
	s_and_b64 vcc, exec, s[44:45]
	v_cmp_ne_u64_e64 s[20:21], v[6:7], v[8:9]
	v_cmp_ne_u64_e64 s[18:19], v[4:5], v[6:7]
	v_cmp_ne_u64_e64 s[16:17], v[2:3], v[4:5]
	v_cmp_ne_u64_e64 s[14:15], v[12:13], v[2:3]
	v_cmp_ne_u64_e64 s[12:13], v[10:11], v[12:13]
	v_cmp_ne_u64_e64 s[10:11], v[16:17], v[10:11]
	v_cmp_ne_u64_e64 s[8:9], v[14:15], v[16:17]
	v_cmp_ne_u64_e64 s[22:23], v[20:21], v[14:15]
	v_cmp_ne_u64_e64 s[0:1], v[18:19], v[20:21]
	v_mul_u32_u24_e32 v22, 10, v0
	v_mad_u32_u24 v24, v0, 10, 9
	v_mad_u32_u24 v38, v0, 10, 8
	;; [unrolled: 1-line block ×8, first 2 shown]
	v_cmp_ne_u32_e64 s[2:3], 0, v0
	s_cbranch_vccz .LBB513_42
; %bb.38:
	v_mov_b32_e32 v25, 0
	s_add_u32 s28, s28, -8
	v_cmp_gt_u64_e32 vcc, s[36:37], v[24:25]
	v_mov_b32_e32 v39, v25
	s_addc_u32 s29, s29, -1
	s_and_b64 s[20:21], vcc, s[20:21]
	v_cmp_gt_u64_e32 vcc, s[36:37], v[38:39]
	v_mov_b32_e32 v37, v25
	s_and_b64 s[18:19], vcc, s[18:19]
	v_cmp_gt_u64_e32 vcc, s[36:37], v[36:37]
	v_mov_b32_e32 v35, v25
	;; [unrolled: 3-line block ×3, first 2 shown]
	s_load_dwordx2 s[28:29], s[28:29], 0x0
	s_and_b64 s[14:15], vcc, s[14:15]
	v_cmp_gt_u64_e32 vcc, s[36:37], v[32:33]
	v_mov_b32_e32 v31, v25
	s_and_b64 s[12:13], vcc, s[12:13]
	v_cmp_gt_u64_e32 vcc, s[36:37], v[30:31]
	v_mov_b32_e32 v29, v25
	;; [unrolled: 3-line block ×3, first 2 shown]
	s_and_b64 s[8:9], vcc, s[8:9]
	v_cmp_gt_u64_e32 vcc, s[36:37], v[26:27]
	v_or_b32_e32 v40, 1, v22
	v_mov_b32_e32 v41, v25
	s_and_b64 s[22:23], vcc, s[22:23]
	v_cmp_gt_u64_e32 vcc, s[36:37], v[40:41]
	v_lshlrev_b32_e32 v1, 3, v0
	s_and_b64 s[0:1], vcc, s[0:1]
	s_waitcnt lgkmcnt(0)
	v_pk_mov_b32 v[40:41], s[28:29], s[28:29] op_sel:[0,1]
	ds_write_b64 v1, v[8:9]
	s_waitcnt lgkmcnt(0)
	s_barrier
	s_and_saveexec_b64 s[28:29], s[2:3]
	s_cbranch_execz .LBB513_40
; %bb.39:
	v_add_u32_e32 v1, -8, v1
	ds_read_b64 v[40:41], v1
.LBB513_40:
	s_or_b64 exec, exec, s[28:29]
	v_mov_b32_e32 v23, v25
	v_cndmask_b32_e64 v61, 0, 1, s[0:1]
	v_cmp_gt_u64_e32 vcc, s[36:37], v[22:23]
	s_waitcnt lgkmcnt(0)
	v_cmp_ne_u64_e64 s[0:1], v[40:41], v[18:19]
	v_cndmask_b32_e64 v1, 0, 1, s[20:21]
	v_cndmask_b32_e64 v54, 0, 1, s[18:19]
	;; [unrolled: 1-line block ×8, first 2 shown]
	s_and_b64 s[0:1], vcc, s[0:1]
	s_mov_b64 s[30:31], -1
.LBB513_41:
                                        ; implicit-def: $sgpr7
	v_mov_b32_e32 v62, s7
	s_and_saveexec_b64 s[2:3], s[30:31]
	s_cbranch_execnz .LBB513_46
	s_branch .LBB513_47
.LBB513_42:
                                        ; implicit-def: $sgpr0_sgpr1
                                        ; implicit-def: $vgpr1
                                        ; implicit-def: $vgpr54
                                        ; implicit-def: $vgpr55
                                        ; implicit-def: $vgpr56
                                        ; implicit-def: $vgpr57
                                        ; implicit-def: $vgpr58
                                        ; implicit-def: $vgpr59
                                        ; implicit-def: $vgpr60
                                        ; implicit-def: $vgpr61
	s_cbranch_execz .LBB513_41
; %bb.43:
	v_mov_b32_e32 v25, 0
	v_cmp_gt_u64_e32 vcc, s[36:37], v[24:25]
	v_cmp_ne_u64_e64 s[0:1], v[6:7], v[8:9]
	s_and_b64 s[0:1], vcc, s[0:1]
	v_mov_b32_e32 v39, v25
	v_cndmask_b32_e64 v1, 0, 1, s[0:1]
	v_cmp_gt_u64_e32 vcc, s[36:37], v[38:39]
	v_cmp_ne_u64_e64 s[0:1], v[4:5], v[6:7]
	s_and_b64 s[0:1], vcc, s[0:1]
	v_mov_b32_e32 v37, v25
	v_cndmask_b32_e64 v54, 0, 1, s[0:1]
	;; [unrolled: 5-line block ×7, first 2 shown]
	v_cmp_gt_u64_e32 vcc, s[36:37], v[26:27]
	v_cmp_ne_u64_e64 s[0:1], v[20:21], v[14:15]
	s_and_b64 s[0:1], vcc, s[0:1]
	v_or_b32_e32 v24, 1, v22
	v_cndmask_b32_e64 v60, 0, 1, s[0:1]
	v_cmp_gt_u64_e32 vcc, s[36:37], v[24:25]
	v_cmp_ne_u64_e64 s[0:1], v[18:19], v[20:21]
	s_and_b64 s[0:1], vcc, s[0:1]
	v_lshlrev_b32_e32 v23, 3, v0
	s_mov_b32 s7, 1
	v_cndmask_b32_e64 v61, 0, 1, s[0:1]
	v_cmp_ne_u32_e32 vcc, 0, v0
	ds_write_b64 v23, v[8:9]
	s_waitcnt lgkmcnt(0)
	s_barrier
	s_waitcnt lgkmcnt(0)
                                        ; implicit-def: $sgpr0_sgpr1
	s_and_saveexec_b64 s[2:3], vcc
	s_cbranch_execz .LBB513_126
; %bb.44:
	v_add_u32_e32 v23, -8, v23
	ds_read_b64 v[26:27], v23
	v_mov_b32_e32 v23, v25
	v_cmp_gt_u64_e32 vcc, s[36:37], v[22:23]
	s_or_b64 s[30:31], s[30:31], exec
	s_waitcnt lgkmcnt(0)
	v_cmp_ne_u64_e64 s[0:1], v[26:27], v[18:19]
	s_and_b64 s[0:1], vcc, s[0:1]
	s_and_b64 s[0:1], s[0:1], exec
	s_or_b64 exec, exec, s[2:3]
.LBB513_45:
	v_mov_b32_e32 v62, s7
	s_and_saveexec_b64 s[2:3], s[30:31]
.LBB513_46:
	v_cndmask_b32_e64 v62, 0, 1, s[0:1]
.LBB513_47:
	s_or_b64 exec, exec, s[2:3]
	s_load_dwordx4 s[28:31], s[4:5], 0x20
	s_load_dwordx2 s[22:23], s[4:5], 0x30
	s_cmp_eq_u64 s[26:27], 0
	v_add_u32_e32 v22, v61, v62
	s_cselect_b64 s[26:27], -1, 0
	s_cmp_lg_u32 s6, 0
	v_cmp_eq_u32_e64 s[14:15], 0, v61
	v_cmp_eq_u32_e64 s[12:13], 0, v60
	v_add3_u32 v53, v22, v60, v59
	v_cmp_eq_u32_e64 s[10:11], 0, v59
	v_cmp_eq_u32_e64 s[8:9], 0, v58
	;; [unrolled: 1-line block ×6, first 2 shown]
	v_cmp_eq_u32_e32 vcc, 0, v1
	v_mbcnt_lo_u32_b32 v52, -1, 0
	v_lshrrev_b32_e32 v50, 6, v0
	v_or_b32_e32 v51, 63, v0
	s_cbranch_scc0 .LBB513_74
; %bb.48:
	v_cndmask_b32_e64 v22, 0, v48, s[14:15]
	v_add_u32_e32 v22, v22, v48
	v_cndmask_b32_e64 v22, 0, v22, s[12:13]
	v_add_u32_e32 v22, v22, v48
	v_cndmask_b32_e64 v22, 0, v22, s[10:11]
	v_add_u32_e32 v22, v22, v48
	v_cndmask_b32_e64 v22, 0, v22, s[8:9]
	v_add_u32_e32 v22, v22, v48
	v_cndmask_b32_e64 v22, 0, v22, s[18:19]
	v_add_u32_e32 v22, v22, v48
	v_cndmask_b32_e64 v22, 0, v22, s[4:5]
	v_add_u32_e32 v22, v22, v48
	v_cndmask_b32_e64 v22, 0, v22, s[2:3]
	v_add_u32_e32 v22, v22, v48
	v_cndmask_b32_e64 v22, 0, v22, s[0:1]
	v_add3_u32 v23, v53, v58, v57
	v_add_u32_e32 v22, v22, v48
	v_add3_u32 v23, v23, v56, v55
	v_cndmask_b32_e32 v22, 0, v22, vcc
	v_add3_u32 v23, v23, v54, v1
	v_add_u32_e32 v22, v22, v49
	v_mbcnt_hi_u32_b32 v31, -1, v52
	v_and_b32_e32 v24, 15, v31
	v_mov_b32_dpp v26, v22 row_shr:1 row_mask:0xf bank_mask:0xf
	v_cmp_eq_u32_e32 vcc, 0, v23
	v_mov_b32_dpp v25, v23 row_shr:1 row_mask:0xf bank_mask:0xf
	v_cndmask_b32_e32 v26, 0, v26, vcc
	v_cmp_eq_u32_e32 vcc, 0, v24
	v_cndmask_b32_e64 v25, v25, 0, vcc
	v_add_u32_e32 v23, v25, v23
	v_cndmask_b32_e64 v25, v26, 0, vcc
	v_add_u32_e32 v22, v25, v22
	v_cmp_eq_u32_e32 vcc, 0, v23
	v_mov_b32_dpp v25, v23 row_shr:2 row_mask:0xf bank_mask:0xf
	v_cmp_lt_u32_e64 s[16:17], 1, v24
	v_mov_b32_dpp v26, v22 row_shr:2 row_mask:0xf bank_mask:0xf
	v_cndmask_b32_e64 v25, 0, v25, s[16:17]
	s_and_b64 vcc, s[16:17], vcc
	v_cndmask_b32_e32 v26, 0, v26, vcc
	v_add_u32_e32 v23, v23, v25
	v_add_u32_e32 v22, v26, v22
	v_cmp_eq_u32_e32 vcc, 0, v23
	v_mov_b32_dpp v25, v23 row_shr:4 row_mask:0xf bank_mask:0xf
	v_cmp_lt_u32_e64 s[16:17], 3, v24
	v_mov_b32_dpp v26, v22 row_shr:4 row_mask:0xf bank_mask:0xf
	v_cndmask_b32_e64 v25, 0, v25, s[16:17]
	s_and_b64 vcc, s[16:17], vcc
	v_cndmask_b32_e32 v26, 0, v26, vcc
	v_add_u32_e32 v23, v25, v23
	v_add_u32_e32 v22, v22, v26
	v_cmp_eq_u32_e32 vcc, 0, v23
	v_cmp_lt_u32_e64 s[16:17], 7, v24
	v_mov_b32_dpp v25, v23 row_shr:8 row_mask:0xf bank_mask:0xf
	v_mov_b32_dpp v26, v22 row_shr:8 row_mask:0xf bank_mask:0xf
	s_and_b64 vcc, s[16:17], vcc
	v_cndmask_b32_e64 v24, 0, v25, s[16:17]
	v_cndmask_b32_e32 v25, 0, v26, vcc
	v_add_u32_e32 v22, v25, v22
	v_add_u32_e32 v23, v24, v23
	v_bfe_i32 v26, v31, 4, 1
	v_mov_b32_dpp v25, v22 row_bcast:15 row_mask:0xf bank_mask:0xf
	v_mov_b32_dpp v24, v23 row_bcast:15 row_mask:0xf bank_mask:0xf
	v_cmp_eq_u32_e32 vcc, 0, v23
	v_cndmask_b32_e32 v25, 0, v25, vcc
	v_and_b32_e32 v24, v26, v24
	v_add_u32_e32 v23, v24, v23
	v_and_b32_e32 v24, v26, v25
	v_add_u32_e32 v24, v24, v22
	v_mov_b32_dpp v22, v23 row_bcast:31 row_mask:0xf bank_mask:0xf
	v_cmp_eq_u32_e32 vcc, 0, v23
	v_cmp_lt_u32_e64 s[16:17], 31, v31
	v_mov_b32_dpp v25, v24 row_bcast:31 row_mask:0xf bank_mask:0xf
	v_cndmask_b32_e64 v22, 0, v22, s[16:17]
	s_and_b64 vcc, s[16:17], vcc
	v_add_u32_e32 v22, v22, v23
	v_cndmask_b32_e32 v23, 0, v25, vcc
	v_add_u32_e32 v23, v23, v24
	v_cmp_eq_u32_e32 vcc, v51, v0
	v_lshlrev_b32_e32 v24, 3, v50
	s_and_saveexec_b64 s[16:17], vcc
	s_cbranch_execz .LBB513_50
; %bb.49:
	ds_write_b64 v24, v[22:23] offset:4112
.LBB513_50:
	s_or_b64 exec, exec, s[16:17]
	v_cmp_gt_u32_e32 vcc, 4, v0
	s_waitcnt lgkmcnt(0)
	s_barrier
	s_and_saveexec_b64 s[20:21], vcc
	s_cbranch_execz .LBB513_52
; %bb.51:
	v_lshlrev_b32_e32 v25, 3, v0
	ds_read_b64 v[26:27], v25 offset:4112
	v_and_b32_e32 v28, 3, v31
	v_cmp_lt_u32_e64 s[16:17], 1, v28
	s_waitcnt lgkmcnt(0)
	v_mov_b32_dpp v30, v27 row_shr:1 row_mask:0xf bank_mask:0xf
	v_cmp_eq_u32_e32 vcc, 0, v26
	v_mov_b32_dpp v29, v26 row_shr:1 row_mask:0xf bank_mask:0xf
	v_cndmask_b32_e32 v30, 0, v30, vcc
	v_cmp_eq_u32_e32 vcc, 0, v28
	v_cndmask_b32_e64 v29, v29, 0, vcc
	v_add_u32_e32 v26, v29, v26
	v_cndmask_b32_e64 v29, v30, 0, vcc
	v_add_u32_e32 v27, v29, v27
	v_cmp_eq_u32_e32 vcc, 0, v26
	v_mov_b32_dpp v29, v26 row_shr:2 row_mask:0xf bank_mask:0xf
	v_mov_b32_dpp v30, v27 row_shr:2 row_mask:0xf bank_mask:0xf
	v_cndmask_b32_e64 v28, 0, v29, s[16:17]
	s_and_b64 vcc, s[16:17], vcc
	v_add_u32_e32 v26, v28, v26
	v_cndmask_b32_e32 v28, 0, v30, vcc
	v_add_u32_e32 v27, v28, v27
	ds_write_b64 v25, v[26:27] offset:4112
.LBB513_52:
	s_or_b64 exec, exec, s[20:21]
	v_cmp_gt_u32_e32 vcc, 64, v0
	v_cmp_lt_u32_e64 s[16:17], 63, v0
	v_mov_b32_e32 v28, 0
	v_mov_b32_e32 v29, 0
	s_waitcnt lgkmcnt(0)
	s_barrier
	s_and_saveexec_b64 s[20:21], s[16:17]
	s_cbranch_execz .LBB513_54
; %bb.53:
	ds_read_b64 v[28:29], v24 offset:4104
	v_cmp_eq_u32_e64 s[16:17], 0, v22
	s_waitcnt lgkmcnt(0)
	v_add_u32_e32 v24, v28, v22
	v_cndmask_b32_e64 v22, 0, v29, s[16:17]
	v_add_u32_e32 v23, v22, v23
	v_mov_b32_e32 v22, v24
.LBB513_54:
	s_or_b64 exec, exec, s[20:21]
	v_add_u32_e32 v24, -1, v31
	v_and_b32_e32 v25, 64, v31
	v_cmp_lt_i32_e64 s[16:17], v24, v25
	v_cndmask_b32_e64 v24, v24, v31, s[16:17]
	v_lshlrev_b32_e32 v24, 2, v24
	ds_bpermute_b32 v36, v24, v22
	ds_bpermute_b32 v37, v24, v23
	v_cmp_eq_u32_e64 s[16:17], 0, v31
	s_and_saveexec_b64 s[36:37], vcc
	s_cbranch_execz .LBB513_73
; %bb.55:
	v_mov_b32_e32 v27, 0
	ds_read_b64 v[22:23], v27 offset:4136
	s_waitcnt lgkmcnt(0)
	v_readfirstlane_b32 s7, v22
	v_readfirstlane_b32 s46, v23
	s_and_saveexec_b64 s[20:21], s[16:17]
	s_cbranch_execz .LBB513_57
; %bb.56:
	s_add_i32 s44, s6, 64
	s_mov_b32 s45, 0
	s_lshl_b64 s[48:49], s[44:45], 4
	s_add_u32 s48, s24, s48
	s_addc_u32 s49, s25, s49
	s_and_b32 s51, s46, 0xff000000
	s_mov_b32 s50, s45
	s_and_b32 s53, s46, 0xff0000
	s_mov_b32 s52, s45
	s_or_b64 s[50:51], s[52:53], s[50:51]
	s_and_b32 s53, s46, 0xff00
	s_or_b64 s[50:51], s[50:51], s[52:53]
	s_and_b32 s53, s46, 0xff
	s_or_b64 s[44:45], s[50:51], s[52:53]
	v_mov_b32_e32 v24, s7
	v_mov_b32_e32 v25, s45
	;; [unrolled: 1-line block ×3, first 2 shown]
	v_pk_mov_b32 v[22:23], s[48:49], s[48:49] op_sel:[0,1]
	;;#ASMSTART
	global_store_dwordx4 v[22:23], v[24:27] off	
s_waitcnt vmcnt(0)
	;;#ASMEND
.LBB513_57:
	s_or_b64 exec, exec, s[20:21]
	v_xad_u32 v30, v31, -1, s6
	v_add_u32_e32 v26, 64, v30
	v_lshlrev_b64 v[22:23], 4, v[26:27]
	v_mov_b32_e32 v24, s25
	v_add_co_u32_e32 v32, vcc, s24, v22
	v_addc_co_u32_e32 v33, vcc, v24, v23, vcc
	;;#ASMSTART
	global_load_dwordx4 v[22:25], v[32:33] off glc	
s_waitcnt vmcnt(0)
	;;#ASMEND
	v_and_b32_e32 v25, 0xff, v23
	v_and_b32_e32 v26, 0xff00, v23
	v_or3_b32 v25, 0, v25, v26
	v_or3_b32 v22, v22, 0, 0
	v_and_b32_e32 v26, 0xff000000, v23
	v_and_b32_e32 v23, 0xff0000, v23
	v_or3_b32 v23, v25, v23, v26
	v_or3_b32 v22, v22, 0, 0
	v_cmp_eq_u16_sdwa s[44:45], v24, v27 src0_sel:BYTE_0 src1_sel:DWORD
	s_and_saveexec_b64 s[20:21], s[44:45]
	s_cbranch_execz .LBB513_61
; %bb.58:
	s_mov_b64 s[44:45], 0
	v_mov_b32_e32 v26, 0
.LBB513_59:                             ; =>This Inner Loop Header: Depth=1
	;;#ASMSTART
	global_load_dwordx4 v[22:25], v[32:33] off glc	
s_waitcnt vmcnt(0)
	;;#ASMEND
	v_cmp_ne_u16_sdwa s[48:49], v24, v26 src0_sel:BYTE_0 src1_sel:DWORD
	s_or_b64 s[44:45], s[48:49], s[44:45]
	s_andn2_b64 exec, exec, s[44:45]
	s_cbranch_execnz .LBB513_59
; %bb.60:
	s_or_b64 exec, exec, s[44:45]
.LBB513_61:
	s_or_b64 exec, exec, s[20:21]
	v_mov_b32_e32 v38, 2
	v_cmp_eq_u16_sdwa s[20:21], v24, v38 src0_sel:BYTE_0 src1_sel:DWORD
	v_lshlrev_b64 v[32:33], v31, -1
	v_and_b32_e32 v25, s21, v33
	v_and_b32_e32 v39, 63, v31
	v_or_b32_e32 v25, 0x80000000, v25
	v_cmp_ne_u32_e32 vcc, 63, v39
	v_and_b32_e32 v26, s20, v32
	v_ffbl_b32_e32 v25, v25
	v_addc_co_u32_e32 v27, vcc, 0, v31, vcc
	v_add_u32_e32 v25, 32, v25
	v_ffbl_b32_e32 v26, v26
	v_lshlrev_b32_e32 v40, 2, v27
	v_min_u32_e32 v25, v26, v25
	ds_bpermute_b32 v26, v40, v23
	v_cmp_eq_u32_e32 vcc, 0, v22
	v_cmp_lt_u32_e64 s[20:21], v39, v25
	ds_bpermute_b32 v27, v40, v22
	s_and_b64 vcc, s[20:21], vcc
	s_waitcnt lgkmcnt(1)
	v_cndmask_b32_e32 v26, 0, v26, vcc
	v_cmp_gt_u32_e32 vcc, 62, v39
	v_add_u32_e32 v23, v26, v23
	v_cndmask_b32_e64 v26, 0, 1, vcc
	v_lshlrev_b32_e32 v26, 1, v26
	v_add_lshl_u32 v41, v26, v31, 2
	s_waitcnt lgkmcnt(0)
	v_cndmask_b32_e64 v27, 0, v27, s[20:21]
	ds_bpermute_b32 v26, v41, v23
	v_add_u32_e32 v22, v27, v22
	ds_bpermute_b32 v27, v41, v22
	v_add_u32_e32 v42, 2, v39
	v_cmp_eq_u32_e32 vcc, 0, v22
	s_waitcnt lgkmcnt(1)
	v_cndmask_b32_e32 v26, 0, v26, vcc
	v_cmp_gt_u32_e32 vcc, v42, v25
	v_cndmask_b32_e64 v26, v26, 0, vcc
	v_add_u32_e32 v23, v26, v23
	s_waitcnt lgkmcnt(0)
	v_cndmask_b32_e64 v26, v27, 0, vcc
	v_cmp_gt_u32_e32 vcc, 60, v39
	v_cndmask_b32_e64 v27, 0, 1, vcc
	v_lshlrev_b32_e32 v27, 2, v27
	v_add_lshl_u32 v43, v27, v31, 2
	ds_bpermute_b32 v27, v43, v23
	v_add_u32_e32 v22, v22, v26
	ds_bpermute_b32 v26, v43, v22
	v_add_u32_e32 v44, 4, v39
	v_cmp_eq_u32_e32 vcc, 0, v22
	s_waitcnt lgkmcnt(1)
	v_cndmask_b32_e32 v27, 0, v27, vcc
	v_cmp_gt_u32_e32 vcc, v44, v25
	v_cndmask_b32_e64 v27, v27, 0, vcc
	s_waitcnt lgkmcnt(0)
	v_cndmask_b32_e64 v26, v26, 0, vcc
	v_cmp_gt_u32_e32 vcc, 56, v39
	v_add_u32_e32 v23, v23, v27
	v_cndmask_b32_e64 v27, 0, 1, vcc
	v_lshlrev_b32_e32 v27, 3, v27
	v_add_lshl_u32 v45, v27, v31, 2
	ds_bpermute_b32 v27, v45, v23
	v_add_u32_e32 v22, v22, v26
	ds_bpermute_b32 v26, v45, v22
	v_add_u32_e32 v46, 8, v39
	v_cmp_eq_u32_e32 vcc, 0, v22
	s_waitcnt lgkmcnt(1)
	v_cndmask_b32_e32 v27, 0, v27, vcc
	v_cmp_gt_u32_e32 vcc, v46, v25
	v_cndmask_b32_e64 v27, v27, 0, vcc
	s_waitcnt lgkmcnt(0)
	v_cndmask_b32_e64 v26, v26, 0, vcc
	v_cmp_gt_u32_e32 vcc, 48, v39
	v_add_u32_e32 v23, v23, v27
	;; [unrolled: 16-line block ×3, first 2 shown]
	v_cndmask_b32_e64 v27, 0, 1, vcc
	v_lshlrev_b32_e32 v27, 5, v27
	v_add_lshl_u32 v64, v27, v31, 2
	ds_bpermute_b32 v27, v64, v23
	v_add_u32_e32 v22, v22, v26
	ds_bpermute_b32 v26, v64, v22
	v_add_u32_e32 v65, 32, v39
	v_cmp_eq_u32_e32 vcc, 0, v22
	s_waitcnt lgkmcnt(1)
	v_cndmask_b32_e32 v27, 0, v27, vcc
	v_cmp_gt_u32_e32 vcc, v65, v25
	v_cndmask_b32_e64 v25, v27, 0, vcc
	v_add_u32_e32 v23, v25, v23
	s_waitcnt lgkmcnt(0)
	v_cndmask_b32_e64 v25, v26, 0, vcc
	v_add_u32_e32 v22, v25, v22
	v_mov_b32_e32 v31, 0
	s_branch .LBB513_63
.LBB513_62:                             ;   in Loop: Header=BB513_63 Depth=1
	s_or_b64 exec, exec, s[20:21]
	v_cmp_eq_u16_sdwa s[20:21], v24, v38 src0_sel:BYTE_0 src1_sel:DWORD
	v_and_b32_e32 v25, s21, v33
	v_or_b32_e32 v25, 0x80000000, v25
	v_and_b32_e32 v34, s20, v32
	v_ffbl_b32_e32 v25, v25
	v_add_u32_e32 v25, 32, v25
	v_ffbl_b32_e32 v34, v34
	v_min_u32_e32 v25, v34, v25
	ds_bpermute_b32 v34, v40, v23
	v_cmp_eq_u32_e32 vcc, 0, v22
	v_cmp_lt_u32_e64 s[20:21], v39, v25
	ds_bpermute_b32 v35, v40, v22
	s_and_b64 vcc, s[20:21], vcc
	s_waitcnt lgkmcnt(1)
	v_cndmask_b32_e32 v34, 0, v34, vcc
	v_add_u32_e32 v23, v34, v23
	ds_bpermute_b32 v34, v41, v23
	s_waitcnt lgkmcnt(1)
	v_cndmask_b32_e64 v35, 0, v35, s[20:21]
	v_add_u32_e32 v22, v35, v22
	v_cmp_eq_u32_e32 vcc, 0, v22
	ds_bpermute_b32 v35, v41, v22
	s_waitcnt lgkmcnt(1)
	v_cndmask_b32_e32 v34, 0, v34, vcc
	v_cmp_gt_u32_e32 vcc, v42, v25
	v_cndmask_b32_e64 v34, v34, 0, vcc
	v_add_u32_e32 v23, v34, v23
	ds_bpermute_b32 v34, v43, v23
	s_waitcnt lgkmcnt(1)
	v_cndmask_b32_e64 v35, v35, 0, vcc
	v_add_u32_e32 v22, v22, v35
	v_cmp_eq_u32_e32 vcc, 0, v22
	ds_bpermute_b32 v35, v43, v22
	s_waitcnt lgkmcnt(1)
	v_cndmask_b32_e32 v34, 0, v34, vcc
	v_cmp_gt_u32_e32 vcc, v44, v25
	v_cndmask_b32_e64 v34, v34, 0, vcc
	v_add_u32_e32 v23, v23, v34
	ds_bpermute_b32 v34, v45, v23
	s_waitcnt lgkmcnt(1)
	v_cndmask_b32_e64 v35, v35, 0, vcc
	v_add_u32_e32 v22, v22, v35
	ds_bpermute_b32 v35, v45, v22
	v_cmp_eq_u32_e32 vcc, 0, v22
	s_waitcnt lgkmcnt(1)
	v_cndmask_b32_e32 v34, 0, v34, vcc
	v_cmp_gt_u32_e32 vcc, v46, v25
	v_cndmask_b32_e64 v34, v34, 0, vcc
	v_add_u32_e32 v23, v23, v34
	ds_bpermute_b32 v34, v47, v23
	s_waitcnt lgkmcnt(1)
	v_cndmask_b32_e64 v35, v35, 0, vcc
	v_add_u32_e32 v22, v22, v35
	ds_bpermute_b32 v35, v47, v22
	v_cmp_eq_u32_e32 vcc, 0, v22
	;; [unrolled: 11-line block ×3, first 2 shown]
	s_waitcnt lgkmcnt(1)
	v_cndmask_b32_e32 v34, 0, v34, vcc
	v_cmp_gt_u32_e32 vcc, v65, v25
	v_cndmask_b32_e64 v25, v34, 0, vcc
	v_add_u32_e32 v23, v25, v23
	s_waitcnt lgkmcnt(0)
	v_cndmask_b32_e64 v25, v35, 0, vcc
	v_cmp_eq_u32_e32 vcc, 0, v26
	v_cndmask_b32_e32 v23, 0, v23, vcc
	v_subrev_u32_e32 v30, 64, v30
	v_add3_u32 v22, v22, v26, v25
	v_add_u32_e32 v23, v23, v27
.LBB513_63:                             ; =>This Loop Header: Depth=1
                                        ;     Child Loop BB513_66 Depth 2
	v_cmp_ne_u16_sdwa s[20:21], v24, v38 src0_sel:BYTE_0 src1_sel:DWORD
	v_mov_b32_e32 v27, v23
	v_cndmask_b32_e64 v23, 0, 1, s[20:21]
	;;#ASMSTART
	;;#ASMEND
	v_cmp_ne_u32_e32 vcc, 0, v23
	s_cmp_lg_u64 vcc, exec
	v_mov_b32_e32 v26, v22
	s_cbranch_scc1 .LBB513_68
; %bb.64:                               ;   in Loop: Header=BB513_63 Depth=1
	v_lshlrev_b64 v[22:23], 4, v[30:31]
	v_mov_b32_e32 v24, s25
	v_add_co_u32_e32 v34, vcc, s24, v22
	v_addc_co_u32_e32 v35, vcc, v24, v23, vcc
	;;#ASMSTART
	global_load_dwordx4 v[22:25], v[34:35] off glc	
s_waitcnt vmcnt(0)
	;;#ASMEND
	v_and_b32_e32 v25, 0xff, v23
	v_and_b32_e32 v66, 0xff00, v23
	v_or3_b32 v25, 0, v25, v66
	v_or3_b32 v22, v22, 0, 0
	v_and_b32_e32 v66, 0xff000000, v23
	v_and_b32_e32 v23, 0xff0000, v23
	v_or3_b32 v23, v25, v23, v66
	v_or3_b32 v22, v22, 0, 0
	v_cmp_eq_u16_sdwa s[44:45], v24, v31 src0_sel:BYTE_0 src1_sel:DWORD
	s_and_saveexec_b64 s[20:21], s[44:45]
	s_cbranch_execz .LBB513_62
; %bb.65:                               ;   in Loop: Header=BB513_63 Depth=1
	s_mov_b64 s[44:45], 0
.LBB513_66:                             ;   Parent Loop BB513_63 Depth=1
                                        ; =>  This Inner Loop Header: Depth=2
	;;#ASMSTART
	global_load_dwordx4 v[22:25], v[34:35] off glc	
s_waitcnt vmcnt(0)
	;;#ASMEND
	v_cmp_ne_u16_sdwa s[48:49], v24, v31 src0_sel:BYTE_0 src1_sel:DWORD
	s_or_b64 s[44:45], s[48:49], s[44:45]
	s_andn2_b64 exec, exec, s[44:45]
	s_cbranch_execnz .LBB513_66
; %bb.67:                               ;   in Loop: Header=BB513_63 Depth=1
	s_or_b64 exec, exec, s[44:45]
	s_branch .LBB513_62
.LBB513_68:                             ;   in Loop: Header=BB513_63 Depth=1
                                        ; implicit-def: $vgpr23
                                        ; implicit-def: $vgpr22
                                        ; implicit-def: $vgpr24
	s_cbranch_execz .LBB513_63
; %bb.69:
	s_and_saveexec_b64 s[20:21], s[16:17]
	s_cbranch_execz .LBB513_71
; %bb.70:
	s_cmp_eq_u32 s7, 0
	s_cselect_b64 vcc, -1, 0
	s_mov_b32 s45, 0
	v_cndmask_b32_e32 v22, 0, v27, vcc
	s_add_i32 s44, s6, 64
	v_add_u32_e32 v22, s46, v22
	s_lshl_b64 s[44:45], s[44:45], 4
	s_add_u32 s44, s24, s44
	v_and_b32_e32 v23, 0xff000000, v22
	v_and_b32_e32 v24, 0xff0000, v22
	s_addc_u32 s45, s25, s45
	v_or_b32_e32 v23, v24, v23
	v_and_b32_e32 v24, 0xff00, v22
	v_and_b32_e32 v22, 0xff, v22
	v_add_u32_e32 v30, s7, v26
	v_mov_b32_e32 v33, 0
	v_or3_b32 v31, v23, v24, v22
	v_mov_b32_e32 v32, 2
	v_pk_mov_b32 v[22:23], s[44:45], s[44:45] op_sel:[0,1]
	;;#ASMSTART
	global_store_dwordx4 v[22:23], v[30:33] off	
s_waitcnt vmcnt(0)
	;;#ASMEND
	v_mov_b32_e32 v24, s7
	v_mov_b32_e32 v25, s46
	ds_write_b128 v33, v[24:27] offset:4096
.LBB513_71:
	s_or_b64 exec, exec, s[20:21]
	v_cmp_eq_u32_e32 vcc, 0, v0
	s_and_b64 exec, exec, vcc
	s_cbranch_execz .LBB513_73
; %bb.72:
	v_mov_b32_e32 v22, 0
	ds_write_b64 v22, v[26:27] offset:4136
.LBB513_73:
	s_or_b64 exec, exec, s[36:37]
	v_mov_b32_e32 v24, 0
	s_waitcnt lgkmcnt(0)
	s_barrier
	ds_read_b64 v[22:23], v24 offset:4136
	v_cndmask_b32_e64 v26, v36, v28, s[16:17]
	v_cmp_eq_u32_e32 vcc, 0, v26
	v_cndmask_b32_e64 v25, v37, v29, s[16:17]
	s_waitcnt lgkmcnt(0)
	v_cndmask_b32_e32 v27, 0, v23, vcc
	v_add_u32_e32 v25, v27, v25
	v_cmp_eq_u32_e32 vcc, 0, v0
	v_cndmask_b32_e32 v47, v25, v23, vcc
	v_cndmask_b32_e64 v23, v26, 0, vcc
	v_cmp_eq_u32_e32 vcc, 0, v62
	v_add_u32_e32 v46, v22, v23
	v_cndmask_b32_e32 v22, 0, v47, vcc
	v_add_u32_e32 v45, v22, v48
	v_cndmask_b32_e64 v22, 0, v45, s[14:15]
	v_add_u32_e32 v43, v22, v48
	v_cndmask_b32_e64 v22, 0, v43, s[12:13]
	;; [unrolled: 2-line block ×5, first 2 shown]
	v_add_u32_e32 v35, v22, v48
	v_add_u32_e32 v44, v46, v62
	v_cndmask_b32_e64 v22, 0, v35, s[4:5]
	v_add_u32_e32 v42, v44, v61
	v_add_u32_e32 v33, v22, v48
	s_barrier
	ds_read_b128 v[22:25], v24 offset:4096
	v_add_u32_e32 v40, v42, v60
	v_add_u32_e32 v38, v40, v59
	;; [unrolled: 1-line block ×4, first 2 shown]
	v_cndmask_b32_e64 v26, 0, v33, s[2:3]
	v_add_u32_e32 v32, v34, v56
	v_add_u32_e32 v29, v26, v48
	s_waitcnt lgkmcnt(0)
	v_cmp_eq_u32_e32 vcc, 0, v22
	v_add_u32_e32 v28, v32, v55
	v_cndmask_b32_e64 v26, 0, v29, s[0:1]
	v_cndmask_b32_e32 v25, 0, v25, vcc
	v_add_u32_e32 v30, v28, v54
	v_add_u32_e32 v31, v26, v48
	;; [unrolled: 1-line block ×3, first 2 shown]
	s_branch .LBB513_86
.LBB513_74:
                                        ; implicit-def: $vgpr22
                                        ; implicit-def: $vgpr26
                                        ; implicit-def: $vgpr30_vgpr31
                                        ; implicit-def: $vgpr28_vgpr29
                                        ; implicit-def: $vgpr32_vgpr33
                                        ; implicit-def: $vgpr34_vgpr35
                                        ; implicit-def: $vgpr46_vgpr47
                                        ; implicit-def: $vgpr44_vgpr45
                                        ; implicit-def: $vgpr42_vgpr43
                                        ; implicit-def: $vgpr40_vgpr41
                                        ; implicit-def: $vgpr38_vgpr39
                                        ; implicit-def: $vgpr36_vgpr37
	s_cbranch_execz .LBB513_86
; %bb.75:
	s_and_b64 s[0:1], s[26:27], exec
	s_cselect_b32 s1, 0, s43
	s_cselect_b32 s0, 0, s42
	s_cmp_eq_u64 s[0:1], 0
	v_mov_b32_e32 v26, v48
	s_cbranch_scc1 .LBB513_77
; %bb.76:
	v_mov_b32_e32 v22, 0
	global_load_dword v26, v22, s[0:1]
.LBB513_77:
	v_cmp_eq_u32_e64 s[0:1], 0, v61
	v_cndmask_b32_e64 v22, 0, v48, s[0:1]
	v_add_u32_e32 v22, v22, v48
	v_cmp_eq_u32_e64 s[2:3], 0, v60
	v_cndmask_b32_e64 v22, 0, v22, s[2:3]
	v_add_u32_e32 v22, v22, v48
	;; [unrolled: 3-line block ×7, first 2 shown]
	v_cmp_eq_u32_e32 vcc, 0, v54
	v_cndmask_b32_e32 v22, 0, v22, vcc
	v_add3_u32 v23, v53, v58, v57
	v_add_u32_e32 v22, v22, v48
	v_cmp_eq_u32_e64 s[14:15], 0, v1
	v_add3_u32 v23, v23, v56, v55
	v_cndmask_b32_e64 v22, 0, v22, s[14:15]
	v_add3_u32 v23, v23, v54, v1
	v_add_u32_e32 v22, v22, v49
	v_mbcnt_hi_u32_b32 v27, -1, v52
	v_and_b32_e32 v24, 15, v27
	v_mov_b32_dpp v28, v22 row_shr:1 row_mask:0xf bank_mask:0xf
	v_cmp_eq_u32_e64 s[14:15], 0, v23
	v_mov_b32_dpp v25, v23 row_shr:1 row_mask:0xf bank_mask:0xf
	v_cndmask_b32_e64 v28, 0, v28, s[14:15]
	v_cmp_eq_u32_e64 s[14:15], 0, v24
	v_cndmask_b32_e64 v25, v25, 0, s[14:15]
	v_add_u32_e32 v23, v25, v23
	v_cndmask_b32_e64 v25, v28, 0, s[14:15]
	v_add_u32_e32 v22, v25, v22
	v_cmp_eq_u32_e64 s[14:15], 0, v23
	v_mov_b32_dpp v25, v23 row_shr:2 row_mask:0xf bank_mask:0xf
	v_cmp_lt_u32_e64 s[16:17], 1, v24
	v_mov_b32_dpp v28, v22 row_shr:2 row_mask:0xf bank_mask:0xf
	v_cndmask_b32_e64 v25, 0, v25, s[16:17]
	s_and_b64 s[14:15], s[16:17], s[14:15]
	v_cndmask_b32_e64 v28, 0, v28, s[14:15]
	v_add_u32_e32 v23, v23, v25
	v_add_u32_e32 v22, v28, v22
	v_cmp_eq_u32_e64 s[14:15], 0, v23
	v_mov_b32_dpp v25, v23 row_shr:4 row_mask:0xf bank_mask:0xf
	v_cmp_lt_u32_e64 s[16:17], 3, v24
	v_mov_b32_dpp v28, v22 row_shr:4 row_mask:0xf bank_mask:0xf
	v_cndmask_b32_e64 v25, 0, v25, s[16:17]
	s_and_b64 s[14:15], s[16:17], s[14:15]
	v_cndmask_b32_e64 v28, 0, v28, s[14:15]
	v_add_u32_e32 v23, v25, v23
	v_add_u32_e32 v22, v22, v28
	v_cmp_eq_u32_e64 s[14:15], 0, v23
	v_cmp_lt_u32_e64 s[16:17], 7, v24
	v_mov_b32_dpp v25, v23 row_shr:8 row_mask:0xf bank_mask:0xf
	v_mov_b32_dpp v28, v22 row_shr:8 row_mask:0xf bank_mask:0xf
	s_and_b64 s[14:15], s[16:17], s[14:15]
	v_cndmask_b32_e64 v24, 0, v25, s[16:17]
	v_cndmask_b32_e64 v25, 0, v28, s[14:15]
	v_add_u32_e32 v22, v25, v22
	v_add_u32_e32 v23, v24, v23
	v_bfe_i32 v28, v27, 4, 1
	v_mov_b32_dpp v25, v22 row_bcast:15 row_mask:0xf bank_mask:0xf
	v_mov_b32_dpp v24, v23 row_bcast:15 row_mask:0xf bank_mask:0xf
	v_cmp_eq_u32_e64 s[14:15], 0, v23
	v_cndmask_b32_e64 v25, 0, v25, s[14:15]
	v_and_b32_e32 v24, v28, v24
	v_add_u32_e32 v23, v24, v23
	v_and_b32_e32 v24, v28, v25
	v_add_u32_e32 v24, v24, v22
	v_mov_b32_dpp v22, v23 row_bcast:31 row_mask:0xf bank_mask:0xf
	v_cmp_eq_u32_e64 s[14:15], 0, v23
	v_cmp_lt_u32_e64 s[16:17], 31, v27
	v_mov_b32_dpp v25, v24 row_bcast:31 row_mask:0xf bank_mask:0xf
	v_cndmask_b32_e64 v22, 0, v22, s[16:17]
	s_and_b64 s[14:15], s[16:17], s[14:15]
	v_add_u32_e32 v22, v22, v23
	v_cndmask_b32_e64 v23, 0, v25, s[14:15]
	v_add_u32_e32 v23, v23, v24
	v_cmp_eq_u32_e64 s[14:15], v51, v0
	v_lshlrev_b32_e32 v25, 3, v50
	s_and_saveexec_b64 s[16:17], s[14:15]
	s_cbranch_execz .LBB513_79
; %bb.78:
	ds_write_b64 v25, v[22:23] offset:4112
.LBB513_79:
	s_or_b64 exec, exec, s[16:17]
	v_cmp_gt_u32_e64 s[14:15], 4, v0
	s_waitcnt lgkmcnt(0)
	s_barrier
	s_and_saveexec_b64 s[18:19], s[14:15]
	s_cbranch_execz .LBB513_81
; %bb.80:
	v_lshlrev_b32_e32 v24, 3, v0
	ds_read_b64 v[28:29], v24 offset:4112
	v_and_b32_e32 v30, 3, v27
	v_cmp_lt_u32_e64 s[16:17], 1, v30
	s_waitcnt lgkmcnt(0)
	v_mov_b32_dpp v32, v29 row_shr:1 row_mask:0xf bank_mask:0xf
	v_cmp_eq_u32_e64 s[14:15], 0, v28
	v_mov_b32_dpp v31, v28 row_shr:1 row_mask:0xf bank_mask:0xf
	v_cndmask_b32_e64 v32, 0, v32, s[14:15]
	v_cmp_eq_u32_e64 s[14:15], 0, v30
	v_cndmask_b32_e64 v31, v31, 0, s[14:15]
	v_add_u32_e32 v28, v31, v28
	v_cndmask_b32_e64 v31, v32, 0, s[14:15]
	v_add_u32_e32 v29, v31, v29
	v_cmp_eq_u32_e64 s[14:15], 0, v28
	v_mov_b32_dpp v31, v28 row_shr:2 row_mask:0xf bank_mask:0xf
	v_mov_b32_dpp v32, v29 row_shr:2 row_mask:0xf bank_mask:0xf
	v_cndmask_b32_e64 v30, 0, v31, s[16:17]
	s_and_b64 s[14:15], s[16:17], s[14:15]
	v_add_u32_e32 v28, v30, v28
	v_cndmask_b32_e64 v30, 0, v32, s[14:15]
	v_add_u32_e32 v29, v30, v29
	ds_write_b64 v24, v[28:29] offset:4112
.LBB513_81:
	s_or_b64 exec, exec, s[18:19]
	v_cmp_lt_u32_e64 s[14:15], 63, v0
	v_mov_b32_e32 v29, 0
	v_mov_b32_e32 v24, 0
	s_waitcnt vmcnt(0)
	v_mov_b32_e32 v28, v26
	s_waitcnt lgkmcnt(0)
	s_barrier
	s_and_saveexec_b64 s[16:17], s[14:15]
	s_cbranch_execz .LBB513_83
; %bb.82:
	ds_read_b64 v[24:25], v25 offset:4104
	s_waitcnt lgkmcnt(0)
	v_cmp_eq_u32_e64 s[14:15], 0, v24
	v_cndmask_b32_e64 v28, 0, v26, s[14:15]
	v_add_u32_e32 v28, v28, v25
.LBB513_83:
	s_or_b64 exec, exec, s[16:17]
	v_cmp_eq_u32_e64 s[14:15], 0, v22
	v_add_u32_e32 v25, v24, v22
	v_cndmask_b32_e64 v22, 0, v28, s[14:15]
	v_add_u32_e32 v22, v22, v23
	v_add_u32_e32 v23, -1, v27
	v_and_b32_e32 v30, 64, v27
	v_cmp_lt_i32_e64 s[14:15], v23, v30
	v_cndmask_b32_e64 v23, v23, v27, s[14:15]
	v_lshlrev_b32_e32 v23, 2, v23
	ds_bpermute_b32 v25, v23, v25
	ds_bpermute_b32 v22, v23, v22
	v_cmp_eq_u32_e64 s[14:15], 0, v27
	v_cmp_eq_u32_e64 s[16:17], 0, v62
	s_waitcnt lgkmcnt(1)
	v_cndmask_b32_e64 v23, v25, v24, s[14:15]
	s_waitcnt lgkmcnt(0)
	v_cndmask_b32_e64 v22, v22, v28, s[14:15]
	v_cmp_eq_u32_e64 s[14:15], 0, v0
	v_cndmask_b32_e64 v47, v22, v26, s[14:15]
	v_cndmask_b32_e64 v22, 0, v47, s[16:17]
	v_add_u32_e32 v45, v22, v48
	v_cndmask_b32_e64 v22, 0, v45, s[0:1]
	v_add_u32_e32 v43, v22, v48
	;; [unrolled: 2-line block ×5, first 2 shown]
	v_cndmask_b32_e64 v22, 0, v37, s[8:9]
	v_cndmask_b32_e64 v46, v23, 0, s[14:15]
	v_add_u32_e32 v35, v22, v48
	v_add_u32_e32 v44, v46, v62
	v_cndmask_b32_e64 v22, 0, v35, s[10:11]
	v_add_u32_e32 v42, v44, v61
	v_add_u32_e32 v33, v22, v48
	ds_read_b64 v[22:23], v29 offset:4136
	v_add_u32_e32 v40, v42, v60
	v_add_u32_e32 v38, v40, v59
	;; [unrolled: 1-line block ×3, first 2 shown]
	v_cndmask_b32_e64 v24, 0, v33, s[12:13]
	v_add_u32_e32 v34, v36, v57
	v_add_u32_e32 v29, v24, v48
	;; [unrolled: 1-line block ×3, first 2 shown]
	v_cndmask_b32_e32 v24, 0, v29, vcc
	s_waitcnt lgkmcnt(0)
	v_cmp_eq_u32_e32 vcc, 0, v22
	v_add_u32_e32 v28, v32, v55
	v_add_u32_e32 v31, v24, v48
	v_cndmask_b32_e32 v24, 0, v26, vcc
	v_add_u32_e32 v30, v28, v54
	v_add_u32_e32 v26, v24, v23
	s_and_saveexec_b64 s[0:1], s[14:15]
	s_cbranch_execz .LBB513_85
; %bb.84:
	s_add_u32 s2, s24, 0x400
	v_and_b32_e32 v23, 0xff000000, v26
	v_and_b32_e32 v24, 0xff0000, v26
	s_addc_u32 s3, s25, 0
	v_or_b32_e32 v23, v24, v23
	v_and_b32_e32 v24, 0xff00, v26
	v_and_b32_e32 v27, 0xff, v26
	v_mov_b32_e32 v25, 0
	v_or3_b32 v23, v23, v24, v27
	v_mov_b32_e32 v24, 2
	v_pk_mov_b32 v[48:49], s[2:3], s[2:3] op_sel:[0,1]
	;;#ASMSTART
	global_store_dwordx4 v[48:49], v[22:25] off	
s_waitcnt vmcnt(0)
	;;#ASMEND
.LBB513_85:
	s_or_b64 exec, exec, s[0:1]
	v_mov_b32_e32 v24, 0
.LBB513_86:
	s_and_b64 s[0:1], s[26:27], exec
	s_cselect_b32 s1, 0, s39
	s_cselect_b32 s0, 0, s38
	s_cmp_eq_u64 s[0:1], 0
	v_pk_mov_b32 v[48:49], 0, 0
	s_waitcnt lgkmcnt(0)
	s_barrier
	s_cbranch_scc1 .LBB513_88
; %bb.87:
	v_mov_b32_e32 v23, 0
	global_load_dwordx2 v[48:49], v23, s[0:1]
.LBB513_88:
	s_waitcnt vmcnt(0)
	v_lshlrev_b64 v[50:51], 3, v[48:49]
	v_mov_b32_e32 v23, s29
	v_add_co_u32_e32 v27, vcc, s28, v50
	v_mov_b32_e32 v25, 0
	v_addc_co_u32_e32 v63, vcc, v23, v51, vcc
	v_lshlrev_b64 v[52:53], 3, v[24:25]
	v_add_co_u32_e32 v23, vcc, v27, v52
	v_addc_co_u32_e32 v25, vcc, v63, v53, vcc
	v_cmp_eq_u32_e32 vcc, 0, v62
	v_cndmask_b32_e64 v27, 1, 2, vcc
	v_cmp_eq_u32_e32 vcc, 0, v61
	v_cndmask_b32_e64 v63, 1, 2, vcc
	v_cmp_eq_u32_e32 vcc, 0, v60
	v_and_b32_e32 v27, v63, v27
	v_cndmask_b32_e64 v63, 1, 2, vcc
	v_cmp_eq_u32_e32 vcc, 0, v59
	v_and_b32_e32 v27, v27, v63
	;; [unrolled: 3-line block ×8, first 2 shown]
	v_cndmask_b32_e64 v63, 1, 2, vcc
	s_movk_i32 s20, 0x100
	v_and_b32_e32 v27, v27, v63
	v_cmp_gt_u32_e32 vcc, s20, v22
	v_cmp_ne_u32_e64 s[18:19], 0, v62
	v_cmp_ne_u32_e64 s[16:17], 0, v61
	;; [unrolled: 1-line block ×10, first 2 shown]
	s_mov_b64 s[24:25], -1
	v_cmp_gt_i16_e64 s[20:21], 2, v27
	s_cbranch_vccz .LBB513_95
; %bb.89:
	s_and_saveexec_b64 s[24:25], s[20:21]
	s_cbranch_execz .LBB513_94
; %bb.90:
	v_cmp_ne_u16_e32 vcc, 1, v27
	s_mov_b64 s[26:27], 0
	s_and_saveexec_b64 s[20:21], vcc
	s_xor_b64 s[20:21], exec, s[20:21]
	s_cbranch_execnz .LBB513_127
; %bb.91:
	s_andn2_saveexec_b64 s[20:21], s[20:21]
	s_cbranch_execnz .LBB513_138
.LBB513_92:
	s_or_b64 exec, exec, s[20:21]
	s_and_b64 exec, exec, s[26:27]
	s_cbranch_execz .LBB513_94
.LBB513_93:
	v_sub_u32_e32 v64, v30, v24
	v_mov_b32_e32 v65, 0
	v_lshlrev_b64 v[64:65], 3, v[64:65]
	v_add_co_u32_e32 v64, vcc, v23, v64
	v_addc_co_u32_e32 v65, vcc, v25, v65, vcc
	global_store_dwordx2 v[64:65], v[8:9], off
.LBB513_94:
	s_or_b64 exec, exec, s[24:25]
	s_mov_b64 s[24:25], 0
.LBB513_95:
	s_and_b64 vcc, exec, s[24:25]
	s_cbranch_vccz .LBB513_105
; %bb.96:
	v_cmp_gt_i16_e32 vcc, 2, v27
	s_and_saveexec_b64 s[20:21], vcc
	s_cbranch_execz .LBB513_101
; %bb.97:
	v_cmp_ne_u16_e32 vcc, 1, v27
	s_mov_b64 s[26:27], 0
	s_and_saveexec_b64 s[24:25], vcc
	s_xor_b64 s[24:25], exec, s[24:25]
	s_cbranch_execnz .LBB513_139
; %bb.98:
	s_andn2_saveexec_b64 s[0:1], s[24:25]
	s_cbranch_execnz .LBB513_150
.LBB513_99:
	s_or_b64 exec, exec, s[0:1]
	s_and_b64 exec, exec, s[26:27]
	s_cbranch_execz .LBB513_101
.LBB513_100:
	v_sub_u32_e32 v2, v30, v24
	v_lshlrev_b32_e32 v2, 3, v2
	ds_write_b64 v2, v[8:9]
.LBB513_101:
	s_or_b64 exec, exec, s[20:21]
	v_cmp_lt_u32_e32 vcc, v0, v22
	s_waitcnt lgkmcnt(0)
	s_barrier
	s_and_saveexec_b64 s[0:1], vcc
	s_cbranch_execz .LBB513_104
; %bb.102:
	v_lshlrev_b32_e32 v4, 3, v0
	s_mov_b64 s[2:3], 0
	v_mov_b32_e32 v3, 0
	v_mov_b32_e32 v2, v0
.LBB513_103:                            ; =>This Inner Loop Header: Depth=1
	ds_read_b64 v[6:7], v4
	v_lshlrev_b64 v[8:9], 3, v[2:3]
	v_add_co_u32_e32 v8, vcc, v23, v8
	v_add_u32_e32 v2, 0x100, v2
	v_addc_co_u32_e32 v9, vcc, v25, v9, vcc
	v_cmp_ge_u32_e32 vcc, v2, v22
	v_add_u32_e32 v4, 0x800, v4
	s_or_b64 s[2:3], vcc, s[2:3]
	s_waitcnt lgkmcnt(0)
	global_store_dwordx2 v[8:9], v[6:7], off
	s_andn2_b64 exec, exec, s[2:3]
	s_cbranch_execnz .LBB513_103
.LBB513_104:
	s_or_b64 exec, exec, s[0:1]
.LBB513_105:
	s_cmpk_lg_i32 s33, 0xa00
	s_cselect_b64 s[0:1], -1, 0
	v_cndmask_b32_e64 v2, 0, 1, s[40:41]
	s_and_b64 s[0:1], s[34:35], s[0:1]
	v_cmp_eq_u32_e32 vcc, 0, v0
	v_sub_u32_e32 v3, v22, v2
	v_cndmask_b32_e64 v4, 0, 1, s[0:1]
	s_and_b64 s[0:1], vcc, s[40:41]
	v_add_u32_e32 v4, v3, v4
	v_cndmask_b32_e64 v3, v62, 0, s[0:1]
	s_mul_hi_u32 s0, s33, 0xcccccccd
	s_lshr_b32 s0, s0, 3
	v_mad_i32_i24 v5, v0, -10, s33
	v_cmp_eq_u32_e32 vcc, s0, v0
	v_cmp_ne_u32_e64 s[0:1], 0, v5
	v_cndmask_b32_e64 v6, 1, v3, s[0:1]
	v_cmp_ne_u32_e64 s[0:1], 1, v5
	v_cndmask_b32_e64 v7, 1, v61, s[0:1]
	;; [unrolled: 2-line block ×10, first 2 shown]
	s_and_b64 vcc, s[34:35], vcc
	v_cndmask_b32_e32 v15, v1, v5, vcc
	v_cndmask_b32_e32 v14, v54, v14, vcc
	v_cndmask_b32_e32 v13, v55, v13, vcc
	v_cndmask_b32_e32 v12, v56, v12, vcc
	v_cndmask_b32_e32 v11, v57, v11, vcc
	v_cndmask_b32_e32 v10, v58, v10, vcc
	v_cndmask_b32_e32 v9, v59, v9, vcc
	v_cndmask_b32_e32 v8, v60, v8, vcc
	v_cndmask_b32_e32 v16, v61, v7, vcc
	v_cndmask_b32_e32 v3, v3, v6, vcc
	v_mov_b32_e32 v1, s31
	v_add_co_u32_e32 v5, vcc, s30, v50
	v_addc_co_u32_e32 v6, vcc, v1, v51, vcc
	v_add_co_u32_e32 v1, vcc, v5, v52
	v_addc_co_u32_e32 v5, vcc, v6, v53, vcc
	v_lshlrev_b32_e32 v6, 3, v2
	v_add_co_u32_e32 v6, vcc, v6, v1
	v_addc_co_u32_e32 v7, vcc, 0, v5, vcc
	v_add_co_u32_e32 v6, vcc, -8, v6
	v_addc_co_u32_e32 v7, vcc, -1, v7, vcc
	v_cmp_eq_u32_e32 vcc, 0, v3
	v_cmp_ne_u32_e64 s[18:19], 0, v3
	v_cndmask_b32_e64 v3, 1, 2, vcc
	v_cmp_eq_u32_e32 vcc, 0, v16
	v_cmp_ne_u32_e64 s[16:17], 0, v16
	v_cndmask_b32_e64 v16, 1, 2, vcc
	v_cmp_eq_u32_e32 vcc, 0, v8
	v_and_b32_e32 v3, v16, v3
	v_cmp_ne_u32_e64 s[14:15], 0, v8
	v_cndmask_b32_e64 v8, 1, 2, vcc
	v_cmp_eq_u32_e32 vcc, 0, v9
	v_and_b32_e32 v3, v3, v8
	v_cndmask_b32_e64 v8, 1, 2, vcc
	v_cmp_eq_u32_e32 vcc, 0, v10
	v_and_b32_e32 v3, v3, v8
	v_cndmask_b32_e64 v8, 1, 2, vcc
	v_cmp_eq_u32_e32 vcc, 0, v11
	v_and_b32_e32 v3, v3, v8
	v_cndmask_b32_e64 v8, 1, 2, vcc
	v_cmp_eq_u32_e32 vcc, 0, v12
	v_and_b32_e32 v3, v3, v8
	v_cndmask_b32_e64 v8, 1, 2, vcc
	v_cmp_eq_u32_e32 vcc, 0, v13
	v_and_b32_e32 v3, v3, v8
	v_cndmask_b32_e64 v8, 1, 2, vcc
	v_cmp_eq_u32_e32 vcc, 0, v14
	v_and_b32_e32 v3, v3, v8
	v_cndmask_b32_e64 v8, 1, 2, vcc
	v_cmp_eq_u32_e32 vcc, 0, v15
	v_and_b32_e32 v3, v3, v8
	v_cndmask_b32_e64 v8, 1, 2, vcc
	s_movk_i32 s20, 0x100
	v_and_b32_e32 v3, v3, v8
	v_cmp_gt_u32_e32 vcc, s20, v4
	v_add_u32_e32 v2, v24, v2
	v_cmp_ne_u32_e64 s[12:13], 0, v9
	v_cmp_ne_u32_e64 s[10:11], 0, v10
	;; [unrolled: 1-line block ×7, first 2 shown]
	s_mov_b64 s[24:25], -1
	v_cmp_gt_i16_e64 s[20:21], 2, v3
	s_barrier
	s_cbranch_vccz .LBB513_112
; %bb.106:
	s_and_saveexec_b64 s[24:25], s[20:21]
	s_cbranch_execz .LBB513_111
; %bb.107:
	v_cmp_ne_u16_e32 vcc, 1, v3
	s_mov_b64 s[26:27], 0
	s_and_saveexec_b64 s[20:21], vcc
	s_xor_b64 s[20:21], exec, s[20:21]
	s_cbranch_execnz .LBB513_151
; %bb.108:
	s_andn2_saveexec_b64 s[20:21], s[20:21]
	s_cbranch_execnz .LBB513_162
.LBB513_109:
	s_or_b64 exec, exec, s[20:21]
	s_and_b64 exec, exec, s[26:27]
	s_cbranch_execz .LBB513_111
.LBB513_110:
	v_mov_b32_e32 v9, 0
	v_sub_u32_e32 v10, v30, v2
	v_mov_b32_e32 v11, v9
	v_lshlrev_b64 v[10:11], 3, v[10:11]
	v_add_co_u32_e32 v10, vcc, v6, v10
	v_mov_b32_e32 v8, v31
	v_addc_co_u32_e32 v11, vcc, v7, v11, vcc
	global_store_dwordx2 v[10:11], v[8:9], off
.LBB513_111:
	s_or_b64 exec, exec, s[24:25]
	s_mov_b64 s[24:25], 0
.LBB513_112:
	s_and_b64 vcc, exec, s[24:25]
	s_cbranch_vccz .LBB513_122
; %bb.113:
	v_cmp_gt_i16_e32 vcc, 2, v3
	s_and_saveexec_b64 s[20:21], vcc
	s_cbranch_execz .LBB513_118
; %bb.114:
	v_cmp_ne_u16_e32 vcc, 1, v3
	s_mov_b64 s[26:27], 0
	s_and_saveexec_b64 s[24:25], vcc
	s_xor_b64 s[24:25], exec, s[24:25]
	s_cbranch_execnz .LBB513_163
; %bb.115:
	s_andn2_saveexec_b64 s[0:1], s[24:25]
	s_cbranch_execnz .LBB513_174
.LBB513_116:
	s_or_b64 exec, exec, s[0:1]
	s_and_b64 exec, exec, s[26:27]
	s_cbranch_execz .LBB513_118
.LBB513_117:
	v_sub_u32_e32 v2, v30, v2
	v_lshlrev_b32_e32 v2, 2, v2
	ds_write_b32 v2, v31
.LBB513_118:
	s_or_b64 exec, exec, s[20:21]
	v_cmp_lt_u32_e32 vcc, v0, v4
	s_waitcnt lgkmcnt(0)
	s_barrier
	s_and_saveexec_b64 s[0:1], vcc
	s_cbranch_execz .LBB513_121
; %bb.119:
	v_lshlrev_b32_e32 v8, 2, v0
	s_mov_b64 s[2:3], 0
	v_mov_b32_e32 v3, 0
	v_mov_b32_e32 v2, v0
.LBB513_120:                            ; =>This Inner Loop Header: Depth=1
	ds_read_b32 v10, v8
	v_lshlrev_b64 v[12:13], 3, v[2:3]
	v_add_co_u32_e32 v12, vcc, v6, v12
	v_add_u32_e32 v2, 0x100, v2
	v_addc_co_u32_e32 v13, vcc, v7, v13, vcc
	v_cmp_ge_u32_e32 vcc, v2, v4
	v_mov_b32_e32 v11, v3
	v_add_u32_e32 v8, 0x400, v8
	s_or_b64 s[2:3], vcc, s[2:3]
	s_waitcnt lgkmcnt(0)
	global_store_dwordx2 v[12:13], v[10:11], off
	s_andn2_b64 exec, exec, s[2:3]
	s_cbranch_execnz .LBB513_120
.LBB513_121:
	s_or_b64 exec, exec, s[0:1]
.LBB513_122:
	s_movk_i32 s0, 0xff
	v_cmp_eq_u32_e32 vcc, s0, v0
	s_and_b64 s[0:1], vcc, s[34:35]
	s_and_saveexec_b64 s[2:3], s[0:1]
	s_cbranch_execz .LBB513_125
; %bb.123:
	v_add_co_u32_e32 v0, vcc, v22, v24
	v_addc_co_u32_e64 v3, s[0:1], 0, 0, vcc
	v_add_co_u32_e32 v2, vcc, v0, v48
	v_mov_b32_e32 v23, 0
	v_addc_co_u32_e32 v3, vcc, v3, v49, vcc
	s_cmpk_lg_i32 s33, 0xa00
	global_store_dwordx2 v23, v[2:3], s[22:23]
	s_cbranch_scc1 .LBB513_125
; %bb.124:
	v_lshlrev_b64 v[2:3], 3, v[22:23]
	v_add_co_u32_e32 v0, vcc, v1, v2
	v_mov_b32_e32 v27, v23
	v_addc_co_u32_e32 v1, vcc, v5, v3, vcc
	global_store_dwordx2 v[0:1], v[26:27], off offset:-8
.LBB513_125:
	s_endpgm
.LBB513_126:
	s_or_b64 exec, exec, s[2:3]
	v_mov_b32_e32 v62, s7
	s_and_saveexec_b64 s[2:3], s[30:31]
	s_cbranch_execnz .LBB513_46
	s_branch .LBB513_47
.LBB513_127:
	s_and_saveexec_b64 s[26:27], s[18:19]
	s_cbranch_execnz .LBB513_175
; %bb.128:
	s_or_b64 exec, exec, s[26:27]
	s_and_saveexec_b64 s[26:27], s[16:17]
	s_cbranch_execnz .LBB513_176
.LBB513_129:
	s_or_b64 exec, exec, s[26:27]
	s_and_saveexec_b64 s[26:27], s[14:15]
	s_cbranch_execnz .LBB513_177
.LBB513_130:
	s_or_b64 exec, exec, s[26:27]
	s_and_saveexec_b64 s[26:27], s[12:13]
	s_cbranch_execnz .LBB513_178
.LBB513_131:
	s_or_b64 exec, exec, s[26:27]
	s_and_saveexec_b64 s[26:27], s[10:11]
	s_cbranch_execnz .LBB513_179
.LBB513_132:
	s_or_b64 exec, exec, s[26:27]
	s_and_saveexec_b64 s[26:27], s[8:9]
	s_cbranch_execnz .LBB513_180
.LBB513_133:
	s_or_b64 exec, exec, s[26:27]
	s_and_saveexec_b64 s[26:27], s[6:7]
	s_cbranch_execnz .LBB513_181
.LBB513_134:
	s_or_b64 exec, exec, s[26:27]
	s_and_saveexec_b64 s[26:27], s[4:5]
	s_cbranch_execnz .LBB513_182
.LBB513_135:
	s_or_b64 exec, exec, s[26:27]
	s_and_saveexec_b64 s[26:27], s[2:3]
	s_cbranch_execz .LBB513_137
.LBB513_136:
	v_sub_u32_e32 v64, v28, v24
	v_mov_b32_e32 v65, 0
	v_lshlrev_b64 v[64:65], 3, v[64:65]
	v_add_co_u32_e32 v64, vcc, v23, v64
	v_addc_co_u32_e32 v65, vcc, v25, v65, vcc
	global_store_dwordx2 v[64:65], v[6:7], off
.LBB513_137:
	s_or_b64 exec, exec, s[26:27]
	s_and_b64 s[26:27], s[0:1], exec
	s_andn2_saveexec_b64 s[20:21], s[20:21]
	s_cbranch_execz .LBB513_92
.LBB513_138:
	v_sub_u32_e32 v64, v46, v24
	v_mov_b32_e32 v65, 0
	v_lshlrev_b64 v[66:67], 3, v[64:65]
	v_add_co_u32_e32 v66, vcc, v23, v66
	v_addc_co_u32_e32 v67, vcc, v25, v67, vcc
	v_sub_u32_e32 v64, v44, v24
	global_store_dwordx2 v[66:67], v[18:19], off
	v_lshlrev_b64 v[66:67], 3, v[64:65]
	v_add_co_u32_e32 v66, vcc, v23, v66
	v_addc_co_u32_e32 v67, vcc, v25, v67, vcc
	v_sub_u32_e32 v64, v42, v24
	global_store_dwordx2 v[66:67], v[20:21], off
	;; [unrolled: 5-line block ×7, first 2 shown]
	v_lshlrev_b64 v[66:67], 3, v[64:65]
	v_add_co_u32_e32 v66, vcc, v23, v66
	v_sub_u32_e32 v64, v28, v24
	v_addc_co_u32_e32 v67, vcc, v25, v67, vcc
	v_lshlrev_b64 v[64:65], 3, v[64:65]
	v_add_co_u32_e32 v64, vcc, v23, v64
	v_addc_co_u32_e32 v65, vcc, v25, v65, vcc
	s_or_b64 s[26:27], s[26:27], exec
	global_store_dwordx2 v[66:67], v[4:5], off
	global_store_dwordx2 v[64:65], v[6:7], off
	s_or_b64 exec, exec, s[20:21]
	s_and_b64 exec, exec, s[26:27]
	s_cbranch_execnz .LBB513_93
	s_branch .LBB513_94
.LBB513_139:
	s_and_saveexec_b64 s[26:27], s[18:19]
	s_cbranch_execnz .LBB513_183
; %bb.140:
	s_or_b64 exec, exec, s[26:27]
	s_and_saveexec_b64 s[18:19], s[16:17]
	s_cbranch_execnz .LBB513_184
.LBB513_141:
	s_or_b64 exec, exec, s[18:19]
	s_and_saveexec_b64 s[16:17], s[14:15]
	s_cbranch_execnz .LBB513_185
.LBB513_142:
	s_or_b64 exec, exec, s[16:17]
	s_and_saveexec_b64 s[14:15], s[12:13]
	s_cbranch_execnz .LBB513_186
.LBB513_143:
	s_or_b64 exec, exec, s[14:15]
	s_and_saveexec_b64 s[12:13], s[10:11]
	s_cbranch_execnz .LBB513_187
.LBB513_144:
	s_or_b64 exec, exec, s[12:13]
	s_and_saveexec_b64 s[10:11], s[8:9]
	s_cbranch_execnz .LBB513_188
.LBB513_145:
	s_or_b64 exec, exec, s[10:11]
	s_and_saveexec_b64 s[8:9], s[6:7]
	s_cbranch_execnz .LBB513_189
.LBB513_146:
	s_or_b64 exec, exec, s[8:9]
	s_and_saveexec_b64 s[6:7], s[4:5]
	s_cbranch_execnz .LBB513_190
.LBB513_147:
	s_or_b64 exec, exec, s[6:7]
	s_and_saveexec_b64 s[4:5], s[2:3]
	s_cbranch_execz .LBB513_149
.LBB513_148:
	v_sub_u32_e32 v2, v28, v24
	v_lshlrev_b32_e32 v2, 3, v2
	ds_write_b64 v2, v[6:7]
.LBB513_149:
	s_or_b64 exec, exec, s[4:5]
	s_and_b64 s[26:27], s[0:1], exec
                                        ; implicit-def: $vgpr4_vgpr5
                                        ; implicit-def: $vgpr12_vgpr13
                                        ; implicit-def: $vgpr16_vgpr17
                                        ; implicit-def: $vgpr20_vgpr21
	s_andn2_saveexec_b64 s[0:1], s[24:25]
	s_cbranch_execz .LBB513_99
.LBB513_150:
	v_sub_u32_e32 v27, v46, v24
	v_lshlrev_b32_e32 v27, 3, v27
	ds_write_b64 v27, v[18:19]
	v_sub_u32_e32 v18, v44, v24
	v_lshlrev_b32_e32 v18, 3, v18
	ds_write_b64 v18, v[20:21]
	v_sub_u32_e32 v18, v42, v24
	v_lshlrev_b32_e32 v18, 3, v18
	ds_write_b64 v18, v[14:15]
	v_sub_u32_e32 v14, v40, v24
	v_lshlrev_b32_e32 v14, 3, v14
	ds_write_b64 v14, v[16:17]
	v_sub_u32_e32 v14, v38, v24
	v_lshlrev_b32_e32 v14, 3, v14
	ds_write_b64 v14, v[10:11]
	v_sub_u32_e32 v10, v36, v24
	v_lshlrev_b32_e32 v10, 3, v10
	ds_write_b64 v10, v[12:13]
	v_sub_u32_e32 v10, v34, v24
	v_lshlrev_b32_e32 v10, 3, v10
	ds_write_b64 v10, v[2:3]
	v_sub_u32_e32 v2, v32, v24
	v_lshlrev_b32_e32 v2, 3, v2
	ds_write_b64 v2, v[4:5]
	v_sub_u32_e32 v2, v28, v24
	v_lshlrev_b32_e32 v2, 3, v2
	s_or_b64 s[26:27], s[26:27], exec
	ds_write_b64 v2, v[6:7]
	s_or_b64 exec, exec, s[0:1]
	s_and_b64 exec, exec, s[26:27]
	s_cbranch_execnz .LBB513_100
	s_branch .LBB513_101
.LBB513_151:
	s_and_saveexec_b64 s[26:27], s[18:19]
	s_cbranch_execnz .LBB513_191
; %bb.152:
	s_or_b64 exec, exec, s[26:27]
	s_and_saveexec_b64 s[26:27], s[16:17]
	s_cbranch_execnz .LBB513_192
.LBB513_153:
	s_or_b64 exec, exec, s[26:27]
	s_and_saveexec_b64 s[26:27], s[14:15]
	s_cbranch_execnz .LBB513_193
.LBB513_154:
	s_or_b64 exec, exec, s[26:27]
	s_and_saveexec_b64 s[26:27], s[12:13]
	s_cbranch_execnz .LBB513_194
.LBB513_155:
	s_or_b64 exec, exec, s[26:27]
	s_and_saveexec_b64 s[26:27], s[10:11]
	s_cbranch_execnz .LBB513_195
.LBB513_156:
	s_or_b64 exec, exec, s[26:27]
	s_and_saveexec_b64 s[26:27], s[8:9]
	s_cbranch_execnz .LBB513_196
.LBB513_157:
	s_or_b64 exec, exec, s[26:27]
	s_and_saveexec_b64 s[26:27], s[6:7]
	s_cbranch_execnz .LBB513_197
.LBB513_158:
	s_or_b64 exec, exec, s[26:27]
	s_and_saveexec_b64 s[26:27], s[4:5]
	s_cbranch_execnz .LBB513_198
.LBB513_159:
	s_or_b64 exec, exec, s[26:27]
	s_and_saveexec_b64 s[26:27], s[2:3]
	s_cbranch_execz .LBB513_161
.LBB513_160:
	v_sub_u32_e32 v8, v28, v2
	v_mov_b32_e32 v9, 0
	v_lshlrev_b64 v[10:11], 3, v[8:9]
	v_add_co_u32_e32 v10, vcc, v6, v10
	v_addc_co_u32_e32 v11, vcc, v7, v11, vcc
	v_mov_b32_e32 v8, v29
	global_store_dwordx2 v[10:11], v[8:9], off
.LBB513_161:
	s_or_b64 exec, exec, s[26:27]
	s_and_b64 s[26:27], s[0:1], exec
	s_andn2_saveexec_b64 s[20:21], s[20:21]
	s_cbranch_execz .LBB513_109
.LBB513_162:
	v_mov_b32_e32 v9, 0
	v_sub_u32_e32 v10, v46, v2
	v_mov_b32_e32 v11, v9
	v_lshlrev_b64 v[10:11], 3, v[10:11]
	v_add_co_u32_e32 v10, vcc, v6, v10
	v_mov_b32_e32 v8, v47
	v_addc_co_u32_e32 v11, vcc, v7, v11, vcc
	global_store_dwordx2 v[10:11], v[8:9], off
	v_sub_u32_e32 v10, v44, v2
	v_mov_b32_e32 v11, v9
	v_lshlrev_b64 v[10:11], 3, v[10:11]
	v_add_co_u32_e32 v10, vcc, v6, v10
	v_mov_b32_e32 v8, v45
	v_addc_co_u32_e32 v11, vcc, v7, v11, vcc
	global_store_dwordx2 v[10:11], v[8:9], off
	;; [unrolled: 7-line block ×8, first 2 shown]
	v_sub_u32_e32 v10, v28, v2
	v_mov_b32_e32 v11, v9
	v_lshlrev_b64 v[10:11], 3, v[10:11]
	v_add_co_u32_e32 v10, vcc, v6, v10
	v_mov_b32_e32 v8, v29
	v_addc_co_u32_e32 v11, vcc, v7, v11, vcc
	s_or_b64 s[26:27], s[26:27], exec
	global_store_dwordx2 v[10:11], v[8:9], off
	s_or_b64 exec, exec, s[20:21]
	s_and_b64 exec, exec, s[26:27]
	s_cbranch_execnz .LBB513_110
	s_branch .LBB513_111
.LBB513_163:
	s_and_saveexec_b64 s[26:27], s[18:19]
	s_cbranch_execnz .LBB513_199
; %bb.164:
	s_or_b64 exec, exec, s[26:27]
	s_and_saveexec_b64 s[18:19], s[16:17]
	s_cbranch_execnz .LBB513_200
.LBB513_165:
	s_or_b64 exec, exec, s[18:19]
	s_and_saveexec_b64 s[16:17], s[14:15]
	s_cbranch_execnz .LBB513_201
.LBB513_166:
	s_or_b64 exec, exec, s[16:17]
	s_and_saveexec_b64 s[14:15], s[12:13]
	s_cbranch_execnz .LBB513_202
.LBB513_167:
	s_or_b64 exec, exec, s[14:15]
	s_and_saveexec_b64 s[12:13], s[10:11]
	s_cbranch_execnz .LBB513_203
.LBB513_168:
	s_or_b64 exec, exec, s[12:13]
	s_and_saveexec_b64 s[10:11], s[8:9]
	s_cbranch_execnz .LBB513_204
.LBB513_169:
	s_or_b64 exec, exec, s[10:11]
	s_and_saveexec_b64 s[8:9], s[6:7]
	s_cbranch_execnz .LBB513_205
.LBB513_170:
	s_or_b64 exec, exec, s[8:9]
	s_and_saveexec_b64 s[6:7], s[4:5]
	s_cbranch_execnz .LBB513_206
.LBB513_171:
	s_or_b64 exec, exec, s[6:7]
	s_and_saveexec_b64 s[4:5], s[2:3]
	s_cbranch_execz .LBB513_173
.LBB513_172:
	v_sub_u32_e32 v3, v28, v2
	v_lshlrev_b32_e32 v3, 2, v3
	ds_write_b32 v3, v29
.LBB513_173:
	s_or_b64 exec, exec, s[4:5]
	s_and_b64 s[26:27], s[0:1], exec
                                        ; implicit-def: $vgpr28_vgpr29
                                        ; implicit-def: $vgpr32_vgpr33
                                        ; implicit-def: $vgpr34_vgpr35
                                        ; implicit-def: $vgpr46_vgpr47
                                        ; implicit-def: $vgpr44_vgpr45
                                        ; implicit-def: $vgpr42_vgpr43
                                        ; implicit-def: $vgpr40_vgpr41
                                        ; implicit-def: $vgpr38_vgpr39
                                        ; implicit-def: $vgpr36_vgpr37
	s_andn2_saveexec_b64 s[0:1], s[24:25]
	s_cbranch_execz .LBB513_116
.LBB513_174:
	v_sub_u32_e32 v3, v46, v2
	v_lshlrev_b32_e32 v3, 2, v3
	ds_write_b32 v3, v47
	v_sub_u32_e32 v3, v44, v2
	v_lshlrev_b32_e32 v3, 2, v3
	ds_write_b32 v3, v45
	;; [unrolled: 3-line block ×8, first 2 shown]
	v_sub_u32_e32 v3, v28, v2
	v_lshlrev_b32_e32 v3, 2, v3
	s_or_b64 s[26:27], s[26:27], exec
	ds_write_b32 v3, v29
	s_or_b64 exec, exec, s[0:1]
	s_and_b64 exec, exec, s[26:27]
	s_cbranch_execnz .LBB513_117
	s_branch .LBB513_118
.LBB513_175:
	v_sub_u32_e32 v64, v46, v24
	v_mov_b32_e32 v65, 0
	v_lshlrev_b64 v[64:65], 3, v[64:65]
	v_add_co_u32_e32 v64, vcc, v23, v64
	v_addc_co_u32_e32 v65, vcc, v25, v65, vcc
	global_store_dwordx2 v[64:65], v[18:19], off
	s_or_b64 exec, exec, s[26:27]
	s_and_saveexec_b64 s[26:27], s[16:17]
	s_cbranch_execz .LBB513_129
.LBB513_176:
	v_sub_u32_e32 v64, v44, v24
	v_mov_b32_e32 v65, 0
	v_lshlrev_b64 v[64:65], 3, v[64:65]
	v_add_co_u32_e32 v64, vcc, v23, v64
	v_addc_co_u32_e32 v65, vcc, v25, v65, vcc
	global_store_dwordx2 v[64:65], v[20:21], off
	s_or_b64 exec, exec, s[26:27]
	s_and_saveexec_b64 s[26:27], s[14:15]
	s_cbranch_execz .LBB513_130
.LBB513_177:
	v_sub_u32_e32 v64, v42, v24
	v_mov_b32_e32 v65, 0
	v_lshlrev_b64 v[64:65], 3, v[64:65]
	v_add_co_u32_e32 v64, vcc, v23, v64
	v_addc_co_u32_e32 v65, vcc, v25, v65, vcc
	global_store_dwordx2 v[64:65], v[14:15], off
	s_or_b64 exec, exec, s[26:27]
	s_and_saveexec_b64 s[26:27], s[12:13]
	s_cbranch_execz .LBB513_131
.LBB513_178:
	v_sub_u32_e32 v64, v40, v24
	v_mov_b32_e32 v65, 0
	v_lshlrev_b64 v[64:65], 3, v[64:65]
	v_add_co_u32_e32 v64, vcc, v23, v64
	v_addc_co_u32_e32 v65, vcc, v25, v65, vcc
	global_store_dwordx2 v[64:65], v[16:17], off
	s_or_b64 exec, exec, s[26:27]
	s_and_saveexec_b64 s[26:27], s[10:11]
	s_cbranch_execz .LBB513_132
.LBB513_179:
	v_sub_u32_e32 v64, v38, v24
	v_mov_b32_e32 v65, 0
	v_lshlrev_b64 v[64:65], 3, v[64:65]
	v_add_co_u32_e32 v64, vcc, v23, v64
	v_addc_co_u32_e32 v65, vcc, v25, v65, vcc
	global_store_dwordx2 v[64:65], v[10:11], off
	s_or_b64 exec, exec, s[26:27]
	s_and_saveexec_b64 s[26:27], s[8:9]
	s_cbranch_execz .LBB513_133
.LBB513_180:
	v_sub_u32_e32 v64, v36, v24
	v_mov_b32_e32 v65, 0
	v_lshlrev_b64 v[64:65], 3, v[64:65]
	v_add_co_u32_e32 v64, vcc, v23, v64
	v_addc_co_u32_e32 v65, vcc, v25, v65, vcc
	global_store_dwordx2 v[64:65], v[12:13], off
	s_or_b64 exec, exec, s[26:27]
	s_and_saveexec_b64 s[26:27], s[6:7]
	s_cbranch_execz .LBB513_134
.LBB513_181:
	v_sub_u32_e32 v64, v34, v24
	v_mov_b32_e32 v65, 0
	v_lshlrev_b64 v[64:65], 3, v[64:65]
	v_add_co_u32_e32 v64, vcc, v23, v64
	v_addc_co_u32_e32 v65, vcc, v25, v65, vcc
	global_store_dwordx2 v[64:65], v[2:3], off
	s_or_b64 exec, exec, s[26:27]
	s_and_saveexec_b64 s[26:27], s[4:5]
	s_cbranch_execz .LBB513_135
.LBB513_182:
	v_sub_u32_e32 v64, v32, v24
	v_mov_b32_e32 v65, 0
	v_lshlrev_b64 v[64:65], 3, v[64:65]
	v_add_co_u32_e32 v64, vcc, v23, v64
	v_addc_co_u32_e32 v65, vcc, v25, v65, vcc
	global_store_dwordx2 v[64:65], v[4:5], off
	s_or_b64 exec, exec, s[26:27]
	s_and_saveexec_b64 s[26:27], s[2:3]
	s_cbranch_execnz .LBB513_136
	s_branch .LBB513_137
.LBB513_183:
	v_sub_u32_e32 v27, v46, v24
	v_lshlrev_b32_e32 v27, 3, v27
	ds_write_b64 v27, v[18:19]
	s_or_b64 exec, exec, s[26:27]
	s_and_saveexec_b64 s[18:19], s[16:17]
	s_cbranch_execz .LBB513_141
.LBB513_184:
	v_sub_u32_e32 v18, v44, v24
	v_lshlrev_b32_e32 v18, 3, v18
	ds_write_b64 v18, v[20:21]
	s_or_b64 exec, exec, s[18:19]
	s_and_saveexec_b64 s[16:17], s[14:15]
	s_cbranch_execz .LBB513_142
.LBB513_185:
	v_sub_u32_e32 v18, v42, v24
	v_lshlrev_b32_e32 v18, 3, v18
	ds_write_b64 v18, v[14:15]
	s_or_b64 exec, exec, s[16:17]
	s_and_saveexec_b64 s[14:15], s[12:13]
	s_cbranch_execz .LBB513_143
.LBB513_186:
	v_sub_u32_e32 v14, v40, v24
	v_lshlrev_b32_e32 v14, 3, v14
	ds_write_b64 v14, v[16:17]
	s_or_b64 exec, exec, s[14:15]
	s_and_saveexec_b64 s[12:13], s[10:11]
	s_cbranch_execz .LBB513_144
.LBB513_187:
	v_sub_u32_e32 v14, v38, v24
	v_lshlrev_b32_e32 v14, 3, v14
	ds_write_b64 v14, v[10:11]
	s_or_b64 exec, exec, s[12:13]
	s_and_saveexec_b64 s[10:11], s[8:9]
	s_cbranch_execz .LBB513_145
.LBB513_188:
	v_sub_u32_e32 v10, v36, v24
	v_lshlrev_b32_e32 v10, 3, v10
	ds_write_b64 v10, v[12:13]
	s_or_b64 exec, exec, s[10:11]
	s_and_saveexec_b64 s[8:9], s[6:7]
	s_cbranch_execz .LBB513_146
.LBB513_189:
	v_sub_u32_e32 v10, v34, v24
	v_lshlrev_b32_e32 v10, 3, v10
	ds_write_b64 v10, v[2:3]
	s_or_b64 exec, exec, s[8:9]
	s_and_saveexec_b64 s[6:7], s[4:5]
	s_cbranch_execz .LBB513_147
.LBB513_190:
	v_sub_u32_e32 v2, v32, v24
	v_lshlrev_b32_e32 v2, 3, v2
	ds_write_b64 v2, v[4:5]
	s_or_b64 exec, exec, s[6:7]
	s_and_saveexec_b64 s[4:5], s[2:3]
	s_cbranch_execnz .LBB513_148
	s_branch .LBB513_149
.LBB513_191:
	v_sub_u32_e32 v8, v46, v2
	v_mov_b32_e32 v9, 0
	v_lshlrev_b64 v[10:11], 3, v[8:9]
	v_add_co_u32_e32 v10, vcc, v6, v10
	v_addc_co_u32_e32 v11, vcc, v7, v11, vcc
	v_mov_b32_e32 v8, v47
	global_store_dwordx2 v[10:11], v[8:9], off
	s_or_b64 exec, exec, s[26:27]
	s_and_saveexec_b64 s[26:27], s[16:17]
	s_cbranch_execz .LBB513_153
.LBB513_192:
	v_sub_u32_e32 v8, v44, v2
	v_mov_b32_e32 v9, 0
	v_lshlrev_b64 v[10:11], 3, v[8:9]
	v_add_co_u32_e32 v10, vcc, v6, v10
	v_addc_co_u32_e32 v11, vcc, v7, v11, vcc
	v_mov_b32_e32 v8, v45
	global_store_dwordx2 v[10:11], v[8:9], off
	s_or_b64 exec, exec, s[26:27]
	s_and_saveexec_b64 s[26:27], s[14:15]
	s_cbranch_execz .LBB513_154
.LBB513_193:
	v_sub_u32_e32 v8, v42, v2
	v_mov_b32_e32 v9, 0
	v_lshlrev_b64 v[10:11], 3, v[8:9]
	v_add_co_u32_e32 v10, vcc, v6, v10
	v_addc_co_u32_e32 v11, vcc, v7, v11, vcc
	v_mov_b32_e32 v8, v43
	global_store_dwordx2 v[10:11], v[8:9], off
	s_or_b64 exec, exec, s[26:27]
	s_and_saveexec_b64 s[26:27], s[12:13]
	s_cbranch_execz .LBB513_155
.LBB513_194:
	v_sub_u32_e32 v8, v40, v2
	v_mov_b32_e32 v9, 0
	v_lshlrev_b64 v[10:11], 3, v[8:9]
	v_add_co_u32_e32 v10, vcc, v6, v10
	v_addc_co_u32_e32 v11, vcc, v7, v11, vcc
	v_mov_b32_e32 v8, v41
	global_store_dwordx2 v[10:11], v[8:9], off
	s_or_b64 exec, exec, s[26:27]
	s_and_saveexec_b64 s[26:27], s[10:11]
	s_cbranch_execz .LBB513_156
.LBB513_195:
	v_sub_u32_e32 v8, v38, v2
	v_mov_b32_e32 v9, 0
	v_lshlrev_b64 v[10:11], 3, v[8:9]
	v_add_co_u32_e32 v10, vcc, v6, v10
	v_addc_co_u32_e32 v11, vcc, v7, v11, vcc
	v_mov_b32_e32 v8, v39
	global_store_dwordx2 v[10:11], v[8:9], off
	s_or_b64 exec, exec, s[26:27]
	s_and_saveexec_b64 s[26:27], s[8:9]
	s_cbranch_execz .LBB513_157
.LBB513_196:
	v_sub_u32_e32 v8, v36, v2
	v_mov_b32_e32 v9, 0
	v_lshlrev_b64 v[10:11], 3, v[8:9]
	v_add_co_u32_e32 v10, vcc, v6, v10
	v_addc_co_u32_e32 v11, vcc, v7, v11, vcc
	v_mov_b32_e32 v8, v37
	global_store_dwordx2 v[10:11], v[8:9], off
	s_or_b64 exec, exec, s[26:27]
	s_and_saveexec_b64 s[26:27], s[6:7]
	s_cbranch_execz .LBB513_158
.LBB513_197:
	v_sub_u32_e32 v8, v34, v2
	v_mov_b32_e32 v9, 0
	v_lshlrev_b64 v[10:11], 3, v[8:9]
	v_add_co_u32_e32 v10, vcc, v6, v10
	v_addc_co_u32_e32 v11, vcc, v7, v11, vcc
	v_mov_b32_e32 v8, v35
	global_store_dwordx2 v[10:11], v[8:9], off
	s_or_b64 exec, exec, s[26:27]
	s_and_saveexec_b64 s[26:27], s[4:5]
	s_cbranch_execz .LBB513_159
.LBB513_198:
	v_sub_u32_e32 v8, v32, v2
	v_mov_b32_e32 v9, 0
	v_lshlrev_b64 v[10:11], 3, v[8:9]
	v_add_co_u32_e32 v10, vcc, v6, v10
	v_addc_co_u32_e32 v11, vcc, v7, v11, vcc
	v_mov_b32_e32 v8, v33
	global_store_dwordx2 v[10:11], v[8:9], off
	s_or_b64 exec, exec, s[26:27]
	s_and_saveexec_b64 s[26:27], s[2:3]
	s_cbranch_execnz .LBB513_160
	s_branch .LBB513_161
.LBB513_199:
	v_sub_u32_e32 v3, v46, v2
	v_lshlrev_b32_e32 v3, 2, v3
	ds_write_b32 v3, v47
	s_or_b64 exec, exec, s[26:27]
	s_and_saveexec_b64 s[18:19], s[16:17]
	s_cbranch_execz .LBB513_165
.LBB513_200:
	v_sub_u32_e32 v3, v44, v2
	v_lshlrev_b32_e32 v3, 2, v3
	ds_write_b32 v3, v45
	s_or_b64 exec, exec, s[18:19]
	s_and_saveexec_b64 s[16:17], s[14:15]
	s_cbranch_execz .LBB513_166
.LBB513_201:
	v_sub_u32_e32 v3, v42, v2
	v_lshlrev_b32_e32 v3, 2, v3
	ds_write_b32 v3, v43
	s_or_b64 exec, exec, s[16:17]
	s_and_saveexec_b64 s[14:15], s[12:13]
	s_cbranch_execz .LBB513_167
.LBB513_202:
	v_sub_u32_e32 v3, v40, v2
	v_lshlrev_b32_e32 v3, 2, v3
	ds_write_b32 v3, v41
	s_or_b64 exec, exec, s[14:15]
	s_and_saveexec_b64 s[12:13], s[10:11]
	s_cbranch_execz .LBB513_168
.LBB513_203:
	v_sub_u32_e32 v3, v38, v2
	v_lshlrev_b32_e32 v3, 2, v3
	ds_write_b32 v3, v39
	s_or_b64 exec, exec, s[12:13]
	s_and_saveexec_b64 s[10:11], s[8:9]
	s_cbranch_execz .LBB513_169
.LBB513_204:
	v_sub_u32_e32 v3, v36, v2
	v_lshlrev_b32_e32 v3, 2, v3
	ds_write_b32 v3, v37
	s_or_b64 exec, exec, s[10:11]
	s_and_saveexec_b64 s[8:9], s[6:7]
	s_cbranch_execz .LBB513_170
.LBB513_205:
	v_sub_u32_e32 v3, v34, v2
	v_lshlrev_b32_e32 v3, 2, v3
	ds_write_b32 v3, v35
	s_or_b64 exec, exec, s[8:9]
	s_and_saveexec_b64 s[6:7], s[4:5]
	s_cbranch_execz .LBB513_171
.LBB513_206:
	v_sub_u32_e32 v3, v32, v2
	v_lshlrev_b32_e32 v3, 2, v3
	ds_write_b32 v3, v33
	s_or_b64 exec, exec, s[6:7]
	s_and_saveexec_b64 s[4:5], s[2:3]
	s_cbranch_execnz .LBB513_172
	s_branch .LBB513_173
	.section	.rodata,"a",@progbits
	.p2align	6, 0x0
	.amdhsa_kernel _ZN7rocprim17ROCPRIM_400000_NS6detail17trampoline_kernelINS0_14default_configENS1_33run_length_encode_config_selectorIljNS0_4plusIjEEEEZZNS1_33reduce_by_key_impl_wrapped_configILNS1_25lookback_scan_determinismE0ES3_S7_PKlNS0_17constant_iteratorIjlEEPlSE_SE_S6_NS0_8equal_toIlEEEE10hipError_tPvRmT2_T3_mT4_T5_T6_T7_T8_P12ihipStream_tbENKUlT_T0_E_clISt17integral_constantIbLb0EESY_EEDaST_SU_EUlST_E_NS1_11comp_targetILNS1_3genE4ELNS1_11target_archE910ELNS1_3gpuE8ELNS1_3repE0EEENS1_30default_config_static_selectorELNS0_4arch9wavefront6targetE1EEEvT1_
		.amdhsa_group_segment_fixed_size 20480
		.amdhsa_private_segment_fixed_size 0
		.amdhsa_kernarg_size 128
		.amdhsa_user_sgpr_count 6
		.amdhsa_user_sgpr_private_segment_buffer 1
		.amdhsa_user_sgpr_dispatch_ptr 0
		.amdhsa_user_sgpr_queue_ptr 0
		.amdhsa_user_sgpr_kernarg_segment_ptr 1
		.amdhsa_user_sgpr_dispatch_id 0
		.amdhsa_user_sgpr_flat_scratch_init 0
		.amdhsa_user_sgpr_kernarg_preload_length 0
		.amdhsa_user_sgpr_kernarg_preload_offset 0
		.amdhsa_user_sgpr_private_segment_size 0
		.amdhsa_uses_dynamic_stack 0
		.amdhsa_system_sgpr_private_segment_wavefront_offset 0
		.amdhsa_system_sgpr_workgroup_id_x 1
		.amdhsa_system_sgpr_workgroup_id_y 0
		.amdhsa_system_sgpr_workgroup_id_z 0
		.amdhsa_system_sgpr_workgroup_info 0
		.amdhsa_system_vgpr_workitem_id 0
		.amdhsa_next_free_vgpr 68
		.amdhsa_next_free_sgpr 54
		.amdhsa_accum_offset 68
		.amdhsa_reserve_vcc 1
		.amdhsa_reserve_flat_scratch 0
		.amdhsa_float_round_mode_32 0
		.amdhsa_float_round_mode_16_64 0
		.amdhsa_float_denorm_mode_32 3
		.amdhsa_float_denorm_mode_16_64 3
		.amdhsa_dx10_clamp 1
		.amdhsa_ieee_mode 1
		.amdhsa_fp16_overflow 0
		.amdhsa_tg_split 0
		.amdhsa_exception_fp_ieee_invalid_op 0
		.amdhsa_exception_fp_denorm_src 0
		.amdhsa_exception_fp_ieee_div_zero 0
		.amdhsa_exception_fp_ieee_overflow 0
		.amdhsa_exception_fp_ieee_underflow 0
		.amdhsa_exception_fp_ieee_inexact 0
		.amdhsa_exception_int_div_zero 0
	.end_amdhsa_kernel
	.section	.text._ZN7rocprim17ROCPRIM_400000_NS6detail17trampoline_kernelINS0_14default_configENS1_33run_length_encode_config_selectorIljNS0_4plusIjEEEEZZNS1_33reduce_by_key_impl_wrapped_configILNS1_25lookback_scan_determinismE0ES3_S7_PKlNS0_17constant_iteratorIjlEEPlSE_SE_S6_NS0_8equal_toIlEEEE10hipError_tPvRmT2_T3_mT4_T5_T6_T7_T8_P12ihipStream_tbENKUlT_T0_E_clISt17integral_constantIbLb0EESY_EEDaST_SU_EUlST_E_NS1_11comp_targetILNS1_3genE4ELNS1_11target_archE910ELNS1_3gpuE8ELNS1_3repE0EEENS1_30default_config_static_selectorELNS0_4arch9wavefront6targetE1EEEvT1_,"axG",@progbits,_ZN7rocprim17ROCPRIM_400000_NS6detail17trampoline_kernelINS0_14default_configENS1_33run_length_encode_config_selectorIljNS0_4plusIjEEEEZZNS1_33reduce_by_key_impl_wrapped_configILNS1_25lookback_scan_determinismE0ES3_S7_PKlNS0_17constant_iteratorIjlEEPlSE_SE_S6_NS0_8equal_toIlEEEE10hipError_tPvRmT2_T3_mT4_T5_T6_T7_T8_P12ihipStream_tbENKUlT_T0_E_clISt17integral_constantIbLb0EESY_EEDaST_SU_EUlST_E_NS1_11comp_targetILNS1_3genE4ELNS1_11target_archE910ELNS1_3gpuE8ELNS1_3repE0EEENS1_30default_config_static_selectorELNS0_4arch9wavefront6targetE1EEEvT1_,comdat
.Lfunc_end513:
	.size	_ZN7rocprim17ROCPRIM_400000_NS6detail17trampoline_kernelINS0_14default_configENS1_33run_length_encode_config_selectorIljNS0_4plusIjEEEEZZNS1_33reduce_by_key_impl_wrapped_configILNS1_25lookback_scan_determinismE0ES3_S7_PKlNS0_17constant_iteratorIjlEEPlSE_SE_S6_NS0_8equal_toIlEEEE10hipError_tPvRmT2_T3_mT4_T5_T6_T7_T8_P12ihipStream_tbENKUlT_T0_E_clISt17integral_constantIbLb0EESY_EEDaST_SU_EUlST_E_NS1_11comp_targetILNS1_3genE4ELNS1_11target_archE910ELNS1_3gpuE8ELNS1_3repE0EEENS1_30default_config_static_selectorELNS0_4arch9wavefront6targetE1EEEvT1_, .Lfunc_end513-_ZN7rocprim17ROCPRIM_400000_NS6detail17trampoline_kernelINS0_14default_configENS1_33run_length_encode_config_selectorIljNS0_4plusIjEEEEZZNS1_33reduce_by_key_impl_wrapped_configILNS1_25lookback_scan_determinismE0ES3_S7_PKlNS0_17constant_iteratorIjlEEPlSE_SE_S6_NS0_8equal_toIlEEEE10hipError_tPvRmT2_T3_mT4_T5_T6_T7_T8_P12ihipStream_tbENKUlT_T0_E_clISt17integral_constantIbLb0EESY_EEDaST_SU_EUlST_E_NS1_11comp_targetILNS1_3genE4ELNS1_11target_archE910ELNS1_3gpuE8ELNS1_3repE0EEENS1_30default_config_static_selectorELNS0_4arch9wavefront6targetE1EEEvT1_
                                        ; -- End function
	.section	.AMDGPU.csdata,"",@progbits
; Kernel info:
; codeLenInByte = 10888
; NumSgprs: 58
; NumVgprs: 68
; NumAgprs: 0
; TotalNumVgprs: 68
; ScratchSize: 0
; MemoryBound: 0
; FloatMode: 240
; IeeeMode: 1
; LDSByteSize: 20480 bytes/workgroup (compile time only)
; SGPRBlocks: 7
; VGPRBlocks: 8
; NumSGPRsForWavesPerEU: 58
; NumVGPRsForWavesPerEU: 68
; AccumOffset: 68
; Occupancy: 3
; WaveLimiterHint : 1
; COMPUTE_PGM_RSRC2:SCRATCH_EN: 0
; COMPUTE_PGM_RSRC2:USER_SGPR: 6
; COMPUTE_PGM_RSRC2:TRAP_HANDLER: 0
; COMPUTE_PGM_RSRC2:TGID_X_EN: 1
; COMPUTE_PGM_RSRC2:TGID_Y_EN: 0
; COMPUTE_PGM_RSRC2:TGID_Z_EN: 0
; COMPUTE_PGM_RSRC2:TIDIG_COMP_CNT: 0
; COMPUTE_PGM_RSRC3_GFX90A:ACCUM_OFFSET: 16
; COMPUTE_PGM_RSRC3_GFX90A:TG_SPLIT: 0
	.section	.text._ZN7rocprim17ROCPRIM_400000_NS6detail17trampoline_kernelINS0_14default_configENS1_33run_length_encode_config_selectorIljNS0_4plusIjEEEEZZNS1_33reduce_by_key_impl_wrapped_configILNS1_25lookback_scan_determinismE0ES3_S7_PKlNS0_17constant_iteratorIjlEEPlSE_SE_S6_NS0_8equal_toIlEEEE10hipError_tPvRmT2_T3_mT4_T5_T6_T7_T8_P12ihipStream_tbENKUlT_T0_E_clISt17integral_constantIbLb0EESY_EEDaST_SU_EUlST_E_NS1_11comp_targetILNS1_3genE3ELNS1_11target_archE908ELNS1_3gpuE7ELNS1_3repE0EEENS1_30default_config_static_selectorELNS0_4arch9wavefront6targetE1EEEvT1_,"axG",@progbits,_ZN7rocprim17ROCPRIM_400000_NS6detail17trampoline_kernelINS0_14default_configENS1_33run_length_encode_config_selectorIljNS0_4plusIjEEEEZZNS1_33reduce_by_key_impl_wrapped_configILNS1_25lookback_scan_determinismE0ES3_S7_PKlNS0_17constant_iteratorIjlEEPlSE_SE_S6_NS0_8equal_toIlEEEE10hipError_tPvRmT2_T3_mT4_T5_T6_T7_T8_P12ihipStream_tbENKUlT_T0_E_clISt17integral_constantIbLb0EESY_EEDaST_SU_EUlST_E_NS1_11comp_targetILNS1_3genE3ELNS1_11target_archE908ELNS1_3gpuE7ELNS1_3repE0EEENS1_30default_config_static_selectorELNS0_4arch9wavefront6targetE1EEEvT1_,comdat
	.protected	_ZN7rocprim17ROCPRIM_400000_NS6detail17trampoline_kernelINS0_14default_configENS1_33run_length_encode_config_selectorIljNS0_4plusIjEEEEZZNS1_33reduce_by_key_impl_wrapped_configILNS1_25lookback_scan_determinismE0ES3_S7_PKlNS0_17constant_iteratorIjlEEPlSE_SE_S6_NS0_8equal_toIlEEEE10hipError_tPvRmT2_T3_mT4_T5_T6_T7_T8_P12ihipStream_tbENKUlT_T0_E_clISt17integral_constantIbLb0EESY_EEDaST_SU_EUlST_E_NS1_11comp_targetILNS1_3genE3ELNS1_11target_archE908ELNS1_3gpuE7ELNS1_3repE0EEENS1_30default_config_static_selectorELNS0_4arch9wavefront6targetE1EEEvT1_ ; -- Begin function _ZN7rocprim17ROCPRIM_400000_NS6detail17trampoline_kernelINS0_14default_configENS1_33run_length_encode_config_selectorIljNS0_4plusIjEEEEZZNS1_33reduce_by_key_impl_wrapped_configILNS1_25lookback_scan_determinismE0ES3_S7_PKlNS0_17constant_iteratorIjlEEPlSE_SE_S6_NS0_8equal_toIlEEEE10hipError_tPvRmT2_T3_mT4_T5_T6_T7_T8_P12ihipStream_tbENKUlT_T0_E_clISt17integral_constantIbLb0EESY_EEDaST_SU_EUlST_E_NS1_11comp_targetILNS1_3genE3ELNS1_11target_archE908ELNS1_3gpuE7ELNS1_3repE0EEENS1_30default_config_static_selectorELNS0_4arch9wavefront6targetE1EEEvT1_
	.globl	_ZN7rocprim17ROCPRIM_400000_NS6detail17trampoline_kernelINS0_14default_configENS1_33run_length_encode_config_selectorIljNS0_4plusIjEEEEZZNS1_33reduce_by_key_impl_wrapped_configILNS1_25lookback_scan_determinismE0ES3_S7_PKlNS0_17constant_iteratorIjlEEPlSE_SE_S6_NS0_8equal_toIlEEEE10hipError_tPvRmT2_T3_mT4_T5_T6_T7_T8_P12ihipStream_tbENKUlT_T0_E_clISt17integral_constantIbLb0EESY_EEDaST_SU_EUlST_E_NS1_11comp_targetILNS1_3genE3ELNS1_11target_archE908ELNS1_3gpuE7ELNS1_3repE0EEENS1_30default_config_static_selectorELNS0_4arch9wavefront6targetE1EEEvT1_
	.p2align	8
	.type	_ZN7rocprim17ROCPRIM_400000_NS6detail17trampoline_kernelINS0_14default_configENS1_33run_length_encode_config_selectorIljNS0_4plusIjEEEEZZNS1_33reduce_by_key_impl_wrapped_configILNS1_25lookback_scan_determinismE0ES3_S7_PKlNS0_17constant_iteratorIjlEEPlSE_SE_S6_NS0_8equal_toIlEEEE10hipError_tPvRmT2_T3_mT4_T5_T6_T7_T8_P12ihipStream_tbENKUlT_T0_E_clISt17integral_constantIbLb0EESY_EEDaST_SU_EUlST_E_NS1_11comp_targetILNS1_3genE3ELNS1_11target_archE908ELNS1_3gpuE7ELNS1_3repE0EEENS1_30default_config_static_selectorELNS0_4arch9wavefront6targetE1EEEvT1_,@function
_ZN7rocprim17ROCPRIM_400000_NS6detail17trampoline_kernelINS0_14default_configENS1_33run_length_encode_config_selectorIljNS0_4plusIjEEEEZZNS1_33reduce_by_key_impl_wrapped_configILNS1_25lookback_scan_determinismE0ES3_S7_PKlNS0_17constant_iteratorIjlEEPlSE_SE_S6_NS0_8equal_toIlEEEE10hipError_tPvRmT2_T3_mT4_T5_T6_T7_T8_P12ihipStream_tbENKUlT_T0_E_clISt17integral_constantIbLb0EESY_EEDaST_SU_EUlST_E_NS1_11comp_targetILNS1_3genE3ELNS1_11target_archE908ELNS1_3gpuE7ELNS1_3repE0EEENS1_30default_config_static_selectorELNS0_4arch9wavefront6targetE1EEEvT1_: ; @_ZN7rocprim17ROCPRIM_400000_NS6detail17trampoline_kernelINS0_14default_configENS1_33run_length_encode_config_selectorIljNS0_4plusIjEEEEZZNS1_33reduce_by_key_impl_wrapped_configILNS1_25lookback_scan_determinismE0ES3_S7_PKlNS0_17constant_iteratorIjlEEPlSE_SE_S6_NS0_8equal_toIlEEEE10hipError_tPvRmT2_T3_mT4_T5_T6_T7_T8_P12ihipStream_tbENKUlT_T0_E_clISt17integral_constantIbLb0EESY_EEDaST_SU_EUlST_E_NS1_11comp_targetILNS1_3genE3ELNS1_11target_archE908ELNS1_3gpuE7ELNS1_3repE0EEENS1_30default_config_static_selectorELNS0_4arch9wavefront6targetE1EEEvT1_
; %bb.0:
	.section	.rodata,"a",@progbits
	.p2align	6, 0x0
	.amdhsa_kernel _ZN7rocprim17ROCPRIM_400000_NS6detail17trampoline_kernelINS0_14default_configENS1_33run_length_encode_config_selectorIljNS0_4plusIjEEEEZZNS1_33reduce_by_key_impl_wrapped_configILNS1_25lookback_scan_determinismE0ES3_S7_PKlNS0_17constant_iteratorIjlEEPlSE_SE_S6_NS0_8equal_toIlEEEE10hipError_tPvRmT2_T3_mT4_T5_T6_T7_T8_P12ihipStream_tbENKUlT_T0_E_clISt17integral_constantIbLb0EESY_EEDaST_SU_EUlST_E_NS1_11comp_targetILNS1_3genE3ELNS1_11target_archE908ELNS1_3gpuE7ELNS1_3repE0EEENS1_30default_config_static_selectorELNS0_4arch9wavefront6targetE1EEEvT1_
		.amdhsa_group_segment_fixed_size 0
		.amdhsa_private_segment_fixed_size 0
		.amdhsa_kernarg_size 128
		.amdhsa_user_sgpr_count 6
		.amdhsa_user_sgpr_private_segment_buffer 1
		.amdhsa_user_sgpr_dispatch_ptr 0
		.amdhsa_user_sgpr_queue_ptr 0
		.amdhsa_user_sgpr_kernarg_segment_ptr 1
		.amdhsa_user_sgpr_dispatch_id 0
		.amdhsa_user_sgpr_flat_scratch_init 0
		.amdhsa_user_sgpr_kernarg_preload_length 0
		.amdhsa_user_sgpr_kernarg_preload_offset 0
		.amdhsa_user_sgpr_private_segment_size 0
		.amdhsa_uses_dynamic_stack 0
		.amdhsa_system_sgpr_private_segment_wavefront_offset 0
		.amdhsa_system_sgpr_workgroup_id_x 1
		.amdhsa_system_sgpr_workgroup_id_y 0
		.amdhsa_system_sgpr_workgroup_id_z 0
		.amdhsa_system_sgpr_workgroup_info 0
		.amdhsa_system_vgpr_workitem_id 0
		.amdhsa_next_free_vgpr 1
		.amdhsa_next_free_sgpr 0
		.amdhsa_accum_offset 4
		.amdhsa_reserve_vcc 0
		.amdhsa_reserve_flat_scratch 0
		.amdhsa_float_round_mode_32 0
		.amdhsa_float_round_mode_16_64 0
		.amdhsa_float_denorm_mode_32 3
		.amdhsa_float_denorm_mode_16_64 3
		.amdhsa_dx10_clamp 1
		.amdhsa_ieee_mode 1
		.amdhsa_fp16_overflow 0
		.amdhsa_tg_split 0
		.amdhsa_exception_fp_ieee_invalid_op 0
		.amdhsa_exception_fp_denorm_src 0
		.amdhsa_exception_fp_ieee_div_zero 0
		.amdhsa_exception_fp_ieee_overflow 0
		.amdhsa_exception_fp_ieee_underflow 0
		.amdhsa_exception_fp_ieee_inexact 0
		.amdhsa_exception_int_div_zero 0
	.end_amdhsa_kernel
	.section	.text._ZN7rocprim17ROCPRIM_400000_NS6detail17trampoline_kernelINS0_14default_configENS1_33run_length_encode_config_selectorIljNS0_4plusIjEEEEZZNS1_33reduce_by_key_impl_wrapped_configILNS1_25lookback_scan_determinismE0ES3_S7_PKlNS0_17constant_iteratorIjlEEPlSE_SE_S6_NS0_8equal_toIlEEEE10hipError_tPvRmT2_T3_mT4_T5_T6_T7_T8_P12ihipStream_tbENKUlT_T0_E_clISt17integral_constantIbLb0EESY_EEDaST_SU_EUlST_E_NS1_11comp_targetILNS1_3genE3ELNS1_11target_archE908ELNS1_3gpuE7ELNS1_3repE0EEENS1_30default_config_static_selectorELNS0_4arch9wavefront6targetE1EEEvT1_,"axG",@progbits,_ZN7rocprim17ROCPRIM_400000_NS6detail17trampoline_kernelINS0_14default_configENS1_33run_length_encode_config_selectorIljNS0_4plusIjEEEEZZNS1_33reduce_by_key_impl_wrapped_configILNS1_25lookback_scan_determinismE0ES3_S7_PKlNS0_17constant_iteratorIjlEEPlSE_SE_S6_NS0_8equal_toIlEEEE10hipError_tPvRmT2_T3_mT4_T5_T6_T7_T8_P12ihipStream_tbENKUlT_T0_E_clISt17integral_constantIbLb0EESY_EEDaST_SU_EUlST_E_NS1_11comp_targetILNS1_3genE3ELNS1_11target_archE908ELNS1_3gpuE7ELNS1_3repE0EEENS1_30default_config_static_selectorELNS0_4arch9wavefront6targetE1EEEvT1_,comdat
.Lfunc_end514:
	.size	_ZN7rocprim17ROCPRIM_400000_NS6detail17trampoline_kernelINS0_14default_configENS1_33run_length_encode_config_selectorIljNS0_4plusIjEEEEZZNS1_33reduce_by_key_impl_wrapped_configILNS1_25lookback_scan_determinismE0ES3_S7_PKlNS0_17constant_iteratorIjlEEPlSE_SE_S6_NS0_8equal_toIlEEEE10hipError_tPvRmT2_T3_mT4_T5_T6_T7_T8_P12ihipStream_tbENKUlT_T0_E_clISt17integral_constantIbLb0EESY_EEDaST_SU_EUlST_E_NS1_11comp_targetILNS1_3genE3ELNS1_11target_archE908ELNS1_3gpuE7ELNS1_3repE0EEENS1_30default_config_static_selectorELNS0_4arch9wavefront6targetE1EEEvT1_, .Lfunc_end514-_ZN7rocprim17ROCPRIM_400000_NS6detail17trampoline_kernelINS0_14default_configENS1_33run_length_encode_config_selectorIljNS0_4plusIjEEEEZZNS1_33reduce_by_key_impl_wrapped_configILNS1_25lookback_scan_determinismE0ES3_S7_PKlNS0_17constant_iteratorIjlEEPlSE_SE_S6_NS0_8equal_toIlEEEE10hipError_tPvRmT2_T3_mT4_T5_T6_T7_T8_P12ihipStream_tbENKUlT_T0_E_clISt17integral_constantIbLb0EESY_EEDaST_SU_EUlST_E_NS1_11comp_targetILNS1_3genE3ELNS1_11target_archE908ELNS1_3gpuE7ELNS1_3repE0EEENS1_30default_config_static_selectorELNS0_4arch9wavefront6targetE1EEEvT1_
                                        ; -- End function
	.section	.AMDGPU.csdata,"",@progbits
; Kernel info:
; codeLenInByte = 0
; NumSgprs: 4
; NumVgprs: 0
; NumAgprs: 0
; TotalNumVgprs: 0
; ScratchSize: 0
; MemoryBound: 0
; FloatMode: 240
; IeeeMode: 1
; LDSByteSize: 0 bytes/workgroup (compile time only)
; SGPRBlocks: 0
; VGPRBlocks: 0
; NumSGPRsForWavesPerEU: 4
; NumVGPRsForWavesPerEU: 1
; AccumOffset: 4
; Occupancy: 8
; WaveLimiterHint : 0
; COMPUTE_PGM_RSRC2:SCRATCH_EN: 0
; COMPUTE_PGM_RSRC2:USER_SGPR: 6
; COMPUTE_PGM_RSRC2:TRAP_HANDLER: 0
; COMPUTE_PGM_RSRC2:TGID_X_EN: 1
; COMPUTE_PGM_RSRC2:TGID_Y_EN: 0
; COMPUTE_PGM_RSRC2:TGID_Z_EN: 0
; COMPUTE_PGM_RSRC2:TIDIG_COMP_CNT: 0
; COMPUTE_PGM_RSRC3_GFX90A:ACCUM_OFFSET: 0
; COMPUTE_PGM_RSRC3_GFX90A:TG_SPLIT: 0
	.section	.text._ZN7rocprim17ROCPRIM_400000_NS6detail17trampoline_kernelINS0_14default_configENS1_33run_length_encode_config_selectorIljNS0_4plusIjEEEEZZNS1_33reduce_by_key_impl_wrapped_configILNS1_25lookback_scan_determinismE0ES3_S7_PKlNS0_17constant_iteratorIjlEEPlSE_SE_S6_NS0_8equal_toIlEEEE10hipError_tPvRmT2_T3_mT4_T5_T6_T7_T8_P12ihipStream_tbENKUlT_T0_E_clISt17integral_constantIbLb0EESY_EEDaST_SU_EUlST_E_NS1_11comp_targetILNS1_3genE2ELNS1_11target_archE906ELNS1_3gpuE6ELNS1_3repE0EEENS1_30default_config_static_selectorELNS0_4arch9wavefront6targetE1EEEvT1_,"axG",@progbits,_ZN7rocprim17ROCPRIM_400000_NS6detail17trampoline_kernelINS0_14default_configENS1_33run_length_encode_config_selectorIljNS0_4plusIjEEEEZZNS1_33reduce_by_key_impl_wrapped_configILNS1_25lookback_scan_determinismE0ES3_S7_PKlNS0_17constant_iteratorIjlEEPlSE_SE_S6_NS0_8equal_toIlEEEE10hipError_tPvRmT2_T3_mT4_T5_T6_T7_T8_P12ihipStream_tbENKUlT_T0_E_clISt17integral_constantIbLb0EESY_EEDaST_SU_EUlST_E_NS1_11comp_targetILNS1_3genE2ELNS1_11target_archE906ELNS1_3gpuE6ELNS1_3repE0EEENS1_30default_config_static_selectorELNS0_4arch9wavefront6targetE1EEEvT1_,comdat
	.protected	_ZN7rocprim17ROCPRIM_400000_NS6detail17trampoline_kernelINS0_14default_configENS1_33run_length_encode_config_selectorIljNS0_4plusIjEEEEZZNS1_33reduce_by_key_impl_wrapped_configILNS1_25lookback_scan_determinismE0ES3_S7_PKlNS0_17constant_iteratorIjlEEPlSE_SE_S6_NS0_8equal_toIlEEEE10hipError_tPvRmT2_T3_mT4_T5_T6_T7_T8_P12ihipStream_tbENKUlT_T0_E_clISt17integral_constantIbLb0EESY_EEDaST_SU_EUlST_E_NS1_11comp_targetILNS1_3genE2ELNS1_11target_archE906ELNS1_3gpuE6ELNS1_3repE0EEENS1_30default_config_static_selectorELNS0_4arch9wavefront6targetE1EEEvT1_ ; -- Begin function _ZN7rocprim17ROCPRIM_400000_NS6detail17trampoline_kernelINS0_14default_configENS1_33run_length_encode_config_selectorIljNS0_4plusIjEEEEZZNS1_33reduce_by_key_impl_wrapped_configILNS1_25lookback_scan_determinismE0ES3_S7_PKlNS0_17constant_iteratorIjlEEPlSE_SE_S6_NS0_8equal_toIlEEEE10hipError_tPvRmT2_T3_mT4_T5_T6_T7_T8_P12ihipStream_tbENKUlT_T0_E_clISt17integral_constantIbLb0EESY_EEDaST_SU_EUlST_E_NS1_11comp_targetILNS1_3genE2ELNS1_11target_archE906ELNS1_3gpuE6ELNS1_3repE0EEENS1_30default_config_static_selectorELNS0_4arch9wavefront6targetE1EEEvT1_
	.globl	_ZN7rocprim17ROCPRIM_400000_NS6detail17trampoline_kernelINS0_14default_configENS1_33run_length_encode_config_selectorIljNS0_4plusIjEEEEZZNS1_33reduce_by_key_impl_wrapped_configILNS1_25lookback_scan_determinismE0ES3_S7_PKlNS0_17constant_iteratorIjlEEPlSE_SE_S6_NS0_8equal_toIlEEEE10hipError_tPvRmT2_T3_mT4_T5_T6_T7_T8_P12ihipStream_tbENKUlT_T0_E_clISt17integral_constantIbLb0EESY_EEDaST_SU_EUlST_E_NS1_11comp_targetILNS1_3genE2ELNS1_11target_archE906ELNS1_3gpuE6ELNS1_3repE0EEENS1_30default_config_static_selectorELNS0_4arch9wavefront6targetE1EEEvT1_
	.p2align	8
	.type	_ZN7rocprim17ROCPRIM_400000_NS6detail17trampoline_kernelINS0_14default_configENS1_33run_length_encode_config_selectorIljNS0_4plusIjEEEEZZNS1_33reduce_by_key_impl_wrapped_configILNS1_25lookback_scan_determinismE0ES3_S7_PKlNS0_17constant_iteratorIjlEEPlSE_SE_S6_NS0_8equal_toIlEEEE10hipError_tPvRmT2_T3_mT4_T5_T6_T7_T8_P12ihipStream_tbENKUlT_T0_E_clISt17integral_constantIbLb0EESY_EEDaST_SU_EUlST_E_NS1_11comp_targetILNS1_3genE2ELNS1_11target_archE906ELNS1_3gpuE6ELNS1_3repE0EEENS1_30default_config_static_selectorELNS0_4arch9wavefront6targetE1EEEvT1_,@function
_ZN7rocprim17ROCPRIM_400000_NS6detail17trampoline_kernelINS0_14default_configENS1_33run_length_encode_config_selectorIljNS0_4plusIjEEEEZZNS1_33reduce_by_key_impl_wrapped_configILNS1_25lookback_scan_determinismE0ES3_S7_PKlNS0_17constant_iteratorIjlEEPlSE_SE_S6_NS0_8equal_toIlEEEE10hipError_tPvRmT2_T3_mT4_T5_T6_T7_T8_P12ihipStream_tbENKUlT_T0_E_clISt17integral_constantIbLb0EESY_EEDaST_SU_EUlST_E_NS1_11comp_targetILNS1_3genE2ELNS1_11target_archE906ELNS1_3gpuE6ELNS1_3repE0EEENS1_30default_config_static_selectorELNS0_4arch9wavefront6targetE1EEEvT1_: ; @_ZN7rocprim17ROCPRIM_400000_NS6detail17trampoline_kernelINS0_14default_configENS1_33run_length_encode_config_selectorIljNS0_4plusIjEEEEZZNS1_33reduce_by_key_impl_wrapped_configILNS1_25lookback_scan_determinismE0ES3_S7_PKlNS0_17constant_iteratorIjlEEPlSE_SE_S6_NS0_8equal_toIlEEEE10hipError_tPvRmT2_T3_mT4_T5_T6_T7_T8_P12ihipStream_tbENKUlT_T0_E_clISt17integral_constantIbLb0EESY_EEDaST_SU_EUlST_E_NS1_11comp_targetILNS1_3genE2ELNS1_11target_archE906ELNS1_3gpuE6ELNS1_3repE0EEENS1_30default_config_static_selectorELNS0_4arch9wavefront6targetE1EEEvT1_
; %bb.0:
	.section	.rodata,"a",@progbits
	.p2align	6, 0x0
	.amdhsa_kernel _ZN7rocprim17ROCPRIM_400000_NS6detail17trampoline_kernelINS0_14default_configENS1_33run_length_encode_config_selectorIljNS0_4plusIjEEEEZZNS1_33reduce_by_key_impl_wrapped_configILNS1_25lookback_scan_determinismE0ES3_S7_PKlNS0_17constant_iteratorIjlEEPlSE_SE_S6_NS0_8equal_toIlEEEE10hipError_tPvRmT2_T3_mT4_T5_T6_T7_T8_P12ihipStream_tbENKUlT_T0_E_clISt17integral_constantIbLb0EESY_EEDaST_SU_EUlST_E_NS1_11comp_targetILNS1_3genE2ELNS1_11target_archE906ELNS1_3gpuE6ELNS1_3repE0EEENS1_30default_config_static_selectorELNS0_4arch9wavefront6targetE1EEEvT1_
		.amdhsa_group_segment_fixed_size 0
		.amdhsa_private_segment_fixed_size 0
		.amdhsa_kernarg_size 128
		.amdhsa_user_sgpr_count 6
		.amdhsa_user_sgpr_private_segment_buffer 1
		.amdhsa_user_sgpr_dispatch_ptr 0
		.amdhsa_user_sgpr_queue_ptr 0
		.amdhsa_user_sgpr_kernarg_segment_ptr 1
		.amdhsa_user_sgpr_dispatch_id 0
		.amdhsa_user_sgpr_flat_scratch_init 0
		.amdhsa_user_sgpr_kernarg_preload_length 0
		.amdhsa_user_sgpr_kernarg_preload_offset 0
		.amdhsa_user_sgpr_private_segment_size 0
		.amdhsa_uses_dynamic_stack 0
		.amdhsa_system_sgpr_private_segment_wavefront_offset 0
		.amdhsa_system_sgpr_workgroup_id_x 1
		.amdhsa_system_sgpr_workgroup_id_y 0
		.amdhsa_system_sgpr_workgroup_id_z 0
		.amdhsa_system_sgpr_workgroup_info 0
		.amdhsa_system_vgpr_workitem_id 0
		.amdhsa_next_free_vgpr 1
		.amdhsa_next_free_sgpr 0
		.amdhsa_accum_offset 4
		.amdhsa_reserve_vcc 0
		.amdhsa_reserve_flat_scratch 0
		.amdhsa_float_round_mode_32 0
		.amdhsa_float_round_mode_16_64 0
		.amdhsa_float_denorm_mode_32 3
		.amdhsa_float_denorm_mode_16_64 3
		.amdhsa_dx10_clamp 1
		.amdhsa_ieee_mode 1
		.amdhsa_fp16_overflow 0
		.amdhsa_tg_split 0
		.amdhsa_exception_fp_ieee_invalid_op 0
		.amdhsa_exception_fp_denorm_src 0
		.amdhsa_exception_fp_ieee_div_zero 0
		.amdhsa_exception_fp_ieee_overflow 0
		.amdhsa_exception_fp_ieee_underflow 0
		.amdhsa_exception_fp_ieee_inexact 0
		.amdhsa_exception_int_div_zero 0
	.end_amdhsa_kernel
	.section	.text._ZN7rocprim17ROCPRIM_400000_NS6detail17trampoline_kernelINS0_14default_configENS1_33run_length_encode_config_selectorIljNS0_4plusIjEEEEZZNS1_33reduce_by_key_impl_wrapped_configILNS1_25lookback_scan_determinismE0ES3_S7_PKlNS0_17constant_iteratorIjlEEPlSE_SE_S6_NS0_8equal_toIlEEEE10hipError_tPvRmT2_T3_mT4_T5_T6_T7_T8_P12ihipStream_tbENKUlT_T0_E_clISt17integral_constantIbLb0EESY_EEDaST_SU_EUlST_E_NS1_11comp_targetILNS1_3genE2ELNS1_11target_archE906ELNS1_3gpuE6ELNS1_3repE0EEENS1_30default_config_static_selectorELNS0_4arch9wavefront6targetE1EEEvT1_,"axG",@progbits,_ZN7rocprim17ROCPRIM_400000_NS6detail17trampoline_kernelINS0_14default_configENS1_33run_length_encode_config_selectorIljNS0_4plusIjEEEEZZNS1_33reduce_by_key_impl_wrapped_configILNS1_25lookback_scan_determinismE0ES3_S7_PKlNS0_17constant_iteratorIjlEEPlSE_SE_S6_NS0_8equal_toIlEEEE10hipError_tPvRmT2_T3_mT4_T5_T6_T7_T8_P12ihipStream_tbENKUlT_T0_E_clISt17integral_constantIbLb0EESY_EEDaST_SU_EUlST_E_NS1_11comp_targetILNS1_3genE2ELNS1_11target_archE906ELNS1_3gpuE6ELNS1_3repE0EEENS1_30default_config_static_selectorELNS0_4arch9wavefront6targetE1EEEvT1_,comdat
.Lfunc_end515:
	.size	_ZN7rocprim17ROCPRIM_400000_NS6detail17trampoline_kernelINS0_14default_configENS1_33run_length_encode_config_selectorIljNS0_4plusIjEEEEZZNS1_33reduce_by_key_impl_wrapped_configILNS1_25lookback_scan_determinismE0ES3_S7_PKlNS0_17constant_iteratorIjlEEPlSE_SE_S6_NS0_8equal_toIlEEEE10hipError_tPvRmT2_T3_mT4_T5_T6_T7_T8_P12ihipStream_tbENKUlT_T0_E_clISt17integral_constantIbLb0EESY_EEDaST_SU_EUlST_E_NS1_11comp_targetILNS1_3genE2ELNS1_11target_archE906ELNS1_3gpuE6ELNS1_3repE0EEENS1_30default_config_static_selectorELNS0_4arch9wavefront6targetE1EEEvT1_, .Lfunc_end515-_ZN7rocprim17ROCPRIM_400000_NS6detail17trampoline_kernelINS0_14default_configENS1_33run_length_encode_config_selectorIljNS0_4plusIjEEEEZZNS1_33reduce_by_key_impl_wrapped_configILNS1_25lookback_scan_determinismE0ES3_S7_PKlNS0_17constant_iteratorIjlEEPlSE_SE_S6_NS0_8equal_toIlEEEE10hipError_tPvRmT2_T3_mT4_T5_T6_T7_T8_P12ihipStream_tbENKUlT_T0_E_clISt17integral_constantIbLb0EESY_EEDaST_SU_EUlST_E_NS1_11comp_targetILNS1_3genE2ELNS1_11target_archE906ELNS1_3gpuE6ELNS1_3repE0EEENS1_30default_config_static_selectorELNS0_4arch9wavefront6targetE1EEEvT1_
                                        ; -- End function
	.section	.AMDGPU.csdata,"",@progbits
; Kernel info:
; codeLenInByte = 0
; NumSgprs: 4
; NumVgprs: 0
; NumAgprs: 0
; TotalNumVgprs: 0
; ScratchSize: 0
; MemoryBound: 0
; FloatMode: 240
; IeeeMode: 1
; LDSByteSize: 0 bytes/workgroup (compile time only)
; SGPRBlocks: 0
; VGPRBlocks: 0
; NumSGPRsForWavesPerEU: 4
; NumVGPRsForWavesPerEU: 1
; AccumOffset: 4
; Occupancy: 8
; WaveLimiterHint : 0
; COMPUTE_PGM_RSRC2:SCRATCH_EN: 0
; COMPUTE_PGM_RSRC2:USER_SGPR: 6
; COMPUTE_PGM_RSRC2:TRAP_HANDLER: 0
; COMPUTE_PGM_RSRC2:TGID_X_EN: 1
; COMPUTE_PGM_RSRC2:TGID_Y_EN: 0
; COMPUTE_PGM_RSRC2:TGID_Z_EN: 0
; COMPUTE_PGM_RSRC2:TIDIG_COMP_CNT: 0
; COMPUTE_PGM_RSRC3_GFX90A:ACCUM_OFFSET: 0
; COMPUTE_PGM_RSRC3_GFX90A:TG_SPLIT: 0
	.section	.text._ZN7rocprim17ROCPRIM_400000_NS6detail17trampoline_kernelINS0_14default_configENS1_33run_length_encode_config_selectorIljNS0_4plusIjEEEEZZNS1_33reduce_by_key_impl_wrapped_configILNS1_25lookback_scan_determinismE0ES3_S7_PKlNS0_17constant_iteratorIjlEEPlSE_SE_S6_NS0_8equal_toIlEEEE10hipError_tPvRmT2_T3_mT4_T5_T6_T7_T8_P12ihipStream_tbENKUlT_T0_E_clISt17integral_constantIbLb0EESY_EEDaST_SU_EUlST_E_NS1_11comp_targetILNS1_3genE10ELNS1_11target_archE1201ELNS1_3gpuE5ELNS1_3repE0EEENS1_30default_config_static_selectorELNS0_4arch9wavefront6targetE1EEEvT1_,"axG",@progbits,_ZN7rocprim17ROCPRIM_400000_NS6detail17trampoline_kernelINS0_14default_configENS1_33run_length_encode_config_selectorIljNS0_4plusIjEEEEZZNS1_33reduce_by_key_impl_wrapped_configILNS1_25lookback_scan_determinismE0ES3_S7_PKlNS0_17constant_iteratorIjlEEPlSE_SE_S6_NS0_8equal_toIlEEEE10hipError_tPvRmT2_T3_mT4_T5_T6_T7_T8_P12ihipStream_tbENKUlT_T0_E_clISt17integral_constantIbLb0EESY_EEDaST_SU_EUlST_E_NS1_11comp_targetILNS1_3genE10ELNS1_11target_archE1201ELNS1_3gpuE5ELNS1_3repE0EEENS1_30default_config_static_selectorELNS0_4arch9wavefront6targetE1EEEvT1_,comdat
	.protected	_ZN7rocprim17ROCPRIM_400000_NS6detail17trampoline_kernelINS0_14default_configENS1_33run_length_encode_config_selectorIljNS0_4plusIjEEEEZZNS1_33reduce_by_key_impl_wrapped_configILNS1_25lookback_scan_determinismE0ES3_S7_PKlNS0_17constant_iteratorIjlEEPlSE_SE_S6_NS0_8equal_toIlEEEE10hipError_tPvRmT2_T3_mT4_T5_T6_T7_T8_P12ihipStream_tbENKUlT_T0_E_clISt17integral_constantIbLb0EESY_EEDaST_SU_EUlST_E_NS1_11comp_targetILNS1_3genE10ELNS1_11target_archE1201ELNS1_3gpuE5ELNS1_3repE0EEENS1_30default_config_static_selectorELNS0_4arch9wavefront6targetE1EEEvT1_ ; -- Begin function _ZN7rocprim17ROCPRIM_400000_NS6detail17trampoline_kernelINS0_14default_configENS1_33run_length_encode_config_selectorIljNS0_4plusIjEEEEZZNS1_33reduce_by_key_impl_wrapped_configILNS1_25lookback_scan_determinismE0ES3_S7_PKlNS0_17constant_iteratorIjlEEPlSE_SE_S6_NS0_8equal_toIlEEEE10hipError_tPvRmT2_T3_mT4_T5_T6_T7_T8_P12ihipStream_tbENKUlT_T0_E_clISt17integral_constantIbLb0EESY_EEDaST_SU_EUlST_E_NS1_11comp_targetILNS1_3genE10ELNS1_11target_archE1201ELNS1_3gpuE5ELNS1_3repE0EEENS1_30default_config_static_selectorELNS0_4arch9wavefront6targetE1EEEvT1_
	.globl	_ZN7rocprim17ROCPRIM_400000_NS6detail17trampoline_kernelINS0_14default_configENS1_33run_length_encode_config_selectorIljNS0_4plusIjEEEEZZNS1_33reduce_by_key_impl_wrapped_configILNS1_25lookback_scan_determinismE0ES3_S7_PKlNS0_17constant_iteratorIjlEEPlSE_SE_S6_NS0_8equal_toIlEEEE10hipError_tPvRmT2_T3_mT4_T5_T6_T7_T8_P12ihipStream_tbENKUlT_T0_E_clISt17integral_constantIbLb0EESY_EEDaST_SU_EUlST_E_NS1_11comp_targetILNS1_3genE10ELNS1_11target_archE1201ELNS1_3gpuE5ELNS1_3repE0EEENS1_30default_config_static_selectorELNS0_4arch9wavefront6targetE1EEEvT1_
	.p2align	8
	.type	_ZN7rocprim17ROCPRIM_400000_NS6detail17trampoline_kernelINS0_14default_configENS1_33run_length_encode_config_selectorIljNS0_4plusIjEEEEZZNS1_33reduce_by_key_impl_wrapped_configILNS1_25lookback_scan_determinismE0ES3_S7_PKlNS0_17constant_iteratorIjlEEPlSE_SE_S6_NS0_8equal_toIlEEEE10hipError_tPvRmT2_T3_mT4_T5_T6_T7_T8_P12ihipStream_tbENKUlT_T0_E_clISt17integral_constantIbLb0EESY_EEDaST_SU_EUlST_E_NS1_11comp_targetILNS1_3genE10ELNS1_11target_archE1201ELNS1_3gpuE5ELNS1_3repE0EEENS1_30default_config_static_selectorELNS0_4arch9wavefront6targetE1EEEvT1_,@function
_ZN7rocprim17ROCPRIM_400000_NS6detail17trampoline_kernelINS0_14default_configENS1_33run_length_encode_config_selectorIljNS0_4plusIjEEEEZZNS1_33reduce_by_key_impl_wrapped_configILNS1_25lookback_scan_determinismE0ES3_S7_PKlNS0_17constant_iteratorIjlEEPlSE_SE_S6_NS0_8equal_toIlEEEE10hipError_tPvRmT2_T3_mT4_T5_T6_T7_T8_P12ihipStream_tbENKUlT_T0_E_clISt17integral_constantIbLb0EESY_EEDaST_SU_EUlST_E_NS1_11comp_targetILNS1_3genE10ELNS1_11target_archE1201ELNS1_3gpuE5ELNS1_3repE0EEENS1_30default_config_static_selectorELNS0_4arch9wavefront6targetE1EEEvT1_: ; @_ZN7rocprim17ROCPRIM_400000_NS6detail17trampoline_kernelINS0_14default_configENS1_33run_length_encode_config_selectorIljNS0_4plusIjEEEEZZNS1_33reduce_by_key_impl_wrapped_configILNS1_25lookback_scan_determinismE0ES3_S7_PKlNS0_17constant_iteratorIjlEEPlSE_SE_S6_NS0_8equal_toIlEEEE10hipError_tPvRmT2_T3_mT4_T5_T6_T7_T8_P12ihipStream_tbENKUlT_T0_E_clISt17integral_constantIbLb0EESY_EEDaST_SU_EUlST_E_NS1_11comp_targetILNS1_3genE10ELNS1_11target_archE1201ELNS1_3gpuE5ELNS1_3repE0EEENS1_30default_config_static_selectorELNS0_4arch9wavefront6targetE1EEEvT1_
; %bb.0:
	.section	.rodata,"a",@progbits
	.p2align	6, 0x0
	.amdhsa_kernel _ZN7rocprim17ROCPRIM_400000_NS6detail17trampoline_kernelINS0_14default_configENS1_33run_length_encode_config_selectorIljNS0_4plusIjEEEEZZNS1_33reduce_by_key_impl_wrapped_configILNS1_25lookback_scan_determinismE0ES3_S7_PKlNS0_17constant_iteratorIjlEEPlSE_SE_S6_NS0_8equal_toIlEEEE10hipError_tPvRmT2_T3_mT4_T5_T6_T7_T8_P12ihipStream_tbENKUlT_T0_E_clISt17integral_constantIbLb0EESY_EEDaST_SU_EUlST_E_NS1_11comp_targetILNS1_3genE10ELNS1_11target_archE1201ELNS1_3gpuE5ELNS1_3repE0EEENS1_30default_config_static_selectorELNS0_4arch9wavefront6targetE1EEEvT1_
		.amdhsa_group_segment_fixed_size 0
		.amdhsa_private_segment_fixed_size 0
		.amdhsa_kernarg_size 128
		.amdhsa_user_sgpr_count 6
		.amdhsa_user_sgpr_private_segment_buffer 1
		.amdhsa_user_sgpr_dispatch_ptr 0
		.amdhsa_user_sgpr_queue_ptr 0
		.amdhsa_user_sgpr_kernarg_segment_ptr 1
		.amdhsa_user_sgpr_dispatch_id 0
		.amdhsa_user_sgpr_flat_scratch_init 0
		.amdhsa_user_sgpr_kernarg_preload_length 0
		.amdhsa_user_sgpr_kernarg_preload_offset 0
		.amdhsa_user_sgpr_private_segment_size 0
		.amdhsa_uses_dynamic_stack 0
		.amdhsa_system_sgpr_private_segment_wavefront_offset 0
		.amdhsa_system_sgpr_workgroup_id_x 1
		.amdhsa_system_sgpr_workgroup_id_y 0
		.amdhsa_system_sgpr_workgroup_id_z 0
		.amdhsa_system_sgpr_workgroup_info 0
		.amdhsa_system_vgpr_workitem_id 0
		.amdhsa_next_free_vgpr 1
		.amdhsa_next_free_sgpr 0
		.amdhsa_accum_offset 4
		.amdhsa_reserve_vcc 0
		.amdhsa_reserve_flat_scratch 0
		.amdhsa_float_round_mode_32 0
		.amdhsa_float_round_mode_16_64 0
		.amdhsa_float_denorm_mode_32 3
		.amdhsa_float_denorm_mode_16_64 3
		.amdhsa_dx10_clamp 1
		.amdhsa_ieee_mode 1
		.amdhsa_fp16_overflow 0
		.amdhsa_tg_split 0
		.amdhsa_exception_fp_ieee_invalid_op 0
		.amdhsa_exception_fp_denorm_src 0
		.amdhsa_exception_fp_ieee_div_zero 0
		.amdhsa_exception_fp_ieee_overflow 0
		.amdhsa_exception_fp_ieee_underflow 0
		.amdhsa_exception_fp_ieee_inexact 0
		.amdhsa_exception_int_div_zero 0
	.end_amdhsa_kernel
	.section	.text._ZN7rocprim17ROCPRIM_400000_NS6detail17trampoline_kernelINS0_14default_configENS1_33run_length_encode_config_selectorIljNS0_4plusIjEEEEZZNS1_33reduce_by_key_impl_wrapped_configILNS1_25lookback_scan_determinismE0ES3_S7_PKlNS0_17constant_iteratorIjlEEPlSE_SE_S6_NS0_8equal_toIlEEEE10hipError_tPvRmT2_T3_mT4_T5_T6_T7_T8_P12ihipStream_tbENKUlT_T0_E_clISt17integral_constantIbLb0EESY_EEDaST_SU_EUlST_E_NS1_11comp_targetILNS1_3genE10ELNS1_11target_archE1201ELNS1_3gpuE5ELNS1_3repE0EEENS1_30default_config_static_selectorELNS0_4arch9wavefront6targetE1EEEvT1_,"axG",@progbits,_ZN7rocprim17ROCPRIM_400000_NS6detail17trampoline_kernelINS0_14default_configENS1_33run_length_encode_config_selectorIljNS0_4plusIjEEEEZZNS1_33reduce_by_key_impl_wrapped_configILNS1_25lookback_scan_determinismE0ES3_S7_PKlNS0_17constant_iteratorIjlEEPlSE_SE_S6_NS0_8equal_toIlEEEE10hipError_tPvRmT2_T3_mT4_T5_T6_T7_T8_P12ihipStream_tbENKUlT_T0_E_clISt17integral_constantIbLb0EESY_EEDaST_SU_EUlST_E_NS1_11comp_targetILNS1_3genE10ELNS1_11target_archE1201ELNS1_3gpuE5ELNS1_3repE0EEENS1_30default_config_static_selectorELNS0_4arch9wavefront6targetE1EEEvT1_,comdat
.Lfunc_end516:
	.size	_ZN7rocprim17ROCPRIM_400000_NS6detail17trampoline_kernelINS0_14default_configENS1_33run_length_encode_config_selectorIljNS0_4plusIjEEEEZZNS1_33reduce_by_key_impl_wrapped_configILNS1_25lookback_scan_determinismE0ES3_S7_PKlNS0_17constant_iteratorIjlEEPlSE_SE_S6_NS0_8equal_toIlEEEE10hipError_tPvRmT2_T3_mT4_T5_T6_T7_T8_P12ihipStream_tbENKUlT_T0_E_clISt17integral_constantIbLb0EESY_EEDaST_SU_EUlST_E_NS1_11comp_targetILNS1_3genE10ELNS1_11target_archE1201ELNS1_3gpuE5ELNS1_3repE0EEENS1_30default_config_static_selectorELNS0_4arch9wavefront6targetE1EEEvT1_, .Lfunc_end516-_ZN7rocprim17ROCPRIM_400000_NS6detail17trampoline_kernelINS0_14default_configENS1_33run_length_encode_config_selectorIljNS0_4plusIjEEEEZZNS1_33reduce_by_key_impl_wrapped_configILNS1_25lookback_scan_determinismE0ES3_S7_PKlNS0_17constant_iteratorIjlEEPlSE_SE_S6_NS0_8equal_toIlEEEE10hipError_tPvRmT2_T3_mT4_T5_T6_T7_T8_P12ihipStream_tbENKUlT_T0_E_clISt17integral_constantIbLb0EESY_EEDaST_SU_EUlST_E_NS1_11comp_targetILNS1_3genE10ELNS1_11target_archE1201ELNS1_3gpuE5ELNS1_3repE0EEENS1_30default_config_static_selectorELNS0_4arch9wavefront6targetE1EEEvT1_
                                        ; -- End function
	.section	.AMDGPU.csdata,"",@progbits
; Kernel info:
; codeLenInByte = 0
; NumSgprs: 4
; NumVgprs: 0
; NumAgprs: 0
; TotalNumVgprs: 0
; ScratchSize: 0
; MemoryBound: 0
; FloatMode: 240
; IeeeMode: 1
; LDSByteSize: 0 bytes/workgroup (compile time only)
; SGPRBlocks: 0
; VGPRBlocks: 0
; NumSGPRsForWavesPerEU: 4
; NumVGPRsForWavesPerEU: 1
; AccumOffset: 4
; Occupancy: 8
; WaveLimiterHint : 0
; COMPUTE_PGM_RSRC2:SCRATCH_EN: 0
; COMPUTE_PGM_RSRC2:USER_SGPR: 6
; COMPUTE_PGM_RSRC2:TRAP_HANDLER: 0
; COMPUTE_PGM_RSRC2:TGID_X_EN: 1
; COMPUTE_PGM_RSRC2:TGID_Y_EN: 0
; COMPUTE_PGM_RSRC2:TGID_Z_EN: 0
; COMPUTE_PGM_RSRC2:TIDIG_COMP_CNT: 0
; COMPUTE_PGM_RSRC3_GFX90A:ACCUM_OFFSET: 0
; COMPUTE_PGM_RSRC3_GFX90A:TG_SPLIT: 0
	.section	.text._ZN7rocprim17ROCPRIM_400000_NS6detail17trampoline_kernelINS0_14default_configENS1_33run_length_encode_config_selectorIljNS0_4plusIjEEEEZZNS1_33reduce_by_key_impl_wrapped_configILNS1_25lookback_scan_determinismE0ES3_S7_PKlNS0_17constant_iteratorIjlEEPlSE_SE_S6_NS0_8equal_toIlEEEE10hipError_tPvRmT2_T3_mT4_T5_T6_T7_T8_P12ihipStream_tbENKUlT_T0_E_clISt17integral_constantIbLb0EESY_EEDaST_SU_EUlST_E_NS1_11comp_targetILNS1_3genE10ELNS1_11target_archE1200ELNS1_3gpuE4ELNS1_3repE0EEENS1_30default_config_static_selectorELNS0_4arch9wavefront6targetE1EEEvT1_,"axG",@progbits,_ZN7rocprim17ROCPRIM_400000_NS6detail17trampoline_kernelINS0_14default_configENS1_33run_length_encode_config_selectorIljNS0_4plusIjEEEEZZNS1_33reduce_by_key_impl_wrapped_configILNS1_25lookback_scan_determinismE0ES3_S7_PKlNS0_17constant_iteratorIjlEEPlSE_SE_S6_NS0_8equal_toIlEEEE10hipError_tPvRmT2_T3_mT4_T5_T6_T7_T8_P12ihipStream_tbENKUlT_T0_E_clISt17integral_constantIbLb0EESY_EEDaST_SU_EUlST_E_NS1_11comp_targetILNS1_3genE10ELNS1_11target_archE1200ELNS1_3gpuE4ELNS1_3repE0EEENS1_30default_config_static_selectorELNS0_4arch9wavefront6targetE1EEEvT1_,comdat
	.protected	_ZN7rocprim17ROCPRIM_400000_NS6detail17trampoline_kernelINS0_14default_configENS1_33run_length_encode_config_selectorIljNS0_4plusIjEEEEZZNS1_33reduce_by_key_impl_wrapped_configILNS1_25lookback_scan_determinismE0ES3_S7_PKlNS0_17constant_iteratorIjlEEPlSE_SE_S6_NS0_8equal_toIlEEEE10hipError_tPvRmT2_T3_mT4_T5_T6_T7_T8_P12ihipStream_tbENKUlT_T0_E_clISt17integral_constantIbLb0EESY_EEDaST_SU_EUlST_E_NS1_11comp_targetILNS1_3genE10ELNS1_11target_archE1200ELNS1_3gpuE4ELNS1_3repE0EEENS1_30default_config_static_selectorELNS0_4arch9wavefront6targetE1EEEvT1_ ; -- Begin function _ZN7rocprim17ROCPRIM_400000_NS6detail17trampoline_kernelINS0_14default_configENS1_33run_length_encode_config_selectorIljNS0_4plusIjEEEEZZNS1_33reduce_by_key_impl_wrapped_configILNS1_25lookback_scan_determinismE0ES3_S7_PKlNS0_17constant_iteratorIjlEEPlSE_SE_S6_NS0_8equal_toIlEEEE10hipError_tPvRmT2_T3_mT4_T5_T6_T7_T8_P12ihipStream_tbENKUlT_T0_E_clISt17integral_constantIbLb0EESY_EEDaST_SU_EUlST_E_NS1_11comp_targetILNS1_3genE10ELNS1_11target_archE1200ELNS1_3gpuE4ELNS1_3repE0EEENS1_30default_config_static_selectorELNS0_4arch9wavefront6targetE1EEEvT1_
	.globl	_ZN7rocprim17ROCPRIM_400000_NS6detail17trampoline_kernelINS0_14default_configENS1_33run_length_encode_config_selectorIljNS0_4plusIjEEEEZZNS1_33reduce_by_key_impl_wrapped_configILNS1_25lookback_scan_determinismE0ES3_S7_PKlNS0_17constant_iteratorIjlEEPlSE_SE_S6_NS0_8equal_toIlEEEE10hipError_tPvRmT2_T3_mT4_T5_T6_T7_T8_P12ihipStream_tbENKUlT_T0_E_clISt17integral_constantIbLb0EESY_EEDaST_SU_EUlST_E_NS1_11comp_targetILNS1_3genE10ELNS1_11target_archE1200ELNS1_3gpuE4ELNS1_3repE0EEENS1_30default_config_static_selectorELNS0_4arch9wavefront6targetE1EEEvT1_
	.p2align	8
	.type	_ZN7rocprim17ROCPRIM_400000_NS6detail17trampoline_kernelINS0_14default_configENS1_33run_length_encode_config_selectorIljNS0_4plusIjEEEEZZNS1_33reduce_by_key_impl_wrapped_configILNS1_25lookback_scan_determinismE0ES3_S7_PKlNS0_17constant_iteratorIjlEEPlSE_SE_S6_NS0_8equal_toIlEEEE10hipError_tPvRmT2_T3_mT4_T5_T6_T7_T8_P12ihipStream_tbENKUlT_T0_E_clISt17integral_constantIbLb0EESY_EEDaST_SU_EUlST_E_NS1_11comp_targetILNS1_3genE10ELNS1_11target_archE1200ELNS1_3gpuE4ELNS1_3repE0EEENS1_30default_config_static_selectorELNS0_4arch9wavefront6targetE1EEEvT1_,@function
_ZN7rocprim17ROCPRIM_400000_NS6detail17trampoline_kernelINS0_14default_configENS1_33run_length_encode_config_selectorIljNS0_4plusIjEEEEZZNS1_33reduce_by_key_impl_wrapped_configILNS1_25lookback_scan_determinismE0ES3_S7_PKlNS0_17constant_iteratorIjlEEPlSE_SE_S6_NS0_8equal_toIlEEEE10hipError_tPvRmT2_T3_mT4_T5_T6_T7_T8_P12ihipStream_tbENKUlT_T0_E_clISt17integral_constantIbLb0EESY_EEDaST_SU_EUlST_E_NS1_11comp_targetILNS1_3genE10ELNS1_11target_archE1200ELNS1_3gpuE4ELNS1_3repE0EEENS1_30default_config_static_selectorELNS0_4arch9wavefront6targetE1EEEvT1_: ; @_ZN7rocprim17ROCPRIM_400000_NS6detail17trampoline_kernelINS0_14default_configENS1_33run_length_encode_config_selectorIljNS0_4plusIjEEEEZZNS1_33reduce_by_key_impl_wrapped_configILNS1_25lookback_scan_determinismE0ES3_S7_PKlNS0_17constant_iteratorIjlEEPlSE_SE_S6_NS0_8equal_toIlEEEE10hipError_tPvRmT2_T3_mT4_T5_T6_T7_T8_P12ihipStream_tbENKUlT_T0_E_clISt17integral_constantIbLb0EESY_EEDaST_SU_EUlST_E_NS1_11comp_targetILNS1_3genE10ELNS1_11target_archE1200ELNS1_3gpuE4ELNS1_3repE0EEENS1_30default_config_static_selectorELNS0_4arch9wavefront6targetE1EEEvT1_
; %bb.0:
	.section	.rodata,"a",@progbits
	.p2align	6, 0x0
	.amdhsa_kernel _ZN7rocprim17ROCPRIM_400000_NS6detail17trampoline_kernelINS0_14default_configENS1_33run_length_encode_config_selectorIljNS0_4plusIjEEEEZZNS1_33reduce_by_key_impl_wrapped_configILNS1_25lookback_scan_determinismE0ES3_S7_PKlNS0_17constant_iteratorIjlEEPlSE_SE_S6_NS0_8equal_toIlEEEE10hipError_tPvRmT2_T3_mT4_T5_T6_T7_T8_P12ihipStream_tbENKUlT_T0_E_clISt17integral_constantIbLb0EESY_EEDaST_SU_EUlST_E_NS1_11comp_targetILNS1_3genE10ELNS1_11target_archE1200ELNS1_3gpuE4ELNS1_3repE0EEENS1_30default_config_static_selectorELNS0_4arch9wavefront6targetE1EEEvT1_
		.amdhsa_group_segment_fixed_size 0
		.amdhsa_private_segment_fixed_size 0
		.amdhsa_kernarg_size 128
		.amdhsa_user_sgpr_count 6
		.amdhsa_user_sgpr_private_segment_buffer 1
		.amdhsa_user_sgpr_dispatch_ptr 0
		.amdhsa_user_sgpr_queue_ptr 0
		.amdhsa_user_sgpr_kernarg_segment_ptr 1
		.amdhsa_user_sgpr_dispatch_id 0
		.amdhsa_user_sgpr_flat_scratch_init 0
		.amdhsa_user_sgpr_kernarg_preload_length 0
		.amdhsa_user_sgpr_kernarg_preload_offset 0
		.amdhsa_user_sgpr_private_segment_size 0
		.amdhsa_uses_dynamic_stack 0
		.amdhsa_system_sgpr_private_segment_wavefront_offset 0
		.amdhsa_system_sgpr_workgroup_id_x 1
		.amdhsa_system_sgpr_workgroup_id_y 0
		.amdhsa_system_sgpr_workgroup_id_z 0
		.amdhsa_system_sgpr_workgroup_info 0
		.amdhsa_system_vgpr_workitem_id 0
		.amdhsa_next_free_vgpr 1
		.amdhsa_next_free_sgpr 0
		.amdhsa_accum_offset 4
		.amdhsa_reserve_vcc 0
		.amdhsa_reserve_flat_scratch 0
		.amdhsa_float_round_mode_32 0
		.amdhsa_float_round_mode_16_64 0
		.amdhsa_float_denorm_mode_32 3
		.amdhsa_float_denorm_mode_16_64 3
		.amdhsa_dx10_clamp 1
		.amdhsa_ieee_mode 1
		.amdhsa_fp16_overflow 0
		.amdhsa_tg_split 0
		.amdhsa_exception_fp_ieee_invalid_op 0
		.amdhsa_exception_fp_denorm_src 0
		.amdhsa_exception_fp_ieee_div_zero 0
		.amdhsa_exception_fp_ieee_overflow 0
		.amdhsa_exception_fp_ieee_underflow 0
		.amdhsa_exception_fp_ieee_inexact 0
		.amdhsa_exception_int_div_zero 0
	.end_amdhsa_kernel
	.section	.text._ZN7rocprim17ROCPRIM_400000_NS6detail17trampoline_kernelINS0_14default_configENS1_33run_length_encode_config_selectorIljNS0_4plusIjEEEEZZNS1_33reduce_by_key_impl_wrapped_configILNS1_25lookback_scan_determinismE0ES3_S7_PKlNS0_17constant_iteratorIjlEEPlSE_SE_S6_NS0_8equal_toIlEEEE10hipError_tPvRmT2_T3_mT4_T5_T6_T7_T8_P12ihipStream_tbENKUlT_T0_E_clISt17integral_constantIbLb0EESY_EEDaST_SU_EUlST_E_NS1_11comp_targetILNS1_3genE10ELNS1_11target_archE1200ELNS1_3gpuE4ELNS1_3repE0EEENS1_30default_config_static_selectorELNS0_4arch9wavefront6targetE1EEEvT1_,"axG",@progbits,_ZN7rocprim17ROCPRIM_400000_NS6detail17trampoline_kernelINS0_14default_configENS1_33run_length_encode_config_selectorIljNS0_4plusIjEEEEZZNS1_33reduce_by_key_impl_wrapped_configILNS1_25lookback_scan_determinismE0ES3_S7_PKlNS0_17constant_iteratorIjlEEPlSE_SE_S6_NS0_8equal_toIlEEEE10hipError_tPvRmT2_T3_mT4_T5_T6_T7_T8_P12ihipStream_tbENKUlT_T0_E_clISt17integral_constantIbLb0EESY_EEDaST_SU_EUlST_E_NS1_11comp_targetILNS1_3genE10ELNS1_11target_archE1200ELNS1_3gpuE4ELNS1_3repE0EEENS1_30default_config_static_selectorELNS0_4arch9wavefront6targetE1EEEvT1_,comdat
.Lfunc_end517:
	.size	_ZN7rocprim17ROCPRIM_400000_NS6detail17trampoline_kernelINS0_14default_configENS1_33run_length_encode_config_selectorIljNS0_4plusIjEEEEZZNS1_33reduce_by_key_impl_wrapped_configILNS1_25lookback_scan_determinismE0ES3_S7_PKlNS0_17constant_iteratorIjlEEPlSE_SE_S6_NS0_8equal_toIlEEEE10hipError_tPvRmT2_T3_mT4_T5_T6_T7_T8_P12ihipStream_tbENKUlT_T0_E_clISt17integral_constantIbLb0EESY_EEDaST_SU_EUlST_E_NS1_11comp_targetILNS1_3genE10ELNS1_11target_archE1200ELNS1_3gpuE4ELNS1_3repE0EEENS1_30default_config_static_selectorELNS0_4arch9wavefront6targetE1EEEvT1_, .Lfunc_end517-_ZN7rocprim17ROCPRIM_400000_NS6detail17trampoline_kernelINS0_14default_configENS1_33run_length_encode_config_selectorIljNS0_4plusIjEEEEZZNS1_33reduce_by_key_impl_wrapped_configILNS1_25lookback_scan_determinismE0ES3_S7_PKlNS0_17constant_iteratorIjlEEPlSE_SE_S6_NS0_8equal_toIlEEEE10hipError_tPvRmT2_T3_mT4_T5_T6_T7_T8_P12ihipStream_tbENKUlT_T0_E_clISt17integral_constantIbLb0EESY_EEDaST_SU_EUlST_E_NS1_11comp_targetILNS1_3genE10ELNS1_11target_archE1200ELNS1_3gpuE4ELNS1_3repE0EEENS1_30default_config_static_selectorELNS0_4arch9wavefront6targetE1EEEvT1_
                                        ; -- End function
	.section	.AMDGPU.csdata,"",@progbits
; Kernel info:
; codeLenInByte = 0
; NumSgprs: 4
; NumVgprs: 0
; NumAgprs: 0
; TotalNumVgprs: 0
; ScratchSize: 0
; MemoryBound: 0
; FloatMode: 240
; IeeeMode: 1
; LDSByteSize: 0 bytes/workgroup (compile time only)
; SGPRBlocks: 0
; VGPRBlocks: 0
; NumSGPRsForWavesPerEU: 4
; NumVGPRsForWavesPerEU: 1
; AccumOffset: 4
; Occupancy: 8
; WaveLimiterHint : 0
; COMPUTE_PGM_RSRC2:SCRATCH_EN: 0
; COMPUTE_PGM_RSRC2:USER_SGPR: 6
; COMPUTE_PGM_RSRC2:TRAP_HANDLER: 0
; COMPUTE_PGM_RSRC2:TGID_X_EN: 1
; COMPUTE_PGM_RSRC2:TGID_Y_EN: 0
; COMPUTE_PGM_RSRC2:TGID_Z_EN: 0
; COMPUTE_PGM_RSRC2:TIDIG_COMP_CNT: 0
; COMPUTE_PGM_RSRC3_GFX90A:ACCUM_OFFSET: 0
; COMPUTE_PGM_RSRC3_GFX90A:TG_SPLIT: 0
	.section	.text._ZN7rocprim17ROCPRIM_400000_NS6detail17trampoline_kernelINS0_14default_configENS1_33run_length_encode_config_selectorIljNS0_4plusIjEEEEZZNS1_33reduce_by_key_impl_wrapped_configILNS1_25lookback_scan_determinismE0ES3_S7_PKlNS0_17constant_iteratorIjlEEPlSE_SE_S6_NS0_8equal_toIlEEEE10hipError_tPvRmT2_T3_mT4_T5_T6_T7_T8_P12ihipStream_tbENKUlT_T0_E_clISt17integral_constantIbLb0EESY_EEDaST_SU_EUlST_E_NS1_11comp_targetILNS1_3genE9ELNS1_11target_archE1100ELNS1_3gpuE3ELNS1_3repE0EEENS1_30default_config_static_selectorELNS0_4arch9wavefront6targetE1EEEvT1_,"axG",@progbits,_ZN7rocprim17ROCPRIM_400000_NS6detail17trampoline_kernelINS0_14default_configENS1_33run_length_encode_config_selectorIljNS0_4plusIjEEEEZZNS1_33reduce_by_key_impl_wrapped_configILNS1_25lookback_scan_determinismE0ES3_S7_PKlNS0_17constant_iteratorIjlEEPlSE_SE_S6_NS0_8equal_toIlEEEE10hipError_tPvRmT2_T3_mT4_T5_T6_T7_T8_P12ihipStream_tbENKUlT_T0_E_clISt17integral_constantIbLb0EESY_EEDaST_SU_EUlST_E_NS1_11comp_targetILNS1_3genE9ELNS1_11target_archE1100ELNS1_3gpuE3ELNS1_3repE0EEENS1_30default_config_static_selectorELNS0_4arch9wavefront6targetE1EEEvT1_,comdat
	.protected	_ZN7rocprim17ROCPRIM_400000_NS6detail17trampoline_kernelINS0_14default_configENS1_33run_length_encode_config_selectorIljNS0_4plusIjEEEEZZNS1_33reduce_by_key_impl_wrapped_configILNS1_25lookback_scan_determinismE0ES3_S7_PKlNS0_17constant_iteratorIjlEEPlSE_SE_S6_NS0_8equal_toIlEEEE10hipError_tPvRmT2_T3_mT4_T5_T6_T7_T8_P12ihipStream_tbENKUlT_T0_E_clISt17integral_constantIbLb0EESY_EEDaST_SU_EUlST_E_NS1_11comp_targetILNS1_3genE9ELNS1_11target_archE1100ELNS1_3gpuE3ELNS1_3repE0EEENS1_30default_config_static_selectorELNS0_4arch9wavefront6targetE1EEEvT1_ ; -- Begin function _ZN7rocprim17ROCPRIM_400000_NS6detail17trampoline_kernelINS0_14default_configENS1_33run_length_encode_config_selectorIljNS0_4plusIjEEEEZZNS1_33reduce_by_key_impl_wrapped_configILNS1_25lookback_scan_determinismE0ES3_S7_PKlNS0_17constant_iteratorIjlEEPlSE_SE_S6_NS0_8equal_toIlEEEE10hipError_tPvRmT2_T3_mT4_T5_T6_T7_T8_P12ihipStream_tbENKUlT_T0_E_clISt17integral_constantIbLb0EESY_EEDaST_SU_EUlST_E_NS1_11comp_targetILNS1_3genE9ELNS1_11target_archE1100ELNS1_3gpuE3ELNS1_3repE0EEENS1_30default_config_static_selectorELNS0_4arch9wavefront6targetE1EEEvT1_
	.globl	_ZN7rocprim17ROCPRIM_400000_NS6detail17trampoline_kernelINS0_14default_configENS1_33run_length_encode_config_selectorIljNS0_4plusIjEEEEZZNS1_33reduce_by_key_impl_wrapped_configILNS1_25lookback_scan_determinismE0ES3_S7_PKlNS0_17constant_iteratorIjlEEPlSE_SE_S6_NS0_8equal_toIlEEEE10hipError_tPvRmT2_T3_mT4_T5_T6_T7_T8_P12ihipStream_tbENKUlT_T0_E_clISt17integral_constantIbLb0EESY_EEDaST_SU_EUlST_E_NS1_11comp_targetILNS1_3genE9ELNS1_11target_archE1100ELNS1_3gpuE3ELNS1_3repE0EEENS1_30default_config_static_selectorELNS0_4arch9wavefront6targetE1EEEvT1_
	.p2align	8
	.type	_ZN7rocprim17ROCPRIM_400000_NS6detail17trampoline_kernelINS0_14default_configENS1_33run_length_encode_config_selectorIljNS0_4plusIjEEEEZZNS1_33reduce_by_key_impl_wrapped_configILNS1_25lookback_scan_determinismE0ES3_S7_PKlNS0_17constant_iteratorIjlEEPlSE_SE_S6_NS0_8equal_toIlEEEE10hipError_tPvRmT2_T3_mT4_T5_T6_T7_T8_P12ihipStream_tbENKUlT_T0_E_clISt17integral_constantIbLb0EESY_EEDaST_SU_EUlST_E_NS1_11comp_targetILNS1_3genE9ELNS1_11target_archE1100ELNS1_3gpuE3ELNS1_3repE0EEENS1_30default_config_static_selectorELNS0_4arch9wavefront6targetE1EEEvT1_,@function
_ZN7rocprim17ROCPRIM_400000_NS6detail17trampoline_kernelINS0_14default_configENS1_33run_length_encode_config_selectorIljNS0_4plusIjEEEEZZNS1_33reduce_by_key_impl_wrapped_configILNS1_25lookback_scan_determinismE0ES3_S7_PKlNS0_17constant_iteratorIjlEEPlSE_SE_S6_NS0_8equal_toIlEEEE10hipError_tPvRmT2_T3_mT4_T5_T6_T7_T8_P12ihipStream_tbENKUlT_T0_E_clISt17integral_constantIbLb0EESY_EEDaST_SU_EUlST_E_NS1_11comp_targetILNS1_3genE9ELNS1_11target_archE1100ELNS1_3gpuE3ELNS1_3repE0EEENS1_30default_config_static_selectorELNS0_4arch9wavefront6targetE1EEEvT1_: ; @_ZN7rocprim17ROCPRIM_400000_NS6detail17trampoline_kernelINS0_14default_configENS1_33run_length_encode_config_selectorIljNS0_4plusIjEEEEZZNS1_33reduce_by_key_impl_wrapped_configILNS1_25lookback_scan_determinismE0ES3_S7_PKlNS0_17constant_iteratorIjlEEPlSE_SE_S6_NS0_8equal_toIlEEEE10hipError_tPvRmT2_T3_mT4_T5_T6_T7_T8_P12ihipStream_tbENKUlT_T0_E_clISt17integral_constantIbLb0EESY_EEDaST_SU_EUlST_E_NS1_11comp_targetILNS1_3genE9ELNS1_11target_archE1100ELNS1_3gpuE3ELNS1_3repE0EEENS1_30default_config_static_selectorELNS0_4arch9wavefront6targetE1EEEvT1_
; %bb.0:
	.section	.rodata,"a",@progbits
	.p2align	6, 0x0
	.amdhsa_kernel _ZN7rocprim17ROCPRIM_400000_NS6detail17trampoline_kernelINS0_14default_configENS1_33run_length_encode_config_selectorIljNS0_4plusIjEEEEZZNS1_33reduce_by_key_impl_wrapped_configILNS1_25lookback_scan_determinismE0ES3_S7_PKlNS0_17constant_iteratorIjlEEPlSE_SE_S6_NS0_8equal_toIlEEEE10hipError_tPvRmT2_T3_mT4_T5_T6_T7_T8_P12ihipStream_tbENKUlT_T0_E_clISt17integral_constantIbLb0EESY_EEDaST_SU_EUlST_E_NS1_11comp_targetILNS1_3genE9ELNS1_11target_archE1100ELNS1_3gpuE3ELNS1_3repE0EEENS1_30default_config_static_selectorELNS0_4arch9wavefront6targetE1EEEvT1_
		.amdhsa_group_segment_fixed_size 0
		.amdhsa_private_segment_fixed_size 0
		.amdhsa_kernarg_size 128
		.amdhsa_user_sgpr_count 6
		.amdhsa_user_sgpr_private_segment_buffer 1
		.amdhsa_user_sgpr_dispatch_ptr 0
		.amdhsa_user_sgpr_queue_ptr 0
		.amdhsa_user_sgpr_kernarg_segment_ptr 1
		.amdhsa_user_sgpr_dispatch_id 0
		.amdhsa_user_sgpr_flat_scratch_init 0
		.amdhsa_user_sgpr_kernarg_preload_length 0
		.amdhsa_user_sgpr_kernarg_preload_offset 0
		.amdhsa_user_sgpr_private_segment_size 0
		.amdhsa_uses_dynamic_stack 0
		.amdhsa_system_sgpr_private_segment_wavefront_offset 0
		.amdhsa_system_sgpr_workgroup_id_x 1
		.amdhsa_system_sgpr_workgroup_id_y 0
		.amdhsa_system_sgpr_workgroup_id_z 0
		.amdhsa_system_sgpr_workgroup_info 0
		.amdhsa_system_vgpr_workitem_id 0
		.amdhsa_next_free_vgpr 1
		.amdhsa_next_free_sgpr 0
		.amdhsa_accum_offset 4
		.amdhsa_reserve_vcc 0
		.amdhsa_reserve_flat_scratch 0
		.amdhsa_float_round_mode_32 0
		.amdhsa_float_round_mode_16_64 0
		.amdhsa_float_denorm_mode_32 3
		.amdhsa_float_denorm_mode_16_64 3
		.amdhsa_dx10_clamp 1
		.amdhsa_ieee_mode 1
		.amdhsa_fp16_overflow 0
		.amdhsa_tg_split 0
		.amdhsa_exception_fp_ieee_invalid_op 0
		.amdhsa_exception_fp_denorm_src 0
		.amdhsa_exception_fp_ieee_div_zero 0
		.amdhsa_exception_fp_ieee_overflow 0
		.amdhsa_exception_fp_ieee_underflow 0
		.amdhsa_exception_fp_ieee_inexact 0
		.amdhsa_exception_int_div_zero 0
	.end_amdhsa_kernel
	.section	.text._ZN7rocprim17ROCPRIM_400000_NS6detail17trampoline_kernelINS0_14default_configENS1_33run_length_encode_config_selectorIljNS0_4plusIjEEEEZZNS1_33reduce_by_key_impl_wrapped_configILNS1_25lookback_scan_determinismE0ES3_S7_PKlNS0_17constant_iteratorIjlEEPlSE_SE_S6_NS0_8equal_toIlEEEE10hipError_tPvRmT2_T3_mT4_T5_T6_T7_T8_P12ihipStream_tbENKUlT_T0_E_clISt17integral_constantIbLb0EESY_EEDaST_SU_EUlST_E_NS1_11comp_targetILNS1_3genE9ELNS1_11target_archE1100ELNS1_3gpuE3ELNS1_3repE0EEENS1_30default_config_static_selectorELNS0_4arch9wavefront6targetE1EEEvT1_,"axG",@progbits,_ZN7rocprim17ROCPRIM_400000_NS6detail17trampoline_kernelINS0_14default_configENS1_33run_length_encode_config_selectorIljNS0_4plusIjEEEEZZNS1_33reduce_by_key_impl_wrapped_configILNS1_25lookback_scan_determinismE0ES3_S7_PKlNS0_17constant_iteratorIjlEEPlSE_SE_S6_NS0_8equal_toIlEEEE10hipError_tPvRmT2_T3_mT4_T5_T6_T7_T8_P12ihipStream_tbENKUlT_T0_E_clISt17integral_constantIbLb0EESY_EEDaST_SU_EUlST_E_NS1_11comp_targetILNS1_3genE9ELNS1_11target_archE1100ELNS1_3gpuE3ELNS1_3repE0EEENS1_30default_config_static_selectorELNS0_4arch9wavefront6targetE1EEEvT1_,comdat
.Lfunc_end518:
	.size	_ZN7rocprim17ROCPRIM_400000_NS6detail17trampoline_kernelINS0_14default_configENS1_33run_length_encode_config_selectorIljNS0_4plusIjEEEEZZNS1_33reduce_by_key_impl_wrapped_configILNS1_25lookback_scan_determinismE0ES3_S7_PKlNS0_17constant_iteratorIjlEEPlSE_SE_S6_NS0_8equal_toIlEEEE10hipError_tPvRmT2_T3_mT4_T5_T6_T7_T8_P12ihipStream_tbENKUlT_T0_E_clISt17integral_constantIbLb0EESY_EEDaST_SU_EUlST_E_NS1_11comp_targetILNS1_3genE9ELNS1_11target_archE1100ELNS1_3gpuE3ELNS1_3repE0EEENS1_30default_config_static_selectorELNS0_4arch9wavefront6targetE1EEEvT1_, .Lfunc_end518-_ZN7rocprim17ROCPRIM_400000_NS6detail17trampoline_kernelINS0_14default_configENS1_33run_length_encode_config_selectorIljNS0_4plusIjEEEEZZNS1_33reduce_by_key_impl_wrapped_configILNS1_25lookback_scan_determinismE0ES3_S7_PKlNS0_17constant_iteratorIjlEEPlSE_SE_S6_NS0_8equal_toIlEEEE10hipError_tPvRmT2_T3_mT4_T5_T6_T7_T8_P12ihipStream_tbENKUlT_T0_E_clISt17integral_constantIbLb0EESY_EEDaST_SU_EUlST_E_NS1_11comp_targetILNS1_3genE9ELNS1_11target_archE1100ELNS1_3gpuE3ELNS1_3repE0EEENS1_30default_config_static_selectorELNS0_4arch9wavefront6targetE1EEEvT1_
                                        ; -- End function
	.section	.AMDGPU.csdata,"",@progbits
; Kernel info:
; codeLenInByte = 0
; NumSgprs: 4
; NumVgprs: 0
; NumAgprs: 0
; TotalNumVgprs: 0
; ScratchSize: 0
; MemoryBound: 0
; FloatMode: 240
; IeeeMode: 1
; LDSByteSize: 0 bytes/workgroup (compile time only)
; SGPRBlocks: 0
; VGPRBlocks: 0
; NumSGPRsForWavesPerEU: 4
; NumVGPRsForWavesPerEU: 1
; AccumOffset: 4
; Occupancy: 8
; WaveLimiterHint : 0
; COMPUTE_PGM_RSRC2:SCRATCH_EN: 0
; COMPUTE_PGM_RSRC2:USER_SGPR: 6
; COMPUTE_PGM_RSRC2:TRAP_HANDLER: 0
; COMPUTE_PGM_RSRC2:TGID_X_EN: 1
; COMPUTE_PGM_RSRC2:TGID_Y_EN: 0
; COMPUTE_PGM_RSRC2:TGID_Z_EN: 0
; COMPUTE_PGM_RSRC2:TIDIG_COMP_CNT: 0
; COMPUTE_PGM_RSRC3_GFX90A:ACCUM_OFFSET: 0
; COMPUTE_PGM_RSRC3_GFX90A:TG_SPLIT: 0
	.section	.text._ZN7rocprim17ROCPRIM_400000_NS6detail17trampoline_kernelINS0_14default_configENS1_33run_length_encode_config_selectorIljNS0_4plusIjEEEEZZNS1_33reduce_by_key_impl_wrapped_configILNS1_25lookback_scan_determinismE0ES3_S7_PKlNS0_17constant_iteratorIjlEEPlSE_SE_S6_NS0_8equal_toIlEEEE10hipError_tPvRmT2_T3_mT4_T5_T6_T7_T8_P12ihipStream_tbENKUlT_T0_E_clISt17integral_constantIbLb0EESY_EEDaST_SU_EUlST_E_NS1_11comp_targetILNS1_3genE8ELNS1_11target_archE1030ELNS1_3gpuE2ELNS1_3repE0EEENS1_30default_config_static_selectorELNS0_4arch9wavefront6targetE1EEEvT1_,"axG",@progbits,_ZN7rocprim17ROCPRIM_400000_NS6detail17trampoline_kernelINS0_14default_configENS1_33run_length_encode_config_selectorIljNS0_4plusIjEEEEZZNS1_33reduce_by_key_impl_wrapped_configILNS1_25lookback_scan_determinismE0ES3_S7_PKlNS0_17constant_iteratorIjlEEPlSE_SE_S6_NS0_8equal_toIlEEEE10hipError_tPvRmT2_T3_mT4_T5_T6_T7_T8_P12ihipStream_tbENKUlT_T0_E_clISt17integral_constantIbLb0EESY_EEDaST_SU_EUlST_E_NS1_11comp_targetILNS1_3genE8ELNS1_11target_archE1030ELNS1_3gpuE2ELNS1_3repE0EEENS1_30default_config_static_selectorELNS0_4arch9wavefront6targetE1EEEvT1_,comdat
	.protected	_ZN7rocprim17ROCPRIM_400000_NS6detail17trampoline_kernelINS0_14default_configENS1_33run_length_encode_config_selectorIljNS0_4plusIjEEEEZZNS1_33reduce_by_key_impl_wrapped_configILNS1_25lookback_scan_determinismE0ES3_S7_PKlNS0_17constant_iteratorIjlEEPlSE_SE_S6_NS0_8equal_toIlEEEE10hipError_tPvRmT2_T3_mT4_T5_T6_T7_T8_P12ihipStream_tbENKUlT_T0_E_clISt17integral_constantIbLb0EESY_EEDaST_SU_EUlST_E_NS1_11comp_targetILNS1_3genE8ELNS1_11target_archE1030ELNS1_3gpuE2ELNS1_3repE0EEENS1_30default_config_static_selectorELNS0_4arch9wavefront6targetE1EEEvT1_ ; -- Begin function _ZN7rocprim17ROCPRIM_400000_NS6detail17trampoline_kernelINS0_14default_configENS1_33run_length_encode_config_selectorIljNS0_4plusIjEEEEZZNS1_33reduce_by_key_impl_wrapped_configILNS1_25lookback_scan_determinismE0ES3_S7_PKlNS0_17constant_iteratorIjlEEPlSE_SE_S6_NS0_8equal_toIlEEEE10hipError_tPvRmT2_T3_mT4_T5_T6_T7_T8_P12ihipStream_tbENKUlT_T0_E_clISt17integral_constantIbLb0EESY_EEDaST_SU_EUlST_E_NS1_11comp_targetILNS1_3genE8ELNS1_11target_archE1030ELNS1_3gpuE2ELNS1_3repE0EEENS1_30default_config_static_selectorELNS0_4arch9wavefront6targetE1EEEvT1_
	.globl	_ZN7rocprim17ROCPRIM_400000_NS6detail17trampoline_kernelINS0_14default_configENS1_33run_length_encode_config_selectorIljNS0_4plusIjEEEEZZNS1_33reduce_by_key_impl_wrapped_configILNS1_25lookback_scan_determinismE0ES3_S7_PKlNS0_17constant_iteratorIjlEEPlSE_SE_S6_NS0_8equal_toIlEEEE10hipError_tPvRmT2_T3_mT4_T5_T6_T7_T8_P12ihipStream_tbENKUlT_T0_E_clISt17integral_constantIbLb0EESY_EEDaST_SU_EUlST_E_NS1_11comp_targetILNS1_3genE8ELNS1_11target_archE1030ELNS1_3gpuE2ELNS1_3repE0EEENS1_30default_config_static_selectorELNS0_4arch9wavefront6targetE1EEEvT1_
	.p2align	8
	.type	_ZN7rocprim17ROCPRIM_400000_NS6detail17trampoline_kernelINS0_14default_configENS1_33run_length_encode_config_selectorIljNS0_4plusIjEEEEZZNS1_33reduce_by_key_impl_wrapped_configILNS1_25lookback_scan_determinismE0ES3_S7_PKlNS0_17constant_iteratorIjlEEPlSE_SE_S6_NS0_8equal_toIlEEEE10hipError_tPvRmT2_T3_mT4_T5_T6_T7_T8_P12ihipStream_tbENKUlT_T0_E_clISt17integral_constantIbLb0EESY_EEDaST_SU_EUlST_E_NS1_11comp_targetILNS1_3genE8ELNS1_11target_archE1030ELNS1_3gpuE2ELNS1_3repE0EEENS1_30default_config_static_selectorELNS0_4arch9wavefront6targetE1EEEvT1_,@function
_ZN7rocprim17ROCPRIM_400000_NS6detail17trampoline_kernelINS0_14default_configENS1_33run_length_encode_config_selectorIljNS0_4plusIjEEEEZZNS1_33reduce_by_key_impl_wrapped_configILNS1_25lookback_scan_determinismE0ES3_S7_PKlNS0_17constant_iteratorIjlEEPlSE_SE_S6_NS0_8equal_toIlEEEE10hipError_tPvRmT2_T3_mT4_T5_T6_T7_T8_P12ihipStream_tbENKUlT_T0_E_clISt17integral_constantIbLb0EESY_EEDaST_SU_EUlST_E_NS1_11comp_targetILNS1_3genE8ELNS1_11target_archE1030ELNS1_3gpuE2ELNS1_3repE0EEENS1_30default_config_static_selectorELNS0_4arch9wavefront6targetE1EEEvT1_: ; @_ZN7rocprim17ROCPRIM_400000_NS6detail17trampoline_kernelINS0_14default_configENS1_33run_length_encode_config_selectorIljNS0_4plusIjEEEEZZNS1_33reduce_by_key_impl_wrapped_configILNS1_25lookback_scan_determinismE0ES3_S7_PKlNS0_17constant_iteratorIjlEEPlSE_SE_S6_NS0_8equal_toIlEEEE10hipError_tPvRmT2_T3_mT4_T5_T6_T7_T8_P12ihipStream_tbENKUlT_T0_E_clISt17integral_constantIbLb0EESY_EEDaST_SU_EUlST_E_NS1_11comp_targetILNS1_3genE8ELNS1_11target_archE1030ELNS1_3gpuE2ELNS1_3repE0EEENS1_30default_config_static_selectorELNS0_4arch9wavefront6targetE1EEEvT1_
; %bb.0:
	.section	.rodata,"a",@progbits
	.p2align	6, 0x0
	.amdhsa_kernel _ZN7rocprim17ROCPRIM_400000_NS6detail17trampoline_kernelINS0_14default_configENS1_33run_length_encode_config_selectorIljNS0_4plusIjEEEEZZNS1_33reduce_by_key_impl_wrapped_configILNS1_25lookback_scan_determinismE0ES3_S7_PKlNS0_17constant_iteratorIjlEEPlSE_SE_S6_NS0_8equal_toIlEEEE10hipError_tPvRmT2_T3_mT4_T5_T6_T7_T8_P12ihipStream_tbENKUlT_T0_E_clISt17integral_constantIbLb0EESY_EEDaST_SU_EUlST_E_NS1_11comp_targetILNS1_3genE8ELNS1_11target_archE1030ELNS1_3gpuE2ELNS1_3repE0EEENS1_30default_config_static_selectorELNS0_4arch9wavefront6targetE1EEEvT1_
		.amdhsa_group_segment_fixed_size 0
		.amdhsa_private_segment_fixed_size 0
		.amdhsa_kernarg_size 128
		.amdhsa_user_sgpr_count 6
		.amdhsa_user_sgpr_private_segment_buffer 1
		.amdhsa_user_sgpr_dispatch_ptr 0
		.amdhsa_user_sgpr_queue_ptr 0
		.amdhsa_user_sgpr_kernarg_segment_ptr 1
		.amdhsa_user_sgpr_dispatch_id 0
		.amdhsa_user_sgpr_flat_scratch_init 0
		.amdhsa_user_sgpr_kernarg_preload_length 0
		.amdhsa_user_sgpr_kernarg_preload_offset 0
		.amdhsa_user_sgpr_private_segment_size 0
		.amdhsa_uses_dynamic_stack 0
		.amdhsa_system_sgpr_private_segment_wavefront_offset 0
		.amdhsa_system_sgpr_workgroup_id_x 1
		.amdhsa_system_sgpr_workgroup_id_y 0
		.amdhsa_system_sgpr_workgroup_id_z 0
		.amdhsa_system_sgpr_workgroup_info 0
		.amdhsa_system_vgpr_workitem_id 0
		.amdhsa_next_free_vgpr 1
		.amdhsa_next_free_sgpr 0
		.amdhsa_accum_offset 4
		.amdhsa_reserve_vcc 0
		.amdhsa_reserve_flat_scratch 0
		.amdhsa_float_round_mode_32 0
		.amdhsa_float_round_mode_16_64 0
		.amdhsa_float_denorm_mode_32 3
		.amdhsa_float_denorm_mode_16_64 3
		.amdhsa_dx10_clamp 1
		.amdhsa_ieee_mode 1
		.amdhsa_fp16_overflow 0
		.amdhsa_tg_split 0
		.amdhsa_exception_fp_ieee_invalid_op 0
		.amdhsa_exception_fp_denorm_src 0
		.amdhsa_exception_fp_ieee_div_zero 0
		.amdhsa_exception_fp_ieee_overflow 0
		.amdhsa_exception_fp_ieee_underflow 0
		.amdhsa_exception_fp_ieee_inexact 0
		.amdhsa_exception_int_div_zero 0
	.end_amdhsa_kernel
	.section	.text._ZN7rocprim17ROCPRIM_400000_NS6detail17trampoline_kernelINS0_14default_configENS1_33run_length_encode_config_selectorIljNS0_4plusIjEEEEZZNS1_33reduce_by_key_impl_wrapped_configILNS1_25lookback_scan_determinismE0ES3_S7_PKlNS0_17constant_iteratorIjlEEPlSE_SE_S6_NS0_8equal_toIlEEEE10hipError_tPvRmT2_T3_mT4_T5_T6_T7_T8_P12ihipStream_tbENKUlT_T0_E_clISt17integral_constantIbLb0EESY_EEDaST_SU_EUlST_E_NS1_11comp_targetILNS1_3genE8ELNS1_11target_archE1030ELNS1_3gpuE2ELNS1_3repE0EEENS1_30default_config_static_selectorELNS0_4arch9wavefront6targetE1EEEvT1_,"axG",@progbits,_ZN7rocprim17ROCPRIM_400000_NS6detail17trampoline_kernelINS0_14default_configENS1_33run_length_encode_config_selectorIljNS0_4plusIjEEEEZZNS1_33reduce_by_key_impl_wrapped_configILNS1_25lookback_scan_determinismE0ES3_S7_PKlNS0_17constant_iteratorIjlEEPlSE_SE_S6_NS0_8equal_toIlEEEE10hipError_tPvRmT2_T3_mT4_T5_T6_T7_T8_P12ihipStream_tbENKUlT_T0_E_clISt17integral_constantIbLb0EESY_EEDaST_SU_EUlST_E_NS1_11comp_targetILNS1_3genE8ELNS1_11target_archE1030ELNS1_3gpuE2ELNS1_3repE0EEENS1_30default_config_static_selectorELNS0_4arch9wavefront6targetE1EEEvT1_,comdat
.Lfunc_end519:
	.size	_ZN7rocprim17ROCPRIM_400000_NS6detail17trampoline_kernelINS0_14default_configENS1_33run_length_encode_config_selectorIljNS0_4plusIjEEEEZZNS1_33reduce_by_key_impl_wrapped_configILNS1_25lookback_scan_determinismE0ES3_S7_PKlNS0_17constant_iteratorIjlEEPlSE_SE_S6_NS0_8equal_toIlEEEE10hipError_tPvRmT2_T3_mT4_T5_T6_T7_T8_P12ihipStream_tbENKUlT_T0_E_clISt17integral_constantIbLb0EESY_EEDaST_SU_EUlST_E_NS1_11comp_targetILNS1_3genE8ELNS1_11target_archE1030ELNS1_3gpuE2ELNS1_3repE0EEENS1_30default_config_static_selectorELNS0_4arch9wavefront6targetE1EEEvT1_, .Lfunc_end519-_ZN7rocprim17ROCPRIM_400000_NS6detail17trampoline_kernelINS0_14default_configENS1_33run_length_encode_config_selectorIljNS0_4plusIjEEEEZZNS1_33reduce_by_key_impl_wrapped_configILNS1_25lookback_scan_determinismE0ES3_S7_PKlNS0_17constant_iteratorIjlEEPlSE_SE_S6_NS0_8equal_toIlEEEE10hipError_tPvRmT2_T3_mT4_T5_T6_T7_T8_P12ihipStream_tbENKUlT_T0_E_clISt17integral_constantIbLb0EESY_EEDaST_SU_EUlST_E_NS1_11comp_targetILNS1_3genE8ELNS1_11target_archE1030ELNS1_3gpuE2ELNS1_3repE0EEENS1_30default_config_static_selectorELNS0_4arch9wavefront6targetE1EEEvT1_
                                        ; -- End function
	.section	.AMDGPU.csdata,"",@progbits
; Kernel info:
; codeLenInByte = 0
; NumSgprs: 4
; NumVgprs: 0
; NumAgprs: 0
; TotalNumVgprs: 0
; ScratchSize: 0
; MemoryBound: 0
; FloatMode: 240
; IeeeMode: 1
; LDSByteSize: 0 bytes/workgroup (compile time only)
; SGPRBlocks: 0
; VGPRBlocks: 0
; NumSGPRsForWavesPerEU: 4
; NumVGPRsForWavesPerEU: 1
; AccumOffset: 4
; Occupancy: 8
; WaveLimiterHint : 0
; COMPUTE_PGM_RSRC2:SCRATCH_EN: 0
; COMPUTE_PGM_RSRC2:USER_SGPR: 6
; COMPUTE_PGM_RSRC2:TRAP_HANDLER: 0
; COMPUTE_PGM_RSRC2:TGID_X_EN: 1
; COMPUTE_PGM_RSRC2:TGID_Y_EN: 0
; COMPUTE_PGM_RSRC2:TGID_Z_EN: 0
; COMPUTE_PGM_RSRC2:TIDIG_COMP_CNT: 0
; COMPUTE_PGM_RSRC3_GFX90A:ACCUM_OFFSET: 0
; COMPUTE_PGM_RSRC3_GFX90A:TG_SPLIT: 0
	.section	.text._ZN7rocprim17ROCPRIM_400000_NS6detail17trampoline_kernelINS0_14default_configENS1_33run_length_encode_config_selectorIljNS0_4plusIjEEEEZZNS1_33reduce_by_key_impl_wrapped_configILNS1_25lookback_scan_determinismE0ES3_S7_PKlNS0_17constant_iteratorIjlEEPlSE_SE_S6_NS0_8equal_toIlEEEE10hipError_tPvRmT2_T3_mT4_T5_T6_T7_T8_P12ihipStream_tbENKUlT_T0_E_clISt17integral_constantIbLb1EESY_EEDaST_SU_EUlST_E_NS1_11comp_targetILNS1_3genE0ELNS1_11target_archE4294967295ELNS1_3gpuE0ELNS1_3repE0EEENS1_30default_config_static_selectorELNS0_4arch9wavefront6targetE1EEEvT1_,"axG",@progbits,_ZN7rocprim17ROCPRIM_400000_NS6detail17trampoline_kernelINS0_14default_configENS1_33run_length_encode_config_selectorIljNS0_4plusIjEEEEZZNS1_33reduce_by_key_impl_wrapped_configILNS1_25lookback_scan_determinismE0ES3_S7_PKlNS0_17constant_iteratorIjlEEPlSE_SE_S6_NS0_8equal_toIlEEEE10hipError_tPvRmT2_T3_mT4_T5_T6_T7_T8_P12ihipStream_tbENKUlT_T0_E_clISt17integral_constantIbLb1EESY_EEDaST_SU_EUlST_E_NS1_11comp_targetILNS1_3genE0ELNS1_11target_archE4294967295ELNS1_3gpuE0ELNS1_3repE0EEENS1_30default_config_static_selectorELNS0_4arch9wavefront6targetE1EEEvT1_,comdat
	.protected	_ZN7rocprim17ROCPRIM_400000_NS6detail17trampoline_kernelINS0_14default_configENS1_33run_length_encode_config_selectorIljNS0_4plusIjEEEEZZNS1_33reduce_by_key_impl_wrapped_configILNS1_25lookback_scan_determinismE0ES3_S7_PKlNS0_17constant_iteratorIjlEEPlSE_SE_S6_NS0_8equal_toIlEEEE10hipError_tPvRmT2_T3_mT4_T5_T6_T7_T8_P12ihipStream_tbENKUlT_T0_E_clISt17integral_constantIbLb1EESY_EEDaST_SU_EUlST_E_NS1_11comp_targetILNS1_3genE0ELNS1_11target_archE4294967295ELNS1_3gpuE0ELNS1_3repE0EEENS1_30default_config_static_selectorELNS0_4arch9wavefront6targetE1EEEvT1_ ; -- Begin function _ZN7rocprim17ROCPRIM_400000_NS6detail17trampoline_kernelINS0_14default_configENS1_33run_length_encode_config_selectorIljNS0_4plusIjEEEEZZNS1_33reduce_by_key_impl_wrapped_configILNS1_25lookback_scan_determinismE0ES3_S7_PKlNS0_17constant_iteratorIjlEEPlSE_SE_S6_NS0_8equal_toIlEEEE10hipError_tPvRmT2_T3_mT4_T5_T6_T7_T8_P12ihipStream_tbENKUlT_T0_E_clISt17integral_constantIbLb1EESY_EEDaST_SU_EUlST_E_NS1_11comp_targetILNS1_3genE0ELNS1_11target_archE4294967295ELNS1_3gpuE0ELNS1_3repE0EEENS1_30default_config_static_selectorELNS0_4arch9wavefront6targetE1EEEvT1_
	.globl	_ZN7rocprim17ROCPRIM_400000_NS6detail17trampoline_kernelINS0_14default_configENS1_33run_length_encode_config_selectorIljNS0_4plusIjEEEEZZNS1_33reduce_by_key_impl_wrapped_configILNS1_25lookback_scan_determinismE0ES3_S7_PKlNS0_17constant_iteratorIjlEEPlSE_SE_S6_NS0_8equal_toIlEEEE10hipError_tPvRmT2_T3_mT4_T5_T6_T7_T8_P12ihipStream_tbENKUlT_T0_E_clISt17integral_constantIbLb1EESY_EEDaST_SU_EUlST_E_NS1_11comp_targetILNS1_3genE0ELNS1_11target_archE4294967295ELNS1_3gpuE0ELNS1_3repE0EEENS1_30default_config_static_selectorELNS0_4arch9wavefront6targetE1EEEvT1_
	.p2align	8
	.type	_ZN7rocprim17ROCPRIM_400000_NS6detail17trampoline_kernelINS0_14default_configENS1_33run_length_encode_config_selectorIljNS0_4plusIjEEEEZZNS1_33reduce_by_key_impl_wrapped_configILNS1_25lookback_scan_determinismE0ES3_S7_PKlNS0_17constant_iteratorIjlEEPlSE_SE_S6_NS0_8equal_toIlEEEE10hipError_tPvRmT2_T3_mT4_T5_T6_T7_T8_P12ihipStream_tbENKUlT_T0_E_clISt17integral_constantIbLb1EESY_EEDaST_SU_EUlST_E_NS1_11comp_targetILNS1_3genE0ELNS1_11target_archE4294967295ELNS1_3gpuE0ELNS1_3repE0EEENS1_30default_config_static_selectorELNS0_4arch9wavefront6targetE1EEEvT1_,@function
_ZN7rocprim17ROCPRIM_400000_NS6detail17trampoline_kernelINS0_14default_configENS1_33run_length_encode_config_selectorIljNS0_4plusIjEEEEZZNS1_33reduce_by_key_impl_wrapped_configILNS1_25lookback_scan_determinismE0ES3_S7_PKlNS0_17constant_iteratorIjlEEPlSE_SE_S6_NS0_8equal_toIlEEEE10hipError_tPvRmT2_T3_mT4_T5_T6_T7_T8_P12ihipStream_tbENKUlT_T0_E_clISt17integral_constantIbLb1EESY_EEDaST_SU_EUlST_E_NS1_11comp_targetILNS1_3genE0ELNS1_11target_archE4294967295ELNS1_3gpuE0ELNS1_3repE0EEENS1_30default_config_static_selectorELNS0_4arch9wavefront6targetE1EEEvT1_: ; @_ZN7rocprim17ROCPRIM_400000_NS6detail17trampoline_kernelINS0_14default_configENS1_33run_length_encode_config_selectorIljNS0_4plusIjEEEEZZNS1_33reduce_by_key_impl_wrapped_configILNS1_25lookback_scan_determinismE0ES3_S7_PKlNS0_17constant_iteratorIjlEEPlSE_SE_S6_NS0_8equal_toIlEEEE10hipError_tPvRmT2_T3_mT4_T5_T6_T7_T8_P12ihipStream_tbENKUlT_T0_E_clISt17integral_constantIbLb1EESY_EEDaST_SU_EUlST_E_NS1_11comp_targetILNS1_3genE0ELNS1_11target_archE4294967295ELNS1_3gpuE0ELNS1_3repE0EEENS1_30default_config_static_selectorELNS0_4arch9wavefront6targetE1EEEvT1_
; %bb.0:
	.section	.rodata,"a",@progbits
	.p2align	6, 0x0
	.amdhsa_kernel _ZN7rocprim17ROCPRIM_400000_NS6detail17trampoline_kernelINS0_14default_configENS1_33run_length_encode_config_selectorIljNS0_4plusIjEEEEZZNS1_33reduce_by_key_impl_wrapped_configILNS1_25lookback_scan_determinismE0ES3_S7_PKlNS0_17constant_iteratorIjlEEPlSE_SE_S6_NS0_8equal_toIlEEEE10hipError_tPvRmT2_T3_mT4_T5_T6_T7_T8_P12ihipStream_tbENKUlT_T0_E_clISt17integral_constantIbLb1EESY_EEDaST_SU_EUlST_E_NS1_11comp_targetILNS1_3genE0ELNS1_11target_archE4294967295ELNS1_3gpuE0ELNS1_3repE0EEENS1_30default_config_static_selectorELNS0_4arch9wavefront6targetE1EEEvT1_
		.amdhsa_group_segment_fixed_size 0
		.amdhsa_private_segment_fixed_size 0
		.amdhsa_kernarg_size 128
		.amdhsa_user_sgpr_count 6
		.amdhsa_user_sgpr_private_segment_buffer 1
		.amdhsa_user_sgpr_dispatch_ptr 0
		.amdhsa_user_sgpr_queue_ptr 0
		.amdhsa_user_sgpr_kernarg_segment_ptr 1
		.amdhsa_user_sgpr_dispatch_id 0
		.amdhsa_user_sgpr_flat_scratch_init 0
		.amdhsa_user_sgpr_kernarg_preload_length 0
		.amdhsa_user_sgpr_kernarg_preload_offset 0
		.amdhsa_user_sgpr_private_segment_size 0
		.amdhsa_uses_dynamic_stack 0
		.amdhsa_system_sgpr_private_segment_wavefront_offset 0
		.amdhsa_system_sgpr_workgroup_id_x 1
		.amdhsa_system_sgpr_workgroup_id_y 0
		.amdhsa_system_sgpr_workgroup_id_z 0
		.amdhsa_system_sgpr_workgroup_info 0
		.amdhsa_system_vgpr_workitem_id 0
		.amdhsa_next_free_vgpr 1
		.amdhsa_next_free_sgpr 0
		.amdhsa_accum_offset 4
		.amdhsa_reserve_vcc 0
		.amdhsa_reserve_flat_scratch 0
		.amdhsa_float_round_mode_32 0
		.amdhsa_float_round_mode_16_64 0
		.amdhsa_float_denorm_mode_32 3
		.amdhsa_float_denorm_mode_16_64 3
		.amdhsa_dx10_clamp 1
		.amdhsa_ieee_mode 1
		.amdhsa_fp16_overflow 0
		.amdhsa_tg_split 0
		.amdhsa_exception_fp_ieee_invalid_op 0
		.amdhsa_exception_fp_denorm_src 0
		.amdhsa_exception_fp_ieee_div_zero 0
		.amdhsa_exception_fp_ieee_overflow 0
		.amdhsa_exception_fp_ieee_underflow 0
		.amdhsa_exception_fp_ieee_inexact 0
		.amdhsa_exception_int_div_zero 0
	.end_amdhsa_kernel
	.section	.text._ZN7rocprim17ROCPRIM_400000_NS6detail17trampoline_kernelINS0_14default_configENS1_33run_length_encode_config_selectorIljNS0_4plusIjEEEEZZNS1_33reduce_by_key_impl_wrapped_configILNS1_25lookback_scan_determinismE0ES3_S7_PKlNS0_17constant_iteratorIjlEEPlSE_SE_S6_NS0_8equal_toIlEEEE10hipError_tPvRmT2_T3_mT4_T5_T6_T7_T8_P12ihipStream_tbENKUlT_T0_E_clISt17integral_constantIbLb1EESY_EEDaST_SU_EUlST_E_NS1_11comp_targetILNS1_3genE0ELNS1_11target_archE4294967295ELNS1_3gpuE0ELNS1_3repE0EEENS1_30default_config_static_selectorELNS0_4arch9wavefront6targetE1EEEvT1_,"axG",@progbits,_ZN7rocprim17ROCPRIM_400000_NS6detail17trampoline_kernelINS0_14default_configENS1_33run_length_encode_config_selectorIljNS0_4plusIjEEEEZZNS1_33reduce_by_key_impl_wrapped_configILNS1_25lookback_scan_determinismE0ES3_S7_PKlNS0_17constant_iteratorIjlEEPlSE_SE_S6_NS0_8equal_toIlEEEE10hipError_tPvRmT2_T3_mT4_T5_T6_T7_T8_P12ihipStream_tbENKUlT_T0_E_clISt17integral_constantIbLb1EESY_EEDaST_SU_EUlST_E_NS1_11comp_targetILNS1_3genE0ELNS1_11target_archE4294967295ELNS1_3gpuE0ELNS1_3repE0EEENS1_30default_config_static_selectorELNS0_4arch9wavefront6targetE1EEEvT1_,comdat
.Lfunc_end520:
	.size	_ZN7rocprim17ROCPRIM_400000_NS6detail17trampoline_kernelINS0_14default_configENS1_33run_length_encode_config_selectorIljNS0_4plusIjEEEEZZNS1_33reduce_by_key_impl_wrapped_configILNS1_25lookback_scan_determinismE0ES3_S7_PKlNS0_17constant_iteratorIjlEEPlSE_SE_S6_NS0_8equal_toIlEEEE10hipError_tPvRmT2_T3_mT4_T5_T6_T7_T8_P12ihipStream_tbENKUlT_T0_E_clISt17integral_constantIbLb1EESY_EEDaST_SU_EUlST_E_NS1_11comp_targetILNS1_3genE0ELNS1_11target_archE4294967295ELNS1_3gpuE0ELNS1_3repE0EEENS1_30default_config_static_selectorELNS0_4arch9wavefront6targetE1EEEvT1_, .Lfunc_end520-_ZN7rocprim17ROCPRIM_400000_NS6detail17trampoline_kernelINS0_14default_configENS1_33run_length_encode_config_selectorIljNS0_4plusIjEEEEZZNS1_33reduce_by_key_impl_wrapped_configILNS1_25lookback_scan_determinismE0ES3_S7_PKlNS0_17constant_iteratorIjlEEPlSE_SE_S6_NS0_8equal_toIlEEEE10hipError_tPvRmT2_T3_mT4_T5_T6_T7_T8_P12ihipStream_tbENKUlT_T0_E_clISt17integral_constantIbLb1EESY_EEDaST_SU_EUlST_E_NS1_11comp_targetILNS1_3genE0ELNS1_11target_archE4294967295ELNS1_3gpuE0ELNS1_3repE0EEENS1_30default_config_static_selectorELNS0_4arch9wavefront6targetE1EEEvT1_
                                        ; -- End function
	.section	.AMDGPU.csdata,"",@progbits
; Kernel info:
; codeLenInByte = 0
; NumSgprs: 4
; NumVgprs: 0
; NumAgprs: 0
; TotalNumVgprs: 0
; ScratchSize: 0
; MemoryBound: 0
; FloatMode: 240
; IeeeMode: 1
; LDSByteSize: 0 bytes/workgroup (compile time only)
; SGPRBlocks: 0
; VGPRBlocks: 0
; NumSGPRsForWavesPerEU: 4
; NumVGPRsForWavesPerEU: 1
; AccumOffset: 4
; Occupancy: 8
; WaveLimiterHint : 0
; COMPUTE_PGM_RSRC2:SCRATCH_EN: 0
; COMPUTE_PGM_RSRC2:USER_SGPR: 6
; COMPUTE_PGM_RSRC2:TRAP_HANDLER: 0
; COMPUTE_PGM_RSRC2:TGID_X_EN: 1
; COMPUTE_PGM_RSRC2:TGID_Y_EN: 0
; COMPUTE_PGM_RSRC2:TGID_Z_EN: 0
; COMPUTE_PGM_RSRC2:TIDIG_COMP_CNT: 0
; COMPUTE_PGM_RSRC3_GFX90A:ACCUM_OFFSET: 0
; COMPUTE_PGM_RSRC3_GFX90A:TG_SPLIT: 0
	.section	.text._ZN7rocprim17ROCPRIM_400000_NS6detail17trampoline_kernelINS0_14default_configENS1_33run_length_encode_config_selectorIljNS0_4plusIjEEEEZZNS1_33reduce_by_key_impl_wrapped_configILNS1_25lookback_scan_determinismE0ES3_S7_PKlNS0_17constant_iteratorIjlEEPlSE_SE_S6_NS0_8equal_toIlEEEE10hipError_tPvRmT2_T3_mT4_T5_T6_T7_T8_P12ihipStream_tbENKUlT_T0_E_clISt17integral_constantIbLb1EESY_EEDaST_SU_EUlST_E_NS1_11comp_targetILNS1_3genE5ELNS1_11target_archE942ELNS1_3gpuE9ELNS1_3repE0EEENS1_30default_config_static_selectorELNS0_4arch9wavefront6targetE1EEEvT1_,"axG",@progbits,_ZN7rocprim17ROCPRIM_400000_NS6detail17trampoline_kernelINS0_14default_configENS1_33run_length_encode_config_selectorIljNS0_4plusIjEEEEZZNS1_33reduce_by_key_impl_wrapped_configILNS1_25lookback_scan_determinismE0ES3_S7_PKlNS0_17constant_iteratorIjlEEPlSE_SE_S6_NS0_8equal_toIlEEEE10hipError_tPvRmT2_T3_mT4_T5_T6_T7_T8_P12ihipStream_tbENKUlT_T0_E_clISt17integral_constantIbLb1EESY_EEDaST_SU_EUlST_E_NS1_11comp_targetILNS1_3genE5ELNS1_11target_archE942ELNS1_3gpuE9ELNS1_3repE0EEENS1_30default_config_static_selectorELNS0_4arch9wavefront6targetE1EEEvT1_,comdat
	.protected	_ZN7rocprim17ROCPRIM_400000_NS6detail17trampoline_kernelINS0_14default_configENS1_33run_length_encode_config_selectorIljNS0_4plusIjEEEEZZNS1_33reduce_by_key_impl_wrapped_configILNS1_25lookback_scan_determinismE0ES3_S7_PKlNS0_17constant_iteratorIjlEEPlSE_SE_S6_NS0_8equal_toIlEEEE10hipError_tPvRmT2_T3_mT4_T5_T6_T7_T8_P12ihipStream_tbENKUlT_T0_E_clISt17integral_constantIbLb1EESY_EEDaST_SU_EUlST_E_NS1_11comp_targetILNS1_3genE5ELNS1_11target_archE942ELNS1_3gpuE9ELNS1_3repE0EEENS1_30default_config_static_selectorELNS0_4arch9wavefront6targetE1EEEvT1_ ; -- Begin function _ZN7rocprim17ROCPRIM_400000_NS6detail17trampoline_kernelINS0_14default_configENS1_33run_length_encode_config_selectorIljNS0_4plusIjEEEEZZNS1_33reduce_by_key_impl_wrapped_configILNS1_25lookback_scan_determinismE0ES3_S7_PKlNS0_17constant_iteratorIjlEEPlSE_SE_S6_NS0_8equal_toIlEEEE10hipError_tPvRmT2_T3_mT4_T5_T6_T7_T8_P12ihipStream_tbENKUlT_T0_E_clISt17integral_constantIbLb1EESY_EEDaST_SU_EUlST_E_NS1_11comp_targetILNS1_3genE5ELNS1_11target_archE942ELNS1_3gpuE9ELNS1_3repE0EEENS1_30default_config_static_selectorELNS0_4arch9wavefront6targetE1EEEvT1_
	.globl	_ZN7rocprim17ROCPRIM_400000_NS6detail17trampoline_kernelINS0_14default_configENS1_33run_length_encode_config_selectorIljNS0_4plusIjEEEEZZNS1_33reduce_by_key_impl_wrapped_configILNS1_25lookback_scan_determinismE0ES3_S7_PKlNS0_17constant_iteratorIjlEEPlSE_SE_S6_NS0_8equal_toIlEEEE10hipError_tPvRmT2_T3_mT4_T5_T6_T7_T8_P12ihipStream_tbENKUlT_T0_E_clISt17integral_constantIbLb1EESY_EEDaST_SU_EUlST_E_NS1_11comp_targetILNS1_3genE5ELNS1_11target_archE942ELNS1_3gpuE9ELNS1_3repE0EEENS1_30default_config_static_selectorELNS0_4arch9wavefront6targetE1EEEvT1_
	.p2align	8
	.type	_ZN7rocprim17ROCPRIM_400000_NS6detail17trampoline_kernelINS0_14default_configENS1_33run_length_encode_config_selectorIljNS0_4plusIjEEEEZZNS1_33reduce_by_key_impl_wrapped_configILNS1_25lookback_scan_determinismE0ES3_S7_PKlNS0_17constant_iteratorIjlEEPlSE_SE_S6_NS0_8equal_toIlEEEE10hipError_tPvRmT2_T3_mT4_T5_T6_T7_T8_P12ihipStream_tbENKUlT_T0_E_clISt17integral_constantIbLb1EESY_EEDaST_SU_EUlST_E_NS1_11comp_targetILNS1_3genE5ELNS1_11target_archE942ELNS1_3gpuE9ELNS1_3repE0EEENS1_30default_config_static_selectorELNS0_4arch9wavefront6targetE1EEEvT1_,@function
_ZN7rocprim17ROCPRIM_400000_NS6detail17trampoline_kernelINS0_14default_configENS1_33run_length_encode_config_selectorIljNS0_4plusIjEEEEZZNS1_33reduce_by_key_impl_wrapped_configILNS1_25lookback_scan_determinismE0ES3_S7_PKlNS0_17constant_iteratorIjlEEPlSE_SE_S6_NS0_8equal_toIlEEEE10hipError_tPvRmT2_T3_mT4_T5_T6_T7_T8_P12ihipStream_tbENKUlT_T0_E_clISt17integral_constantIbLb1EESY_EEDaST_SU_EUlST_E_NS1_11comp_targetILNS1_3genE5ELNS1_11target_archE942ELNS1_3gpuE9ELNS1_3repE0EEENS1_30default_config_static_selectorELNS0_4arch9wavefront6targetE1EEEvT1_: ; @_ZN7rocprim17ROCPRIM_400000_NS6detail17trampoline_kernelINS0_14default_configENS1_33run_length_encode_config_selectorIljNS0_4plusIjEEEEZZNS1_33reduce_by_key_impl_wrapped_configILNS1_25lookback_scan_determinismE0ES3_S7_PKlNS0_17constant_iteratorIjlEEPlSE_SE_S6_NS0_8equal_toIlEEEE10hipError_tPvRmT2_T3_mT4_T5_T6_T7_T8_P12ihipStream_tbENKUlT_T0_E_clISt17integral_constantIbLb1EESY_EEDaST_SU_EUlST_E_NS1_11comp_targetILNS1_3genE5ELNS1_11target_archE942ELNS1_3gpuE9ELNS1_3repE0EEENS1_30default_config_static_selectorELNS0_4arch9wavefront6targetE1EEEvT1_
; %bb.0:
	.section	.rodata,"a",@progbits
	.p2align	6, 0x0
	.amdhsa_kernel _ZN7rocprim17ROCPRIM_400000_NS6detail17trampoline_kernelINS0_14default_configENS1_33run_length_encode_config_selectorIljNS0_4plusIjEEEEZZNS1_33reduce_by_key_impl_wrapped_configILNS1_25lookback_scan_determinismE0ES3_S7_PKlNS0_17constant_iteratorIjlEEPlSE_SE_S6_NS0_8equal_toIlEEEE10hipError_tPvRmT2_T3_mT4_T5_T6_T7_T8_P12ihipStream_tbENKUlT_T0_E_clISt17integral_constantIbLb1EESY_EEDaST_SU_EUlST_E_NS1_11comp_targetILNS1_3genE5ELNS1_11target_archE942ELNS1_3gpuE9ELNS1_3repE0EEENS1_30default_config_static_selectorELNS0_4arch9wavefront6targetE1EEEvT1_
		.amdhsa_group_segment_fixed_size 0
		.amdhsa_private_segment_fixed_size 0
		.amdhsa_kernarg_size 128
		.amdhsa_user_sgpr_count 6
		.amdhsa_user_sgpr_private_segment_buffer 1
		.amdhsa_user_sgpr_dispatch_ptr 0
		.amdhsa_user_sgpr_queue_ptr 0
		.amdhsa_user_sgpr_kernarg_segment_ptr 1
		.amdhsa_user_sgpr_dispatch_id 0
		.amdhsa_user_sgpr_flat_scratch_init 0
		.amdhsa_user_sgpr_kernarg_preload_length 0
		.amdhsa_user_sgpr_kernarg_preload_offset 0
		.amdhsa_user_sgpr_private_segment_size 0
		.amdhsa_uses_dynamic_stack 0
		.amdhsa_system_sgpr_private_segment_wavefront_offset 0
		.amdhsa_system_sgpr_workgroup_id_x 1
		.amdhsa_system_sgpr_workgroup_id_y 0
		.amdhsa_system_sgpr_workgroup_id_z 0
		.amdhsa_system_sgpr_workgroup_info 0
		.amdhsa_system_vgpr_workitem_id 0
		.amdhsa_next_free_vgpr 1
		.amdhsa_next_free_sgpr 0
		.amdhsa_accum_offset 4
		.amdhsa_reserve_vcc 0
		.amdhsa_reserve_flat_scratch 0
		.amdhsa_float_round_mode_32 0
		.amdhsa_float_round_mode_16_64 0
		.amdhsa_float_denorm_mode_32 3
		.amdhsa_float_denorm_mode_16_64 3
		.amdhsa_dx10_clamp 1
		.amdhsa_ieee_mode 1
		.amdhsa_fp16_overflow 0
		.amdhsa_tg_split 0
		.amdhsa_exception_fp_ieee_invalid_op 0
		.amdhsa_exception_fp_denorm_src 0
		.amdhsa_exception_fp_ieee_div_zero 0
		.amdhsa_exception_fp_ieee_overflow 0
		.amdhsa_exception_fp_ieee_underflow 0
		.amdhsa_exception_fp_ieee_inexact 0
		.amdhsa_exception_int_div_zero 0
	.end_amdhsa_kernel
	.section	.text._ZN7rocprim17ROCPRIM_400000_NS6detail17trampoline_kernelINS0_14default_configENS1_33run_length_encode_config_selectorIljNS0_4plusIjEEEEZZNS1_33reduce_by_key_impl_wrapped_configILNS1_25lookback_scan_determinismE0ES3_S7_PKlNS0_17constant_iteratorIjlEEPlSE_SE_S6_NS0_8equal_toIlEEEE10hipError_tPvRmT2_T3_mT4_T5_T6_T7_T8_P12ihipStream_tbENKUlT_T0_E_clISt17integral_constantIbLb1EESY_EEDaST_SU_EUlST_E_NS1_11comp_targetILNS1_3genE5ELNS1_11target_archE942ELNS1_3gpuE9ELNS1_3repE0EEENS1_30default_config_static_selectorELNS0_4arch9wavefront6targetE1EEEvT1_,"axG",@progbits,_ZN7rocprim17ROCPRIM_400000_NS6detail17trampoline_kernelINS0_14default_configENS1_33run_length_encode_config_selectorIljNS0_4plusIjEEEEZZNS1_33reduce_by_key_impl_wrapped_configILNS1_25lookback_scan_determinismE0ES3_S7_PKlNS0_17constant_iteratorIjlEEPlSE_SE_S6_NS0_8equal_toIlEEEE10hipError_tPvRmT2_T3_mT4_T5_T6_T7_T8_P12ihipStream_tbENKUlT_T0_E_clISt17integral_constantIbLb1EESY_EEDaST_SU_EUlST_E_NS1_11comp_targetILNS1_3genE5ELNS1_11target_archE942ELNS1_3gpuE9ELNS1_3repE0EEENS1_30default_config_static_selectorELNS0_4arch9wavefront6targetE1EEEvT1_,comdat
.Lfunc_end521:
	.size	_ZN7rocprim17ROCPRIM_400000_NS6detail17trampoline_kernelINS0_14default_configENS1_33run_length_encode_config_selectorIljNS0_4plusIjEEEEZZNS1_33reduce_by_key_impl_wrapped_configILNS1_25lookback_scan_determinismE0ES3_S7_PKlNS0_17constant_iteratorIjlEEPlSE_SE_S6_NS0_8equal_toIlEEEE10hipError_tPvRmT2_T3_mT4_T5_T6_T7_T8_P12ihipStream_tbENKUlT_T0_E_clISt17integral_constantIbLb1EESY_EEDaST_SU_EUlST_E_NS1_11comp_targetILNS1_3genE5ELNS1_11target_archE942ELNS1_3gpuE9ELNS1_3repE0EEENS1_30default_config_static_selectorELNS0_4arch9wavefront6targetE1EEEvT1_, .Lfunc_end521-_ZN7rocprim17ROCPRIM_400000_NS6detail17trampoline_kernelINS0_14default_configENS1_33run_length_encode_config_selectorIljNS0_4plusIjEEEEZZNS1_33reduce_by_key_impl_wrapped_configILNS1_25lookback_scan_determinismE0ES3_S7_PKlNS0_17constant_iteratorIjlEEPlSE_SE_S6_NS0_8equal_toIlEEEE10hipError_tPvRmT2_T3_mT4_T5_T6_T7_T8_P12ihipStream_tbENKUlT_T0_E_clISt17integral_constantIbLb1EESY_EEDaST_SU_EUlST_E_NS1_11comp_targetILNS1_3genE5ELNS1_11target_archE942ELNS1_3gpuE9ELNS1_3repE0EEENS1_30default_config_static_selectorELNS0_4arch9wavefront6targetE1EEEvT1_
                                        ; -- End function
	.section	.AMDGPU.csdata,"",@progbits
; Kernel info:
; codeLenInByte = 0
; NumSgprs: 4
; NumVgprs: 0
; NumAgprs: 0
; TotalNumVgprs: 0
; ScratchSize: 0
; MemoryBound: 0
; FloatMode: 240
; IeeeMode: 1
; LDSByteSize: 0 bytes/workgroup (compile time only)
; SGPRBlocks: 0
; VGPRBlocks: 0
; NumSGPRsForWavesPerEU: 4
; NumVGPRsForWavesPerEU: 1
; AccumOffset: 4
; Occupancy: 8
; WaveLimiterHint : 0
; COMPUTE_PGM_RSRC2:SCRATCH_EN: 0
; COMPUTE_PGM_RSRC2:USER_SGPR: 6
; COMPUTE_PGM_RSRC2:TRAP_HANDLER: 0
; COMPUTE_PGM_RSRC2:TGID_X_EN: 1
; COMPUTE_PGM_RSRC2:TGID_Y_EN: 0
; COMPUTE_PGM_RSRC2:TGID_Z_EN: 0
; COMPUTE_PGM_RSRC2:TIDIG_COMP_CNT: 0
; COMPUTE_PGM_RSRC3_GFX90A:ACCUM_OFFSET: 0
; COMPUTE_PGM_RSRC3_GFX90A:TG_SPLIT: 0
	.section	.text._ZN7rocprim17ROCPRIM_400000_NS6detail17trampoline_kernelINS0_14default_configENS1_33run_length_encode_config_selectorIljNS0_4plusIjEEEEZZNS1_33reduce_by_key_impl_wrapped_configILNS1_25lookback_scan_determinismE0ES3_S7_PKlNS0_17constant_iteratorIjlEEPlSE_SE_S6_NS0_8equal_toIlEEEE10hipError_tPvRmT2_T3_mT4_T5_T6_T7_T8_P12ihipStream_tbENKUlT_T0_E_clISt17integral_constantIbLb1EESY_EEDaST_SU_EUlST_E_NS1_11comp_targetILNS1_3genE4ELNS1_11target_archE910ELNS1_3gpuE8ELNS1_3repE0EEENS1_30default_config_static_selectorELNS0_4arch9wavefront6targetE1EEEvT1_,"axG",@progbits,_ZN7rocprim17ROCPRIM_400000_NS6detail17trampoline_kernelINS0_14default_configENS1_33run_length_encode_config_selectorIljNS0_4plusIjEEEEZZNS1_33reduce_by_key_impl_wrapped_configILNS1_25lookback_scan_determinismE0ES3_S7_PKlNS0_17constant_iteratorIjlEEPlSE_SE_S6_NS0_8equal_toIlEEEE10hipError_tPvRmT2_T3_mT4_T5_T6_T7_T8_P12ihipStream_tbENKUlT_T0_E_clISt17integral_constantIbLb1EESY_EEDaST_SU_EUlST_E_NS1_11comp_targetILNS1_3genE4ELNS1_11target_archE910ELNS1_3gpuE8ELNS1_3repE0EEENS1_30default_config_static_selectorELNS0_4arch9wavefront6targetE1EEEvT1_,comdat
	.protected	_ZN7rocprim17ROCPRIM_400000_NS6detail17trampoline_kernelINS0_14default_configENS1_33run_length_encode_config_selectorIljNS0_4plusIjEEEEZZNS1_33reduce_by_key_impl_wrapped_configILNS1_25lookback_scan_determinismE0ES3_S7_PKlNS0_17constant_iteratorIjlEEPlSE_SE_S6_NS0_8equal_toIlEEEE10hipError_tPvRmT2_T3_mT4_T5_T6_T7_T8_P12ihipStream_tbENKUlT_T0_E_clISt17integral_constantIbLb1EESY_EEDaST_SU_EUlST_E_NS1_11comp_targetILNS1_3genE4ELNS1_11target_archE910ELNS1_3gpuE8ELNS1_3repE0EEENS1_30default_config_static_selectorELNS0_4arch9wavefront6targetE1EEEvT1_ ; -- Begin function _ZN7rocprim17ROCPRIM_400000_NS6detail17trampoline_kernelINS0_14default_configENS1_33run_length_encode_config_selectorIljNS0_4plusIjEEEEZZNS1_33reduce_by_key_impl_wrapped_configILNS1_25lookback_scan_determinismE0ES3_S7_PKlNS0_17constant_iteratorIjlEEPlSE_SE_S6_NS0_8equal_toIlEEEE10hipError_tPvRmT2_T3_mT4_T5_T6_T7_T8_P12ihipStream_tbENKUlT_T0_E_clISt17integral_constantIbLb1EESY_EEDaST_SU_EUlST_E_NS1_11comp_targetILNS1_3genE4ELNS1_11target_archE910ELNS1_3gpuE8ELNS1_3repE0EEENS1_30default_config_static_selectorELNS0_4arch9wavefront6targetE1EEEvT1_
	.globl	_ZN7rocprim17ROCPRIM_400000_NS6detail17trampoline_kernelINS0_14default_configENS1_33run_length_encode_config_selectorIljNS0_4plusIjEEEEZZNS1_33reduce_by_key_impl_wrapped_configILNS1_25lookback_scan_determinismE0ES3_S7_PKlNS0_17constant_iteratorIjlEEPlSE_SE_S6_NS0_8equal_toIlEEEE10hipError_tPvRmT2_T3_mT4_T5_T6_T7_T8_P12ihipStream_tbENKUlT_T0_E_clISt17integral_constantIbLb1EESY_EEDaST_SU_EUlST_E_NS1_11comp_targetILNS1_3genE4ELNS1_11target_archE910ELNS1_3gpuE8ELNS1_3repE0EEENS1_30default_config_static_selectorELNS0_4arch9wavefront6targetE1EEEvT1_
	.p2align	8
	.type	_ZN7rocprim17ROCPRIM_400000_NS6detail17trampoline_kernelINS0_14default_configENS1_33run_length_encode_config_selectorIljNS0_4plusIjEEEEZZNS1_33reduce_by_key_impl_wrapped_configILNS1_25lookback_scan_determinismE0ES3_S7_PKlNS0_17constant_iteratorIjlEEPlSE_SE_S6_NS0_8equal_toIlEEEE10hipError_tPvRmT2_T3_mT4_T5_T6_T7_T8_P12ihipStream_tbENKUlT_T0_E_clISt17integral_constantIbLb1EESY_EEDaST_SU_EUlST_E_NS1_11comp_targetILNS1_3genE4ELNS1_11target_archE910ELNS1_3gpuE8ELNS1_3repE0EEENS1_30default_config_static_selectorELNS0_4arch9wavefront6targetE1EEEvT1_,@function
_ZN7rocprim17ROCPRIM_400000_NS6detail17trampoline_kernelINS0_14default_configENS1_33run_length_encode_config_selectorIljNS0_4plusIjEEEEZZNS1_33reduce_by_key_impl_wrapped_configILNS1_25lookback_scan_determinismE0ES3_S7_PKlNS0_17constant_iteratorIjlEEPlSE_SE_S6_NS0_8equal_toIlEEEE10hipError_tPvRmT2_T3_mT4_T5_T6_T7_T8_P12ihipStream_tbENKUlT_T0_E_clISt17integral_constantIbLb1EESY_EEDaST_SU_EUlST_E_NS1_11comp_targetILNS1_3genE4ELNS1_11target_archE910ELNS1_3gpuE8ELNS1_3repE0EEENS1_30default_config_static_selectorELNS0_4arch9wavefront6targetE1EEEvT1_: ; @_ZN7rocprim17ROCPRIM_400000_NS6detail17trampoline_kernelINS0_14default_configENS1_33run_length_encode_config_selectorIljNS0_4plusIjEEEEZZNS1_33reduce_by_key_impl_wrapped_configILNS1_25lookback_scan_determinismE0ES3_S7_PKlNS0_17constant_iteratorIjlEEPlSE_SE_S6_NS0_8equal_toIlEEEE10hipError_tPvRmT2_T3_mT4_T5_T6_T7_T8_P12ihipStream_tbENKUlT_T0_E_clISt17integral_constantIbLb1EESY_EEDaST_SU_EUlST_E_NS1_11comp_targetILNS1_3genE4ELNS1_11target_archE910ELNS1_3gpuE8ELNS1_3repE0EEENS1_30default_config_static_selectorELNS0_4arch9wavefront6targetE1EEEvT1_
; %bb.0:
	s_load_dword s12, s[4:5], 0x10
	s_load_dwordx4 s[36:39], s[4:5], 0x20
	s_load_dwordx2 s[34:35], s[4:5], 0x30
	s_load_dwordx2 s[40:41], s[4:5], 0x70
	s_load_dwordx4 s[20:23], s[4:5], 0x60
	s_load_dwordx8 s[24:31], s[4:5], 0x40
	v_cmp_ne_u32_e64 s[2:3], 0, v0
	v_cmp_eq_u32_e64 s[0:1], 0, v0
	s_and_saveexec_b64 s[6:7], s[0:1]
	s_cbranch_execz .LBB522_4
; %bb.1:
	s_mov_b64 s[10:11], exec
	v_mbcnt_lo_u32_b32 v1, s10, 0
	v_mbcnt_hi_u32_b32 v1, s11, v1
	v_cmp_eq_u32_e32 vcc, 0, v1
                                        ; implicit-def: $vgpr2
	s_and_saveexec_b64 s[8:9], vcc
	s_cbranch_execz .LBB522_3
; %bb.2:
	s_load_dwordx2 s[14:15], s[4:5], 0x78
	s_bcnt1_i32_b64 s10, s[10:11]
	v_mov_b32_e32 v2, 0
	v_mov_b32_e32 v3, s10
	s_waitcnt lgkmcnt(0)
	global_atomic_add v2, v2, v3, s[14:15] glc
.LBB522_3:
	s_or_b64 exec, exec, s[8:9]
	s_waitcnt vmcnt(0)
	v_readfirstlane_b32 s8, v2
	v_add_u32_e32 v1, s8, v1
	v_mov_b32_e32 v2, 0
	ds_write_b32 v2, v1
.LBB522_4:
	s_or_b64 exec, exec, s[6:7]
	s_load_dwordx4 s[4:7], s[4:5], 0x0
	v_mov_b32_e32 v3, 0
	s_waitcnt lgkmcnt(0)
	s_barrier
	ds_read_b32 v1, v3
	s_mul_i32 s8, s28, s27
	s_mul_hi_u32 s9, s28, s26
	s_add_i32 s8, s9, s8
	s_mul_i32 s9, s29, s26
	s_add_i32 s8, s8, s9
	s_lshl_b64 s[6:7], s[6:7], 3
	s_add_u32 s4, s4, s6
	s_mul_i32 s9, s28, s26
	s_addc_u32 s5, s5, s7
	s_waitcnt lgkmcnt(0)
	v_readfirstlane_b32 s48, v1
	s_add_u32 s42, s9, s48
	s_movk_i32 s6, 0xa00
	s_addc_u32 s43, s8, 0
	v_mul_lo_u32 v2, v1, s6
	s_add_u32 s6, s30, -1
	v_lshlrev_b64 v[2:3], 3, v[2:3]
	s_addc_u32 s7, s31, -1
	v_mov_b32_e32 v1, s5
	v_add_co_u32_e32 v30, vcc, s4, v2
	s_cmp_eq_u64 s[42:43], s[6:7]
	v_addc_co_u32_e32 v31, vcc, v1, v3, vcc
	s_cselect_b64 s[28:29], -1, 0
	s_cmp_lg_u64 s[42:43], s[6:7]
	s_mov_b64 s[8:9], -1
	s_cselect_b64 s[4:5], -1, 0
	s_mul_i32 s33, s6, 0xfffff600
	s_and_b64 vcc, exec, s[28:29]
	s_barrier
	s_cbranch_vccnz .LBB522_6
; %bb.5:
	v_lshlrev_b32_e32 v1, 3, v0
	v_add_co_u32_e32 v22, vcc, v30, v1
	v_addc_co_u32_e32 v23, vcc, 0, v31, vcc
	v_add_co_u32_e32 v2, vcc, 0x1000, v22
	v_readfirstlane_b32 s6, v30
	v_readfirstlane_b32 s7, v31
	v_addc_co_u32_e32 v3, vcc, 0, v23, vcc
	s_nop 3
	global_load_dwordx2 v[4:5], v1, s[6:7]
	global_load_dwordx2 v[6:7], v1, s[6:7] offset:2048
	global_load_dwordx2 v[8:9], v[2:3], off
	global_load_dwordx2 v[10:11], v[2:3], off offset:2048
	v_add_co_u32_e32 v2, vcc, 0x2000, v22
	v_addc_co_u32_e32 v3, vcc, 0, v23, vcc
	v_add_co_u32_e32 v12, vcc, 0x3000, v22
	v_addc_co_u32_e32 v13, vcc, 0, v23, vcc
	global_load_dwordx2 v[14:15], v[2:3], off
	global_load_dwordx2 v[16:17], v[2:3], off offset:2048
	global_load_dwordx2 v[18:19], v[12:13], off
	global_load_dwordx2 v[20:21], v[12:13], off offset:2048
	v_add_co_u32_e32 v2, vcc, 0x4000, v22
	v_addc_co_u32_e32 v3, vcc, 0, v23, vcc
	global_load_dwordx2 v[12:13], v[2:3], off
	global_load_dwordx2 v[22:23], v[2:3], off offset:2048
	s_movk_i32 s6, 0x48
	v_mad_u32_u24 v24, v0, s6, v1
	s_mov_b64 s[6:7], -1
	s_waitcnt vmcnt(8)
	ds_write2st64_b64 v1, v[4:5], v[6:7] offset1:4
	s_waitcnt vmcnt(6)
	ds_write2st64_b64 v1, v[8:9], v[10:11] offset0:8 offset1:12
	s_waitcnt vmcnt(4)
	ds_write2st64_b64 v1, v[14:15], v[16:17] offset0:16 offset1:20
	;; [unrolled: 2-line block ×4, first 2 shown]
	s_waitcnt lgkmcnt(0)
	s_barrier
	ds_read_b128 v[18:21], v24
	ds_read_b128 v[14:17], v24 offset:16
	ds_read_b128 v[10:13], v24 offset:32
	;; [unrolled: 1-line block ×4, first 2 shown]
	s_waitcnt lgkmcnt(4)
	v_mov_b32_e32 v26, v18
	v_mov_b32_e32 v27, v19
	s_waitcnt lgkmcnt(3)
	v_mov_b32_e32 v28, v14
	v_mov_b32_e32 v29, v15
	;; [unrolled: 3-line block ×4, first 2 shown]
	s_add_i32 s33, s33, s20
	s_cbranch_execz .LBB522_7
	s_branch .LBB522_28
.LBB522_6:
	s_mov_b64 s[6:7], 0
                                        ; implicit-def: $vgpr2_vgpr3
                                        ; implicit-def: $vgpr10_vgpr11
                                        ; implicit-def: $vgpr14_vgpr15
                                        ; implicit-def: $vgpr18_vgpr19
                                        ; implicit-def: $vgpr6_vgpr7
                                        ; implicit-def: $vgpr22_vgpr23_vgpr24_vgpr25
                                        ; implicit-def: $vgpr26_vgpr27_vgpr28_vgpr29
	s_add_i32 s33, s33, s20
	s_andn2_b64 vcc, exec, s[8:9]
	s_cbranch_vccnz .LBB522_28
.LBB522_7:
	v_cmp_gt_u32_e32 vcc, s33, v0
                                        ; implicit-def: $vgpr2_vgpr3
	s_and_saveexec_b64 s[6:7], vcc
	s_cbranch_execz .LBB522_9
; %bb.8:
	v_lshlrev_b32_e32 v1, 3, v0
	v_readfirstlane_b32 s8, v30
	v_readfirstlane_b32 s9, v31
	s_nop 4
	global_load_dwordx2 v[2:3], v1, s[8:9]
.LBB522_9:
	s_or_b64 exec, exec, s[6:7]
	v_or_b32_e32 v1, 0x100, v0
	v_cmp_gt_u32_e32 vcc, s33, v1
                                        ; implicit-def: $vgpr4_vgpr5
	s_and_saveexec_b64 s[6:7], vcc
	s_cbranch_execz .LBB522_11
; %bb.10:
	v_lshlrev_b32_e32 v1, 3, v0
	v_readfirstlane_b32 s8, v30
	v_readfirstlane_b32 s9, v31
	s_nop 4
	global_load_dwordx2 v[4:5], v1, s[8:9] offset:2048
.LBB522_11:
	s_or_b64 exec, exec, s[6:7]
	v_or_b32_e32 v1, 0x200, v0
	v_cmp_gt_u32_e32 vcc, s33, v1
                                        ; implicit-def: $vgpr6_vgpr7
	s_and_saveexec_b64 s[6:7], vcc
	s_cbranch_execz .LBB522_13
; %bb.12:
	v_lshlrev_b32_e32 v1, 3, v1
	v_readfirstlane_b32 s8, v30
	v_readfirstlane_b32 s9, v31
	s_waitcnt lgkmcnt(0)
	s_nop 3
	global_load_dwordx2 v[6:7], v1, s[8:9]
.LBB522_13:
	s_or_b64 exec, exec, s[6:7]
	v_or_b32_e32 v1, 0x300, v0
	v_cmp_gt_u32_e32 vcc, s33, v1
                                        ; implicit-def: $vgpr8_vgpr9
	s_and_saveexec_b64 s[6:7], vcc
	s_cbranch_execz .LBB522_15
; %bb.14:
	v_lshlrev_b32_e32 v1, 3, v1
	v_readfirstlane_b32 s8, v30
	v_readfirstlane_b32 s9, v31
	s_waitcnt lgkmcnt(0)
	s_nop 3
	global_load_dwordx2 v[8:9], v1, s[8:9]
.LBB522_15:
	s_or_b64 exec, exec, s[6:7]
	v_or_b32_e32 v1, 0x400, v0
	v_cmp_gt_u32_e32 vcc, s33, v1
                                        ; implicit-def: $vgpr10_vgpr11
	s_and_saveexec_b64 s[6:7], vcc
	s_cbranch_execz .LBB522_17
; %bb.16:
	v_lshlrev_b32_e32 v1, 3, v1
	v_readfirstlane_b32 s8, v30
	v_readfirstlane_b32 s9, v31
	s_nop 4
	global_load_dwordx2 v[10:11], v1, s[8:9]
.LBB522_17:
	s_or_b64 exec, exec, s[6:7]
	v_or_b32_e32 v1, 0x500, v0
	v_cmp_gt_u32_e32 vcc, s33, v1
                                        ; implicit-def: $vgpr12_vgpr13
	s_and_saveexec_b64 s[6:7], vcc
	s_cbranch_execz .LBB522_19
; %bb.18:
	v_lshlrev_b32_e32 v1, 3, v1
	v_readfirstlane_b32 s8, v30
	v_readfirstlane_b32 s9, v31
	s_nop 4
	global_load_dwordx2 v[12:13], v1, s[8:9]
.LBB522_19:
	s_or_b64 exec, exec, s[6:7]
	v_or_b32_e32 v1, 0x600, v0
	v_cmp_gt_u32_e32 vcc, s33, v1
                                        ; implicit-def: $vgpr14_vgpr15
	s_and_saveexec_b64 s[6:7], vcc
	s_cbranch_execz .LBB522_21
; %bb.20:
	v_lshlrev_b32_e32 v1, 3, v1
	v_readfirstlane_b32 s8, v30
	v_readfirstlane_b32 s9, v31
	s_nop 4
	global_load_dwordx2 v[14:15], v1, s[8:9]
.LBB522_21:
	s_or_b64 exec, exec, s[6:7]
	v_or_b32_e32 v1, 0x700, v0
	v_cmp_gt_u32_e32 vcc, s33, v1
                                        ; implicit-def: $vgpr16_vgpr17
	s_and_saveexec_b64 s[6:7], vcc
	s_cbranch_execz .LBB522_23
; %bb.22:
	v_lshlrev_b32_e32 v1, 3, v1
	v_readfirstlane_b32 s8, v30
	v_readfirstlane_b32 s9, v31
	s_nop 4
	global_load_dwordx2 v[16:17], v1, s[8:9]
.LBB522_23:
	s_or_b64 exec, exec, s[6:7]
	v_or_b32_e32 v1, 0x800, v0
	v_cmp_gt_u32_e32 vcc, s33, v1
                                        ; implicit-def: $vgpr18_vgpr19
	s_and_saveexec_b64 s[6:7], vcc
	s_cbranch_execz .LBB522_25
; %bb.24:
	v_lshlrev_b32_e32 v1, 3, v1
	v_readfirstlane_b32 s8, v30
	v_readfirstlane_b32 s9, v31
	s_nop 4
	global_load_dwordx2 v[18:19], v1, s[8:9]
.LBB522_25:
	s_or_b64 exec, exec, s[6:7]
	v_or_b32_e32 v1, 0x900, v0
	v_cmp_gt_u32_e32 vcc, s33, v1
                                        ; implicit-def: $vgpr20_vgpr21
	s_and_saveexec_b64 s[6:7], vcc
	s_cbranch_execz .LBB522_27
; %bb.26:
	v_lshlrev_b32_e32 v1, 3, v1
	v_readfirstlane_b32 s8, v30
	v_readfirstlane_b32 s9, v31
	s_nop 4
	global_load_dwordx2 v[20:21], v1, s[8:9]
.LBB522_27:
	s_or_b64 exec, exec, s[6:7]
	v_lshlrev_b32_e32 v1, 3, v0
	s_movk_i32 s6, 0x48
	s_waitcnt vmcnt(0)
	ds_write2st64_b64 v1, v[2:3], v[4:5] offset1:4
	s_waitcnt lgkmcnt(1)
	ds_write2st64_b64 v1, v[6:7], v[8:9] offset0:8 offset1:12
	ds_write2st64_b64 v1, v[10:11], v[12:13] offset0:16 offset1:20
	;; [unrolled: 1-line block ×4, first 2 shown]
	v_mad_u32_u24 v1, v0, s6, v1
	s_waitcnt lgkmcnt(0)
	s_barrier
	ds_read_b128 v[18:21], v1
	ds_read_b128 v[14:17], v1 offset:16
	ds_read_b128 v[10:13], v1 offset:32
	;; [unrolled: 1-line block ×4, first 2 shown]
	v_mad_u32_u24 v1, v0, 10, 9
	v_cmp_gt_u32_e64 s[6:7], s33, v1
	s_waitcnt lgkmcnt(4)
	v_mov_b32_e32 v26, v18
	v_mov_b32_e32 v27, v19
	s_waitcnt lgkmcnt(3)
	v_mov_b32_e32 v28, v14
	v_mov_b32_e32 v29, v15
	;; [unrolled: 3-line block ×4, first 2 shown]
.LBB522_28:
	v_mov_b32_e32 v48, s12
                                        ; implicit-def: $vgpr49
	s_and_saveexec_b64 s[8:9], s[6:7]
; %bb.29:
	v_mov_b32_e32 v49, s12
; %bb.30:
	s_or_b64 exec, exec, s[8:9]
	s_cmp_eq_u64 s[42:43], 0
	s_cselect_b64 s[30:31], -1, 0
	s_cmp_lg_u64 s[42:43], 0
	s_mov_b64 s[6:7], 0
	s_cselect_b64 s[44:45], -1, 0
	s_and_b64 vcc, exec, s[4:5]
	s_waitcnt lgkmcnt(0)
	s_barrier
	s_cbranch_vccz .LBB522_36
; %bb.31:
	s_and_b64 vcc, exec, s[44:45]
	s_cbranch_vccz .LBB522_37
; %bb.32:
	global_load_dwordx2 v[32:33], v[30:31], off offset:-8
	v_lshlrev_b32_e32 v1, 3, v0
	v_cmp_ne_u64_e32 vcc, v[6:7], v[8:9]
	v_cmp_ne_u64_e64 s[4:5], v[4:5], v[6:7]
	v_cmp_ne_u64_e64 s[6:7], v[2:3], v[4:5]
	;; [unrolled: 1-line block ×8, first 2 shown]
	ds_write_b64 v1, v[8:9]
	s_waitcnt lgkmcnt(0)
	s_barrier
	s_and_saveexec_b64 s[46:47], s[2:3]
	s_cbranch_execz .LBB522_34
; %bb.33:
	v_add_u32_e32 v1, -8, v1
	s_waitcnt vmcnt(0)
	ds_read_b64 v[32:33], v1
.LBB522_34:
	s_or_b64 exec, exec, s[46:47]
	v_cndmask_b32_e64 v1, 0, 1, vcc
	v_cndmask_b32_e64 v54, 0, 1, s[4:5]
	v_cndmask_b32_e64 v55, 0, 1, s[6:7]
	;; [unrolled: 1-line block ×8, first 2 shown]
	s_waitcnt vmcnt(0) lgkmcnt(0)
	v_cmp_ne_u64_e64 s[4:5], v[32:33], v[18:19]
	s_mov_b64 s[6:7], -1
.LBB522_35:
                                        ; implicit-def: $sgpr12
	s_branch .LBB522_49
.LBB522_36:
                                        ; implicit-def: $sgpr4_sgpr5
                                        ; implicit-def: $vgpr1
                                        ; implicit-def: $vgpr54
                                        ; implicit-def: $vgpr55
                                        ; implicit-def: $vgpr56
                                        ; implicit-def: $vgpr57
                                        ; implicit-def: $vgpr58
                                        ; implicit-def: $vgpr59
                                        ; implicit-def: $vgpr60
                                        ; implicit-def: $vgpr61
                                        ; implicit-def: $sgpr12
	s_cbranch_execnz .LBB522_41
	s_branch .LBB522_49
.LBB522_37:
                                        ; implicit-def: $sgpr4_sgpr5
                                        ; implicit-def: $vgpr1
                                        ; implicit-def: $vgpr54
                                        ; implicit-def: $vgpr55
                                        ; implicit-def: $vgpr56
                                        ; implicit-def: $vgpr57
                                        ; implicit-def: $vgpr58
                                        ; implicit-def: $vgpr59
                                        ; implicit-def: $vgpr60
                                        ; implicit-def: $vgpr61
	s_cbranch_execz .LBB522_35
; %bb.38:
	v_cmp_ne_u64_e32 vcc, v[6:7], v[8:9]
	v_cndmask_b32_e64 v1, 0, 1, vcc
	v_cmp_ne_u64_e32 vcc, v[20:21], v[26:27]
	v_cndmask_b32_e64 v61, 0, 1, vcc
	;; [unrolled: 2-line block ×8, first 2 shown]
	v_cmp_ne_u64_e32 vcc, v[6:7], v[4:5]
	v_lshlrev_b32_e32 v32, 3, v0
	v_cndmask_b32_e64 v54, 0, 1, vcc
	ds_write_b64 v32, v[8:9]
	s_waitcnt lgkmcnt(0)
	s_barrier
	s_waitcnt lgkmcnt(0)
                                        ; implicit-def: $sgpr4_sgpr5
	s_and_saveexec_b64 s[8:9], s[2:3]
	s_xor_b64 s[8:9], exec, s[8:9]
	s_cbranch_execz .LBB522_40
; %bb.39:
	v_add_u32_e32 v22, -8, v32
	ds_read_b64 v[22:23], v22
	s_or_b64 s[6:7], s[6:7], exec
	s_waitcnt lgkmcnt(0)
	v_cmp_ne_u64_e32 vcc, v[22:23], v[18:19]
	s_and_b64 s[4:5], vcc, exec
.LBB522_40:
	s_or_b64 exec, exec, s[8:9]
	s_mov_b32 s12, 1
	s_branch .LBB522_49
.LBB522_41:
	s_mul_hi_u32 s5, s42, 0xfffff600
	s_mul_i32 s4, s43, 0xfffff600
	s_sub_i32 s5, s5, s42
	s_add_i32 s5, s5, s4
	s_mul_i32 s4, s42, 0xfffff600
	s_add_u32 s8, s4, s20
	s_addc_u32 s9, s5, s21
	s_and_b64 vcc, exec, s[44:45]
	s_cbranch_vccz .LBB522_46
; %bb.42:
	global_load_dwordx2 v[22:23], v[30:31], off offset:-8
	v_mad_u32_u24 v26, v0, 10, 9
	v_mov_b32_e32 v27, 0
	v_cmp_gt_u64_e32 vcc, s[8:9], v[26:27]
	v_cmp_ne_u64_e64 s[4:5], v[6:7], v[8:9]
	v_mad_u32_u24 v26, v0, 10, 8
	s_and_b64 s[6:7], vcc, s[4:5]
	v_cmp_gt_u64_e32 vcc, s[8:9], v[26:27]
	v_cmp_ne_u64_e64 s[4:5], v[4:5], v[6:7]
	v_mad_u32_u24 v26, v0, 10, 7
	s_and_b64 s[10:11], vcc, s[4:5]
	v_cmp_gt_u64_e32 vcc, s[8:9], v[26:27]
	v_cmp_ne_u64_e64 s[4:5], v[2:3], v[4:5]
	v_mad_u32_u24 v26, v0, 10, 6
	s_and_b64 s[12:13], vcc, s[4:5]
	v_cmp_gt_u64_e32 vcc, s[8:9], v[26:27]
	v_cmp_ne_u64_e64 s[4:5], v[12:13], v[2:3]
	v_mad_u32_u24 v26, v0, 10, 5
	s_and_b64 s[14:15], vcc, s[4:5]
	v_cmp_gt_u64_e32 vcc, s[8:9], v[26:27]
	v_cmp_ne_u64_e64 s[4:5], v[10:11], v[12:13]
	v_mad_u32_u24 v26, v0, 10, 4
	s_and_b64 s[16:17], vcc, s[4:5]
	v_cmp_gt_u64_e32 vcc, s[8:9], v[26:27]
	v_cmp_ne_u64_e64 s[4:5], v[16:17], v[10:11]
	v_mad_u32_u24 v26, v0, 10, 3
	v_mul_u32_u24_e32 v24, 10, v0
	s_and_b64 s[18:19], vcc, s[4:5]
	v_cmp_gt_u64_e32 vcc, s[8:9], v[26:27]
	v_cmp_ne_u64_e64 s[4:5], v[14:15], v[16:17]
	v_mad_u32_u24 v26, v0, 10, 2
	s_and_b64 s[20:21], vcc, s[4:5]
	v_cmp_gt_u64_e32 vcc, s[8:9], v[26:27]
	v_cmp_ne_u64_e64 s[4:5], v[20:21], v[14:15]
	v_or_b32_e32 v26, 1, v24
	s_and_b64 s[42:43], vcc, s[4:5]
	v_cmp_gt_u64_e32 vcc, s[8:9], v[26:27]
	v_cmp_ne_u64_e64 s[4:5], v[18:19], v[20:21]
	v_lshlrev_b32_e32 v1, 3, v0
	s_and_b64 s[4:5], vcc, s[4:5]
	ds_write_b64 v1, v[8:9]
	s_waitcnt lgkmcnt(0)
	s_barrier
	s_and_saveexec_b64 s[44:45], s[2:3]
	s_cbranch_execz .LBB522_44
; %bb.43:
	v_add_u32_e32 v1, -8, v1
	s_waitcnt vmcnt(0)
	ds_read_b64 v[22:23], v1
.LBB522_44:
	s_or_b64 exec, exec, s[44:45]
	v_mov_b32_e32 v25, v27
	v_cndmask_b32_e64 v61, 0, 1, s[4:5]
	v_cmp_gt_u64_e32 vcc, s[8:9], v[24:25]
	s_waitcnt vmcnt(0) lgkmcnt(0)
	v_cmp_ne_u64_e64 s[4:5], v[22:23], v[18:19]
	v_cndmask_b32_e64 v1, 0, 1, s[6:7]
	v_cndmask_b32_e64 v54, 0, 1, s[10:11]
	;; [unrolled: 1-line block ×8, first 2 shown]
	s_and_b64 s[4:5], vcc, s[4:5]
	s_mov_b64 s[6:7], -1
.LBB522_45:
                                        ; implicit-def: $sgpr12
	v_mov_b32_e32 v62, s12
	s_and_saveexec_b64 s[2:3], s[6:7]
	s_cbranch_execnz .LBB522_50
	s_branch .LBB522_51
.LBB522_46:
                                        ; implicit-def: $sgpr4_sgpr5
                                        ; implicit-def: $vgpr1
                                        ; implicit-def: $vgpr54
                                        ; implicit-def: $vgpr55
                                        ; implicit-def: $vgpr56
                                        ; implicit-def: $vgpr57
                                        ; implicit-def: $vgpr58
                                        ; implicit-def: $vgpr59
                                        ; implicit-def: $vgpr60
                                        ; implicit-def: $vgpr61
	s_cbranch_execz .LBB522_45
; %bb.47:
	v_mad_u32_u24 v24, v0, 10, 9
	v_mov_b32_e32 v25, 0
	v_cmp_gt_u64_e32 vcc, s[8:9], v[24:25]
	v_cmp_ne_u64_e64 s[4:5], v[6:7], v[8:9]
	s_and_b64 s[4:5], vcc, s[4:5]
	v_mad_u32_u24 v24, v0, 10, 8
	v_cndmask_b32_e64 v1, 0, 1, s[4:5]
	v_cmp_gt_u64_e32 vcc, s[8:9], v[24:25]
	v_cmp_ne_u64_e64 s[4:5], v[4:5], v[6:7]
	s_and_b64 s[4:5], vcc, s[4:5]
	v_mad_u32_u24 v24, v0, 10, 7
	v_cndmask_b32_e64 v54, 0, 1, s[4:5]
	;; [unrolled: 5-line block ×6, first 2 shown]
	v_cmp_gt_u64_e32 vcc, s[8:9], v[24:25]
	v_cmp_ne_u64_e64 s[4:5], v[14:15], v[16:17]
	s_and_b64 s[4:5], vcc, s[4:5]
	v_mad_u32_u24 v24, v0, 10, 2
	v_mul_u32_u24_e32 v22, 10, v0
	v_cndmask_b32_e64 v59, 0, 1, s[4:5]
	v_cmp_gt_u64_e32 vcc, s[8:9], v[24:25]
	v_cmp_ne_u64_e64 s[4:5], v[20:21], v[14:15]
	s_and_b64 s[4:5], vcc, s[4:5]
	v_or_b32_e32 v24, 1, v22
	v_cndmask_b32_e64 v60, 0, 1, s[4:5]
	v_cmp_gt_u64_e32 vcc, s[8:9], v[24:25]
	v_cmp_ne_u64_e64 s[4:5], v[18:19], v[20:21]
	s_and_b64 s[4:5], vcc, s[4:5]
	v_lshlrev_b32_e32 v23, 3, v0
	s_mov_b32 s12, 1
	v_cndmask_b32_e64 v61, 0, 1, s[4:5]
	ds_write_b64 v23, v[8:9]
	s_waitcnt lgkmcnt(0)
	s_barrier
	s_waitcnt lgkmcnt(0)
                                        ; implicit-def: $sgpr4_sgpr5
	s_and_saveexec_b64 s[10:11], s[2:3]
	s_cbranch_execz .LBB522_134
; %bb.48:
	v_add_u32_e32 v23, -8, v23
	ds_read_b64 v[26:27], v23
	v_mov_b32_e32 v23, v25
	v_cmp_gt_u64_e32 vcc, s[8:9], v[22:23]
	s_or_b64 s[6:7], s[6:7], exec
	s_waitcnt lgkmcnt(0)
	v_cmp_ne_u64_e64 s[2:3], v[26:27], v[18:19]
	s_and_b64 s[2:3], vcc, s[2:3]
	s_and_b64 s[4:5], s[2:3], exec
	s_or_b64 exec, exec, s[10:11]
.LBB522_49:
	v_mov_b32_e32 v62, s12
	s_and_saveexec_b64 s[2:3], s[6:7]
.LBB522_50:
	v_cndmask_b32_e64 v62, 0, 1, s[4:5]
.LBB522_51:
	s_or_b64 exec, exec, s[2:3]
	s_cmp_eq_u64 s[26:27], 0
	v_add_u32_e32 v22, v61, v62
	s_cselect_b64 s[26:27], -1, 0
	s_cmp_lg_u32 s48, 0
	v_cmp_eq_u32_e64 s[16:17], 0, v61
	v_cmp_eq_u32_e64 s[14:15], 0, v60
	v_add3_u32 v53, v22, v60, v59
	v_cmp_eq_u32_e64 s[12:13], 0, v59
	v_cmp_eq_u32_e64 s[10:11], 0, v58
	;; [unrolled: 1-line block ×6, first 2 shown]
	v_cmp_eq_u32_e32 vcc, 0, v1
	v_mbcnt_lo_u32_b32 v52, -1, 0
	v_lshrrev_b32_e32 v50, 6, v0
	v_or_b32_e32 v51, 63, v0
	s_cbranch_scc0 .LBB522_82
; %bb.52:
	v_cndmask_b32_e64 v22, 0, v48, s[16:17]
	v_add_u32_e32 v22, v22, v48
	v_cndmask_b32_e64 v22, 0, v22, s[14:15]
	v_add_u32_e32 v22, v22, v48
	;; [unrolled: 2-line block ×7, first 2 shown]
	v_cndmask_b32_e64 v22, 0, v22, s[2:3]
	v_add3_u32 v23, v53, v58, v57
	v_add_u32_e32 v22, v22, v48
	v_add3_u32 v23, v23, v56, v55
	v_cndmask_b32_e32 v22, 0, v22, vcc
	v_add3_u32 v23, v23, v54, v1
	v_add_u32_e32 v22, v22, v49
	v_mbcnt_hi_u32_b32 v31, -1, v52
	v_and_b32_e32 v24, 15, v31
	v_mov_b32_dpp v26, v22 row_shr:1 row_mask:0xf bank_mask:0xf
	v_cmp_eq_u32_e32 vcc, 0, v23
	v_mov_b32_dpp v25, v23 row_shr:1 row_mask:0xf bank_mask:0xf
	v_cndmask_b32_e32 v26, 0, v26, vcc
	v_cmp_eq_u32_e32 vcc, 0, v24
	v_cndmask_b32_e64 v25, v25, 0, vcc
	v_add_u32_e32 v23, v25, v23
	v_cndmask_b32_e64 v25, v26, 0, vcc
	v_add_u32_e32 v22, v25, v22
	v_cmp_eq_u32_e32 vcc, 0, v23
	v_mov_b32_dpp v25, v23 row_shr:2 row_mask:0xf bank_mask:0xf
	v_cmp_lt_u32_e64 s[18:19], 1, v24
	v_mov_b32_dpp v26, v22 row_shr:2 row_mask:0xf bank_mask:0xf
	v_cndmask_b32_e64 v25, 0, v25, s[18:19]
	s_and_b64 vcc, s[18:19], vcc
	v_cndmask_b32_e32 v26, 0, v26, vcc
	v_add_u32_e32 v23, v23, v25
	v_add_u32_e32 v22, v26, v22
	v_cmp_eq_u32_e32 vcc, 0, v23
	v_mov_b32_dpp v25, v23 row_shr:4 row_mask:0xf bank_mask:0xf
	v_cmp_lt_u32_e64 s[18:19], 3, v24
	v_mov_b32_dpp v26, v22 row_shr:4 row_mask:0xf bank_mask:0xf
	v_cndmask_b32_e64 v25, 0, v25, s[18:19]
	s_and_b64 vcc, s[18:19], vcc
	v_cndmask_b32_e32 v26, 0, v26, vcc
	v_add_u32_e32 v23, v25, v23
	v_add_u32_e32 v22, v22, v26
	v_cmp_eq_u32_e32 vcc, 0, v23
	v_cmp_lt_u32_e64 s[18:19], 7, v24
	v_mov_b32_dpp v25, v23 row_shr:8 row_mask:0xf bank_mask:0xf
	v_mov_b32_dpp v26, v22 row_shr:8 row_mask:0xf bank_mask:0xf
	s_and_b64 vcc, s[18:19], vcc
	v_cndmask_b32_e64 v24, 0, v25, s[18:19]
	v_cndmask_b32_e32 v25, 0, v26, vcc
	v_add_u32_e32 v22, v25, v22
	v_add_u32_e32 v23, v24, v23
	v_bfe_i32 v26, v31, 4, 1
	v_mov_b32_dpp v25, v22 row_bcast:15 row_mask:0xf bank_mask:0xf
	v_mov_b32_dpp v24, v23 row_bcast:15 row_mask:0xf bank_mask:0xf
	v_cmp_eq_u32_e32 vcc, 0, v23
	v_cndmask_b32_e32 v25, 0, v25, vcc
	v_and_b32_e32 v24, v26, v24
	v_add_u32_e32 v23, v24, v23
	v_and_b32_e32 v24, v26, v25
	v_add_u32_e32 v24, v24, v22
	v_mov_b32_dpp v22, v23 row_bcast:31 row_mask:0xf bank_mask:0xf
	v_cmp_eq_u32_e32 vcc, 0, v23
	v_cmp_lt_u32_e64 s[18:19], 31, v31
	v_mov_b32_dpp v25, v24 row_bcast:31 row_mask:0xf bank_mask:0xf
	v_cndmask_b32_e64 v22, 0, v22, s[18:19]
	s_and_b64 vcc, s[18:19], vcc
	v_add_u32_e32 v22, v22, v23
	v_cndmask_b32_e32 v23, 0, v25, vcc
	v_add_u32_e32 v23, v23, v24
	v_cmp_eq_u32_e32 vcc, v51, v0
	v_lshlrev_b32_e32 v24, 3, v50
	s_and_saveexec_b64 s[18:19], vcc
	s_cbranch_execz .LBB522_54
; %bb.53:
	ds_write_b64 v24, v[22:23] offset:4112
.LBB522_54:
	s_or_b64 exec, exec, s[18:19]
	v_cmp_gt_u32_e32 vcc, 4, v0
	s_waitcnt lgkmcnt(0)
	s_barrier
	s_and_saveexec_b64 s[20:21], vcc
	s_cbranch_execz .LBB522_56
; %bb.55:
	v_lshlrev_b32_e32 v25, 3, v0
	ds_read_b64 v[26:27], v25 offset:4112
	v_and_b32_e32 v28, 3, v31
	v_cmp_lt_u32_e64 s[18:19], 1, v28
	s_waitcnt lgkmcnt(0)
	v_mov_b32_dpp v30, v27 row_shr:1 row_mask:0xf bank_mask:0xf
	v_cmp_eq_u32_e32 vcc, 0, v26
	v_mov_b32_dpp v29, v26 row_shr:1 row_mask:0xf bank_mask:0xf
	v_cndmask_b32_e32 v30, 0, v30, vcc
	v_cmp_eq_u32_e32 vcc, 0, v28
	v_cndmask_b32_e64 v29, v29, 0, vcc
	v_add_u32_e32 v26, v29, v26
	v_cndmask_b32_e64 v29, v30, 0, vcc
	v_add_u32_e32 v27, v29, v27
	v_cmp_eq_u32_e32 vcc, 0, v26
	v_mov_b32_dpp v29, v26 row_shr:2 row_mask:0xf bank_mask:0xf
	v_mov_b32_dpp v30, v27 row_shr:2 row_mask:0xf bank_mask:0xf
	v_cndmask_b32_e64 v28, 0, v29, s[18:19]
	s_and_b64 vcc, s[18:19], vcc
	v_add_u32_e32 v26, v28, v26
	v_cndmask_b32_e32 v28, 0, v30, vcc
	v_add_u32_e32 v27, v28, v27
	ds_write_b64 v25, v[26:27] offset:4112
.LBB522_56:
	s_or_b64 exec, exec, s[20:21]
	v_cmp_gt_u32_e32 vcc, 64, v0
	v_cmp_lt_u32_e64 s[18:19], 63, v0
	v_mov_b32_e32 v28, 0
	v_mov_b32_e32 v29, 0
	s_waitcnt lgkmcnt(0)
	s_barrier
	s_and_saveexec_b64 s[20:21], s[18:19]
	s_cbranch_execz .LBB522_58
; %bb.57:
	ds_read_b64 v[28:29], v24 offset:4104
	v_cmp_eq_u32_e64 s[18:19], 0, v22
	s_waitcnt lgkmcnt(0)
	v_add_u32_e32 v24, v28, v22
	v_cndmask_b32_e64 v22, 0, v29, s[18:19]
	v_add_u32_e32 v23, v22, v23
	v_mov_b32_e32 v22, v24
.LBB522_58:
	s_or_b64 exec, exec, s[20:21]
	v_add_u32_e32 v24, -1, v31
	v_and_b32_e32 v25, 64, v31
	v_cmp_lt_i32_e64 s[18:19], v24, v25
	v_cndmask_b32_e64 v24, v24, v31, s[18:19]
	v_lshlrev_b32_e32 v24, 2, v24
	ds_bpermute_b32 v36, v24, v22
	ds_bpermute_b32 v37, v24, v23
	v_cmp_eq_u32_e64 s[18:19], 0, v31
	s_and_saveexec_b64 s[42:43], vcc
	s_cbranch_execz .LBB522_81
; %bb.59:
	v_mov_b32_e32 v27, 0
	ds_read_b64 v[22:23], v27 offset:4136
	s_waitcnt lgkmcnt(0)
	v_readfirstlane_b32 s46, v22
	v_readfirstlane_b32 s47, v23
	s_and_saveexec_b64 s[20:21], s[18:19]
	s_cbranch_execz .LBB522_61
; %bb.60:
	s_add_i32 s44, s48, 64
	s_mov_b32 s45, 0
	s_lshl_b64 s[50:51], s[44:45], 4
	s_add_u32 s50, s24, s50
	s_addc_u32 s51, s25, s51
	s_and_b32 s53, s47, 0xff000000
	s_mov_b32 s52, s45
	s_and_b32 s55, s47, 0xff0000
	s_mov_b32 s54, s45
	s_or_b64 s[52:53], s[54:55], s[52:53]
	s_and_b32 s55, s47, 0xff00
	s_or_b64 s[52:53], s[52:53], s[54:55]
	s_and_b32 s55, s47, 0xff
	s_or_b64 s[44:45], s[52:53], s[54:55]
	v_mov_b32_e32 v24, s46
	v_mov_b32_e32 v25, s45
	;; [unrolled: 1-line block ×3, first 2 shown]
	v_pk_mov_b32 v[22:23], s[50:51], s[50:51] op_sel:[0,1]
	;;#ASMSTART
	global_store_dwordx4 v[22:23], v[24:27] off	
s_waitcnt vmcnt(0)
	;;#ASMEND
.LBB522_61:
	s_or_b64 exec, exec, s[20:21]
	v_xad_u32 v30, v31, -1, s48
	v_add_u32_e32 v26, 64, v30
	v_lshlrev_b64 v[22:23], 4, v[26:27]
	v_mov_b32_e32 v24, s25
	v_add_co_u32_e32 v32, vcc, s24, v22
	v_addc_co_u32_e32 v33, vcc, v24, v23, vcc
	;;#ASMSTART
	global_load_dwordx4 v[22:25], v[32:33] off glc	
s_waitcnt vmcnt(0)
	;;#ASMEND
	v_and_b32_e32 v25, 0xff, v23
	v_and_b32_e32 v26, 0xff00, v23
	v_or3_b32 v25, 0, v25, v26
	v_or3_b32 v22, v22, 0, 0
	v_and_b32_e32 v26, 0xff000000, v23
	v_and_b32_e32 v23, 0xff0000, v23
	v_or3_b32 v23, v25, v23, v26
	v_or3_b32 v22, v22, 0, 0
	v_cmp_eq_u16_sdwa s[44:45], v24, v27 src0_sel:BYTE_0 src1_sel:DWORD
	s_and_saveexec_b64 s[20:21], s[44:45]
	s_cbranch_execz .LBB522_67
; %bb.62:
	s_mov_b32 s49, 1
	s_mov_b64 s[44:45], 0
	v_mov_b32_e32 v26, 0
.LBB522_63:                             ; =>This Loop Header: Depth=1
                                        ;     Child Loop BB522_64 Depth 2
	s_max_u32 s50, s49, 1
.LBB522_64:                             ;   Parent Loop BB522_63 Depth=1
                                        ; =>  This Inner Loop Header: Depth=2
	s_add_i32 s50, s50, -1
	s_cmp_eq_u32 s50, 0
	s_sleep 1
	s_cbranch_scc0 .LBB522_64
; %bb.65:                               ;   in Loop: Header=BB522_63 Depth=1
	s_cmp_lt_u32 s49, 32
	s_cselect_b64 s[50:51], -1, 0
	s_cmp_lg_u64 s[50:51], 0
	s_addc_u32 s49, s49, 0
	;;#ASMSTART
	global_load_dwordx4 v[22:25], v[32:33] off glc	
s_waitcnt vmcnt(0)
	;;#ASMEND
	v_cmp_ne_u16_sdwa s[50:51], v24, v26 src0_sel:BYTE_0 src1_sel:DWORD
	s_or_b64 s[44:45], s[50:51], s[44:45]
	s_andn2_b64 exec, exec, s[44:45]
	s_cbranch_execnz .LBB522_63
; %bb.66:
	s_or_b64 exec, exec, s[44:45]
.LBB522_67:
	s_or_b64 exec, exec, s[20:21]
	v_mov_b32_e32 v38, 2
	v_cmp_eq_u16_sdwa s[20:21], v24, v38 src0_sel:BYTE_0 src1_sel:DWORD
	v_lshlrev_b64 v[32:33], v31, -1
	v_and_b32_e32 v25, s21, v33
	v_and_b32_e32 v39, 63, v31
	v_or_b32_e32 v25, 0x80000000, v25
	v_cmp_ne_u32_e32 vcc, 63, v39
	v_and_b32_e32 v26, s20, v32
	v_ffbl_b32_e32 v25, v25
	v_addc_co_u32_e32 v27, vcc, 0, v31, vcc
	v_add_u32_e32 v25, 32, v25
	v_ffbl_b32_e32 v26, v26
	v_lshlrev_b32_e32 v40, 2, v27
	v_min_u32_e32 v25, v26, v25
	ds_bpermute_b32 v26, v40, v23
	v_cmp_eq_u32_e32 vcc, 0, v22
	v_cmp_lt_u32_e64 s[20:21], v39, v25
	ds_bpermute_b32 v27, v40, v22
	s_and_b64 vcc, s[20:21], vcc
	s_waitcnt lgkmcnt(1)
	v_cndmask_b32_e32 v26, 0, v26, vcc
	v_cmp_gt_u32_e32 vcc, 62, v39
	v_add_u32_e32 v23, v26, v23
	v_cndmask_b32_e64 v26, 0, 1, vcc
	v_lshlrev_b32_e32 v26, 1, v26
	v_add_lshl_u32 v41, v26, v31, 2
	s_waitcnt lgkmcnt(0)
	v_cndmask_b32_e64 v27, 0, v27, s[20:21]
	ds_bpermute_b32 v26, v41, v23
	v_add_u32_e32 v22, v27, v22
	ds_bpermute_b32 v27, v41, v22
	v_add_u32_e32 v42, 2, v39
	v_cmp_eq_u32_e32 vcc, 0, v22
	s_waitcnt lgkmcnt(1)
	v_cndmask_b32_e32 v26, 0, v26, vcc
	v_cmp_gt_u32_e32 vcc, v42, v25
	v_cndmask_b32_e64 v26, v26, 0, vcc
	v_add_u32_e32 v23, v26, v23
	s_waitcnt lgkmcnt(0)
	v_cndmask_b32_e64 v26, v27, 0, vcc
	v_cmp_gt_u32_e32 vcc, 60, v39
	v_cndmask_b32_e64 v27, 0, 1, vcc
	v_lshlrev_b32_e32 v27, 2, v27
	v_add_lshl_u32 v43, v27, v31, 2
	ds_bpermute_b32 v27, v43, v23
	v_add_u32_e32 v22, v22, v26
	ds_bpermute_b32 v26, v43, v22
	v_add_u32_e32 v44, 4, v39
	v_cmp_eq_u32_e32 vcc, 0, v22
	s_waitcnt lgkmcnt(1)
	v_cndmask_b32_e32 v27, 0, v27, vcc
	v_cmp_gt_u32_e32 vcc, v44, v25
	v_cndmask_b32_e64 v27, v27, 0, vcc
	s_waitcnt lgkmcnt(0)
	v_cndmask_b32_e64 v26, v26, 0, vcc
	v_cmp_gt_u32_e32 vcc, 56, v39
	v_add_u32_e32 v23, v23, v27
	v_cndmask_b32_e64 v27, 0, 1, vcc
	v_lshlrev_b32_e32 v27, 3, v27
	v_add_lshl_u32 v45, v27, v31, 2
	ds_bpermute_b32 v27, v45, v23
	v_add_u32_e32 v22, v22, v26
	ds_bpermute_b32 v26, v45, v22
	v_add_u32_e32 v46, 8, v39
	v_cmp_eq_u32_e32 vcc, 0, v22
	s_waitcnt lgkmcnt(1)
	v_cndmask_b32_e32 v27, 0, v27, vcc
	v_cmp_gt_u32_e32 vcc, v46, v25
	v_cndmask_b32_e64 v27, v27, 0, vcc
	s_waitcnt lgkmcnt(0)
	v_cndmask_b32_e64 v26, v26, 0, vcc
	v_cmp_gt_u32_e32 vcc, 48, v39
	v_add_u32_e32 v23, v23, v27
	;; [unrolled: 16-line block ×3, first 2 shown]
	v_cndmask_b32_e64 v27, 0, 1, vcc
	v_lshlrev_b32_e32 v27, 5, v27
	v_add_lshl_u32 v64, v27, v31, 2
	ds_bpermute_b32 v27, v64, v23
	v_add_u32_e32 v22, v22, v26
	ds_bpermute_b32 v26, v64, v22
	v_add_u32_e32 v65, 32, v39
	v_cmp_eq_u32_e32 vcc, 0, v22
	s_waitcnt lgkmcnt(1)
	v_cndmask_b32_e32 v27, 0, v27, vcc
	v_cmp_gt_u32_e32 vcc, v65, v25
	v_cndmask_b32_e64 v25, v27, 0, vcc
	v_add_u32_e32 v23, v25, v23
	s_waitcnt lgkmcnt(0)
	v_cndmask_b32_e64 v25, v26, 0, vcc
	v_add_u32_e32 v22, v25, v22
	v_mov_b32_e32 v31, 0
	s_branch .LBB522_69
.LBB522_68:                             ;   in Loop: Header=BB522_69 Depth=1
	s_or_b64 exec, exec, s[20:21]
	v_cmp_eq_u16_sdwa s[20:21], v24, v38 src0_sel:BYTE_0 src1_sel:DWORD
	v_and_b32_e32 v25, s21, v33
	v_or_b32_e32 v25, 0x80000000, v25
	v_and_b32_e32 v34, s20, v32
	v_ffbl_b32_e32 v25, v25
	v_add_u32_e32 v25, 32, v25
	v_ffbl_b32_e32 v34, v34
	v_min_u32_e32 v25, v34, v25
	ds_bpermute_b32 v34, v40, v23
	v_cmp_eq_u32_e32 vcc, 0, v22
	v_cmp_lt_u32_e64 s[20:21], v39, v25
	ds_bpermute_b32 v35, v40, v22
	s_and_b64 vcc, s[20:21], vcc
	s_waitcnt lgkmcnt(1)
	v_cndmask_b32_e32 v34, 0, v34, vcc
	v_add_u32_e32 v23, v34, v23
	ds_bpermute_b32 v34, v41, v23
	s_waitcnt lgkmcnt(1)
	v_cndmask_b32_e64 v35, 0, v35, s[20:21]
	v_add_u32_e32 v22, v35, v22
	v_cmp_eq_u32_e32 vcc, 0, v22
	ds_bpermute_b32 v35, v41, v22
	s_waitcnt lgkmcnt(1)
	v_cndmask_b32_e32 v34, 0, v34, vcc
	v_cmp_gt_u32_e32 vcc, v42, v25
	v_cndmask_b32_e64 v34, v34, 0, vcc
	v_add_u32_e32 v23, v34, v23
	ds_bpermute_b32 v34, v43, v23
	s_waitcnt lgkmcnt(1)
	v_cndmask_b32_e64 v35, v35, 0, vcc
	v_add_u32_e32 v22, v22, v35
	v_cmp_eq_u32_e32 vcc, 0, v22
	ds_bpermute_b32 v35, v43, v22
	s_waitcnt lgkmcnt(1)
	v_cndmask_b32_e32 v34, 0, v34, vcc
	v_cmp_gt_u32_e32 vcc, v44, v25
	v_cndmask_b32_e64 v34, v34, 0, vcc
	v_add_u32_e32 v23, v23, v34
	ds_bpermute_b32 v34, v45, v23
	s_waitcnt lgkmcnt(1)
	v_cndmask_b32_e64 v35, v35, 0, vcc
	v_add_u32_e32 v22, v22, v35
	ds_bpermute_b32 v35, v45, v22
	v_cmp_eq_u32_e32 vcc, 0, v22
	s_waitcnt lgkmcnt(1)
	v_cndmask_b32_e32 v34, 0, v34, vcc
	v_cmp_gt_u32_e32 vcc, v46, v25
	v_cndmask_b32_e64 v34, v34, 0, vcc
	v_add_u32_e32 v23, v23, v34
	ds_bpermute_b32 v34, v47, v23
	s_waitcnt lgkmcnt(1)
	v_cndmask_b32_e64 v35, v35, 0, vcc
	v_add_u32_e32 v22, v22, v35
	ds_bpermute_b32 v35, v47, v22
	v_cmp_eq_u32_e32 vcc, 0, v22
	;; [unrolled: 11-line block ×3, first 2 shown]
	s_waitcnt lgkmcnt(1)
	v_cndmask_b32_e32 v34, 0, v34, vcc
	v_cmp_gt_u32_e32 vcc, v65, v25
	v_cndmask_b32_e64 v25, v34, 0, vcc
	v_add_u32_e32 v23, v25, v23
	s_waitcnt lgkmcnt(0)
	v_cndmask_b32_e64 v25, v35, 0, vcc
	v_cmp_eq_u32_e32 vcc, 0, v26
	v_cndmask_b32_e32 v23, 0, v23, vcc
	v_subrev_u32_e32 v30, 64, v30
	v_add3_u32 v22, v22, v26, v25
	v_add_u32_e32 v23, v23, v27
.LBB522_69:                             ; =>This Loop Header: Depth=1
                                        ;     Child Loop BB522_72 Depth 2
                                        ;       Child Loop BB522_73 Depth 3
	v_cmp_ne_u16_sdwa s[20:21], v24, v38 src0_sel:BYTE_0 src1_sel:DWORD
	v_mov_b32_e32 v27, v23
	v_cndmask_b32_e64 v23, 0, 1, s[20:21]
	;;#ASMSTART
	;;#ASMEND
	v_cmp_ne_u32_e32 vcc, 0, v23
	s_cmp_lg_u64 vcc, exec
	v_mov_b32_e32 v26, v22
	s_cbranch_scc1 .LBB522_76
; %bb.70:                               ;   in Loop: Header=BB522_69 Depth=1
	v_lshlrev_b64 v[22:23], 4, v[30:31]
	v_mov_b32_e32 v24, s25
	v_add_co_u32_e32 v34, vcc, s24, v22
	v_addc_co_u32_e32 v35, vcc, v24, v23, vcc
	;;#ASMSTART
	global_load_dwordx4 v[22:25], v[34:35] off glc	
s_waitcnt vmcnt(0)
	;;#ASMEND
	v_and_b32_e32 v25, 0xff, v23
	v_and_b32_e32 v66, 0xff00, v23
	v_or3_b32 v25, 0, v25, v66
	v_or3_b32 v22, v22, 0, 0
	v_and_b32_e32 v66, 0xff000000, v23
	v_and_b32_e32 v23, 0xff0000, v23
	v_or3_b32 v23, v25, v23, v66
	v_or3_b32 v22, v22, 0, 0
	v_cmp_eq_u16_sdwa s[44:45], v24, v31 src0_sel:BYTE_0 src1_sel:DWORD
	s_and_saveexec_b64 s[20:21], s[44:45]
	s_cbranch_execz .LBB522_68
; %bb.71:                               ;   in Loop: Header=BB522_69 Depth=1
	s_mov_b32 s49, 1
	s_mov_b64 s[44:45], 0
.LBB522_72:                             ;   Parent Loop BB522_69 Depth=1
                                        ; =>  This Loop Header: Depth=2
                                        ;       Child Loop BB522_73 Depth 3
	s_max_u32 s50, s49, 1
.LBB522_73:                             ;   Parent Loop BB522_69 Depth=1
                                        ;     Parent Loop BB522_72 Depth=2
                                        ; =>    This Inner Loop Header: Depth=3
	s_add_i32 s50, s50, -1
	s_cmp_eq_u32 s50, 0
	s_sleep 1
	s_cbranch_scc0 .LBB522_73
; %bb.74:                               ;   in Loop: Header=BB522_72 Depth=2
	s_cmp_lt_u32 s49, 32
	s_cselect_b64 s[50:51], -1, 0
	s_cmp_lg_u64 s[50:51], 0
	s_addc_u32 s49, s49, 0
	;;#ASMSTART
	global_load_dwordx4 v[22:25], v[34:35] off glc	
s_waitcnt vmcnt(0)
	;;#ASMEND
	v_cmp_ne_u16_sdwa s[50:51], v24, v31 src0_sel:BYTE_0 src1_sel:DWORD
	s_or_b64 s[44:45], s[50:51], s[44:45]
	s_andn2_b64 exec, exec, s[44:45]
	s_cbranch_execnz .LBB522_72
; %bb.75:                               ;   in Loop: Header=BB522_69 Depth=1
	s_or_b64 exec, exec, s[44:45]
	s_branch .LBB522_68
.LBB522_76:                             ;   in Loop: Header=BB522_69 Depth=1
                                        ; implicit-def: $vgpr23
                                        ; implicit-def: $vgpr22
                                        ; implicit-def: $vgpr24
	s_cbranch_execz .LBB522_69
; %bb.77:
	s_and_saveexec_b64 s[20:21], s[18:19]
	s_cbranch_execz .LBB522_79
; %bb.78:
	s_cmp_eq_u32 s46, 0
	s_cselect_b64 vcc, -1, 0
	s_mov_b32 s45, 0
	v_cndmask_b32_e32 v22, 0, v27, vcc
	s_add_i32 s44, s48, 64
	v_add_u32_e32 v22, s47, v22
	s_lshl_b64 s[44:45], s[44:45], 4
	s_add_u32 s44, s24, s44
	v_and_b32_e32 v23, 0xff000000, v22
	v_and_b32_e32 v24, 0xff0000, v22
	s_addc_u32 s45, s25, s45
	v_or_b32_e32 v23, v24, v23
	v_and_b32_e32 v24, 0xff00, v22
	v_and_b32_e32 v22, 0xff, v22
	v_add_u32_e32 v30, s46, v26
	v_mov_b32_e32 v33, 0
	v_or3_b32 v31, v23, v24, v22
	v_mov_b32_e32 v32, 2
	v_pk_mov_b32 v[22:23], s[44:45], s[44:45] op_sel:[0,1]
	;;#ASMSTART
	global_store_dwordx4 v[22:23], v[30:33] off	
s_waitcnt vmcnt(0)
	;;#ASMEND
	v_mov_b32_e32 v24, s46
	v_mov_b32_e32 v25, s47
	ds_write_b128 v33, v[24:27] offset:4096
.LBB522_79:
	s_or_b64 exec, exec, s[20:21]
	s_and_b64 exec, exec, s[0:1]
	s_cbranch_execz .LBB522_81
; %bb.80:
	v_mov_b32_e32 v22, 0
	ds_write_b64 v22, v[26:27] offset:4136
.LBB522_81:
	s_or_b64 exec, exec, s[42:43]
	v_mov_b32_e32 v24, 0
	s_waitcnt lgkmcnt(0)
	s_barrier
	ds_read_b64 v[22:23], v24 offset:4136
	v_cndmask_b32_e64 v26, v36, v28, s[18:19]
	v_cmp_eq_u32_e32 vcc, 0, v26
	v_cndmask_b32_e64 v25, v37, v29, s[18:19]
	s_waitcnt lgkmcnt(0)
	v_cndmask_b32_e32 v27, 0, v23, vcc
	v_add_u32_e32 v25, v27, v25
	v_cndmask_b32_e64 v47, v25, v23, s[0:1]
	v_cndmask_b32_e64 v23, v26, 0, s[0:1]
	v_cmp_eq_u32_e32 vcc, 0, v62
	v_add_u32_e32 v46, v22, v23
	v_cndmask_b32_e32 v22, 0, v47, vcc
	v_add_u32_e32 v45, v22, v48
	v_cndmask_b32_e64 v22, 0, v45, s[16:17]
	v_add_u32_e32 v43, v22, v48
	v_cndmask_b32_e64 v22, 0, v43, s[14:15]
	;; [unrolled: 2-line block ×5, first 2 shown]
	v_add_u32_e32 v35, v22, v48
	v_add_u32_e32 v44, v46, v62
	v_cndmask_b32_e64 v22, 0, v35, s[6:7]
	v_add_u32_e32 v42, v44, v61
	v_add_u32_e32 v33, v22, v48
	s_barrier
	ds_read_b128 v[22:25], v24 offset:4096
	v_add_u32_e32 v40, v42, v60
	v_add_u32_e32 v38, v40, v59
	;; [unrolled: 1-line block ×4, first 2 shown]
	v_cndmask_b32_e64 v26, 0, v33, s[4:5]
	v_add_u32_e32 v32, v34, v56
	v_add_u32_e32 v29, v26, v48
	s_waitcnt lgkmcnt(0)
	v_cmp_eq_u32_e32 vcc, 0, v22
	v_add_u32_e32 v28, v32, v55
	v_cndmask_b32_e64 v26, 0, v29, s[2:3]
	v_cndmask_b32_e32 v25, 0, v25, vcc
	v_add_u32_e32 v30, v28, v54
	v_add_u32_e32 v31, v26, v48
	;; [unrolled: 1-line block ×3, first 2 shown]
	s_branch .LBB522_94
.LBB522_82:
                                        ; implicit-def: $vgpr22
                                        ; implicit-def: $vgpr26
                                        ; implicit-def: $vgpr30_vgpr31
                                        ; implicit-def: $vgpr28_vgpr29
                                        ; implicit-def: $vgpr32_vgpr33
                                        ; implicit-def: $vgpr34_vgpr35
                                        ; implicit-def: $vgpr46_vgpr47
                                        ; implicit-def: $vgpr44_vgpr45
                                        ; implicit-def: $vgpr42_vgpr43
                                        ; implicit-def: $vgpr40_vgpr41
                                        ; implicit-def: $vgpr38_vgpr39
                                        ; implicit-def: $vgpr36_vgpr37
	s_cbranch_execz .LBB522_94
; %bb.83:
	s_and_b64 s[2:3], s[26:27], exec
	s_cselect_b32 s3, 0, s41
	s_cselect_b32 s2, 0, s40
	s_cmp_eq_u64 s[2:3], 0
	v_mov_b32_e32 v26, v48
	s_cbranch_scc1 .LBB522_85
; %bb.84:
	v_mov_b32_e32 v22, 0
	global_load_dword v26, v22, s[2:3]
.LBB522_85:
	v_cmp_eq_u32_e64 s[2:3], 0, v61
	v_cndmask_b32_e64 v22, 0, v48, s[2:3]
	v_add_u32_e32 v22, v22, v48
	v_cmp_eq_u32_e64 s[4:5], 0, v60
	v_cndmask_b32_e64 v22, 0, v22, s[4:5]
	v_add_u32_e32 v22, v22, v48
	;; [unrolled: 3-line block ×7, first 2 shown]
	v_cmp_eq_u32_e32 vcc, 0, v54
	v_cndmask_b32_e32 v22, 0, v22, vcc
	v_add3_u32 v23, v53, v58, v57
	v_add_u32_e32 v22, v22, v48
	v_cmp_eq_u32_e64 s[16:17], 0, v1
	v_add3_u32 v23, v23, v56, v55
	v_cndmask_b32_e64 v22, 0, v22, s[16:17]
	v_add3_u32 v23, v23, v54, v1
	v_add_u32_e32 v22, v22, v49
	v_mbcnt_hi_u32_b32 v27, -1, v52
	v_and_b32_e32 v24, 15, v27
	v_mov_b32_dpp v28, v22 row_shr:1 row_mask:0xf bank_mask:0xf
	v_cmp_eq_u32_e64 s[16:17], 0, v23
	v_mov_b32_dpp v25, v23 row_shr:1 row_mask:0xf bank_mask:0xf
	v_cndmask_b32_e64 v28, 0, v28, s[16:17]
	v_cmp_eq_u32_e64 s[16:17], 0, v24
	v_cndmask_b32_e64 v25, v25, 0, s[16:17]
	v_add_u32_e32 v23, v25, v23
	v_cndmask_b32_e64 v25, v28, 0, s[16:17]
	v_add_u32_e32 v22, v25, v22
	v_cmp_eq_u32_e64 s[16:17], 0, v23
	v_mov_b32_dpp v25, v23 row_shr:2 row_mask:0xf bank_mask:0xf
	v_cmp_lt_u32_e64 s[18:19], 1, v24
	v_mov_b32_dpp v28, v22 row_shr:2 row_mask:0xf bank_mask:0xf
	v_cndmask_b32_e64 v25, 0, v25, s[18:19]
	s_and_b64 s[16:17], s[18:19], s[16:17]
	v_cndmask_b32_e64 v28, 0, v28, s[16:17]
	v_add_u32_e32 v23, v23, v25
	v_add_u32_e32 v22, v28, v22
	v_cmp_eq_u32_e64 s[16:17], 0, v23
	v_mov_b32_dpp v25, v23 row_shr:4 row_mask:0xf bank_mask:0xf
	v_cmp_lt_u32_e64 s[18:19], 3, v24
	v_mov_b32_dpp v28, v22 row_shr:4 row_mask:0xf bank_mask:0xf
	v_cndmask_b32_e64 v25, 0, v25, s[18:19]
	s_and_b64 s[16:17], s[18:19], s[16:17]
	v_cndmask_b32_e64 v28, 0, v28, s[16:17]
	v_add_u32_e32 v23, v25, v23
	v_add_u32_e32 v22, v22, v28
	v_cmp_eq_u32_e64 s[16:17], 0, v23
	v_cmp_lt_u32_e64 s[18:19], 7, v24
	v_mov_b32_dpp v25, v23 row_shr:8 row_mask:0xf bank_mask:0xf
	v_mov_b32_dpp v28, v22 row_shr:8 row_mask:0xf bank_mask:0xf
	s_and_b64 s[16:17], s[18:19], s[16:17]
	v_cndmask_b32_e64 v24, 0, v25, s[18:19]
	v_cndmask_b32_e64 v25, 0, v28, s[16:17]
	v_add_u32_e32 v22, v25, v22
	v_add_u32_e32 v23, v24, v23
	v_bfe_i32 v28, v27, 4, 1
	v_mov_b32_dpp v25, v22 row_bcast:15 row_mask:0xf bank_mask:0xf
	v_mov_b32_dpp v24, v23 row_bcast:15 row_mask:0xf bank_mask:0xf
	v_cmp_eq_u32_e64 s[16:17], 0, v23
	v_cndmask_b32_e64 v25, 0, v25, s[16:17]
	v_and_b32_e32 v24, v28, v24
	v_add_u32_e32 v23, v24, v23
	v_and_b32_e32 v24, v28, v25
	v_add_u32_e32 v24, v24, v22
	v_mov_b32_dpp v22, v23 row_bcast:31 row_mask:0xf bank_mask:0xf
	v_cmp_eq_u32_e64 s[16:17], 0, v23
	v_cmp_lt_u32_e64 s[18:19], 31, v27
	v_mov_b32_dpp v25, v24 row_bcast:31 row_mask:0xf bank_mask:0xf
	v_cndmask_b32_e64 v22, 0, v22, s[18:19]
	s_and_b64 s[16:17], s[18:19], s[16:17]
	v_add_u32_e32 v22, v22, v23
	v_cndmask_b32_e64 v23, 0, v25, s[16:17]
	v_add_u32_e32 v23, v23, v24
	v_cmp_eq_u32_e64 s[16:17], v51, v0
	s_and_saveexec_b64 s[18:19], s[16:17]
	s_cbranch_execz .LBB522_87
; %bb.86:
	v_lshlrev_b32_e32 v24, 3, v50
	ds_write_b64 v24, v[22:23] offset:4112
.LBB522_87:
	s_or_b64 exec, exec, s[18:19]
	v_cmp_gt_u32_e64 s[16:17], 4, v0
	s_waitcnt lgkmcnt(0)
	s_barrier
	s_and_saveexec_b64 s[20:21], s[16:17]
	s_cbranch_execz .LBB522_89
; %bb.88:
	v_lshlrev_b32_e32 v28, 3, v0
	ds_read_b64 v[24:25], v28 offset:4112
	v_and_b32_e32 v29, 3, v27
	v_cmp_lt_u32_e64 s[18:19], 1, v29
	s_waitcnt lgkmcnt(0)
	v_mov_b32_dpp v31, v25 row_shr:1 row_mask:0xf bank_mask:0xf
	v_cmp_eq_u32_e64 s[16:17], 0, v24
	v_mov_b32_dpp v30, v24 row_shr:1 row_mask:0xf bank_mask:0xf
	v_cndmask_b32_e64 v31, 0, v31, s[16:17]
	v_cmp_eq_u32_e64 s[16:17], 0, v29
	v_cndmask_b32_e64 v30, v30, 0, s[16:17]
	v_add_u32_e32 v24, v30, v24
	v_cndmask_b32_e64 v30, v31, 0, s[16:17]
	v_add_u32_e32 v25, v30, v25
	v_cmp_eq_u32_e64 s[16:17], 0, v24
	v_mov_b32_dpp v30, v24 row_shr:2 row_mask:0xf bank_mask:0xf
	v_mov_b32_dpp v31, v25 row_shr:2 row_mask:0xf bank_mask:0xf
	v_cndmask_b32_e64 v29, 0, v30, s[18:19]
	s_and_b64 s[16:17], s[18:19], s[16:17]
	v_add_u32_e32 v24, v29, v24
	v_cndmask_b32_e64 v29, 0, v31, s[16:17]
	v_add_u32_e32 v25, v29, v25
	ds_write_b64 v28, v[24:25] offset:4112
.LBB522_89:
	s_or_b64 exec, exec, s[20:21]
	v_cmp_lt_u32_e64 s[16:17], 63, v0
	v_mov_b32_e32 v29, 0
	v_mov_b32_e32 v24, 0
	s_waitcnt vmcnt(0)
	v_mov_b32_e32 v25, v26
	s_waitcnt lgkmcnt(0)
	s_barrier
	s_and_saveexec_b64 s[18:19], s[16:17]
	s_cbranch_execz .LBB522_91
; %bb.90:
	v_lshlrev_b32_e32 v24, 3, v50
	ds_read_b64 v[24:25], v24 offset:4104
	s_waitcnt lgkmcnt(0)
	v_cmp_eq_u32_e64 s[16:17], 0, v24
	v_cndmask_b32_e64 v28, 0, v26, s[16:17]
	v_add_u32_e32 v25, v28, v25
.LBB522_91:
	s_or_b64 exec, exec, s[18:19]
	v_cmp_eq_u32_e64 s[16:17], 0, v22
	v_add_u32_e32 v28, v24, v22
	v_cndmask_b32_e64 v22, 0, v25, s[16:17]
	v_add_u32_e32 v22, v22, v23
	v_add_u32_e32 v23, -1, v27
	v_and_b32_e32 v30, 64, v27
	v_cmp_lt_i32_e64 s[16:17], v23, v30
	v_cndmask_b32_e64 v23, v23, v27, s[16:17]
	v_lshlrev_b32_e32 v23, 2, v23
	ds_bpermute_b32 v22, v23, v22
	ds_bpermute_b32 v28, v23, v28
	v_cmp_eq_u32_e64 s[16:17], 0, v27
	s_waitcnt lgkmcnt(1)
	v_cndmask_b32_e64 v22, v22, v25, s[16:17]
	s_waitcnt lgkmcnt(0)
	v_cndmask_b32_e64 v23, v28, v24, s[16:17]
	v_cndmask_b32_e64 v47, v22, v26, s[0:1]
	v_cmp_eq_u32_e64 s[16:17], 0, v62
	v_cndmask_b32_e64 v22, 0, v47, s[16:17]
	v_add_u32_e32 v45, v22, v48
	v_cndmask_b32_e64 v22, 0, v45, s[2:3]
	v_add_u32_e32 v43, v22, v48
	;; [unrolled: 2-line block ×5, first 2 shown]
	v_cndmask_b32_e64 v22, 0, v37, s[10:11]
	v_cndmask_b32_e64 v46, v23, 0, s[0:1]
	v_add_u32_e32 v35, v22, v48
	v_add_u32_e32 v44, v46, v62
	v_cndmask_b32_e64 v22, 0, v35, s[12:13]
	v_add_u32_e32 v42, v44, v61
	v_add_u32_e32 v33, v22, v48
	ds_read_b64 v[22:23], v29 offset:4136
	v_add_u32_e32 v40, v42, v60
	v_add_u32_e32 v38, v40, v59
	;; [unrolled: 1-line block ×3, first 2 shown]
	v_cndmask_b32_e64 v24, 0, v33, s[14:15]
	v_add_u32_e32 v34, v36, v57
	v_add_u32_e32 v29, v24, v48
	;; [unrolled: 1-line block ×3, first 2 shown]
	v_cndmask_b32_e32 v24, 0, v29, vcc
	s_waitcnt lgkmcnt(0)
	v_cmp_eq_u32_e32 vcc, 0, v22
	v_add_u32_e32 v28, v32, v55
	v_add_u32_e32 v31, v24, v48
	v_cndmask_b32_e32 v24, 0, v26, vcc
	v_add_u32_e32 v30, v28, v54
	v_add_u32_e32 v26, v24, v23
	s_and_saveexec_b64 s[2:3], s[0:1]
	s_cbranch_execz .LBB522_93
; %bb.92:
	s_add_u32 s4, s24, 0x400
	v_and_b32_e32 v23, 0xff000000, v26
	v_and_b32_e32 v24, 0xff0000, v26
	s_addc_u32 s5, s25, 0
	v_or_b32_e32 v23, v24, v23
	v_and_b32_e32 v24, 0xff00, v26
	v_and_b32_e32 v27, 0xff, v26
	v_mov_b32_e32 v25, 0
	v_or3_b32 v23, v23, v24, v27
	v_mov_b32_e32 v24, 2
	v_pk_mov_b32 v[48:49], s[4:5], s[4:5] op_sel:[0,1]
	;;#ASMSTART
	global_store_dwordx4 v[48:49], v[22:25] off	
s_waitcnt vmcnt(0)
	;;#ASMEND
.LBB522_93:
	s_or_b64 exec, exec, s[2:3]
	v_mov_b32_e32 v24, 0
.LBB522_94:
	s_and_b64 s[2:3], s[26:27], exec
	s_cselect_b32 s3, 0, s23
	s_cselect_b32 s2, 0, s22
	s_cmp_eq_u64 s[2:3], 0
	v_pk_mov_b32 v[48:49], 0, 0
	s_barrier
	s_cbranch_scc1 .LBB522_96
; %bb.95:
	v_mov_b32_e32 v23, 0
	global_load_dwordx2 v[48:49], v23, s[2:3]
.LBB522_96:
	s_waitcnt vmcnt(0)
	v_lshlrev_b64 v[50:51], 3, v[48:49]
	v_mov_b32_e32 v23, s37
	v_add_co_u32_e32 v27, vcc, s36, v50
	v_mov_b32_e32 v25, 0
	v_addc_co_u32_e32 v63, vcc, v23, v51, vcc
	v_lshlrev_b64 v[52:53], 3, v[24:25]
	v_add_co_u32_e32 v23, vcc, v27, v52
	v_addc_co_u32_e32 v25, vcc, v63, v53, vcc
	v_cmp_eq_u32_e32 vcc, 0, v62
	v_cndmask_b32_e64 v27, 1, 2, vcc
	v_cmp_eq_u32_e32 vcc, 0, v61
	v_cndmask_b32_e64 v63, 1, 2, vcc
	v_cmp_eq_u32_e32 vcc, 0, v60
	v_and_b32_e32 v27, v63, v27
	v_cndmask_b32_e64 v63, 1, 2, vcc
	v_cmp_eq_u32_e32 vcc, 0, v59
	v_and_b32_e32 v27, v27, v63
	;; [unrolled: 3-line block ×8, first 2 shown]
	v_cndmask_b32_e64 v63, 1, 2, vcc
	s_movk_i32 s22, 0x100
	v_and_b32_e32 v27, v27, v63
	v_cmp_gt_u32_e32 vcc, s22, v22
	v_cmp_ne_u32_e64 s[20:21], 0, v62
	v_cmp_ne_u32_e64 s[18:19], 0, v61
	;; [unrolled: 1-line block ×10, first 2 shown]
	s_mov_b64 s[24:25], -1
	v_cmp_gt_i16_e64 s[22:23], 2, v27
	s_cbranch_vccz .LBB522_103
; %bb.97:
	s_and_saveexec_b64 s[24:25], s[22:23]
	s_cbranch_execz .LBB522_102
; %bb.98:
	v_cmp_ne_u16_e32 vcc, 1, v27
	s_mov_b64 s[26:27], 0
	s_and_saveexec_b64 s[22:23], vcc
	s_xor_b64 s[22:23], exec, s[22:23]
	s_cbranch_execnz .LBB522_135
; %bb.99:
	s_andn2_saveexec_b64 s[22:23], s[22:23]
	s_cbranch_execnz .LBB522_146
.LBB522_100:
	s_or_b64 exec, exec, s[22:23]
	s_and_b64 exec, exec, s[26:27]
	s_cbranch_execz .LBB522_102
.LBB522_101:
	v_sub_u32_e32 v64, v30, v24
	v_mov_b32_e32 v65, 0
	v_lshlrev_b64 v[64:65], 3, v[64:65]
	v_add_co_u32_e32 v64, vcc, v23, v64
	v_addc_co_u32_e32 v65, vcc, v25, v65, vcc
	global_store_dwordx2 v[64:65], v[8:9], off
.LBB522_102:
	s_or_b64 exec, exec, s[24:25]
	s_mov_b64 s[24:25], 0
.LBB522_103:
	s_and_b64 vcc, exec, s[24:25]
	s_cbranch_vccz .LBB522_113
; %bb.104:
	v_cmp_gt_i16_e32 vcc, 2, v27
	s_and_saveexec_b64 s[22:23], vcc
	s_cbranch_execz .LBB522_109
; %bb.105:
	v_cmp_ne_u16_e32 vcc, 1, v27
	s_mov_b64 s[26:27], 0
	s_and_saveexec_b64 s[24:25], vcc
	s_xor_b64 s[24:25], exec, s[24:25]
	s_cbranch_execnz .LBB522_147
; %bb.106:
	s_andn2_saveexec_b64 s[2:3], s[24:25]
	s_cbranch_execnz .LBB522_158
.LBB522_107:
	s_or_b64 exec, exec, s[2:3]
	s_and_b64 exec, exec, s[26:27]
	s_cbranch_execz .LBB522_109
.LBB522_108:
	v_sub_u32_e32 v2, v30, v24
	v_lshlrev_b32_e32 v2, 3, v2
	ds_write_b64 v2, v[8:9]
.LBB522_109:
	s_or_b64 exec, exec, s[22:23]
	v_cmp_lt_u32_e32 vcc, v0, v22
	s_waitcnt lgkmcnt(0)
	s_barrier
	s_and_saveexec_b64 s[2:3], vcc
	s_cbranch_execz .LBB522_112
; %bb.110:
	v_lshlrev_b32_e32 v4, 3, v0
	s_mov_b64 s[4:5], 0
	v_mov_b32_e32 v3, 0
	v_mov_b32_e32 v2, v0
.LBB522_111:                            ; =>This Inner Loop Header: Depth=1
	ds_read_b64 v[6:7], v4
	v_lshlrev_b64 v[8:9], 3, v[2:3]
	v_add_co_u32_e32 v8, vcc, v23, v8
	v_add_u32_e32 v2, 0x100, v2
	v_addc_co_u32_e32 v9, vcc, v25, v9, vcc
	v_cmp_ge_u32_e32 vcc, v2, v22
	v_add_u32_e32 v4, 0x800, v4
	s_or_b64 s[4:5], vcc, s[4:5]
	s_waitcnt lgkmcnt(0)
	global_store_dwordx2 v[8:9], v[6:7], off
	s_andn2_b64 exec, exec, s[4:5]
	s_cbranch_execnz .LBB522_111
.LBB522_112:
	s_or_b64 exec, exec, s[2:3]
.LBB522_113:
	s_cmpk_lg_i32 s33, 0xa00
	s_cselect_b64 s[2:3], -1, 0
	v_cndmask_b32_e64 v2, 0, 1, s[30:31]
	s_and_b64 s[2:3], s[2:3], s[28:29]
	v_sub_u32_e32 v3, v22, v2
	v_cndmask_b32_e64 v4, 0, 1, s[2:3]
	s_and_b64 s[0:1], s[0:1], s[30:31]
	v_add_u32_e32 v4, v3, v4
	v_cndmask_b32_e64 v3, v62, 0, s[0:1]
	s_mul_hi_u32 s0, s33, 0xcccccccd
	s_lshr_b32 s0, s0, 3
	v_mad_i32_i24 v5, v0, -10, s33
	v_cmp_eq_u32_e32 vcc, s0, v0
	v_cmp_ne_u32_e64 s[0:1], 0, v5
	v_cndmask_b32_e64 v6, 1, v3, s[0:1]
	v_cmp_ne_u32_e64 s[0:1], 1, v5
	v_cndmask_b32_e64 v7, 1, v61, s[0:1]
	;; [unrolled: 2-line block ×10, first 2 shown]
	s_and_b64 vcc, vcc, s[28:29]
	v_cndmask_b32_e32 v15, v1, v5, vcc
	v_cndmask_b32_e32 v14, v54, v14, vcc
	;; [unrolled: 1-line block ×10, first 2 shown]
	v_mov_b32_e32 v1, s39
	v_add_co_u32_e32 v5, vcc, s38, v50
	v_addc_co_u32_e32 v6, vcc, v1, v51, vcc
	v_add_co_u32_e32 v1, vcc, v5, v52
	v_addc_co_u32_e32 v5, vcc, v6, v53, vcc
	v_lshlrev_b32_e32 v6, 3, v2
	v_add_co_u32_e32 v6, vcc, v6, v1
	v_addc_co_u32_e32 v7, vcc, 0, v5, vcc
	v_add_co_u32_e32 v6, vcc, -8, v6
	v_addc_co_u32_e32 v7, vcc, -1, v7, vcc
	v_cmp_eq_u32_e32 vcc, 0, v3
	v_cmp_ne_u32_e64 s[18:19], 0, v3
	v_cndmask_b32_e64 v3, 1, 2, vcc
	v_cmp_eq_u32_e32 vcc, 0, v16
	v_cmp_ne_u32_e64 s[16:17], 0, v16
	v_cndmask_b32_e64 v16, 1, 2, vcc
	v_cmp_eq_u32_e32 vcc, 0, v8
	v_and_b32_e32 v3, v16, v3
	v_cmp_ne_u32_e64 s[14:15], 0, v8
	v_cndmask_b32_e64 v8, 1, 2, vcc
	v_cmp_eq_u32_e32 vcc, 0, v9
	v_and_b32_e32 v3, v3, v8
	v_cndmask_b32_e64 v8, 1, 2, vcc
	v_cmp_eq_u32_e32 vcc, 0, v10
	v_and_b32_e32 v3, v3, v8
	;; [unrolled: 3-line block ×7, first 2 shown]
	v_cndmask_b32_e64 v8, 1, 2, vcc
	s_movk_i32 s20, 0x100
	v_and_b32_e32 v3, v3, v8
	v_cmp_gt_u32_e32 vcc, s20, v4
	v_add_u32_e32 v2, v24, v2
	v_cmp_ne_u32_e64 s[12:13], 0, v9
	v_cmp_ne_u32_e64 s[10:11], 0, v10
	v_cmp_ne_u32_e64 s[8:9], 0, v11
	v_cmp_ne_u32_e64 s[6:7], 0, v12
	v_cmp_ne_u32_e64 s[4:5], 0, v13
	v_cmp_ne_u32_e64 s[2:3], 0, v14
	v_cmp_ne_u32_e64 s[0:1], 0, v15
	s_mov_b64 s[22:23], -1
	v_cmp_gt_i16_e64 s[20:21], 2, v3
	s_barrier
	s_cbranch_vccz .LBB522_120
; %bb.114:
	s_and_saveexec_b64 s[22:23], s[20:21]
	s_cbranch_execz .LBB522_119
; %bb.115:
	v_cmp_ne_u16_e32 vcc, 1, v3
	s_mov_b64 s[24:25], 0
	s_and_saveexec_b64 s[20:21], vcc
	s_xor_b64 s[20:21], exec, s[20:21]
	s_cbranch_execnz .LBB522_159
; %bb.116:
	s_andn2_saveexec_b64 s[20:21], s[20:21]
	s_cbranch_execnz .LBB522_170
.LBB522_117:
	s_or_b64 exec, exec, s[20:21]
	s_and_b64 exec, exec, s[24:25]
	s_cbranch_execz .LBB522_119
.LBB522_118:
	v_mov_b32_e32 v9, 0
	v_sub_u32_e32 v10, v30, v2
	v_mov_b32_e32 v11, v9
	v_lshlrev_b64 v[10:11], 3, v[10:11]
	v_add_co_u32_e32 v10, vcc, v6, v10
	v_mov_b32_e32 v8, v31
	v_addc_co_u32_e32 v11, vcc, v7, v11, vcc
	global_store_dwordx2 v[10:11], v[8:9], off
.LBB522_119:
	s_or_b64 exec, exec, s[22:23]
	s_mov_b64 s[22:23], 0
.LBB522_120:
	s_and_b64 vcc, exec, s[22:23]
	s_cbranch_vccz .LBB522_130
; %bb.121:
	v_cmp_gt_i16_e32 vcc, 2, v3
	s_and_saveexec_b64 s[20:21], vcc
	s_cbranch_execz .LBB522_126
; %bb.122:
	v_cmp_ne_u16_e32 vcc, 1, v3
	s_mov_b64 s[24:25], 0
	s_and_saveexec_b64 s[22:23], vcc
	s_xor_b64 s[22:23], exec, s[22:23]
	s_cbranch_execnz .LBB522_171
; %bb.123:
	s_andn2_saveexec_b64 s[0:1], s[22:23]
	s_cbranch_execnz .LBB522_182
.LBB522_124:
	s_or_b64 exec, exec, s[0:1]
	s_and_b64 exec, exec, s[24:25]
	s_cbranch_execz .LBB522_126
.LBB522_125:
	v_sub_u32_e32 v2, v30, v2
	v_lshlrev_b32_e32 v2, 2, v2
	ds_write_b32 v2, v31
.LBB522_126:
	s_or_b64 exec, exec, s[20:21]
	v_cmp_lt_u32_e32 vcc, v0, v4
	s_waitcnt lgkmcnt(0)
	s_barrier
	s_and_saveexec_b64 s[0:1], vcc
	s_cbranch_execz .LBB522_129
; %bb.127:
	v_lshlrev_b32_e32 v8, 2, v0
	s_mov_b64 s[2:3], 0
	v_mov_b32_e32 v3, 0
	v_mov_b32_e32 v2, v0
.LBB522_128:                            ; =>This Inner Loop Header: Depth=1
	ds_read_b32 v10, v8
	v_lshlrev_b64 v[12:13], 3, v[2:3]
	v_add_co_u32_e32 v12, vcc, v6, v12
	v_add_u32_e32 v2, 0x100, v2
	v_addc_co_u32_e32 v13, vcc, v7, v13, vcc
	v_cmp_ge_u32_e32 vcc, v2, v4
	v_mov_b32_e32 v11, v3
	v_add_u32_e32 v8, 0x400, v8
	s_or_b64 s[2:3], vcc, s[2:3]
	s_waitcnt lgkmcnt(0)
	global_store_dwordx2 v[12:13], v[10:11], off
	s_andn2_b64 exec, exec, s[2:3]
	s_cbranch_execnz .LBB522_128
.LBB522_129:
	s_or_b64 exec, exec, s[0:1]
.LBB522_130:
	s_movk_i32 s0, 0xff
	v_cmp_eq_u32_e32 vcc, s0, v0
	s_and_b64 s[0:1], vcc, s[28:29]
	s_and_saveexec_b64 s[2:3], s[0:1]
	s_cbranch_execz .LBB522_133
; %bb.131:
	v_add_co_u32_e32 v0, vcc, v22, v24
	v_addc_co_u32_e64 v3, s[0:1], 0, 0, vcc
	v_add_co_u32_e32 v2, vcc, v0, v48
	v_mov_b32_e32 v23, 0
	v_addc_co_u32_e32 v3, vcc, v3, v49, vcc
	s_cmpk_lg_i32 s33, 0xa00
	global_store_dwordx2 v23, v[2:3], s[34:35]
	s_cbranch_scc1 .LBB522_133
; %bb.132:
	v_lshlrev_b64 v[2:3], 3, v[22:23]
	v_add_co_u32_e32 v0, vcc, v1, v2
	v_mov_b32_e32 v27, v23
	v_addc_co_u32_e32 v1, vcc, v5, v3, vcc
	global_store_dwordx2 v[0:1], v[26:27], off offset:-8
.LBB522_133:
	s_endpgm
.LBB522_134:
	s_or_b64 exec, exec, s[10:11]
	v_mov_b32_e32 v62, s12
	s_and_saveexec_b64 s[2:3], s[6:7]
	s_cbranch_execnz .LBB522_50
	s_branch .LBB522_51
.LBB522_135:
	s_and_saveexec_b64 s[26:27], s[20:21]
	s_cbranch_execnz .LBB522_183
; %bb.136:
	s_or_b64 exec, exec, s[26:27]
	s_and_saveexec_b64 s[26:27], s[18:19]
	s_cbranch_execnz .LBB522_184
.LBB522_137:
	s_or_b64 exec, exec, s[26:27]
	s_and_saveexec_b64 s[26:27], s[16:17]
	s_cbranch_execnz .LBB522_185
.LBB522_138:
	s_or_b64 exec, exec, s[26:27]
	s_and_saveexec_b64 s[26:27], s[14:15]
	s_cbranch_execnz .LBB522_186
.LBB522_139:
	s_or_b64 exec, exec, s[26:27]
	s_and_saveexec_b64 s[26:27], s[12:13]
	s_cbranch_execnz .LBB522_187
.LBB522_140:
	s_or_b64 exec, exec, s[26:27]
	s_and_saveexec_b64 s[26:27], s[10:11]
	s_cbranch_execnz .LBB522_188
.LBB522_141:
	s_or_b64 exec, exec, s[26:27]
	s_and_saveexec_b64 s[26:27], s[8:9]
	s_cbranch_execnz .LBB522_189
.LBB522_142:
	s_or_b64 exec, exec, s[26:27]
	s_and_saveexec_b64 s[26:27], s[6:7]
	s_cbranch_execnz .LBB522_190
.LBB522_143:
	s_or_b64 exec, exec, s[26:27]
	s_and_saveexec_b64 s[26:27], s[4:5]
	s_cbranch_execz .LBB522_145
.LBB522_144:
	v_sub_u32_e32 v64, v28, v24
	v_mov_b32_e32 v65, 0
	v_lshlrev_b64 v[64:65], 3, v[64:65]
	v_add_co_u32_e32 v64, vcc, v23, v64
	v_addc_co_u32_e32 v65, vcc, v25, v65, vcc
	global_store_dwordx2 v[64:65], v[6:7], off
.LBB522_145:
	s_or_b64 exec, exec, s[26:27]
	s_and_b64 s[26:27], s[2:3], exec
	s_andn2_saveexec_b64 s[22:23], s[22:23]
	s_cbranch_execz .LBB522_100
.LBB522_146:
	v_sub_u32_e32 v64, v46, v24
	v_mov_b32_e32 v65, 0
	v_lshlrev_b64 v[66:67], 3, v[64:65]
	v_add_co_u32_e32 v66, vcc, v23, v66
	v_addc_co_u32_e32 v67, vcc, v25, v67, vcc
	v_sub_u32_e32 v64, v44, v24
	global_store_dwordx2 v[66:67], v[18:19], off
	v_lshlrev_b64 v[66:67], 3, v[64:65]
	v_add_co_u32_e32 v66, vcc, v23, v66
	v_addc_co_u32_e32 v67, vcc, v25, v67, vcc
	v_sub_u32_e32 v64, v42, v24
	global_store_dwordx2 v[66:67], v[20:21], off
	;; [unrolled: 5-line block ×7, first 2 shown]
	v_lshlrev_b64 v[66:67], 3, v[64:65]
	v_add_co_u32_e32 v66, vcc, v23, v66
	v_sub_u32_e32 v64, v28, v24
	v_addc_co_u32_e32 v67, vcc, v25, v67, vcc
	v_lshlrev_b64 v[64:65], 3, v[64:65]
	v_add_co_u32_e32 v64, vcc, v23, v64
	v_addc_co_u32_e32 v65, vcc, v25, v65, vcc
	s_or_b64 s[26:27], s[26:27], exec
	global_store_dwordx2 v[66:67], v[4:5], off
	global_store_dwordx2 v[64:65], v[6:7], off
	s_or_b64 exec, exec, s[22:23]
	s_and_b64 exec, exec, s[26:27]
	s_cbranch_execnz .LBB522_101
	s_branch .LBB522_102
.LBB522_147:
	s_and_saveexec_b64 s[26:27], s[20:21]
	s_cbranch_execnz .LBB522_191
; %bb.148:
	s_or_b64 exec, exec, s[26:27]
	s_and_saveexec_b64 s[20:21], s[18:19]
	s_cbranch_execnz .LBB522_192
.LBB522_149:
	s_or_b64 exec, exec, s[20:21]
	s_and_saveexec_b64 s[18:19], s[16:17]
	s_cbranch_execnz .LBB522_193
.LBB522_150:
	s_or_b64 exec, exec, s[18:19]
	s_and_saveexec_b64 s[16:17], s[14:15]
	s_cbranch_execnz .LBB522_194
.LBB522_151:
	s_or_b64 exec, exec, s[16:17]
	s_and_saveexec_b64 s[14:15], s[12:13]
	s_cbranch_execnz .LBB522_195
.LBB522_152:
	s_or_b64 exec, exec, s[14:15]
	s_and_saveexec_b64 s[12:13], s[10:11]
	s_cbranch_execnz .LBB522_196
.LBB522_153:
	s_or_b64 exec, exec, s[12:13]
	s_and_saveexec_b64 s[10:11], s[8:9]
	s_cbranch_execnz .LBB522_197
.LBB522_154:
	s_or_b64 exec, exec, s[10:11]
	s_and_saveexec_b64 s[8:9], s[6:7]
	s_cbranch_execnz .LBB522_198
.LBB522_155:
	s_or_b64 exec, exec, s[8:9]
	s_and_saveexec_b64 s[6:7], s[4:5]
	s_cbranch_execz .LBB522_157
.LBB522_156:
	v_sub_u32_e32 v2, v28, v24
	v_lshlrev_b32_e32 v2, 3, v2
	ds_write_b64 v2, v[6:7]
.LBB522_157:
	s_or_b64 exec, exec, s[6:7]
	s_and_b64 s[26:27], s[2:3], exec
                                        ; implicit-def: $vgpr4_vgpr5
                                        ; implicit-def: $vgpr12_vgpr13
                                        ; implicit-def: $vgpr16_vgpr17
                                        ; implicit-def: $vgpr20_vgpr21
	s_andn2_saveexec_b64 s[2:3], s[24:25]
	s_cbranch_execz .LBB522_107
.LBB522_158:
	v_sub_u32_e32 v27, v46, v24
	v_lshlrev_b32_e32 v27, 3, v27
	ds_write_b64 v27, v[18:19]
	v_sub_u32_e32 v18, v44, v24
	v_lshlrev_b32_e32 v18, 3, v18
	ds_write_b64 v18, v[20:21]
	;; [unrolled: 3-line block ×8, first 2 shown]
	v_sub_u32_e32 v2, v28, v24
	v_lshlrev_b32_e32 v2, 3, v2
	s_or_b64 s[26:27], s[26:27], exec
	ds_write_b64 v2, v[6:7]
	s_or_b64 exec, exec, s[2:3]
	s_and_b64 exec, exec, s[26:27]
	s_cbranch_execnz .LBB522_108
	s_branch .LBB522_109
.LBB522_159:
	s_and_saveexec_b64 s[24:25], s[18:19]
	s_cbranch_execnz .LBB522_199
; %bb.160:
	s_or_b64 exec, exec, s[24:25]
	s_and_saveexec_b64 s[24:25], s[16:17]
	s_cbranch_execnz .LBB522_200
.LBB522_161:
	s_or_b64 exec, exec, s[24:25]
	s_and_saveexec_b64 s[24:25], s[14:15]
	s_cbranch_execnz .LBB522_201
.LBB522_162:
	s_or_b64 exec, exec, s[24:25]
	s_and_saveexec_b64 s[24:25], s[12:13]
	s_cbranch_execnz .LBB522_202
.LBB522_163:
	s_or_b64 exec, exec, s[24:25]
	s_and_saveexec_b64 s[24:25], s[10:11]
	s_cbranch_execnz .LBB522_203
.LBB522_164:
	s_or_b64 exec, exec, s[24:25]
	s_and_saveexec_b64 s[24:25], s[8:9]
	s_cbranch_execnz .LBB522_204
.LBB522_165:
	s_or_b64 exec, exec, s[24:25]
	s_and_saveexec_b64 s[24:25], s[6:7]
	s_cbranch_execnz .LBB522_205
.LBB522_166:
	s_or_b64 exec, exec, s[24:25]
	s_and_saveexec_b64 s[24:25], s[4:5]
	s_cbranch_execnz .LBB522_206
.LBB522_167:
	s_or_b64 exec, exec, s[24:25]
	s_and_saveexec_b64 s[24:25], s[2:3]
	s_cbranch_execz .LBB522_169
.LBB522_168:
	v_sub_u32_e32 v8, v28, v2
	v_mov_b32_e32 v9, 0
	v_lshlrev_b64 v[10:11], 3, v[8:9]
	v_add_co_u32_e32 v10, vcc, v6, v10
	v_addc_co_u32_e32 v11, vcc, v7, v11, vcc
	v_mov_b32_e32 v8, v29
	global_store_dwordx2 v[10:11], v[8:9], off
.LBB522_169:
	s_or_b64 exec, exec, s[24:25]
	s_and_b64 s[24:25], s[0:1], exec
	s_andn2_saveexec_b64 s[20:21], s[20:21]
	s_cbranch_execz .LBB522_117
.LBB522_170:
	v_mov_b32_e32 v9, 0
	v_sub_u32_e32 v10, v46, v2
	v_mov_b32_e32 v11, v9
	v_lshlrev_b64 v[10:11], 3, v[10:11]
	v_add_co_u32_e32 v10, vcc, v6, v10
	v_mov_b32_e32 v8, v47
	v_addc_co_u32_e32 v11, vcc, v7, v11, vcc
	global_store_dwordx2 v[10:11], v[8:9], off
	v_sub_u32_e32 v10, v44, v2
	v_mov_b32_e32 v11, v9
	v_lshlrev_b64 v[10:11], 3, v[10:11]
	v_add_co_u32_e32 v10, vcc, v6, v10
	v_mov_b32_e32 v8, v45
	v_addc_co_u32_e32 v11, vcc, v7, v11, vcc
	global_store_dwordx2 v[10:11], v[8:9], off
	;; [unrolled: 7-line block ×8, first 2 shown]
	v_sub_u32_e32 v10, v28, v2
	v_mov_b32_e32 v11, v9
	v_lshlrev_b64 v[10:11], 3, v[10:11]
	v_add_co_u32_e32 v10, vcc, v6, v10
	v_mov_b32_e32 v8, v29
	v_addc_co_u32_e32 v11, vcc, v7, v11, vcc
	s_or_b64 s[24:25], s[24:25], exec
	global_store_dwordx2 v[10:11], v[8:9], off
	s_or_b64 exec, exec, s[20:21]
	s_and_b64 exec, exec, s[24:25]
	s_cbranch_execnz .LBB522_118
	s_branch .LBB522_119
.LBB522_171:
	s_and_saveexec_b64 s[24:25], s[18:19]
	s_cbranch_execnz .LBB522_207
; %bb.172:
	s_or_b64 exec, exec, s[24:25]
	s_and_saveexec_b64 s[18:19], s[16:17]
	s_cbranch_execnz .LBB522_208
.LBB522_173:
	s_or_b64 exec, exec, s[18:19]
	s_and_saveexec_b64 s[16:17], s[14:15]
	s_cbranch_execnz .LBB522_209
.LBB522_174:
	s_or_b64 exec, exec, s[16:17]
	s_and_saveexec_b64 s[14:15], s[12:13]
	s_cbranch_execnz .LBB522_210
.LBB522_175:
	s_or_b64 exec, exec, s[14:15]
	s_and_saveexec_b64 s[12:13], s[10:11]
	s_cbranch_execnz .LBB522_211
.LBB522_176:
	s_or_b64 exec, exec, s[12:13]
	s_and_saveexec_b64 s[10:11], s[8:9]
	s_cbranch_execnz .LBB522_212
.LBB522_177:
	s_or_b64 exec, exec, s[10:11]
	s_and_saveexec_b64 s[8:9], s[6:7]
	s_cbranch_execnz .LBB522_213
.LBB522_178:
	s_or_b64 exec, exec, s[8:9]
	s_and_saveexec_b64 s[6:7], s[4:5]
	s_cbranch_execnz .LBB522_214
.LBB522_179:
	s_or_b64 exec, exec, s[6:7]
	s_and_saveexec_b64 s[4:5], s[2:3]
	s_cbranch_execz .LBB522_181
.LBB522_180:
	v_sub_u32_e32 v3, v28, v2
	v_lshlrev_b32_e32 v3, 2, v3
	ds_write_b32 v3, v29
.LBB522_181:
	s_or_b64 exec, exec, s[4:5]
	s_and_b64 s[24:25], s[0:1], exec
                                        ; implicit-def: $vgpr28_vgpr29
                                        ; implicit-def: $vgpr32_vgpr33
                                        ; implicit-def: $vgpr34_vgpr35
                                        ; implicit-def: $vgpr46_vgpr47
                                        ; implicit-def: $vgpr44_vgpr45
                                        ; implicit-def: $vgpr42_vgpr43
                                        ; implicit-def: $vgpr40_vgpr41
                                        ; implicit-def: $vgpr38_vgpr39
                                        ; implicit-def: $vgpr36_vgpr37
	s_andn2_saveexec_b64 s[0:1], s[22:23]
	s_cbranch_execz .LBB522_124
.LBB522_182:
	v_sub_u32_e32 v3, v46, v2
	v_lshlrev_b32_e32 v3, 2, v3
	ds_write_b32 v3, v47
	v_sub_u32_e32 v3, v44, v2
	v_lshlrev_b32_e32 v3, 2, v3
	ds_write_b32 v3, v45
	;; [unrolled: 3-line block ×8, first 2 shown]
	v_sub_u32_e32 v3, v28, v2
	v_lshlrev_b32_e32 v3, 2, v3
	s_or_b64 s[24:25], s[24:25], exec
	ds_write_b32 v3, v29
	s_or_b64 exec, exec, s[0:1]
	s_and_b64 exec, exec, s[24:25]
	s_cbranch_execnz .LBB522_125
	s_branch .LBB522_126
.LBB522_183:
	v_sub_u32_e32 v64, v46, v24
	v_mov_b32_e32 v65, 0
	v_lshlrev_b64 v[64:65], 3, v[64:65]
	v_add_co_u32_e32 v64, vcc, v23, v64
	v_addc_co_u32_e32 v65, vcc, v25, v65, vcc
	global_store_dwordx2 v[64:65], v[18:19], off
	s_or_b64 exec, exec, s[26:27]
	s_and_saveexec_b64 s[26:27], s[18:19]
	s_cbranch_execz .LBB522_137
.LBB522_184:
	v_sub_u32_e32 v64, v44, v24
	v_mov_b32_e32 v65, 0
	v_lshlrev_b64 v[64:65], 3, v[64:65]
	v_add_co_u32_e32 v64, vcc, v23, v64
	v_addc_co_u32_e32 v65, vcc, v25, v65, vcc
	global_store_dwordx2 v[64:65], v[20:21], off
	s_or_b64 exec, exec, s[26:27]
	s_and_saveexec_b64 s[26:27], s[16:17]
	s_cbranch_execz .LBB522_138
.LBB522_185:
	v_sub_u32_e32 v64, v42, v24
	v_mov_b32_e32 v65, 0
	v_lshlrev_b64 v[64:65], 3, v[64:65]
	v_add_co_u32_e32 v64, vcc, v23, v64
	v_addc_co_u32_e32 v65, vcc, v25, v65, vcc
	global_store_dwordx2 v[64:65], v[14:15], off
	s_or_b64 exec, exec, s[26:27]
	s_and_saveexec_b64 s[26:27], s[14:15]
	s_cbranch_execz .LBB522_139
.LBB522_186:
	v_sub_u32_e32 v64, v40, v24
	v_mov_b32_e32 v65, 0
	v_lshlrev_b64 v[64:65], 3, v[64:65]
	v_add_co_u32_e32 v64, vcc, v23, v64
	v_addc_co_u32_e32 v65, vcc, v25, v65, vcc
	global_store_dwordx2 v[64:65], v[16:17], off
	s_or_b64 exec, exec, s[26:27]
	s_and_saveexec_b64 s[26:27], s[12:13]
	s_cbranch_execz .LBB522_140
.LBB522_187:
	v_sub_u32_e32 v64, v38, v24
	v_mov_b32_e32 v65, 0
	v_lshlrev_b64 v[64:65], 3, v[64:65]
	v_add_co_u32_e32 v64, vcc, v23, v64
	v_addc_co_u32_e32 v65, vcc, v25, v65, vcc
	global_store_dwordx2 v[64:65], v[10:11], off
	s_or_b64 exec, exec, s[26:27]
	s_and_saveexec_b64 s[26:27], s[10:11]
	s_cbranch_execz .LBB522_141
.LBB522_188:
	v_sub_u32_e32 v64, v36, v24
	v_mov_b32_e32 v65, 0
	v_lshlrev_b64 v[64:65], 3, v[64:65]
	v_add_co_u32_e32 v64, vcc, v23, v64
	v_addc_co_u32_e32 v65, vcc, v25, v65, vcc
	global_store_dwordx2 v[64:65], v[12:13], off
	s_or_b64 exec, exec, s[26:27]
	s_and_saveexec_b64 s[26:27], s[8:9]
	s_cbranch_execz .LBB522_142
.LBB522_189:
	v_sub_u32_e32 v64, v34, v24
	v_mov_b32_e32 v65, 0
	v_lshlrev_b64 v[64:65], 3, v[64:65]
	v_add_co_u32_e32 v64, vcc, v23, v64
	v_addc_co_u32_e32 v65, vcc, v25, v65, vcc
	global_store_dwordx2 v[64:65], v[2:3], off
	s_or_b64 exec, exec, s[26:27]
	s_and_saveexec_b64 s[26:27], s[6:7]
	s_cbranch_execz .LBB522_143
.LBB522_190:
	v_sub_u32_e32 v64, v32, v24
	v_mov_b32_e32 v65, 0
	v_lshlrev_b64 v[64:65], 3, v[64:65]
	v_add_co_u32_e32 v64, vcc, v23, v64
	v_addc_co_u32_e32 v65, vcc, v25, v65, vcc
	global_store_dwordx2 v[64:65], v[4:5], off
	s_or_b64 exec, exec, s[26:27]
	s_and_saveexec_b64 s[26:27], s[4:5]
	s_cbranch_execnz .LBB522_144
	s_branch .LBB522_145
.LBB522_191:
	v_sub_u32_e32 v27, v46, v24
	v_lshlrev_b32_e32 v27, 3, v27
	ds_write_b64 v27, v[18:19]
	s_or_b64 exec, exec, s[26:27]
	s_and_saveexec_b64 s[20:21], s[18:19]
	s_cbranch_execz .LBB522_149
.LBB522_192:
	v_sub_u32_e32 v18, v44, v24
	v_lshlrev_b32_e32 v18, 3, v18
	ds_write_b64 v18, v[20:21]
	s_or_b64 exec, exec, s[20:21]
	s_and_saveexec_b64 s[18:19], s[16:17]
	s_cbranch_execz .LBB522_150
.LBB522_193:
	v_sub_u32_e32 v18, v42, v24
	v_lshlrev_b32_e32 v18, 3, v18
	ds_write_b64 v18, v[14:15]
	s_or_b64 exec, exec, s[18:19]
	s_and_saveexec_b64 s[16:17], s[14:15]
	s_cbranch_execz .LBB522_151
.LBB522_194:
	v_sub_u32_e32 v14, v40, v24
	v_lshlrev_b32_e32 v14, 3, v14
	ds_write_b64 v14, v[16:17]
	s_or_b64 exec, exec, s[16:17]
	s_and_saveexec_b64 s[14:15], s[12:13]
	s_cbranch_execz .LBB522_152
.LBB522_195:
	v_sub_u32_e32 v14, v38, v24
	v_lshlrev_b32_e32 v14, 3, v14
	ds_write_b64 v14, v[10:11]
	s_or_b64 exec, exec, s[14:15]
	s_and_saveexec_b64 s[12:13], s[10:11]
	s_cbranch_execz .LBB522_153
.LBB522_196:
	v_sub_u32_e32 v10, v36, v24
	v_lshlrev_b32_e32 v10, 3, v10
	ds_write_b64 v10, v[12:13]
	s_or_b64 exec, exec, s[12:13]
	s_and_saveexec_b64 s[10:11], s[8:9]
	s_cbranch_execz .LBB522_154
.LBB522_197:
	v_sub_u32_e32 v10, v34, v24
	v_lshlrev_b32_e32 v10, 3, v10
	ds_write_b64 v10, v[2:3]
	s_or_b64 exec, exec, s[10:11]
	s_and_saveexec_b64 s[8:9], s[6:7]
	s_cbranch_execz .LBB522_155
.LBB522_198:
	v_sub_u32_e32 v2, v32, v24
	v_lshlrev_b32_e32 v2, 3, v2
	ds_write_b64 v2, v[4:5]
	s_or_b64 exec, exec, s[8:9]
	s_and_saveexec_b64 s[6:7], s[4:5]
	s_cbranch_execnz .LBB522_156
	s_branch .LBB522_157
.LBB522_199:
	v_sub_u32_e32 v8, v46, v2
	v_mov_b32_e32 v9, 0
	v_lshlrev_b64 v[10:11], 3, v[8:9]
	v_add_co_u32_e32 v10, vcc, v6, v10
	v_addc_co_u32_e32 v11, vcc, v7, v11, vcc
	v_mov_b32_e32 v8, v47
	global_store_dwordx2 v[10:11], v[8:9], off
	s_or_b64 exec, exec, s[24:25]
	s_and_saveexec_b64 s[24:25], s[16:17]
	s_cbranch_execz .LBB522_161
.LBB522_200:
	v_sub_u32_e32 v8, v44, v2
	v_mov_b32_e32 v9, 0
	v_lshlrev_b64 v[10:11], 3, v[8:9]
	v_add_co_u32_e32 v10, vcc, v6, v10
	v_addc_co_u32_e32 v11, vcc, v7, v11, vcc
	v_mov_b32_e32 v8, v45
	global_store_dwordx2 v[10:11], v[8:9], off
	s_or_b64 exec, exec, s[24:25]
	s_and_saveexec_b64 s[24:25], s[14:15]
	s_cbranch_execz .LBB522_162
.LBB522_201:
	v_sub_u32_e32 v8, v42, v2
	v_mov_b32_e32 v9, 0
	v_lshlrev_b64 v[10:11], 3, v[8:9]
	v_add_co_u32_e32 v10, vcc, v6, v10
	v_addc_co_u32_e32 v11, vcc, v7, v11, vcc
	v_mov_b32_e32 v8, v43
	global_store_dwordx2 v[10:11], v[8:9], off
	s_or_b64 exec, exec, s[24:25]
	s_and_saveexec_b64 s[24:25], s[12:13]
	s_cbranch_execz .LBB522_163
.LBB522_202:
	v_sub_u32_e32 v8, v40, v2
	v_mov_b32_e32 v9, 0
	v_lshlrev_b64 v[10:11], 3, v[8:9]
	v_add_co_u32_e32 v10, vcc, v6, v10
	v_addc_co_u32_e32 v11, vcc, v7, v11, vcc
	v_mov_b32_e32 v8, v41
	global_store_dwordx2 v[10:11], v[8:9], off
	s_or_b64 exec, exec, s[24:25]
	s_and_saveexec_b64 s[24:25], s[10:11]
	s_cbranch_execz .LBB522_164
.LBB522_203:
	v_sub_u32_e32 v8, v38, v2
	v_mov_b32_e32 v9, 0
	v_lshlrev_b64 v[10:11], 3, v[8:9]
	v_add_co_u32_e32 v10, vcc, v6, v10
	v_addc_co_u32_e32 v11, vcc, v7, v11, vcc
	v_mov_b32_e32 v8, v39
	global_store_dwordx2 v[10:11], v[8:9], off
	s_or_b64 exec, exec, s[24:25]
	s_and_saveexec_b64 s[24:25], s[8:9]
	s_cbranch_execz .LBB522_165
.LBB522_204:
	v_sub_u32_e32 v8, v36, v2
	v_mov_b32_e32 v9, 0
	v_lshlrev_b64 v[10:11], 3, v[8:9]
	v_add_co_u32_e32 v10, vcc, v6, v10
	v_addc_co_u32_e32 v11, vcc, v7, v11, vcc
	v_mov_b32_e32 v8, v37
	global_store_dwordx2 v[10:11], v[8:9], off
	s_or_b64 exec, exec, s[24:25]
	s_and_saveexec_b64 s[24:25], s[6:7]
	s_cbranch_execz .LBB522_166
.LBB522_205:
	v_sub_u32_e32 v8, v34, v2
	v_mov_b32_e32 v9, 0
	v_lshlrev_b64 v[10:11], 3, v[8:9]
	v_add_co_u32_e32 v10, vcc, v6, v10
	v_addc_co_u32_e32 v11, vcc, v7, v11, vcc
	v_mov_b32_e32 v8, v35
	global_store_dwordx2 v[10:11], v[8:9], off
	s_or_b64 exec, exec, s[24:25]
	s_and_saveexec_b64 s[24:25], s[4:5]
	s_cbranch_execz .LBB522_167
.LBB522_206:
	v_sub_u32_e32 v8, v32, v2
	v_mov_b32_e32 v9, 0
	v_lshlrev_b64 v[10:11], 3, v[8:9]
	v_add_co_u32_e32 v10, vcc, v6, v10
	v_addc_co_u32_e32 v11, vcc, v7, v11, vcc
	v_mov_b32_e32 v8, v33
	global_store_dwordx2 v[10:11], v[8:9], off
	s_or_b64 exec, exec, s[24:25]
	s_and_saveexec_b64 s[24:25], s[2:3]
	s_cbranch_execnz .LBB522_168
	s_branch .LBB522_169
.LBB522_207:
	v_sub_u32_e32 v3, v46, v2
	v_lshlrev_b32_e32 v3, 2, v3
	ds_write_b32 v3, v47
	s_or_b64 exec, exec, s[24:25]
	s_and_saveexec_b64 s[18:19], s[16:17]
	s_cbranch_execz .LBB522_173
.LBB522_208:
	v_sub_u32_e32 v3, v44, v2
	v_lshlrev_b32_e32 v3, 2, v3
	ds_write_b32 v3, v45
	s_or_b64 exec, exec, s[18:19]
	s_and_saveexec_b64 s[16:17], s[14:15]
	s_cbranch_execz .LBB522_174
.LBB522_209:
	v_sub_u32_e32 v3, v42, v2
	v_lshlrev_b32_e32 v3, 2, v3
	ds_write_b32 v3, v43
	s_or_b64 exec, exec, s[16:17]
	s_and_saveexec_b64 s[14:15], s[12:13]
	s_cbranch_execz .LBB522_175
.LBB522_210:
	v_sub_u32_e32 v3, v40, v2
	v_lshlrev_b32_e32 v3, 2, v3
	ds_write_b32 v3, v41
	s_or_b64 exec, exec, s[14:15]
	s_and_saveexec_b64 s[12:13], s[10:11]
	s_cbranch_execz .LBB522_176
.LBB522_211:
	v_sub_u32_e32 v3, v38, v2
	v_lshlrev_b32_e32 v3, 2, v3
	ds_write_b32 v3, v39
	s_or_b64 exec, exec, s[12:13]
	s_and_saveexec_b64 s[10:11], s[8:9]
	s_cbranch_execz .LBB522_177
.LBB522_212:
	v_sub_u32_e32 v3, v36, v2
	v_lshlrev_b32_e32 v3, 2, v3
	ds_write_b32 v3, v37
	s_or_b64 exec, exec, s[10:11]
	s_and_saveexec_b64 s[8:9], s[6:7]
	s_cbranch_execz .LBB522_178
.LBB522_213:
	v_sub_u32_e32 v3, v34, v2
	v_lshlrev_b32_e32 v3, 2, v3
	ds_write_b32 v3, v35
	s_or_b64 exec, exec, s[8:9]
	s_and_saveexec_b64 s[6:7], s[4:5]
	s_cbranch_execz .LBB522_179
.LBB522_214:
	v_sub_u32_e32 v3, v32, v2
	v_lshlrev_b32_e32 v3, 2, v3
	ds_write_b32 v3, v33
	s_or_b64 exec, exec, s[6:7]
	s_and_saveexec_b64 s[4:5], s[2:3]
	s_cbranch_execnz .LBB522_180
	s_branch .LBB522_181
	.section	.rodata,"a",@progbits
	.p2align	6, 0x0
	.amdhsa_kernel _ZN7rocprim17ROCPRIM_400000_NS6detail17trampoline_kernelINS0_14default_configENS1_33run_length_encode_config_selectorIljNS0_4plusIjEEEEZZNS1_33reduce_by_key_impl_wrapped_configILNS1_25lookback_scan_determinismE0ES3_S7_PKlNS0_17constant_iteratorIjlEEPlSE_SE_S6_NS0_8equal_toIlEEEE10hipError_tPvRmT2_T3_mT4_T5_T6_T7_T8_P12ihipStream_tbENKUlT_T0_E_clISt17integral_constantIbLb1EESY_EEDaST_SU_EUlST_E_NS1_11comp_targetILNS1_3genE4ELNS1_11target_archE910ELNS1_3gpuE8ELNS1_3repE0EEENS1_30default_config_static_selectorELNS0_4arch9wavefront6targetE1EEEvT1_
		.amdhsa_group_segment_fixed_size 20480
		.amdhsa_private_segment_fixed_size 0
		.amdhsa_kernarg_size 128
		.amdhsa_user_sgpr_count 6
		.amdhsa_user_sgpr_private_segment_buffer 1
		.amdhsa_user_sgpr_dispatch_ptr 0
		.amdhsa_user_sgpr_queue_ptr 0
		.amdhsa_user_sgpr_kernarg_segment_ptr 1
		.amdhsa_user_sgpr_dispatch_id 0
		.amdhsa_user_sgpr_flat_scratch_init 0
		.amdhsa_user_sgpr_kernarg_preload_length 0
		.amdhsa_user_sgpr_kernarg_preload_offset 0
		.amdhsa_user_sgpr_private_segment_size 0
		.amdhsa_uses_dynamic_stack 0
		.amdhsa_system_sgpr_private_segment_wavefront_offset 0
		.amdhsa_system_sgpr_workgroup_id_x 1
		.amdhsa_system_sgpr_workgroup_id_y 0
		.amdhsa_system_sgpr_workgroup_id_z 0
		.amdhsa_system_sgpr_workgroup_info 0
		.amdhsa_system_vgpr_workitem_id 0
		.amdhsa_next_free_vgpr 68
		.amdhsa_next_free_sgpr 56
		.amdhsa_accum_offset 68
		.amdhsa_reserve_vcc 1
		.amdhsa_reserve_flat_scratch 0
		.amdhsa_float_round_mode_32 0
		.amdhsa_float_round_mode_16_64 0
		.amdhsa_float_denorm_mode_32 3
		.amdhsa_float_denorm_mode_16_64 3
		.amdhsa_dx10_clamp 1
		.amdhsa_ieee_mode 1
		.amdhsa_fp16_overflow 0
		.amdhsa_tg_split 0
		.amdhsa_exception_fp_ieee_invalid_op 0
		.amdhsa_exception_fp_denorm_src 0
		.amdhsa_exception_fp_ieee_div_zero 0
		.amdhsa_exception_fp_ieee_overflow 0
		.amdhsa_exception_fp_ieee_underflow 0
		.amdhsa_exception_fp_ieee_inexact 0
		.amdhsa_exception_int_div_zero 0
	.end_amdhsa_kernel
	.section	.text._ZN7rocprim17ROCPRIM_400000_NS6detail17trampoline_kernelINS0_14default_configENS1_33run_length_encode_config_selectorIljNS0_4plusIjEEEEZZNS1_33reduce_by_key_impl_wrapped_configILNS1_25lookback_scan_determinismE0ES3_S7_PKlNS0_17constant_iteratorIjlEEPlSE_SE_S6_NS0_8equal_toIlEEEE10hipError_tPvRmT2_T3_mT4_T5_T6_T7_T8_P12ihipStream_tbENKUlT_T0_E_clISt17integral_constantIbLb1EESY_EEDaST_SU_EUlST_E_NS1_11comp_targetILNS1_3genE4ELNS1_11target_archE910ELNS1_3gpuE8ELNS1_3repE0EEENS1_30default_config_static_selectorELNS0_4arch9wavefront6targetE1EEEvT1_,"axG",@progbits,_ZN7rocprim17ROCPRIM_400000_NS6detail17trampoline_kernelINS0_14default_configENS1_33run_length_encode_config_selectorIljNS0_4plusIjEEEEZZNS1_33reduce_by_key_impl_wrapped_configILNS1_25lookback_scan_determinismE0ES3_S7_PKlNS0_17constant_iteratorIjlEEPlSE_SE_S6_NS0_8equal_toIlEEEE10hipError_tPvRmT2_T3_mT4_T5_T6_T7_T8_P12ihipStream_tbENKUlT_T0_E_clISt17integral_constantIbLb1EESY_EEDaST_SU_EUlST_E_NS1_11comp_targetILNS1_3genE4ELNS1_11target_archE910ELNS1_3gpuE8ELNS1_3repE0EEENS1_30default_config_static_selectorELNS0_4arch9wavefront6targetE1EEEvT1_,comdat
.Lfunc_end522:
	.size	_ZN7rocprim17ROCPRIM_400000_NS6detail17trampoline_kernelINS0_14default_configENS1_33run_length_encode_config_selectorIljNS0_4plusIjEEEEZZNS1_33reduce_by_key_impl_wrapped_configILNS1_25lookback_scan_determinismE0ES3_S7_PKlNS0_17constant_iteratorIjlEEPlSE_SE_S6_NS0_8equal_toIlEEEE10hipError_tPvRmT2_T3_mT4_T5_T6_T7_T8_P12ihipStream_tbENKUlT_T0_E_clISt17integral_constantIbLb1EESY_EEDaST_SU_EUlST_E_NS1_11comp_targetILNS1_3genE4ELNS1_11target_archE910ELNS1_3gpuE8ELNS1_3repE0EEENS1_30default_config_static_selectorELNS0_4arch9wavefront6targetE1EEEvT1_, .Lfunc_end522-_ZN7rocprim17ROCPRIM_400000_NS6detail17trampoline_kernelINS0_14default_configENS1_33run_length_encode_config_selectorIljNS0_4plusIjEEEEZZNS1_33reduce_by_key_impl_wrapped_configILNS1_25lookback_scan_determinismE0ES3_S7_PKlNS0_17constant_iteratorIjlEEPlSE_SE_S6_NS0_8equal_toIlEEEE10hipError_tPvRmT2_T3_mT4_T5_T6_T7_T8_P12ihipStream_tbENKUlT_T0_E_clISt17integral_constantIbLb1EESY_EEDaST_SU_EUlST_E_NS1_11comp_targetILNS1_3genE4ELNS1_11target_archE910ELNS1_3gpuE8ELNS1_3repE0EEENS1_30default_config_static_selectorELNS0_4arch9wavefront6targetE1EEEvT1_
                                        ; -- End function
	.section	.AMDGPU.csdata,"",@progbits
; Kernel info:
; codeLenInByte = 11188
; NumSgprs: 60
; NumVgprs: 68
; NumAgprs: 0
; TotalNumVgprs: 68
; ScratchSize: 0
; MemoryBound: 0
; FloatMode: 240
; IeeeMode: 1
; LDSByteSize: 20480 bytes/workgroup (compile time only)
; SGPRBlocks: 7
; VGPRBlocks: 8
; NumSGPRsForWavesPerEU: 60
; NumVGPRsForWavesPerEU: 68
; AccumOffset: 68
; Occupancy: 3
; WaveLimiterHint : 1
; COMPUTE_PGM_RSRC2:SCRATCH_EN: 0
; COMPUTE_PGM_RSRC2:USER_SGPR: 6
; COMPUTE_PGM_RSRC2:TRAP_HANDLER: 0
; COMPUTE_PGM_RSRC2:TGID_X_EN: 1
; COMPUTE_PGM_RSRC2:TGID_Y_EN: 0
; COMPUTE_PGM_RSRC2:TGID_Z_EN: 0
; COMPUTE_PGM_RSRC2:TIDIG_COMP_CNT: 0
; COMPUTE_PGM_RSRC3_GFX90A:ACCUM_OFFSET: 16
; COMPUTE_PGM_RSRC3_GFX90A:TG_SPLIT: 0
	.section	.text._ZN7rocprim17ROCPRIM_400000_NS6detail17trampoline_kernelINS0_14default_configENS1_33run_length_encode_config_selectorIljNS0_4plusIjEEEEZZNS1_33reduce_by_key_impl_wrapped_configILNS1_25lookback_scan_determinismE0ES3_S7_PKlNS0_17constant_iteratorIjlEEPlSE_SE_S6_NS0_8equal_toIlEEEE10hipError_tPvRmT2_T3_mT4_T5_T6_T7_T8_P12ihipStream_tbENKUlT_T0_E_clISt17integral_constantIbLb1EESY_EEDaST_SU_EUlST_E_NS1_11comp_targetILNS1_3genE3ELNS1_11target_archE908ELNS1_3gpuE7ELNS1_3repE0EEENS1_30default_config_static_selectorELNS0_4arch9wavefront6targetE1EEEvT1_,"axG",@progbits,_ZN7rocprim17ROCPRIM_400000_NS6detail17trampoline_kernelINS0_14default_configENS1_33run_length_encode_config_selectorIljNS0_4plusIjEEEEZZNS1_33reduce_by_key_impl_wrapped_configILNS1_25lookback_scan_determinismE0ES3_S7_PKlNS0_17constant_iteratorIjlEEPlSE_SE_S6_NS0_8equal_toIlEEEE10hipError_tPvRmT2_T3_mT4_T5_T6_T7_T8_P12ihipStream_tbENKUlT_T0_E_clISt17integral_constantIbLb1EESY_EEDaST_SU_EUlST_E_NS1_11comp_targetILNS1_3genE3ELNS1_11target_archE908ELNS1_3gpuE7ELNS1_3repE0EEENS1_30default_config_static_selectorELNS0_4arch9wavefront6targetE1EEEvT1_,comdat
	.protected	_ZN7rocprim17ROCPRIM_400000_NS6detail17trampoline_kernelINS0_14default_configENS1_33run_length_encode_config_selectorIljNS0_4plusIjEEEEZZNS1_33reduce_by_key_impl_wrapped_configILNS1_25lookback_scan_determinismE0ES3_S7_PKlNS0_17constant_iteratorIjlEEPlSE_SE_S6_NS0_8equal_toIlEEEE10hipError_tPvRmT2_T3_mT4_T5_T6_T7_T8_P12ihipStream_tbENKUlT_T0_E_clISt17integral_constantIbLb1EESY_EEDaST_SU_EUlST_E_NS1_11comp_targetILNS1_3genE3ELNS1_11target_archE908ELNS1_3gpuE7ELNS1_3repE0EEENS1_30default_config_static_selectorELNS0_4arch9wavefront6targetE1EEEvT1_ ; -- Begin function _ZN7rocprim17ROCPRIM_400000_NS6detail17trampoline_kernelINS0_14default_configENS1_33run_length_encode_config_selectorIljNS0_4plusIjEEEEZZNS1_33reduce_by_key_impl_wrapped_configILNS1_25lookback_scan_determinismE0ES3_S7_PKlNS0_17constant_iteratorIjlEEPlSE_SE_S6_NS0_8equal_toIlEEEE10hipError_tPvRmT2_T3_mT4_T5_T6_T7_T8_P12ihipStream_tbENKUlT_T0_E_clISt17integral_constantIbLb1EESY_EEDaST_SU_EUlST_E_NS1_11comp_targetILNS1_3genE3ELNS1_11target_archE908ELNS1_3gpuE7ELNS1_3repE0EEENS1_30default_config_static_selectorELNS0_4arch9wavefront6targetE1EEEvT1_
	.globl	_ZN7rocprim17ROCPRIM_400000_NS6detail17trampoline_kernelINS0_14default_configENS1_33run_length_encode_config_selectorIljNS0_4plusIjEEEEZZNS1_33reduce_by_key_impl_wrapped_configILNS1_25lookback_scan_determinismE0ES3_S7_PKlNS0_17constant_iteratorIjlEEPlSE_SE_S6_NS0_8equal_toIlEEEE10hipError_tPvRmT2_T3_mT4_T5_T6_T7_T8_P12ihipStream_tbENKUlT_T0_E_clISt17integral_constantIbLb1EESY_EEDaST_SU_EUlST_E_NS1_11comp_targetILNS1_3genE3ELNS1_11target_archE908ELNS1_3gpuE7ELNS1_3repE0EEENS1_30default_config_static_selectorELNS0_4arch9wavefront6targetE1EEEvT1_
	.p2align	8
	.type	_ZN7rocprim17ROCPRIM_400000_NS6detail17trampoline_kernelINS0_14default_configENS1_33run_length_encode_config_selectorIljNS0_4plusIjEEEEZZNS1_33reduce_by_key_impl_wrapped_configILNS1_25lookback_scan_determinismE0ES3_S7_PKlNS0_17constant_iteratorIjlEEPlSE_SE_S6_NS0_8equal_toIlEEEE10hipError_tPvRmT2_T3_mT4_T5_T6_T7_T8_P12ihipStream_tbENKUlT_T0_E_clISt17integral_constantIbLb1EESY_EEDaST_SU_EUlST_E_NS1_11comp_targetILNS1_3genE3ELNS1_11target_archE908ELNS1_3gpuE7ELNS1_3repE0EEENS1_30default_config_static_selectorELNS0_4arch9wavefront6targetE1EEEvT1_,@function
_ZN7rocprim17ROCPRIM_400000_NS6detail17trampoline_kernelINS0_14default_configENS1_33run_length_encode_config_selectorIljNS0_4plusIjEEEEZZNS1_33reduce_by_key_impl_wrapped_configILNS1_25lookback_scan_determinismE0ES3_S7_PKlNS0_17constant_iteratorIjlEEPlSE_SE_S6_NS0_8equal_toIlEEEE10hipError_tPvRmT2_T3_mT4_T5_T6_T7_T8_P12ihipStream_tbENKUlT_T0_E_clISt17integral_constantIbLb1EESY_EEDaST_SU_EUlST_E_NS1_11comp_targetILNS1_3genE3ELNS1_11target_archE908ELNS1_3gpuE7ELNS1_3repE0EEENS1_30default_config_static_selectorELNS0_4arch9wavefront6targetE1EEEvT1_: ; @_ZN7rocprim17ROCPRIM_400000_NS6detail17trampoline_kernelINS0_14default_configENS1_33run_length_encode_config_selectorIljNS0_4plusIjEEEEZZNS1_33reduce_by_key_impl_wrapped_configILNS1_25lookback_scan_determinismE0ES3_S7_PKlNS0_17constant_iteratorIjlEEPlSE_SE_S6_NS0_8equal_toIlEEEE10hipError_tPvRmT2_T3_mT4_T5_T6_T7_T8_P12ihipStream_tbENKUlT_T0_E_clISt17integral_constantIbLb1EESY_EEDaST_SU_EUlST_E_NS1_11comp_targetILNS1_3genE3ELNS1_11target_archE908ELNS1_3gpuE7ELNS1_3repE0EEENS1_30default_config_static_selectorELNS0_4arch9wavefront6targetE1EEEvT1_
; %bb.0:
	.section	.rodata,"a",@progbits
	.p2align	6, 0x0
	.amdhsa_kernel _ZN7rocprim17ROCPRIM_400000_NS6detail17trampoline_kernelINS0_14default_configENS1_33run_length_encode_config_selectorIljNS0_4plusIjEEEEZZNS1_33reduce_by_key_impl_wrapped_configILNS1_25lookback_scan_determinismE0ES3_S7_PKlNS0_17constant_iteratorIjlEEPlSE_SE_S6_NS0_8equal_toIlEEEE10hipError_tPvRmT2_T3_mT4_T5_T6_T7_T8_P12ihipStream_tbENKUlT_T0_E_clISt17integral_constantIbLb1EESY_EEDaST_SU_EUlST_E_NS1_11comp_targetILNS1_3genE3ELNS1_11target_archE908ELNS1_3gpuE7ELNS1_3repE0EEENS1_30default_config_static_selectorELNS0_4arch9wavefront6targetE1EEEvT1_
		.amdhsa_group_segment_fixed_size 0
		.amdhsa_private_segment_fixed_size 0
		.amdhsa_kernarg_size 128
		.amdhsa_user_sgpr_count 6
		.amdhsa_user_sgpr_private_segment_buffer 1
		.amdhsa_user_sgpr_dispatch_ptr 0
		.amdhsa_user_sgpr_queue_ptr 0
		.amdhsa_user_sgpr_kernarg_segment_ptr 1
		.amdhsa_user_sgpr_dispatch_id 0
		.amdhsa_user_sgpr_flat_scratch_init 0
		.amdhsa_user_sgpr_kernarg_preload_length 0
		.amdhsa_user_sgpr_kernarg_preload_offset 0
		.amdhsa_user_sgpr_private_segment_size 0
		.amdhsa_uses_dynamic_stack 0
		.amdhsa_system_sgpr_private_segment_wavefront_offset 0
		.amdhsa_system_sgpr_workgroup_id_x 1
		.amdhsa_system_sgpr_workgroup_id_y 0
		.amdhsa_system_sgpr_workgroup_id_z 0
		.amdhsa_system_sgpr_workgroup_info 0
		.amdhsa_system_vgpr_workitem_id 0
		.amdhsa_next_free_vgpr 1
		.amdhsa_next_free_sgpr 0
		.amdhsa_accum_offset 4
		.amdhsa_reserve_vcc 0
		.amdhsa_reserve_flat_scratch 0
		.amdhsa_float_round_mode_32 0
		.amdhsa_float_round_mode_16_64 0
		.amdhsa_float_denorm_mode_32 3
		.amdhsa_float_denorm_mode_16_64 3
		.amdhsa_dx10_clamp 1
		.amdhsa_ieee_mode 1
		.amdhsa_fp16_overflow 0
		.amdhsa_tg_split 0
		.amdhsa_exception_fp_ieee_invalid_op 0
		.amdhsa_exception_fp_denorm_src 0
		.amdhsa_exception_fp_ieee_div_zero 0
		.amdhsa_exception_fp_ieee_overflow 0
		.amdhsa_exception_fp_ieee_underflow 0
		.amdhsa_exception_fp_ieee_inexact 0
		.amdhsa_exception_int_div_zero 0
	.end_amdhsa_kernel
	.section	.text._ZN7rocprim17ROCPRIM_400000_NS6detail17trampoline_kernelINS0_14default_configENS1_33run_length_encode_config_selectorIljNS0_4plusIjEEEEZZNS1_33reduce_by_key_impl_wrapped_configILNS1_25lookback_scan_determinismE0ES3_S7_PKlNS0_17constant_iteratorIjlEEPlSE_SE_S6_NS0_8equal_toIlEEEE10hipError_tPvRmT2_T3_mT4_T5_T6_T7_T8_P12ihipStream_tbENKUlT_T0_E_clISt17integral_constantIbLb1EESY_EEDaST_SU_EUlST_E_NS1_11comp_targetILNS1_3genE3ELNS1_11target_archE908ELNS1_3gpuE7ELNS1_3repE0EEENS1_30default_config_static_selectorELNS0_4arch9wavefront6targetE1EEEvT1_,"axG",@progbits,_ZN7rocprim17ROCPRIM_400000_NS6detail17trampoline_kernelINS0_14default_configENS1_33run_length_encode_config_selectorIljNS0_4plusIjEEEEZZNS1_33reduce_by_key_impl_wrapped_configILNS1_25lookback_scan_determinismE0ES3_S7_PKlNS0_17constant_iteratorIjlEEPlSE_SE_S6_NS0_8equal_toIlEEEE10hipError_tPvRmT2_T3_mT4_T5_T6_T7_T8_P12ihipStream_tbENKUlT_T0_E_clISt17integral_constantIbLb1EESY_EEDaST_SU_EUlST_E_NS1_11comp_targetILNS1_3genE3ELNS1_11target_archE908ELNS1_3gpuE7ELNS1_3repE0EEENS1_30default_config_static_selectorELNS0_4arch9wavefront6targetE1EEEvT1_,comdat
.Lfunc_end523:
	.size	_ZN7rocprim17ROCPRIM_400000_NS6detail17trampoline_kernelINS0_14default_configENS1_33run_length_encode_config_selectorIljNS0_4plusIjEEEEZZNS1_33reduce_by_key_impl_wrapped_configILNS1_25lookback_scan_determinismE0ES3_S7_PKlNS0_17constant_iteratorIjlEEPlSE_SE_S6_NS0_8equal_toIlEEEE10hipError_tPvRmT2_T3_mT4_T5_T6_T7_T8_P12ihipStream_tbENKUlT_T0_E_clISt17integral_constantIbLb1EESY_EEDaST_SU_EUlST_E_NS1_11comp_targetILNS1_3genE3ELNS1_11target_archE908ELNS1_3gpuE7ELNS1_3repE0EEENS1_30default_config_static_selectorELNS0_4arch9wavefront6targetE1EEEvT1_, .Lfunc_end523-_ZN7rocprim17ROCPRIM_400000_NS6detail17trampoline_kernelINS0_14default_configENS1_33run_length_encode_config_selectorIljNS0_4plusIjEEEEZZNS1_33reduce_by_key_impl_wrapped_configILNS1_25lookback_scan_determinismE0ES3_S7_PKlNS0_17constant_iteratorIjlEEPlSE_SE_S6_NS0_8equal_toIlEEEE10hipError_tPvRmT2_T3_mT4_T5_T6_T7_T8_P12ihipStream_tbENKUlT_T0_E_clISt17integral_constantIbLb1EESY_EEDaST_SU_EUlST_E_NS1_11comp_targetILNS1_3genE3ELNS1_11target_archE908ELNS1_3gpuE7ELNS1_3repE0EEENS1_30default_config_static_selectorELNS0_4arch9wavefront6targetE1EEEvT1_
                                        ; -- End function
	.section	.AMDGPU.csdata,"",@progbits
; Kernel info:
; codeLenInByte = 0
; NumSgprs: 4
; NumVgprs: 0
; NumAgprs: 0
; TotalNumVgprs: 0
; ScratchSize: 0
; MemoryBound: 0
; FloatMode: 240
; IeeeMode: 1
; LDSByteSize: 0 bytes/workgroup (compile time only)
; SGPRBlocks: 0
; VGPRBlocks: 0
; NumSGPRsForWavesPerEU: 4
; NumVGPRsForWavesPerEU: 1
; AccumOffset: 4
; Occupancy: 8
; WaveLimiterHint : 0
; COMPUTE_PGM_RSRC2:SCRATCH_EN: 0
; COMPUTE_PGM_RSRC2:USER_SGPR: 6
; COMPUTE_PGM_RSRC2:TRAP_HANDLER: 0
; COMPUTE_PGM_RSRC2:TGID_X_EN: 1
; COMPUTE_PGM_RSRC2:TGID_Y_EN: 0
; COMPUTE_PGM_RSRC2:TGID_Z_EN: 0
; COMPUTE_PGM_RSRC2:TIDIG_COMP_CNT: 0
; COMPUTE_PGM_RSRC3_GFX90A:ACCUM_OFFSET: 0
; COMPUTE_PGM_RSRC3_GFX90A:TG_SPLIT: 0
	.section	.text._ZN7rocprim17ROCPRIM_400000_NS6detail17trampoline_kernelINS0_14default_configENS1_33run_length_encode_config_selectorIljNS0_4plusIjEEEEZZNS1_33reduce_by_key_impl_wrapped_configILNS1_25lookback_scan_determinismE0ES3_S7_PKlNS0_17constant_iteratorIjlEEPlSE_SE_S6_NS0_8equal_toIlEEEE10hipError_tPvRmT2_T3_mT4_T5_T6_T7_T8_P12ihipStream_tbENKUlT_T0_E_clISt17integral_constantIbLb1EESY_EEDaST_SU_EUlST_E_NS1_11comp_targetILNS1_3genE2ELNS1_11target_archE906ELNS1_3gpuE6ELNS1_3repE0EEENS1_30default_config_static_selectorELNS0_4arch9wavefront6targetE1EEEvT1_,"axG",@progbits,_ZN7rocprim17ROCPRIM_400000_NS6detail17trampoline_kernelINS0_14default_configENS1_33run_length_encode_config_selectorIljNS0_4plusIjEEEEZZNS1_33reduce_by_key_impl_wrapped_configILNS1_25lookback_scan_determinismE0ES3_S7_PKlNS0_17constant_iteratorIjlEEPlSE_SE_S6_NS0_8equal_toIlEEEE10hipError_tPvRmT2_T3_mT4_T5_T6_T7_T8_P12ihipStream_tbENKUlT_T0_E_clISt17integral_constantIbLb1EESY_EEDaST_SU_EUlST_E_NS1_11comp_targetILNS1_3genE2ELNS1_11target_archE906ELNS1_3gpuE6ELNS1_3repE0EEENS1_30default_config_static_selectorELNS0_4arch9wavefront6targetE1EEEvT1_,comdat
	.protected	_ZN7rocprim17ROCPRIM_400000_NS6detail17trampoline_kernelINS0_14default_configENS1_33run_length_encode_config_selectorIljNS0_4plusIjEEEEZZNS1_33reduce_by_key_impl_wrapped_configILNS1_25lookback_scan_determinismE0ES3_S7_PKlNS0_17constant_iteratorIjlEEPlSE_SE_S6_NS0_8equal_toIlEEEE10hipError_tPvRmT2_T3_mT4_T5_T6_T7_T8_P12ihipStream_tbENKUlT_T0_E_clISt17integral_constantIbLb1EESY_EEDaST_SU_EUlST_E_NS1_11comp_targetILNS1_3genE2ELNS1_11target_archE906ELNS1_3gpuE6ELNS1_3repE0EEENS1_30default_config_static_selectorELNS0_4arch9wavefront6targetE1EEEvT1_ ; -- Begin function _ZN7rocprim17ROCPRIM_400000_NS6detail17trampoline_kernelINS0_14default_configENS1_33run_length_encode_config_selectorIljNS0_4plusIjEEEEZZNS1_33reduce_by_key_impl_wrapped_configILNS1_25lookback_scan_determinismE0ES3_S7_PKlNS0_17constant_iteratorIjlEEPlSE_SE_S6_NS0_8equal_toIlEEEE10hipError_tPvRmT2_T3_mT4_T5_T6_T7_T8_P12ihipStream_tbENKUlT_T0_E_clISt17integral_constantIbLb1EESY_EEDaST_SU_EUlST_E_NS1_11comp_targetILNS1_3genE2ELNS1_11target_archE906ELNS1_3gpuE6ELNS1_3repE0EEENS1_30default_config_static_selectorELNS0_4arch9wavefront6targetE1EEEvT1_
	.globl	_ZN7rocprim17ROCPRIM_400000_NS6detail17trampoline_kernelINS0_14default_configENS1_33run_length_encode_config_selectorIljNS0_4plusIjEEEEZZNS1_33reduce_by_key_impl_wrapped_configILNS1_25lookback_scan_determinismE0ES3_S7_PKlNS0_17constant_iteratorIjlEEPlSE_SE_S6_NS0_8equal_toIlEEEE10hipError_tPvRmT2_T3_mT4_T5_T6_T7_T8_P12ihipStream_tbENKUlT_T0_E_clISt17integral_constantIbLb1EESY_EEDaST_SU_EUlST_E_NS1_11comp_targetILNS1_3genE2ELNS1_11target_archE906ELNS1_3gpuE6ELNS1_3repE0EEENS1_30default_config_static_selectorELNS0_4arch9wavefront6targetE1EEEvT1_
	.p2align	8
	.type	_ZN7rocprim17ROCPRIM_400000_NS6detail17trampoline_kernelINS0_14default_configENS1_33run_length_encode_config_selectorIljNS0_4plusIjEEEEZZNS1_33reduce_by_key_impl_wrapped_configILNS1_25lookback_scan_determinismE0ES3_S7_PKlNS0_17constant_iteratorIjlEEPlSE_SE_S6_NS0_8equal_toIlEEEE10hipError_tPvRmT2_T3_mT4_T5_T6_T7_T8_P12ihipStream_tbENKUlT_T0_E_clISt17integral_constantIbLb1EESY_EEDaST_SU_EUlST_E_NS1_11comp_targetILNS1_3genE2ELNS1_11target_archE906ELNS1_3gpuE6ELNS1_3repE0EEENS1_30default_config_static_selectorELNS0_4arch9wavefront6targetE1EEEvT1_,@function
_ZN7rocprim17ROCPRIM_400000_NS6detail17trampoline_kernelINS0_14default_configENS1_33run_length_encode_config_selectorIljNS0_4plusIjEEEEZZNS1_33reduce_by_key_impl_wrapped_configILNS1_25lookback_scan_determinismE0ES3_S7_PKlNS0_17constant_iteratorIjlEEPlSE_SE_S6_NS0_8equal_toIlEEEE10hipError_tPvRmT2_T3_mT4_T5_T6_T7_T8_P12ihipStream_tbENKUlT_T0_E_clISt17integral_constantIbLb1EESY_EEDaST_SU_EUlST_E_NS1_11comp_targetILNS1_3genE2ELNS1_11target_archE906ELNS1_3gpuE6ELNS1_3repE0EEENS1_30default_config_static_selectorELNS0_4arch9wavefront6targetE1EEEvT1_: ; @_ZN7rocprim17ROCPRIM_400000_NS6detail17trampoline_kernelINS0_14default_configENS1_33run_length_encode_config_selectorIljNS0_4plusIjEEEEZZNS1_33reduce_by_key_impl_wrapped_configILNS1_25lookback_scan_determinismE0ES3_S7_PKlNS0_17constant_iteratorIjlEEPlSE_SE_S6_NS0_8equal_toIlEEEE10hipError_tPvRmT2_T3_mT4_T5_T6_T7_T8_P12ihipStream_tbENKUlT_T0_E_clISt17integral_constantIbLb1EESY_EEDaST_SU_EUlST_E_NS1_11comp_targetILNS1_3genE2ELNS1_11target_archE906ELNS1_3gpuE6ELNS1_3repE0EEENS1_30default_config_static_selectorELNS0_4arch9wavefront6targetE1EEEvT1_
; %bb.0:
	.section	.rodata,"a",@progbits
	.p2align	6, 0x0
	.amdhsa_kernel _ZN7rocprim17ROCPRIM_400000_NS6detail17trampoline_kernelINS0_14default_configENS1_33run_length_encode_config_selectorIljNS0_4plusIjEEEEZZNS1_33reduce_by_key_impl_wrapped_configILNS1_25lookback_scan_determinismE0ES3_S7_PKlNS0_17constant_iteratorIjlEEPlSE_SE_S6_NS0_8equal_toIlEEEE10hipError_tPvRmT2_T3_mT4_T5_T6_T7_T8_P12ihipStream_tbENKUlT_T0_E_clISt17integral_constantIbLb1EESY_EEDaST_SU_EUlST_E_NS1_11comp_targetILNS1_3genE2ELNS1_11target_archE906ELNS1_3gpuE6ELNS1_3repE0EEENS1_30default_config_static_selectorELNS0_4arch9wavefront6targetE1EEEvT1_
		.amdhsa_group_segment_fixed_size 0
		.amdhsa_private_segment_fixed_size 0
		.amdhsa_kernarg_size 128
		.amdhsa_user_sgpr_count 6
		.amdhsa_user_sgpr_private_segment_buffer 1
		.amdhsa_user_sgpr_dispatch_ptr 0
		.amdhsa_user_sgpr_queue_ptr 0
		.amdhsa_user_sgpr_kernarg_segment_ptr 1
		.amdhsa_user_sgpr_dispatch_id 0
		.amdhsa_user_sgpr_flat_scratch_init 0
		.amdhsa_user_sgpr_kernarg_preload_length 0
		.amdhsa_user_sgpr_kernarg_preload_offset 0
		.amdhsa_user_sgpr_private_segment_size 0
		.amdhsa_uses_dynamic_stack 0
		.amdhsa_system_sgpr_private_segment_wavefront_offset 0
		.amdhsa_system_sgpr_workgroup_id_x 1
		.amdhsa_system_sgpr_workgroup_id_y 0
		.amdhsa_system_sgpr_workgroup_id_z 0
		.amdhsa_system_sgpr_workgroup_info 0
		.amdhsa_system_vgpr_workitem_id 0
		.amdhsa_next_free_vgpr 1
		.amdhsa_next_free_sgpr 0
		.amdhsa_accum_offset 4
		.amdhsa_reserve_vcc 0
		.amdhsa_reserve_flat_scratch 0
		.amdhsa_float_round_mode_32 0
		.amdhsa_float_round_mode_16_64 0
		.amdhsa_float_denorm_mode_32 3
		.amdhsa_float_denorm_mode_16_64 3
		.amdhsa_dx10_clamp 1
		.amdhsa_ieee_mode 1
		.amdhsa_fp16_overflow 0
		.amdhsa_tg_split 0
		.amdhsa_exception_fp_ieee_invalid_op 0
		.amdhsa_exception_fp_denorm_src 0
		.amdhsa_exception_fp_ieee_div_zero 0
		.amdhsa_exception_fp_ieee_overflow 0
		.amdhsa_exception_fp_ieee_underflow 0
		.amdhsa_exception_fp_ieee_inexact 0
		.amdhsa_exception_int_div_zero 0
	.end_amdhsa_kernel
	.section	.text._ZN7rocprim17ROCPRIM_400000_NS6detail17trampoline_kernelINS0_14default_configENS1_33run_length_encode_config_selectorIljNS0_4plusIjEEEEZZNS1_33reduce_by_key_impl_wrapped_configILNS1_25lookback_scan_determinismE0ES3_S7_PKlNS0_17constant_iteratorIjlEEPlSE_SE_S6_NS0_8equal_toIlEEEE10hipError_tPvRmT2_T3_mT4_T5_T6_T7_T8_P12ihipStream_tbENKUlT_T0_E_clISt17integral_constantIbLb1EESY_EEDaST_SU_EUlST_E_NS1_11comp_targetILNS1_3genE2ELNS1_11target_archE906ELNS1_3gpuE6ELNS1_3repE0EEENS1_30default_config_static_selectorELNS0_4arch9wavefront6targetE1EEEvT1_,"axG",@progbits,_ZN7rocprim17ROCPRIM_400000_NS6detail17trampoline_kernelINS0_14default_configENS1_33run_length_encode_config_selectorIljNS0_4plusIjEEEEZZNS1_33reduce_by_key_impl_wrapped_configILNS1_25lookback_scan_determinismE0ES3_S7_PKlNS0_17constant_iteratorIjlEEPlSE_SE_S6_NS0_8equal_toIlEEEE10hipError_tPvRmT2_T3_mT4_T5_T6_T7_T8_P12ihipStream_tbENKUlT_T0_E_clISt17integral_constantIbLb1EESY_EEDaST_SU_EUlST_E_NS1_11comp_targetILNS1_3genE2ELNS1_11target_archE906ELNS1_3gpuE6ELNS1_3repE0EEENS1_30default_config_static_selectorELNS0_4arch9wavefront6targetE1EEEvT1_,comdat
.Lfunc_end524:
	.size	_ZN7rocprim17ROCPRIM_400000_NS6detail17trampoline_kernelINS0_14default_configENS1_33run_length_encode_config_selectorIljNS0_4plusIjEEEEZZNS1_33reduce_by_key_impl_wrapped_configILNS1_25lookback_scan_determinismE0ES3_S7_PKlNS0_17constant_iteratorIjlEEPlSE_SE_S6_NS0_8equal_toIlEEEE10hipError_tPvRmT2_T3_mT4_T5_T6_T7_T8_P12ihipStream_tbENKUlT_T0_E_clISt17integral_constantIbLb1EESY_EEDaST_SU_EUlST_E_NS1_11comp_targetILNS1_3genE2ELNS1_11target_archE906ELNS1_3gpuE6ELNS1_3repE0EEENS1_30default_config_static_selectorELNS0_4arch9wavefront6targetE1EEEvT1_, .Lfunc_end524-_ZN7rocprim17ROCPRIM_400000_NS6detail17trampoline_kernelINS0_14default_configENS1_33run_length_encode_config_selectorIljNS0_4plusIjEEEEZZNS1_33reduce_by_key_impl_wrapped_configILNS1_25lookback_scan_determinismE0ES3_S7_PKlNS0_17constant_iteratorIjlEEPlSE_SE_S6_NS0_8equal_toIlEEEE10hipError_tPvRmT2_T3_mT4_T5_T6_T7_T8_P12ihipStream_tbENKUlT_T0_E_clISt17integral_constantIbLb1EESY_EEDaST_SU_EUlST_E_NS1_11comp_targetILNS1_3genE2ELNS1_11target_archE906ELNS1_3gpuE6ELNS1_3repE0EEENS1_30default_config_static_selectorELNS0_4arch9wavefront6targetE1EEEvT1_
                                        ; -- End function
	.section	.AMDGPU.csdata,"",@progbits
; Kernel info:
; codeLenInByte = 0
; NumSgprs: 4
; NumVgprs: 0
; NumAgprs: 0
; TotalNumVgprs: 0
; ScratchSize: 0
; MemoryBound: 0
; FloatMode: 240
; IeeeMode: 1
; LDSByteSize: 0 bytes/workgroup (compile time only)
; SGPRBlocks: 0
; VGPRBlocks: 0
; NumSGPRsForWavesPerEU: 4
; NumVGPRsForWavesPerEU: 1
; AccumOffset: 4
; Occupancy: 8
; WaveLimiterHint : 0
; COMPUTE_PGM_RSRC2:SCRATCH_EN: 0
; COMPUTE_PGM_RSRC2:USER_SGPR: 6
; COMPUTE_PGM_RSRC2:TRAP_HANDLER: 0
; COMPUTE_PGM_RSRC2:TGID_X_EN: 1
; COMPUTE_PGM_RSRC2:TGID_Y_EN: 0
; COMPUTE_PGM_RSRC2:TGID_Z_EN: 0
; COMPUTE_PGM_RSRC2:TIDIG_COMP_CNT: 0
; COMPUTE_PGM_RSRC3_GFX90A:ACCUM_OFFSET: 0
; COMPUTE_PGM_RSRC3_GFX90A:TG_SPLIT: 0
	.section	.text._ZN7rocprim17ROCPRIM_400000_NS6detail17trampoline_kernelINS0_14default_configENS1_33run_length_encode_config_selectorIljNS0_4plusIjEEEEZZNS1_33reduce_by_key_impl_wrapped_configILNS1_25lookback_scan_determinismE0ES3_S7_PKlNS0_17constant_iteratorIjlEEPlSE_SE_S6_NS0_8equal_toIlEEEE10hipError_tPvRmT2_T3_mT4_T5_T6_T7_T8_P12ihipStream_tbENKUlT_T0_E_clISt17integral_constantIbLb1EESY_EEDaST_SU_EUlST_E_NS1_11comp_targetILNS1_3genE10ELNS1_11target_archE1201ELNS1_3gpuE5ELNS1_3repE0EEENS1_30default_config_static_selectorELNS0_4arch9wavefront6targetE1EEEvT1_,"axG",@progbits,_ZN7rocprim17ROCPRIM_400000_NS6detail17trampoline_kernelINS0_14default_configENS1_33run_length_encode_config_selectorIljNS0_4plusIjEEEEZZNS1_33reduce_by_key_impl_wrapped_configILNS1_25lookback_scan_determinismE0ES3_S7_PKlNS0_17constant_iteratorIjlEEPlSE_SE_S6_NS0_8equal_toIlEEEE10hipError_tPvRmT2_T3_mT4_T5_T6_T7_T8_P12ihipStream_tbENKUlT_T0_E_clISt17integral_constantIbLb1EESY_EEDaST_SU_EUlST_E_NS1_11comp_targetILNS1_3genE10ELNS1_11target_archE1201ELNS1_3gpuE5ELNS1_3repE0EEENS1_30default_config_static_selectorELNS0_4arch9wavefront6targetE1EEEvT1_,comdat
	.protected	_ZN7rocprim17ROCPRIM_400000_NS6detail17trampoline_kernelINS0_14default_configENS1_33run_length_encode_config_selectorIljNS0_4plusIjEEEEZZNS1_33reduce_by_key_impl_wrapped_configILNS1_25lookback_scan_determinismE0ES3_S7_PKlNS0_17constant_iteratorIjlEEPlSE_SE_S6_NS0_8equal_toIlEEEE10hipError_tPvRmT2_T3_mT4_T5_T6_T7_T8_P12ihipStream_tbENKUlT_T0_E_clISt17integral_constantIbLb1EESY_EEDaST_SU_EUlST_E_NS1_11comp_targetILNS1_3genE10ELNS1_11target_archE1201ELNS1_3gpuE5ELNS1_3repE0EEENS1_30default_config_static_selectorELNS0_4arch9wavefront6targetE1EEEvT1_ ; -- Begin function _ZN7rocprim17ROCPRIM_400000_NS6detail17trampoline_kernelINS0_14default_configENS1_33run_length_encode_config_selectorIljNS0_4plusIjEEEEZZNS1_33reduce_by_key_impl_wrapped_configILNS1_25lookback_scan_determinismE0ES3_S7_PKlNS0_17constant_iteratorIjlEEPlSE_SE_S6_NS0_8equal_toIlEEEE10hipError_tPvRmT2_T3_mT4_T5_T6_T7_T8_P12ihipStream_tbENKUlT_T0_E_clISt17integral_constantIbLb1EESY_EEDaST_SU_EUlST_E_NS1_11comp_targetILNS1_3genE10ELNS1_11target_archE1201ELNS1_3gpuE5ELNS1_3repE0EEENS1_30default_config_static_selectorELNS0_4arch9wavefront6targetE1EEEvT1_
	.globl	_ZN7rocprim17ROCPRIM_400000_NS6detail17trampoline_kernelINS0_14default_configENS1_33run_length_encode_config_selectorIljNS0_4plusIjEEEEZZNS1_33reduce_by_key_impl_wrapped_configILNS1_25lookback_scan_determinismE0ES3_S7_PKlNS0_17constant_iteratorIjlEEPlSE_SE_S6_NS0_8equal_toIlEEEE10hipError_tPvRmT2_T3_mT4_T5_T6_T7_T8_P12ihipStream_tbENKUlT_T0_E_clISt17integral_constantIbLb1EESY_EEDaST_SU_EUlST_E_NS1_11comp_targetILNS1_3genE10ELNS1_11target_archE1201ELNS1_3gpuE5ELNS1_3repE0EEENS1_30default_config_static_selectorELNS0_4arch9wavefront6targetE1EEEvT1_
	.p2align	8
	.type	_ZN7rocprim17ROCPRIM_400000_NS6detail17trampoline_kernelINS0_14default_configENS1_33run_length_encode_config_selectorIljNS0_4plusIjEEEEZZNS1_33reduce_by_key_impl_wrapped_configILNS1_25lookback_scan_determinismE0ES3_S7_PKlNS0_17constant_iteratorIjlEEPlSE_SE_S6_NS0_8equal_toIlEEEE10hipError_tPvRmT2_T3_mT4_T5_T6_T7_T8_P12ihipStream_tbENKUlT_T0_E_clISt17integral_constantIbLb1EESY_EEDaST_SU_EUlST_E_NS1_11comp_targetILNS1_3genE10ELNS1_11target_archE1201ELNS1_3gpuE5ELNS1_3repE0EEENS1_30default_config_static_selectorELNS0_4arch9wavefront6targetE1EEEvT1_,@function
_ZN7rocprim17ROCPRIM_400000_NS6detail17trampoline_kernelINS0_14default_configENS1_33run_length_encode_config_selectorIljNS0_4plusIjEEEEZZNS1_33reduce_by_key_impl_wrapped_configILNS1_25lookback_scan_determinismE0ES3_S7_PKlNS0_17constant_iteratorIjlEEPlSE_SE_S6_NS0_8equal_toIlEEEE10hipError_tPvRmT2_T3_mT4_T5_T6_T7_T8_P12ihipStream_tbENKUlT_T0_E_clISt17integral_constantIbLb1EESY_EEDaST_SU_EUlST_E_NS1_11comp_targetILNS1_3genE10ELNS1_11target_archE1201ELNS1_3gpuE5ELNS1_3repE0EEENS1_30default_config_static_selectorELNS0_4arch9wavefront6targetE1EEEvT1_: ; @_ZN7rocprim17ROCPRIM_400000_NS6detail17trampoline_kernelINS0_14default_configENS1_33run_length_encode_config_selectorIljNS0_4plusIjEEEEZZNS1_33reduce_by_key_impl_wrapped_configILNS1_25lookback_scan_determinismE0ES3_S7_PKlNS0_17constant_iteratorIjlEEPlSE_SE_S6_NS0_8equal_toIlEEEE10hipError_tPvRmT2_T3_mT4_T5_T6_T7_T8_P12ihipStream_tbENKUlT_T0_E_clISt17integral_constantIbLb1EESY_EEDaST_SU_EUlST_E_NS1_11comp_targetILNS1_3genE10ELNS1_11target_archE1201ELNS1_3gpuE5ELNS1_3repE0EEENS1_30default_config_static_selectorELNS0_4arch9wavefront6targetE1EEEvT1_
; %bb.0:
	.section	.rodata,"a",@progbits
	.p2align	6, 0x0
	.amdhsa_kernel _ZN7rocprim17ROCPRIM_400000_NS6detail17trampoline_kernelINS0_14default_configENS1_33run_length_encode_config_selectorIljNS0_4plusIjEEEEZZNS1_33reduce_by_key_impl_wrapped_configILNS1_25lookback_scan_determinismE0ES3_S7_PKlNS0_17constant_iteratorIjlEEPlSE_SE_S6_NS0_8equal_toIlEEEE10hipError_tPvRmT2_T3_mT4_T5_T6_T7_T8_P12ihipStream_tbENKUlT_T0_E_clISt17integral_constantIbLb1EESY_EEDaST_SU_EUlST_E_NS1_11comp_targetILNS1_3genE10ELNS1_11target_archE1201ELNS1_3gpuE5ELNS1_3repE0EEENS1_30default_config_static_selectorELNS0_4arch9wavefront6targetE1EEEvT1_
		.amdhsa_group_segment_fixed_size 0
		.amdhsa_private_segment_fixed_size 0
		.amdhsa_kernarg_size 128
		.amdhsa_user_sgpr_count 6
		.amdhsa_user_sgpr_private_segment_buffer 1
		.amdhsa_user_sgpr_dispatch_ptr 0
		.amdhsa_user_sgpr_queue_ptr 0
		.amdhsa_user_sgpr_kernarg_segment_ptr 1
		.amdhsa_user_sgpr_dispatch_id 0
		.amdhsa_user_sgpr_flat_scratch_init 0
		.amdhsa_user_sgpr_kernarg_preload_length 0
		.amdhsa_user_sgpr_kernarg_preload_offset 0
		.amdhsa_user_sgpr_private_segment_size 0
		.amdhsa_uses_dynamic_stack 0
		.amdhsa_system_sgpr_private_segment_wavefront_offset 0
		.amdhsa_system_sgpr_workgroup_id_x 1
		.amdhsa_system_sgpr_workgroup_id_y 0
		.amdhsa_system_sgpr_workgroup_id_z 0
		.amdhsa_system_sgpr_workgroup_info 0
		.amdhsa_system_vgpr_workitem_id 0
		.amdhsa_next_free_vgpr 1
		.amdhsa_next_free_sgpr 0
		.amdhsa_accum_offset 4
		.amdhsa_reserve_vcc 0
		.amdhsa_reserve_flat_scratch 0
		.amdhsa_float_round_mode_32 0
		.amdhsa_float_round_mode_16_64 0
		.amdhsa_float_denorm_mode_32 3
		.amdhsa_float_denorm_mode_16_64 3
		.amdhsa_dx10_clamp 1
		.amdhsa_ieee_mode 1
		.amdhsa_fp16_overflow 0
		.amdhsa_tg_split 0
		.amdhsa_exception_fp_ieee_invalid_op 0
		.amdhsa_exception_fp_denorm_src 0
		.amdhsa_exception_fp_ieee_div_zero 0
		.amdhsa_exception_fp_ieee_overflow 0
		.amdhsa_exception_fp_ieee_underflow 0
		.amdhsa_exception_fp_ieee_inexact 0
		.amdhsa_exception_int_div_zero 0
	.end_amdhsa_kernel
	.section	.text._ZN7rocprim17ROCPRIM_400000_NS6detail17trampoline_kernelINS0_14default_configENS1_33run_length_encode_config_selectorIljNS0_4plusIjEEEEZZNS1_33reduce_by_key_impl_wrapped_configILNS1_25lookback_scan_determinismE0ES3_S7_PKlNS0_17constant_iteratorIjlEEPlSE_SE_S6_NS0_8equal_toIlEEEE10hipError_tPvRmT2_T3_mT4_T5_T6_T7_T8_P12ihipStream_tbENKUlT_T0_E_clISt17integral_constantIbLb1EESY_EEDaST_SU_EUlST_E_NS1_11comp_targetILNS1_3genE10ELNS1_11target_archE1201ELNS1_3gpuE5ELNS1_3repE0EEENS1_30default_config_static_selectorELNS0_4arch9wavefront6targetE1EEEvT1_,"axG",@progbits,_ZN7rocprim17ROCPRIM_400000_NS6detail17trampoline_kernelINS0_14default_configENS1_33run_length_encode_config_selectorIljNS0_4plusIjEEEEZZNS1_33reduce_by_key_impl_wrapped_configILNS1_25lookback_scan_determinismE0ES3_S7_PKlNS0_17constant_iteratorIjlEEPlSE_SE_S6_NS0_8equal_toIlEEEE10hipError_tPvRmT2_T3_mT4_T5_T6_T7_T8_P12ihipStream_tbENKUlT_T0_E_clISt17integral_constantIbLb1EESY_EEDaST_SU_EUlST_E_NS1_11comp_targetILNS1_3genE10ELNS1_11target_archE1201ELNS1_3gpuE5ELNS1_3repE0EEENS1_30default_config_static_selectorELNS0_4arch9wavefront6targetE1EEEvT1_,comdat
.Lfunc_end525:
	.size	_ZN7rocprim17ROCPRIM_400000_NS6detail17trampoline_kernelINS0_14default_configENS1_33run_length_encode_config_selectorIljNS0_4plusIjEEEEZZNS1_33reduce_by_key_impl_wrapped_configILNS1_25lookback_scan_determinismE0ES3_S7_PKlNS0_17constant_iteratorIjlEEPlSE_SE_S6_NS0_8equal_toIlEEEE10hipError_tPvRmT2_T3_mT4_T5_T6_T7_T8_P12ihipStream_tbENKUlT_T0_E_clISt17integral_constantIbLb1EESY_EEDaST_SU_EUlST_E_NS1_11comp_targetILNS1_3genE10ELNS1_11target_archE1201ELNS1_3gpuE5ELNS1_3repE0EEENS1_30default_config_static_selectorELNS0_4arch9wavefront6targetE1EEEvT1_, .Lfunc_end525-_ZN7rocprim17ROCPRIM_400000_NS6detail17trampoline_kernelINS0_14default_configENS1_33run_length_encode_config_selectorIljNS0_4plusIjEEEEZZNS1_33reduce_by_key_impl_wrapped_configILNS1_25lookback_scan_determinismE0ES3_S7_PKlNS0_17constant_iteratorIjlEEPlSE_SE_S6_NS0_8equal_toIlEEEE10hipError_tPvRmT2_T3_mT4_T5_T6_T7_T8_P12ihipStream_tbENKUlT_T0_E_clISt17integral_constantIbLb1EESY_EEDaST_SU_EUlST_E_NS1_11comp_targetILNS1_3genE10ELNS1_11target_archE1201ELNS1_3gpuE5ELNS1_3repE0EEENS1_30default_config_static_selectorELNS0_4arch9wavefront6targetE1EEEvT1_
                                        ; -- End function
	.section	.AMDGPU.csdata,"",@progbits
; Kernel info:
; codeLenInByte = 0
; NumSgprs: 4
; NumVgprs: 0
; NumAgprs: 0
; TotalNumVgprs: 0
; ScratchSize: 0
; MemoryBound: 0
; FloatMode: 240
; IeeeMode: 1
; LDSByteSize: 0 bytes/workgroup (compile time only)
; SGPRBlocks: 0
; VGPRBlocks: 0
; NumSGPRsForWavesPerEU: 4
; NumVGPRsForWavesPerEU: 1
; AccumOffset: 4
; Occupancy: 8
; WaveLimiterHint : 0
; COMPUTE_PGM_RSRC2:SCRATCH_EN: 0
; COMPUTE_PGM_RSRC2:USER_SGPR: 6
; COMPUTE_PGM_RSRC2:TRAP_HANDLER: 0
; COMPUTE_PGM_RSRC2:TGID_X_EN: 1
; COMPUTE_PGM_RSRC2:TGID_Y_EN: 0
; COMPUTE_PGM_RSRC2:TGID_Z_EN: 0
; COMPUTE_PGM_RSRC2:TIDIG_COMP_CNT: 0
; COMPUTE_PGM_RSRC3_GFX90A:ACCUM_OFFSET: 0
; COMPUTE_PGM_RSRC3_GFX90A:TG_SPLIT: 0
	.section	.text._ZN7rocprim17ROCPRIM_400000_NS6detail17trampoline_kernelINS0_14default_configENS1_33run_length_encode_config_selectorIljNS0_4plusIjEEEEZZNS1_33reduce_by_key_impl_wrapped_configILNS1_25lookback_scan_determinismE0ES3_S7_PKlNS0_17constant_iteratorIjlEEPlSE_SE_S6_NS0_8equal_toIlEEEE10hipError_tPvRmT2_T3_mT4_T5_T6_T7_T8_P12ihipStream_tbENKUlT_T0_E_clISt17integral_constantIbLb1EESY_EEDaST_SU_EUlST_E_NS1_11comp_targetILNS1_3genE10ELNS1_11target_archE1200ELNS1_3gpuE4ELNS1_3repE0EEENS1_30default_config_static_selectorELNS0_4arch9wavefront6targetE1EEEvT1_,"axG",@progbits,_ZN7rocprim17ROCPRIM_400000_NS6detail17trampoline_kernelINS0_14default_configENS1_33run_length_encode_config_selectorIljNS0_4plusIjEEEEZZNS1_33reduce_by_key_impl_wrapped_configILNS1_25lookback_scan_determinismE0ES3_S7_PKlNS0_17constant_iteratorIjlEEPlSE_SE_S6_NS0_8equal_toIlEEEE10hipError_tPvRmT2_T3_mT4_T5_T6_T7_T8_P12ihipStream_tbENKUlT_T0_E_clISt17integral_constantIbLb1EESY_EEDaST_SU_EUlST_E_NS1_11comp_targetILNS1_3genE10ELNS1_11target_archE1200ELNS1_3gpuE4ELNS1_3repE0EEENS1_30default_config_static_selectorELNS0_4arch9wavefront6targetE1EEEvT1_,comdat
	.protected	_ZN7rocprim17ROCPRIM_400000_NS6detail17trampoline_kernelINS0_14default_configENS1_33run_length_encode_config_selectorIljNS0_4plusIjEEEEZZNS1_33reduce_by_key_impl_wrapped_configILNS1_25lookback_scan_determinismE0ES3_S7_PKlNS0_17constant_iteratorIjlEEPlSE_SE_S6_NS0_8equal_toIlEEEE10hipError_tPvRmT2_T3_mT4_T5_T6_T7_T8_P12ihipStream_tbENKUlT_T0_E_clISt17integral_constantIbLb1EESY_EEDaST_SU_EUlST_E_NS1_11comp_targetILNS1_3genE10ELNS1_11target_archE1200ELNS1_3gpuE4ELNS1_3repE0EEENS1_30default_config_static_selectorELNS0_4arch9wavefront6targetE1EEEvT1_ ; -- Begin function _ZN7rocprim17ROCPRIM_400000_NS6detail17trampoline_kernelINS0_14default_configENS1_33run_length_encode_config_selectorIljNS0_4plusIjEEEEZZNS1_33reduce_by_key_impl_wrapped_configILNS1_25lookback_scan_determinismE0ES3_S7_PKlNS0_17constant_iteratorIjlEEPlSE_SE_S6_NS0_8equal_toIlEEEE10hipError_tPvRmT2_T3_mT4_T5_T6_T7_T8_P12ihipStream_tbENKUlT_T0_E_clISt17integral_constantIbLb1EESY_EEDaST_SU_EUlST_E_NS1_11comp_targetILNS1_3genE10ELNS1_11target_archE1200ELNS1_3gpuE4ELNS1_3repE0EEENS1_30default_config_static_selectorELNS0_4arch9wavefront6targetE1EEEvT1_
	.globl	_ZN7rocprim17ROCPRIM_400000_NS6detail17trampoline_kernelINS0_14default_configENS1_33run_length_encode_config_selectorIljNS0_4plusIjEEEEZZNS1_33reduce_by_key_impl_wrapped_configILNS1_25lookback_scan_determinismE0ES3_S7_PKlNS0_17constant_iteratorIjlEEPlSE_SE_S6_NS0_8equal_toIlEEEE10hipError_tPvRmT2_T3_mT4_T5_T6_T7_T8_P12ihipStream_tbENKUlT_T0_E_clISt17integral_constantIbLb1EESY_EEDaST_SU_EUlST_E_NS1_11comp_targetILNS1_3genE10ELNS1_11target_archE1200ELNS1_3gpuE4ELNS1_3repE0EEENS1_30default_config_static_selectorELNS0_4arch9wavefront6targetE1EEEvT1_
	.p2align	8
	.type	_ZN7rocprim17ROCPRIM_400000_NS6detail17trampoline_kernelINS0_14default_configENS1_33run_length_encode_config_selectorIljNS0_4plusIjEEEEZZNS1_33reduce_by_key_impl_wrapped_configILNS1_25lookback_scan_determinismE0ES3_S7_PKlNS0_17constant_iteratorIjlEEPlSE_SE_S6_NS0_8equal_toIlEEEE10hipError_tPvRmT2_T3_mT4_T5_T6_T7_T8_P12ihipStream_tbENKUlT_T0_E_clISt17integral_constantIbLb1EESY_EEDaST_SU_EUlST_E_NS1_11comp_targetILNS1_3genE10ELNS1_11target_archE1200ELNS1_3gpuE4ELNS1_3repE0EEENS1_30default_config_static_selectorELNS0_4arch9wavefront6targetE1EEEvT1_,@function
_ZN7rocprim17ROCPRIM_400000_NS6detail17trampoline_kernelINS0_14default_configENS1_33run_length_encode_config_selectorIljNS0_4plusIjEEEEZZNS1_33reduce_by_key_impl_wrapped_configILNS1_25lookback_scan_determinismE0ES3_S7_PKlNS0_17constant_iteratorIjlEEPlSE_SE_S6_NS0_8equal_toIlEEEE10hipError_tPvRmT2_T3_mT4_T5_T6_T7_T8_P12ihipStream_tbENKUlT_T0_E_clISt17integral_constantIbLb1EESY_EEDaST_SU_EUlST_E_NS1_11comp_targetILNS1_3genE10ELNS1_11target_archE1200ELNS1_3gpuE4ELNS1_3repE0EEENS1_30default_config_static_selectorELNS0_4arch9wavefront6targetE1EEEvT1_: ; @_ZN7rocprim17ROCPRIM_400000_NS6detail17trampoline_kernelINS0_14default_configENS1_33run_length_encode_config_selectorIljNS0_4plusIjEEEEZZNS1_33reduce_by_key_impl_wrapped_configILNS1_25lookback_scan_determinismE0ES3_S7_PKlNS0_17constant_iteratorIjlEEPlSE_SE_S6_NS0_8equal_toIlEEEE10hipError_tPvRmT2_T3_mT4_T5_T6_T7_T8_P12ihipStream_tbENKUlT_T0_E_clISt17integral_constantIbLb1EESY_EEDaST_SU_EUlST_E_NS1_11comp_targetILNS1_3genE10ELNS1_11target_archE1200ELNS1_3gpuE4ELNS1_3repE0EEENS1_30default_config_static_selectorELNS0_4arch9wavefront6targetE1EEEvT1_
; %bb.0:
	.section	.rodata,"a",@progbits
	.p2align	6, 0x0
	.amdhsa_kernel _ZN7rocprim17ROCPRIM_400000_NS6detail17trampoline_kernelINS0_14default_configENS1_33run_length_encode_config_selectorIljNS0_4plusIjEEEEZZNS1_33reduce_by_key_impl_wrapped_configILNS1_25lookback_scan_determinismE0ES3_S7_PKlNS0_17constant_iteratorIjlEEPlSE_SE_S6_NS0_8equal_toIlEEEE10hipError_tPvRmT2_T3_mT4_T5_T6_T7_T8_P12ihipStream_tbENKUlT_T0_E_clISt17integral_constantIbLb1EESY_EEDaST_SU_EUlST_E_NS1_11comp_targetILNS1_3genE10ELNS1_11target_archE1200ELNS1_3gpuE4ELNS1_3repE0EEENS1_30default_config_static_selectorELNS0_4arch9wavefront6targetE1EEEvT1_
		.amdhsa_group_segment_fixed_size 0
		.amdhsa_private_segment_fixed_size 0
		.amdhsa_kernarg_size 128
		.amdhsa_user_sgpr_count 6
		.amdhsa_user_sgpr_private_segment_buffer 1
		.amdhsa_user_sgpr_dispatch_ptr 0
		.amdhsa_user_sgpr_queue_ptr 0
		.amdhsa_user_sgpr_kernarg_segment_ptr 1
		.amdhsa_user_sgpr_dispatch_id 0
		.amdhsa_user_sgpr_flat_scratch_init 0
		.amdhsa_user_sgpr_kernarg_preload_length 0
		.amdhsa_user_sgpr_kernarg_preload_offset 0
		.amdhsa_user_sgpr_private_segment_size 0
		.amdhsa_uses_dynamic_stack 0
		.amdhsa_system_sgpr_private_segment_wavefront_offset 0
		.amdhsa_system_sgpr_workgroup_id_x 1
		.amdhsa_system_sgpr_workgroup_id_y 0
		.amdhsa_system_sgpr_workgroup_id_z 0
		.amdhsa_system_sgpr_workgroup_info 0
		.amdhsa_system_vgpr_workitem_id 0
		.amdhsa_next_free_vgpr 1
		.amdhsa_next_free_sgpr 0
		.amdhsa_accum_offset 4
		.amdhsa_reserve_vcc 0
		.amdhsa_reserve_flat_scratch 0
		.amdhsa_float_round_mode_32 0
		.amdhsa_float_round_mode_16_64 0
		.amdhsa_float_denorm_mode_32 3
		.amdhsa_float_denorm_mode_16_64 3
		.amdhsa_dx10_clamp 1
		.amdhsa_ieee_mode 1
		.amdhsa_fp16_overflow 0
		.amdhsa_tg_split 0
		.amdhsa_exception_fp_ieee_invalid_op 0
		.amdhsa_exception_fp_denorm_src 0
		.amdhsa_exception_fp_ieee_div_zero 0
		.amdhsa_exception_fp_ieee_overflow 0
		.amdhsa_exception_fp_ieee_underflow 0
		.amdhsa_exception_fp_ieee_inexact 0
		.amdhsa_exception_int_div_zero 0
	.end_amdhsa_kernel
	.section	.text._ZN7rocprim17ROCPRIM_400000_NS6detail17trampoline_kernelINS0_14default_configENS1_33run_length_encode_config_selectorIljNS0_4plusIjEEEEZZNS1_33reduce_by_key_impl_wrapped_configILNS1_25lookback_scan_determinismE0ES3_S7_PKlNS0_17constant_iteratorIjlEEPlSE_SE_S6_NS0_8equal_toIlEEEE10hipError_tPvRmT2_T3_mT4_T5_T6_T7_T8_P12ihipStream_tbENKUlT_T0_E_clISt17integral_constantIbLb1EESY_EEDaST_SU_EUlST_E_NS1_11comp_targetILNS1_3genE10ELNS1_11target_archE1200ELNS1_3gpuE4ELNS1_3repE0EEENS1_30default_config_static_selectorELNS0_4arch9wavefront6targetE1EEEvT1_,"axG",@progbits,_ZN7rocprim17ROCPRIM_400000_NS6detail17trampoline_kernelINS0_14default_configENS1_33run_length_encode_config_selectorIljNS0_4plusIjEEEEZZNS1_33reduce_by_key_impl_wrapped_configILNS1_25lookback_scan_determinismE0ES3_S7_PKlNS0_17constant_iteratorIjlEEPlSE_SE_S6_NS0_8equal_toIlEEEE10hipError_tPvRmT2_T3_mT4_T5_T6_T7_T8_P12ihipStream_tbENKUlT_T0_E_clISt17integral_constantIbLb1EESY_EEDaST_SU_EUlST_E_NS1_11comp_targetILNS1_3genE10ELNS1_11target_archE1200ELNS1_3gpuE4ELNS1_3repE0EEENS1_30default_config_static_selectorELNS0_4arch9wavefront6targetE1EEEvT1_,comdat
.Lfunc_end526:
	.size	_ZN7rocprim17ROCPRIM_400000_NS6detail17trampoline_kernelINS0_14default_configENS1_33run_length_encode_config_selectorIljNS0_4plusIjEEEEZZNS1_33reduce_by_key_impl_wrapped_configILNS1_25lookback_scan_determinismE0ES3_S7_PKlNS0_17constant_iteratorIjlEEPlSE_SE_S6_NS0_8equal_toIlEEEE10hipError_tPvRmT2_T3_mT4_T5_T6_T7_T8_P12ihipStream_tbENKUlT_T0_E_clISt17integral_constantIbLb1EESY_EEDaST_SU_EUlST_E_NS1_11comp_targetILNS1_3genE10ELNS1_11target_archE1200ELNS1_3gpuE4ELNS1_3repE0EEENS1_30default_config_static_selectorELNS0_4arch9wavefront6targetE1EEEvT1_, .Lfunc_end526-_ZN7rocprim17ROCPRIM_400000_NS6detail17trampoline_kernelINS0_14default_configENS1_33run_length_encode_config_selectorIljNS0_4plusIjEEEEZZNS1_33reduce_by_key_impl_wrapped_configILNS1_25lookback_scan_determinismE0ES3_S7_PKlNS0_17constant_iteratorIjlEEPlSE_SE_S6_NS0_8equal_toIlEEEE10hipError_tPvRmT2_T3_mT4_T5_T6_T7_T8_P12ihipStream_tbENKUlT_T0_E_clISt17integral_constantIbLb1EESY_EEDaST_SU_EUlST_E_NS1_11comp_targetILNS1_3genE10ELNS1_11target_archE1200ELNS1_3gpuE4ELNS1_3repE0EEENS1_30default_config_static_selectorELNS0_4arch9wavefront6targetE1EEEvT1_
                                        ; -- End function
	.section	.AMDGPU.csdata,"",@progbits
; Kernel info:
; codeLenInByte = 0
; NumSgprs: 4
; NumVgprs: 0
; NumAgprs: 0
; TotalNumVgprs: 0
; ScratchSize: 0
; MemoryBound: 0
; FloatMode: 240
; IeeeMode: 1
; LDSByteSize: 0 bytes/workgroup (compile time only)
; SGPRBlocks: 0
; VGPRBlocks: 0
; NumSGPRsForWavesPerEU: 4
; NumVGPRsForWavesPerEU: 1
; AccumOffset: 4
; Occupancy: 8
; WaveLimiterHint : 0
; COMPUTE_PGM_RSRC2:SCRATCH_EN: 0
; COMPUTE_PGM_RSRC2:USER_SGPR: 6
; COMPUTE_PGM_RSRC2:TRAP_HANDLER: 0
; COMPUTE_PGM_RSRC2:TGID_X_EN: 1
; COMPUTE_PGM_RSRC2:TGID_Y_EN: 0
; COMPUTE_PGM_RSRC2:TGID_Z_EN: 0
; COMPUTE_PGM_RSRC2:TIDIG_COMP_CNT: 0
; COMPUTE_PGM_RSRC3_GFX90A:ACCUM_OFFSET: 0
; COMPUTE_PGM_RSRC3_GFX90A:TG_SPLIT: 0
	.section	.text._ZN7rocprim17ROCPRIM_400000_NS6detail17trampoline_kernelINS0_14default_configENS1_33run_length_encode_config_selectorIljNS0_4plusIjEEEEZZNS1_33reduce_by_key_impl_wrapped_configILNS1_25lookback_scan_determinismE0ES3_S7_PKlNS0_17constant_iteratorIjlEEPlSE_SE_S6_NS0_8equal_toIlEEEE10hipError_tPvRmT2_T3_mT4_T5_T6_T7_T8_P12ihipStream_tbENKUlT_T0_E_clISt17integral_constantIbLb1EESY_EEDaST_SU_EUlST_E_NS1_11comp_targetILNS1_3genE9ELNS1_11target_archE1100ELNS1_3gpuE3ELNS1_3repE0EEENS1_30default_config_static_selectorELNS0_4arch9wavefront6targetE1EEEvT1_,"axG",@progbits,_ZN7rocprim17ROCPRIM_400000_NS6detail17trampoline_kernelINS0_14default_configENS1_33run_length_encode_config_selectorIljNS0_4plusIjEEEEZZNS1_33reduce_by_key_impl_wrapped_configILNS1_25lookback_scan_determinismE0ES3_S7_PKlNS0_17constant_iteratorIjlEEPlSE_SE_S6_NS0_8equal_toIlEEEE10hipError_tPvRmT2_T3_mT4_T5_T6_T7_T8_P12ihipStream_tbENKUlT_T0_E_clISt17integral_constantIbLb1EESY_EEDaST_SU_EUlST_E_NS1_11comp_targetILNS1_3genE9ELNS1_11target_archE1100ELNS1_3gpuE3ELNS1_3repE0EEENS1_30default_config_static_selectorELNS0_4arch9wavefront6targetE1EEEvT1_,comdat
	.protected	_ZN7rocprim17ROCPRIM_400000_NS6detail17trampoline_kernelINS0_14default_configENS1_33run_length_encode_config_selectorIljNS0_4plusIjEEEEZZNS1_33reduce_by_key_impl_wrapped_configILNS1_25lookback_scan_determinismE0ES3_S7_PKlNS0_17constant_iteratorIjlEEPlSE_SE_S6_NS0_8equal_toIlEEEE10hipError_tPvRmT2_T3_mT4_T5_T6_T7_T8_P12ihipStream_tbENKUlT_T0_E_clISt17integral_constantIbLb1EESY_EEDaST_SU_EUlST_E_NS1_11comp_targetILNS1_3genE9ELNS1_11target_archE1100ELNS1_3gpuE3ELNS1_3repE0EEENS1_30default_config_static_selectorELNS0_4arch9wavefront6targetE1EEEvT1_ ; -- Begin function _ZN7rocprim17ROCPRIM_400000_NS6detail17trampoline_kernelINS0_14default_configENS1_33run_length_encode_config_selectorIljNS0_4plusIjEEEEZZNS1_33reduce_by_key_impl_wrapped_configILNS1_25lookback_scan_determinismE0ES3_S7_PKlNS0_17constant_iteratorIjlEEPlSE_SE_S6_NS0_8equal_toIlEEEE10hipError_tPvRmT2_T3_mT4_T5_T6_T7_T8_P12ihipStream_tbENKUlT_T0_E_clISt17integral_constantIbLb1EESY_EEDaST_SU_EUlST_E_NS1_11comp_targetILNS1_3genE9ELNS1_11target_archE1100ELNS1_3gpuE3ELNS1_3repE0EEENS1_30default_config_static_selectorELNS0_4arch9wavefront6targetE1EEEvT1_
	.globl	_ZN7rocprim17ROCPRIM_400000_NS6detail17trampoline_kernelINS0_14default_configENS1_33run_length_encode_config_selectorIljNS0_4plusIjEEEEZZNS1_33reduce_by_key_impl_wrapped_configILNS1_25lookback_scan_determinismE0ES3_S7_PKlNS0_17constant_iteratorIjlEEPlSE_SE_S6_NS0_8equal_toIlEEEE10hipError_tPvRmT2_T3_mT4_T5_T6_T7_T8_P12ihipStream_tbENKUlT_T0_E_clISt17integral_constantIbLb1EESY_EEDaST_SU_EUlST_E_NS1_11comp_targetILNS1_3genE9ELNS1_11target_archE1100ELNS1_3gpuE3ELNS1_3repE0EEENS1_30default_config_static_selectorELNS0_4arch9wavefront6targetE1EEEvT1_
	.p2align	8
	.type	_ZN7rocprim17ROCPRIM_400000_NS6detail17trampoline_kernelINS0_14default_configENS1_33run_length_encode_config_selectorIljNS0_4plusIjEEEEZZNS1_33reduce_by_key_impl_wrapped_configILNS1_25lookback_scan_determinismE0ES3_S7_PKlNS0_17constant_iteratorIjlEEPlSE_SE_S6_NS0_8equal_toIlEEEE10hipError_tPvRmT2_T3_mT4_T5_T6_T7_T8_P12ihipStream_tbENKUlT_T0_E_clISt17integral_constantIbLb1EESY_EEDaST_SU_EUlST_E_NS1_11comp_targetILNS1_3genE9ELNS1_11target_archE1100ELNS1_3gpuE3ELNS1_3repE0EEENS1_30default_config_static_selectorELNS0_4arch9wavefront6targetE1EEEvT1_,@function
_ZN7rocprim17ROCPRIM_400000_NS6detail17trampoline_kernelINS0_14default_configENS1_33run_length_encode_config_selectorIljNS0_4plusIjEEEEZZNS1_33reduce_by_key_impl_wrapped_configILNS1_25lookback_scan_determinismE0ES3_S7_PKlNS0_17constant_iteratorIjlEEPlSE_SE_S6_NS0_8equal_toIlEEEE10hipError_tPvRmT2_T3_mT4_T5_T6_T7_T8_P12ihipStream_tbENKUlT_T0_E_clISt17integral_constantIbLb1EESY_EEDaST_SU_EUlST_E_NS1_11comp_targetILNS1_3genE9ELNS1_11target_archE1100ELNS1_3gpuE3ELNS1_3repE0EEENS1_30default_config_static_selectorELNS0_4arch9wavefront6targetE1EEEvT1_: ; @_ZN7rocprim17ROCPRIM_400000_NS6detail17trampoline_kernelINS0_14default_configENS1_33run_length_encode_config_selectorIljNS0_4plusIjEEEEZZNS1_33reduce_by_key_impl_wrapped_configILNS1_25lookback_scan_determinismE0ES3_S7_PKlNS0_17constant_iteratorIjlEEPlSE_SE_S6_NS0_8equal_toIlEEEE10hipError_tPvRmT2_T3_mT4_T5_T6_T7_T8_P12ihipStream_tbENKUlT_T0_E_clISt17integral_constantIbLb1EESY_EEDaST_SU_EUlST_E_NS1_11comp_targetILNS1_3genE9ELNS1_11target_archE1100ELNS1_3gpuE3ELNS1_3repE0EEENS1_30default_config_static_selectorELNS0_4arch9wavefront6targetE1EEEvT1_
; %bb.0:
	.section	.rodata,"a",@progbits
	.p2align	6, 0x0
	.amdhsa_kernel _ZN7rocprim17ROCPRIM_400000_NS6detail17trampoline_kernelINS0_14default_configENS1_33run_length_encode_config_selectorIljNS0_4plusIjEEEEZZNS1_33reduce_by_key_impl_wrapped_configILNS1_25lookback_scan_determinismE0ES3_S7_PKlNS0_17constant_iteratorIjlEEPlSE_SE_S6_NS0_8equal_toIlEEEE10hipError_tPvRmT2_T3_mT4_T5_T6_T7_T8_P12ihipStream_tbENKUlT_T0_E_clISt17integral_constantIbLb1EESY_EEDaST_SU_EUlST_E_NS1_11comp_targetILNS1_3genE9ELNS1_11target_archE1100ELNS1_3gpuE3ELNS1_3repE0EEENS1_30default_config_static_selectorELNS0_4arch9wavefront6targetE1EEEvT1_
		.amdhsa_group_segment_fixed_size 0
		.amdhsa_private_segment_fixed_size 0
		.amdhsa_kernarg_size 128
		.amdhsa_user_sgpr_count 6
		.amdhsa_user_sgpr_private_segment_buffer 1
		.amdhsa_user_sgpr_dispatch_ptr 0
		.amdhsa_user_sgpr_queue_ptr 0
		.amdhsa_user_sgpr_kernarg_segment_ptr 1
		.amdhsa_user_sgpr_dispatch_id 0
		.amdhsa_user_sgpr_flat_scratch_init 0
		.amdhsa_user_sgpr_kernarg_preload_length 0
		.amdhsa_user_sgpr_kernarg_preload_offset 0
		.amdhsa_user_sgpr_private_segment_size 0
		.amdhsa_uses_dynamic_stack 0
		.amdhsa_system_sgpr_private_segment_wavefront_offset 0
		.amdhsa_system_sgpr_workgroup_id_x 1
		.amdhsa_system_sgpr_workgroup_id_y 0
		.amdhsa_system_sgpr_workgroup_id_z 0
		.amdhsa_system_sgpr_workgroup_info 0
		.amdhsa_system_vgpr_workitem_id 0
		.amdhsa_next_free_vgpr 1
		.amdhsa_next_free_sgpr 0
		.amdhsa_accum_offset 4
		.amdhsa_reserve_vcc 0
		.amdhsa_reserve_flat_scratch 0
		.amdhsa_float_round_mode_32 0
		.amdhsa_float_round_mode_16_64 0
		.amdhsa_float_denorm_mode_32 3
		.amdhsa_float_denorm_mode_16_64 3
		.amdhsa_dx10_clamp 1
		.amdhsa_ieee_mode 1
		.amdhsa_fp16_overflow 0
		.amdhsa_tg_split 0
		.amdhsa_exception_fp_ieee_invalid_op 0
		.amdhsa_exception_fp_denorm_src 0
		.amdhsa_exception_fp_ieee_div_zero 0
		.amdhsa_exception_fp_ieee_overflow 0
		.amdhsa_exception_fp_ieee_underflow 0
		.amdhsa_exception_fp_ieee_inexact 0
		.amdhsa_exception_int_div_zero 0
	.end_amdhsa_kernel
	.section	.text._ZN7rocprim17ROCPRIM_400000_NS6detail17trampoline_kernelINS0_14default_configENS1_33run_length_encode_config_selectorIljNS0_4plusIjEEEEZZNS1_33reduce_by_key_impl_wrapped_configILNS1_25lookback_scan_determinismE0ES3_S7_PKlNS0_17constant_iteratorIjlEEPlSE_SE_S6_NS0_8equal_toIlEEEE10hipError_tPvRmT2_T3_mT4_T5_T6_T7_T8_P12ihipStream_tbENKUlT_T0_E_clISt17integral_constantIbLb1EESY_EEDaST_SU_EUlST_E_NS1_11comp_targetILNS1_3genE9ELNS1_11target_archE1100ELNS1_3gpuE3ELNS1_3repE0EEENS1_30default_config_static_selectorELNS0_4arch9wavefront6targetE1EEEvT1_,"axG",@progbits,_ZN7rocprim17ROCPRIM_400000_NS6detail17trampoline_kernelINS0_14default_configENS1_33run_length_encode_config_selectorIljNS0_4plusIjEEEEZZNS1_33reduce_by_key_impl_wrapped_configILNS1_25lookback_scan_determinismE0ES3_S7_PKlNS0_17constant_iteratorIjlEEPlSE_SE_S6_NS0_8equal_toIlEEEE10hipError_tPvRmT2_T3_mT4_T5_T6_T7_T8_P12ihipStream_tbENKUlT_T0_E_clISt17integral_constantIbLb1EESY_EEDaST_SU_EUlST_E_NS1_11comp_targetILNS1_3genE9ELNS1_11target_archE1100ELNS1_3gpuE3ELNS1_3repE0EEENS1_30default_config_static_selectorELNS0_4arch9wavefront6targetE1EEEvT1_,comdat
.Lfunc_end527:
	.size	_ZN7rocprim17ROCPRIM_400000_NS6detail17trampoline_kernelINS0_14default_configENS1_33run_length_encode_config_selectorIljNS0_4plusIjEEEEZZNS1_33reduce_by_key_impl_wrapped_configILNS1_25lookback_scan_determinismE0ES3_S7_PKlNS0_17constant_iteratorIjlEEPlSE_SE_S6_NS0_8equal_toIlEEEE10hipError_tPvRmT2_T3_mT4_T5_T6_T7_T8_P12ihipStream_tbENKUlT_T0_E_clISt17integral_constantIbLb1EESY_EEDaST_SU_EUlST_E_NS1_11comp_targetILNS1_3genE9ELNS1_11target_archE1100ELNS1_3gpuE3ELNS1_3repE0EEENS1_30default_config_static_selectorELNS0_4arch9wavefront6targetE1EEEvT1_, .Lfunc_end527-_ZN7rocprim17ROCPRIM_400000_NS6detail17trampoline_kernelINS0_14default_configENS1_33run_length_encode_config_selectorIljNS0_4plusIjEEEEZZNS1_33reduce_by_key_impl_wrapped_configILNS1_25lookback_scan_determinismE0ES3_S7_PKlNS0_17constant_iteratorIjlEEPlSE_SE_S6_NS0_8equal_toIlEEEE10hipError_tPvRmT2_T3_mT4_T5_T6_T7_T8_P12ihipStream_tbENKUlT_T0_E_clISt17integral_constantIbLb1EESY_EEDaST_SU_EUlST_E_NS1_11comp_targetILNS1_3genE9ELNS1_11target_archE1100ELNS1_3gpuE3ELNS1_3repE0EEENS1_30default_config_static_selectorELNS0_4arch9wavefront6targetE1EEEvT1_
                                        ; -- End function
	.section	.AMDGPU.csdata,"",@progbits
; Kernel info:
; codeLenInByte = 0
; NumSgprs: 4
; NumVgprs: 0
; NumAgprs: 0
; TotalNumVgprs: 0
; ScratchSize: 0
; MemoryBound: 0
; FloatMode: 240
; IeeeMode: 1
; LDSByteSize: 0 bytes/workgroup (compile time only)
; SGPRBlocks: 0
; VGPRBlocks: 0
; NumSGPRsForWavesPerEU: 4
; NumVGPRsForWavesPerEU: 1
; AccumOffset: 4
; Occupancy: 8
; WaveLimiterHint : 0
; COMPUTE_PGM_RSRC2:SCRATCH_EN: 0
; COMPUTE_PGM_RSRC2:USER_SGPR: 6
; COMPUTE_PGM_RSRC2:TRAP_HANDLER: 0
; COMPUTE_PGM_RSRC2:TGID_X_EN: 1
; COMPUTE_PGM_RSRC2:TGID_Y_EN: 0
; COMPUTE_PGM_RSRC2:TGID_Z_EN: 0
; COMPUTE_PGM_RSRC2:TIDIG_COMP_CNT: 0
; COMPUTE_PGM_RSRC3_GFX90A:ACCUM_OFFSET: 0
; COMPUTE_PGM_RSRC3_GFX90A:TG_SPLIT: 0
	.section	.text._ZN7rocprim17ROCPRIM_400000_NS6detail17trampoline_kernelINS0_14default_configENS1_33run_length_encode_config_selectorIljNS0_4plusIjEEEEZZNS1_33reduce_by_key_impl_wrapped_configILNS1_25lookback_scan_determinismE0ES3_S7_PKlNS0_17constant_iteratorIjlEEPlSE_SE_S6_NS0_8equal_toIlEEEE10hipError_tPvRmT2_T3_mT4_T5_T6_T7_T8_P12ihipStream_tbENKUlT_T0_E_clISt17integral_constantIbLb1EESY_EEDaST_SU_EUlST_E_NS1_11comp_targetILNS1_3genE8ELNS1_11target_archE1030ELNS1_3gpuE2ELNS1_3repE0EEENS1_30default_config_static_selectorELNS0_4arch9wavefront6targetE1EEEvT1_,"axG",@progbits,_ZN7rocprim17ROCPRIM_400000_NS6detail17trampoline_kernelINS0_14default_configENS1_33run_length_encode_config_selectorIljNS0_4plusIjEEEEZZNS1_33reduce_by_key_impl_wrapped_configILNS1_25lookback_scan_determinismE0ES3_S7_PKlNS0_17constant_iteratorIjlEEPlSE_SE_S6_NS0_8equal_toIlEEEE10hipError_tPvRmT2_T3_mT4_T5_T6_T7_T8_P12ihipStream_tbENKUlT_T0_E_clISt17integral_constantIbLb1EESY_EEDaST_SU_EUlST_E_NS1_11comp_targetILNS1_3genE8ELNS1_11target_archE1030ELNS1_3gpuE2ELNS1_3repE0EEENS1_30default_config_static_selectorELNS0_4arch9wavefront6targetE1EEEvT1_,comdat
	.protected	_ZN7rocprim17ROCPRIM_400000_NS6detail17trampoline_kernelINS0_14default_configENS1_33run_length_encode_config_selectorIljNS0_4plusIjEEEEZZNS1_33reduce_by_key_impl_wrapped_configILNS1_25lookback_scan_determinismE0ES3_S7_PKlNS0_17constant_iteratorIjlEEPlSE_SE_S6_NS0_8equal_toIlEEEE10hipError_tPvRmT2_T3_mT4_T5_T6_T7_T8_P12ihipStream_tbENKUlT_T0_E_clISt17integral_constantIbLb1EESY_EEDaST_SU_EUlST_E_NS1_11comp_targetILNS1_3genE8ELNS1_11target_archE1030ELNS1_3gpuE2ELNS1_3repE0EEENS1_30default_config_static_selectorELNS0_4arch9wavefront6targetE1EEEvT1_ ; -- Begin function _ZN7rocprim17ROCPRIM_400000_NS6detail17trampoline_kernelINS0_14default_configENS1_33run_length_encode_config_selectorIljNS0_4plusIjEEEEZZNS1_33reduce_by_key_impl_wrapped_configILNS1_25lookback_scan_determinismE0ES3_S7_PKlNS0_17constant_iteratorIjlEEPlSE_SE_S6_NS0_8equal_toIlEEEE10hipError_tPvRmT2_T3_mT4_T5_T6_T7_T8_P12ihipStream_tbENKUlT_T0_E_clISt17integral_constantIbLb1EESY_EEDaST_SU_EUlST_E_NS1_11comp_targetILNS1_3genE8ELNS1_11target_archE1030ELNS1_3gpuE2ELNS1_3repE0EEENS1_30default_config_static_selectorELNS0_4arch9wavefront6targetE1EEEvT1_
	.globl	_ZN7rocprim17ROCPRIM_400000_NS6detail17trampoline_kernelINS0_14default_configENS1_33run_length_encode_config_selectorIljNS0_4plusIjEEEEZZNS1_33reduce_by_key_impl_wrapped_configILNS1_25lookback_scan_determinismE0ES3_S7_PKlNS0_17constant_iteratorIjlEEPlSE_SE_S6_NS0_8equal_toIlEEEE10hipError_tPvRmT2_T3_mT4_T5_T6_T7_T8_P12ihipStream_tbENKUlT_T0_E_clISt17integral_constantIbLb1EESY_EEDaST_SU_EUlST_E_NS1_11comp_targetILNS1_3genE8ELNS1_11target_archE1030ELNS1_3gpuE2ELNS1_3repE0EEENS1_30default_config_static_selectorELNS0_4arch9wavefront6targetE1EEEvT1_
	.p2align	8
	.type	_ZN7rocprim17ROCPRIM_400000_NS6detail17trampoline_kernelINS0_14default_configENS1_33run_length_encode_config_selectorIljNS0_4plusIjEEEEZZNS1_33reduce_by_key_impl_wrapped_configILNS1_25lookback_scan_determinismE0ES3_S7_PKlNS0_17constant_iteratorIjlEEPlSE_SE_S6_NS0_8equal_toIlEEEE10hipError_tPvRmT2_T3_mT4_T5_T6_T7_T8_P12ihipStream_tbENKUlT_T0_E_clISt17integral_constantIbLb1EESY_EEDaST_SU_EUlST_E_NS1_11comp_targetILNS1_3genE8ELNS1_11target_archE1030ELNS1_3gpuE2ELNS1_3repE0EEENS1_30default_config_static_selectorELNS0_4arch9wavefront6targetE1EEEvT1_,@function
_ZN7rocprim17ROCPRIM_400000_NS6detail17trampoline_kernelINS0_14default_configENS1_33run_length_encode_config_selectorIljNS0_4plusIjEEEEZZNS1_33reduce_by_key_impl_wrapped_configILNS1_25lookback_scan_determinismE0ES3_S7_PKlNS0_17constant_iteratorIjlEEPlSE_SE_S6_NS0_8equal_toIlEEEE10hipError_tPvRmT2_T3_mT4_T5_T6_T7_T8_P12ihipStream_tbENKUlT_T0_E_clISt17integral_constantIbLb1EESY_EEDaST_SU_EUlST_E_NS1_11comp_targetILNS1_3genE8ELNS1_11target_archE1030ELNS1_3gpuE2ELNS1_3repE0EEENS1_30default_config_static_selectorELNS0_4arch9wavefront6targetE1EEEvT1_: ; @_ZN7rocprim17ROCPRIM_400000_NS6detail17trampoline_kernelINS0_14default_configENS1_33run_length_encode_config_selectorIljNS0_4plusIjEEEEZZNS1_33reduce_by_key_impl_wrapped_configILNS1_25lookback_scan_determinismE0ES3_S7_PKlNS0_17constant_iteratorIjlEEPlSE_SE_S6_NS0_8equal_toIlEEEE10hipError_tPvRmT2_T3_mT4_T5_T6_T7_T8_P12ihipStream_tbENKUlT_T0_E_clISt17integral_constantIbLb1EESY_EEDaST_SU_EUlST_E_NS1_11comp_targetILNS1_3genE8ELNS1_11target_archE1030ELNS1_3gpuE2ELNS1_3repE0EEENS1_30default_config_static_selectorELNS0_4arch9wavefront6targetE1EEEvT1_
; %bb.0:
	.section	.rodata,"a",@progbits
	.p2align	6, 0x0
	.amdhsa_kernel _ZN7rocprim17ROCPRIM_400000_NS6detail17trampoline_kernelINS0_14default_configENS1_33run_length_encode_config_selectorIljNS0_4plusIjEEEEZZNS1_33reduce_by_key_impl_wrapped_configILNS1_25lookback_scan_determinismE0ES3_S7_PKlNS0_17constant_iteratorIjlEEPlSE_SE_S6_NS0_8equal_toIlEEEE10hipError_tPvRmT2_T3_mT4_T5_T6_T7_T8_P12ihipStream_tbENKUlT_T0_E_clISt17integral_constantIbLb1EESY_EEDaST_SU_EUlST_E_NS1_11comp_targetILNS1_3genE8ELNS1_11target_archE1030ELNS1_3gpuE2ELNS1_3repE0EEENS1_30default_config_static_selectorELNS0_4arch9wavefront6targetE1EEEvT1_
		.amdhsa_group_segment_fixed_size 0
		.amdhsa_private_segment_fixed_size 0
		.amdhsa_kernarg_size 128
		.amdhsa_user_sgpr_count 6
		.amdhsa_user_sgpr_private_segment_buffer 1
		.amdhsa_user_sgpr_dispatch_ptr 0
		.amdhsa_user_sgpr_queue_ptr 0
		.amdhsa_user_sgpr_kernarg_segment_ptr 1
		.amdhsa_user_sgpr_dispatch_id 0
		.amdhsa_user_sgpr_flat_scratch_init 0
		.amdhsa_user_sgpr_kernarg_preload_length 0
		.amdhsa_user_sgpr_kernarg_preload_offset 0
		.amdhsa_user_sgpr_private_segment_size 0
		.amdhsa_uses_dynamic_stack 0
		.amdhsa_system_sgpr_private_segment_wavefront_offset 0
		.amdhsa_system_sgpr_workgroup_id_x 1
		.amdhsa_system_sgpr_workgroup_id_y 0
		.amdhsa_system_sgpr_workgroup_id_z 0
		.amdhsa_system_sgpr_workgroup_info 0
		.amdhsa_system_vgpr_workitem_id 0
		.amdhsa_next_free_vgpr 1
		.amdhsa_next_free_sgpr 0
		.amdhsa_accum_offset 4
		.amdhsa_reserve_vcc 0
		.amdhsa_reserve_flat_scratch 0
		.amdhsa_float_round_mode_32 0
		.amdhsa_float_round_mode_16_64 0
		.amdhsa_float_denorm_mode_32 3
		.amdhsa_float_denorm_mode_16_64 3
		.amdhsa_dx10_clamp 1
		.amdhsa_ieee_mode 1
		.amdhsa_fp16_overflow 0
		.amdhsa_tg_split 0
		.amdhsa_exception_fp_ieee_invalid_op 0
		.amdhsa_exception_fp_denorm_src 0
		.amdhsa_exception_fp_ieee_div_zero 0
		.amdhsa_exception_fp_ieee_overflow 0
		.amdhsa_exception_fp_ieee_underflow 0
		.amdhsa_exception_fp_ieee_inexact 0
		.amdhsa_exception_int_div_zero 0
	.end_amdhsa_kernel
	.section	.text._ZN7rocprim17ROCPRIM_400000_NS6detail17trampoline_kernelINS0_14default_configENS1_33run_length_encode_config_selectorIljNS0_4plusIjEEEEZZNS1_33reduce_by_key_impl_wrapped_configILNS1_25lookback_scan_determinismE0ES3_S7_PKlNS0_17constant_iteratorIjlEEPlSE_SE_S6_NS0_8equal_toIlEEEE10hipError_tPvRmT2_T3_mT4_T5_T6_T7_T8_P12ihipStream_tbENKUlT_T0_E_clISt17integral_constantIbLb1EESY_EEDaST_SU_EUlST_E_NS1_11comp_targetILNS1_3genE8ELNS1_11target_archE1030ELNS1_3gpuE2ELNS1_3repE0EEENS1_30default_config_static_selectorELNS0_4arch9wavefront6targetE1EEEvT1_,"axG",@progbits,_ZN7rocprim17ROCPRIM_400000_NS6detail17trampoline_kernelINS0_14default_configENS1_33run_length_encode_config_selectorIljNS0_4plusIjEEEEZZNS1_33reduce_by_key_impl_wrapped_configILNS1_25lookback_scan_determinismE0ES3_S7_PKlNS0_17constant_iteratorIjlEEPlSE_SE_S6_NS0_8equal_toIlEEEE10hipError_tPvRmT2_T3_mT4_T5_T6_T7_T8_P12ihipStream_tbENKUlT_T0_E_clISt17integral_constantIbLb1EESY_EEDaST_SU_EUlST_E_NS1_11comp_targetILNS1_3genE8ELNS1_11target_archE1030ELNS1_3gpuE2ELNS1_3repE0EEENS1_30default_config_static_selectorELNS0_4arch9wavefront6targetE1EEEvT1_,comdat
.Lfunc_end528:
	.size	_ZN7rocprim17ROCPRIM_400000_NS6detail17trampoline_kernelINS0_14default_configENS1_33run_length_encode_config_selectorIljNS0_4plusIjEEEEZZNS1_33reduce_by_key_impl_wrapped_configILNS1_25lookback_scan_determinismE0ES3_S7_PKlNS0_17constant_iteratorIjlEEPlSE_SE_S6_NS0_8equal_toIlEEEE10hipError_tPvRmT2_T3_mT4_T5_T6_T7_T8_P12ihipStream_tbENKUlT_T0_E_clISt17integral_constantIbLb1EESY_EEDaST_SU_EUlST_E_NS1_11comp_targetILNS1_3genE8ELNS1_11target_archE1030ELNS1_3gpuE2ELNS1_3repE0EEENS1_30default_config_static_selectorELNS0_4arch9wavefront6targetE1EEEvT1_, .Lfunc_end528-_ZN7rocprim17ROCPRIM_400000_NS6detail17trampoline_kernelINS0_14default_configENS1_33run_length_encode_config_selectorIljNS0_4plusIjEEEEZZNS1_33reduce_by_key_impl_wrapped_configILNS1_25lookback_scan_determinismE0ES3_S7_PKlNS0_17constant_iteratorIjlEEPlSE_SE_S6_NS0_8equal_toIlEEEE10hipError_tPvRmT2_T3_mT4_T5_T6_T7_T8_P12ihipStream_tbENKUlT_T0_E_clISt17integral_constantIbLb1EESY_EEDaST_SU_EUlST_E_NS1_11comp_targetILNS1_3genE8ELNS1_11target_archE1030ELNS1_3gpuE2ELNS1_3repE0EEENS1_30default_config_static_selectorELNS0_4arch9wavefront6targetE1EEEvT1_
                                        ; -- End function
	.section	.AMDGPU.csdata,"",@progbits
; Kernel info:
; codeLenInByte = 0
; NumSgprs: 4
; NumVgprs: 0
; NumAgprs: 0
; TotalNumVgprs: 0
; ScratchSize: 0
; MemoryBound: 0
; FloatMode: 240
; IeeeMode: 1
; LDSByteSize: 0 bytes/workgroup (compile time only)
; SGPRBlocks: 0
; VGPRBlocks: 0
; NumSGPRsForWavesPerEU: 4
; NumVGPRsForWavesPerEU: 1
; AccumOffset: 4
; Occupancy: 8
; WaveLimiterHint : 0
; COMPUTE_PGM_RSRC2:SCRATCH_EN: 0
; COMPUTE_PGM_RSRC2:USER_SGPR: 6
; COMPUTE_PGM_RSRC2:TRAP_HANDLER: 0
; COMPUTE_PGM_RSRC2:TGID_X_EN: 1
; COMPUTE_PGM_RSRC2:TGID_Y_EN: 0
; COMPUTE_PGM_RSRC2:TGID_Z_EN: 0
; COMPUTE_PGM_RSRC2:TIDIG_COMP_CNT: 0
; COMPUTE_PGM_RSRC3_GFX90A:ACCUM_OFFSET: 0
; COMPUTE_PGM_RSRC3_GFX90A:TG_SPLIT: 0
	.section	.text._ZN7rocprim17ROCPRIM_400000_NS6detail17trampoline_kernelINS0_14default_configENS1_33run_length_encode_config_selectorIljNS0_4plusIjEEEEZZNS1_33reduce_by_key_impl_wrapped_configILNS1_25lookback_scan_determinismE0ES3_S7_PKlNS0_17constant_iteratorIjlEEPlSE_SE_S6_NS0_8equal_toIlEEEE10hipError_tPvRmT2_T3_mT4_T5_T6_T7_T8_P12ihipStream_tbENKUlT_T0_E_clISt17integral_constantIbLb1EESX_IbLb0EEEEDaST_SU_EUlST_E_NS1_11comp_targetILNS1_3genE0ELNS1_11target_archE4294967295ELNS1_3gpuE0ELNS1_3repE0EEENS1_30default_config_static_selectorELNS0_4arch9wavefront6targetE1EEEvT1_,"axG",@progbits,_ZN7rocprim17ROCPRIM_400000_NS6detail17trampoline_kernelINS0_14default_configENS1_33run_length_encode_config_selectorIljNS0_4plusIjEEEEZZNS1_33reduce_by_key_impl_wrapped_configILNS1_25lookback_scan_determinismE0ES3_S7_PKlNS0_17constant_iteratorIjlEEPlSE_SE_S6_NS0_8equal_toIlEEEE10hipError_tPvRmT2_T3_mT4_T5_T6_T7_T8_P12ihipStream_tbENKUlT_T0_E_clISt17integral_constantIbLb1EESX_IbLb0EEEEDaST_SU_EUlST_E_NS1_11comp_targetILNS1_3genE0ELNS1_11target_archE4294967295ELNS1_3gpuE0ELNS1_3repE0EEENS1_30default_config_static_selectorELNS0_4arch9wavefront6targetE1EEEvT1_,comdat
	.protected	_ZN7rocprim17ROCPRIM_400000_NS6detail17trampoline_kernelINS0_14default_configENS1_33run_length_encode_config_selectorIljNS0_4plusIjEEEEZZNS1_33reduce_by_key_impl_wrapped_configILNS1_25lookback_scan_determinismE0ES3_S7_PKlNS0_17constant_iteratorIjlEEPlSE_SE_S6_NS0_8equal_toIlEEEE10hipError_tPvRmT2_T3_mT4_T5_T6_T7_T8_P12ihipStream_tbENKUlT_T0_E_clISt17integral_constantIbLb1EESX_IbLb0EEEEDaST_SU_EUlST_E_NS1_11comp_targetILNS1_3genE0ELNS1_11target_archE4294967295ELNS1_3gpuE0ELNS1_3repE0EEENS1_30default_config_static_selectorELNS0_4arch9wavefront6targetE1EEEvT1_ ; -- Begin function _ZN7rocprim17ROCPRIM_400000_NS6detail17trampoline_kernelINS0_14default_configENS1_33run_length_encode_config_selectorIljNS0_4plusIjEEEEZZNS1_33reduce_by_key_impl_wrapped_configILNS1_25lookback_scan_determinismE0ES3_S7_PKlNS0_17constant_iteratorIjlEEPlSE_SE_S6_NS0_8equal_toIlEEEE10hipError_tPvRmT2_T3_mT4_T5_T6_T7_T8_P12ihipStream_tbENKUlT_T0_E_clISt17integral_constantIbLb1EESX_IbLb0EEEEDaST_SU_EUlST_E_NS1_11comp_targetILNS1_3genE0ELNS1_11target_archE4294967295ELNS1_3gpuE0ELNS1_3repE0EEENS1_30default_config_static_selectorELNS0_4arch9wavefront6targetE1EEEvT1_
	.globl	_ZN7rocprim17ROCPRIM_400000_NS6detail17trampoline_kernelINS0_14default_configENS1_33run_length_encode_config_selectorIljNS0_4plusIjEEEEZZNS1_33reduce_by_key_impl_wrapped_configILNS1_25lookback_scan_determinismE0ES3_S7_PKlNS0_17constant_iteratorIjlEEPlSE_SE_S6_NS0_8equal_toIlEEEE10hipError_tPvRmT2_T3_mT4_T5_T6_T7_T8_P12ihipStream_tbENKUlT_T0_E_clISt17integral_constantIbLb1EESX_IbLb0EEEEDaST_SU_EUlST_E_NS1_11comp_targetILNS1_3genE0ELNS1_11target_archE4294967295ELNS1_3gpuE0ELNS1_3repE0EEENS1_30default_config_static_selectorELNS0_4arch9wavefront6targetE1EEEvT1_
	.p2align	8
	.type	_ZN7rocprim17ROCPRIM_400000_NS6detail17trampoline_kernelINS0_14default_configENS1_33run_length_encode_config_selectorIljNS0_4plusIjEEEEZZNS1_33reduce_by_key_impl_wrapped_configILNS1_25lookback_scan_determinismE0ES3_S7_PKlNS0_17constant_iteratorIjlEEPlSE_SE_S6_NS0_8equal_toIlEEEE10hipError_tPvRmT2_T3_mT4_T5_T6_T7_T8_P12ihipStream_tbENKUlT_T0_E_clISt17integral_constantIbLb1EESX_IbLb0EEEEDaST_SU_EUlST_E_NS1_11comp_targetILNS1_3genE0ELNS1_11target_archE4294967295ELNS1_3gpuE0ELNS1_3repE0EEENS1_30default_config_static_selectorELNS0_4arch9wavefront6targetE1EEEvT1_,@function
_ZN7rocprim17ROCPRIM_400000_NS6detail17trampoline_kernelINS0_14default_configENS1_33run_length_encode_config_selectorIljNS0_4plusIjEEEEZZNS1_33reduce_by_key_impl_wrapped_configILNS1_25lookback_scan_determinismE0ES3_S7_PKlNS0_17constant_iteratorIjlEEPlSE_SE_S6_NS0_8equal_toIlEEEE10hipError_tPvRmT2_T3_mT4_T5_T6_T7_T8_P12ihipStream_tbENKUlT_T0_E_clISt17integral_constantIbLb1EESX_IbLb0EEEEDaST_SU_EUlST_E_NS1_11comp_targetILNS1_3genE0ELNS1_11target_archE4294967295ELNS1_3gpuE0ELNS1_3repE0EEENS1_30default_config_static_selectorELNS0_4arch9wavefront6targetE1EEEvT1_: ; @_ZN7rocprim17ROCPRIM_400000_NS6detail17trampoline_kernelINS0_14default_configENS1_33run_length_encode_config_selectorIljNS0_4plusIjEEEEZZNS1_33reduce_by_key_impl_wrapped_configILNS1_25lookback_scan_determinismE0ES3_S7_PKlNS0_17constant_iteratorIjlEEPlSE_SE_S6_NS0_8equal_toIlEEEE10hipError_tPvRmT2_T3_mT4_T5_T6_T7_T8_P12ihipStream_tbENKUlT_T0_E_clISt17integral_constantIbLb1EESX_IbLb0EEEEDaST_SU_EUlST_E_NS1_11comp_targetILNS1_3genE0ELNS1_11target_archE4294967295ELNS1_3gpuE0ELNS1_3repE0EEENS1_30default_config_static_selectorELNS0_4arch9wavefront6targetE1EEEvT1_
; %bb.0:
	.section	.rodata,"a",@progbits
	.p2align	6, 0x0
	.amdhsa_kernel _ZN7rocprim17ROCPRIM_400000_NS6detail17trampoline_kernelINS0_14default_configENS1_33run_length_encode_config_selectorIljNS0_4plusIjEEEEZZNS1_33reduce_by_key_impl_wrapped_configILNS1_25lookback_scan_determinismE0ES3_S7_PKlNS0_17constant_iteratorIjlEEPlSE_SE_S6_NS0_8equal_toIlEEEE10hipError_tPvRmT2_T3_mT4_T5_T6_T7_T8_P12ihipStream_tbENKUlT_T0_E_clISt17integral_constantIbLb1EESX_IbLb0EEEEDaST_SU_EUlST_E_NS1_11comp_targetILNS1_3genE0ELNS1_11target_archE4294967295ELNS1_3gpuE0ELNS1_3repE0EEENS1_30default_config_static_selectorELNS0_4arch9wavefront6targetE1EEEvT1_
		.amdhsa_group_segment_fixed_size 0
		.amdhsa_private_segment_fixed_size 0
		.amdhsa_kernarg_size 128
		.amdhsa_user_sgpr_count 6
		.amdhsa_user_sgpr_private_segment_buffer 1
		.amdhsa_user_sgpr_dispatch_ptr 0
		.amdhsa_user_sgpr_queue_ptr 0
		.amdhsa_user_sgpr_kernarg_segment_ptr 1
		.amdhsa_user_sgpr_dispatch_id 0
		.amdhsa_user_sgpr_flat_scratch_init 0
		.amdhsa_user_sgpr_kernarg_preload_length 0
		.amdhsa_user_sgpr_kernarg_preload_offset 0
		.amdhsa_user_sgpr_private_segment_size 0
		.amdhsa_uses_dynamic_stack 0
		.amdhsa_system_sgpr_private_segment_wavefront_offset 0
		.amdhsa_system_sgpr_workgroup_id_x 1
		.amdhsa_system_sgpr_workgroup_id_y 0
		.amdhsa_system_sgpr_workgroup_id_z 0
		.amdhsa_system_sgpr_workgroup_info 0
		.amdhsa_system_vgpr_workitem_id 0
		.amdhsa_next_free_vgpr 1
		.amdhsa_next_free_sgpr 0
		.amdhsa_accum_offset 4
		.amdhsa_reserve_vcc 0
		.amdhsa_reserve_flat_scratch 0
		.amdhsa_float_round_mode_32 0
		.amdhsa_float_round_mode_16_64 0
		.amdhsa_float_denorm_mode_32 3
		.amdhsa_float_denorm_mode_16_64 3
		.amdhsa_dx10_clamp 1
		.amdhsa_ieee_mode 1
		.amdhsa_fp16_overflow 0
		.amdhsa_tg_split 0
		.amdhsa_exception_fp_ieee_invalid_op 0
		.amdhsa_exception_fp_denorm_src 0
		.amdhsa_exception_fp_ieee_div_zero 0
		.amdhsa_exception_fp_ieee_overflow 0
		.amdhsa_exception_fp_ieee_underflow 0
		.amdhsa_exception_fp_ieee_inexact 0
		.amdhsa_exception_int_div_zero 0
	.end_amdhsa_kernel
	.section	.text._ZN7rocprim17ROCPRIM_400000_NS6detail17trampoline_kernelINS0_14default_configENS1_33run_length_encode_config_selectorIljNS0_4plusIjEEEEZZNS1_33reduce_by_key_impl_wrapped_configILNS1_25lookback_scan_determinismE0ES3_S7_PKlNS0_17constant_iteratorIjlEEPlSE_SE_S6_NS0_8equal_toIlEEEE10hipError_tPvRmT2_T3_mT4_T5_T6_T7_T8_P12ihipStream_tbENKUlT_T0_E_clISt17integral_constantIbLb1EESX_IbLb0EEEEDaST_SU_EUlST_E_NS1_11comp_targetILNS1_3genE0ELNS1_11target_archE4294967295ELNS1_3gpuE0ELNS1_3repE0EEENS1_30default_config_static_selectorELNS0_4arch9wavefront6targetE1EEEvT1_,"axG",@progbits,_ZN7rocprim17ROCPRIM_400000_NS6detail17trampoline_kernelINS0_14default_configENS1_33run_length_encode_config_selectorIljNS0_4plusIjEEEEZZNS1_33reduce_by_key_impl_wrapped_configILNS1_25lookback_scan_determinismE0ES3_S7_PKlNS0_17constant_iteratorIjlEEPlSE_SE_S6_NS0_8equal_toIlEEEE10hipError_tPvRmT2_T3_mT4_T5_T6_T7_T8_P12ihipStream_tbENKUlT_T0_E_clISt17integral_constantIbLb1EESX_IbLb0EEEEDaST_SU_EUlST_E_NS1_11comp_targetILNS1_3genE0ELNS1_11target_archE4294967295ELNS1_3gpuE0ELNS1_3repE0EEENS1_30default_config_static_selectorELNS0_4arch9wavefront6targetE1EEEvT1_,comdat
.Lfunc_end529:
	.size	_ZN7rocprim17ROCPRIM_400000_NS6detail17trampoline_kernelINS0_14default_configENS1_33run_length_encode_config_selectorIljNS0_4plusIjEEEEZZNS1_33reduce_by_key_impl_wrapped_configILNS1_25lookback_scan_determinismE0ES3_S7_PKlNS0_17constant_iteratorIjlEEPlSE_SE_S6_NS0_8equal_toIlEEEE10hipError_tPvRmT2_T3_mT4_T5_T6_T7_T8_P12ihipStream_tbENKUlT_T0_E_clISt17integral_constantIbLb1EESX_IbLb0EEEEDaST_SU_EUlST_E_NS1_11comp_targetILNS1_3genE0ELNS1_11target_archE4294967295ELNS1_3gpuE0ELNS1_3repE0EEENS1_30default_config_static_selectorELNS0_4arch9wavefront6targetE1EEEvT1_, .Lfunc_end529-_ZN7rocprim17ROCPRIM_400000_NS6detail17trampoline_kernelINS0_14default_configENS1_33run_length_encode_config_selectorIljNS0_4plusIjEEEEZZNS1_33reduce_by_key_impl_wrapped_configILNS1_25lookback_scan_determinismE0ES3_S7_PKlNS0_17constant_iteratorIjlEEPlSE_SE_S6_NS0_8equal_toIlEEEE10hipError_tPvRmT2_T3_mT4_T5_T6_T7_T8_P12ihipStream_tbENKUlT_T0_E_clISt17integral_constantIbLb1EESX_IbLb0EEEEDaST_SU_EUlST_E_NS1_11comp_targetILNS1_3genE0ELNS1_11target_archE4294967295ELNS1_3gpuE0ELNS1_3repE0EEENS1_30default_config_static_selectorELNS0_4arch9wavefront6targetE1EEEvT1_
                                        ; -- End function
	.section	.AMDGPU.csdata,"",@progbits
; Kernel info:
; codeLenInByte = 0
; NumSgprs: 4
; NumVgprs: 0
; NumAgprs: 0
; TotalNumVgprs: 0
; ScratchSize: 0
; MemoryBound: 0
; FloatMode: 240
; IeeeMode: 1
; LDSByteSize: 0 bytes/workgroup (compile time only)
; SGPRBlocks: 0
; VGPRBlocks: 0
; NumSGPRsForWavesPerEU: 4
; NumVGPRsForWavesPerEU: 1
; AccumOffset: 4
; Occupancy: 8
; WaveLimiterHint : 0
; COMPUTE_PGM_RSRC2:SCRATCH_EN: 0
; COMPUTE_PGM_RSRC2:USER_SGPR: 6
; COMPUTE_PGM_RSRC2:TRAP_HANDLER: 0
; COMPUTE_PGM_RSRC2:TGID_X_EN: 1
; COMPUTE_PGM_RSRC2:TGID_Y_EN: 0
; COMPUTE_PGM_RSRC2:TGID_Z_EN: 0
; COMPUTE_PGM_RSRC2:TIDIG_COMP_CNT: 0
; COMPUTE_PGM_RSRC3_GFX90A:ACCUM_OFFSET: 0
; COMPUTE_PGM_RSRC3_GFX90A:TG_SPLIT: 0
	.section	.text._ZN7rocprim17ROCPRIM_400000_NS6detail17trampoline_kernelINS0_14default_configENS1_33run_length_encode_config_selectorIljNS0_4plusIjEEEEZZNS1_33reduce_by_key_impl_wrapped_configILNS1_25lookback_scan_determinismE0ES3_S7_PKlNS0_17constant_iteratorIjlEEPlSE_SE_S6_NS0_8equal_toIlEEEE10hipError_tPvRmT2_T3_mT4_T5_T6_T7_T8_P12ihipStream_tbENKUlT_T0_E_clISt17integral_constantIbLb1EESX_IbLb0EEEEDaST_SU_EUlST_E_NS1_11comp_targetILNS1_3genE5ELNS1_11target_archE942ELNS1_3gpuE9ELNS1_3repE0EEENS1_30default_config_static_selectorELNS0_4arch9wavefront6targetE1EEEvT1_,"axG",@progbits,_ZN7rocprim17ROCPRIM_400000_NS6detail17trampoline_kernelINS0_14default_configENS1_33run_length_encode_config_selectorIljNS0_4plusIjEEEEZZNS1_33reduce_by_key_impl_wrapped_configILNS1_25lookback_scan_determinismE0ES3_S7_PKlNS0_17constant_iteratorIjlEEPlSE_SE_S6_NS0_8equal_toIlEEEE10hipError_tPvRmT2_T3_mT4_T5_T6_T7_T8_P12ihipStream_tbENKUlT_T0_E_clISt17integral_constantIbLb1EESX_IbLb0EEEEDaST_SU_EUlST_E_NS1_11comp_targetILNS1_3genE5ELNS1_11target_archE942ELNS1_3gpuE9ELNS1_3repE0EEENS1_30default_config_static_selectorELNS0_4arch9wavefront6targetE1EEEvT1_,comdat
	.protected	_ZN7rocprim17ROCPRIM_400000_NS6detail17trampoline_kernelINS0_14default_configENS1_33run_length_encode_config_selectorIljNS0_4plusIjEEEEZZNS1_33reduce_by_key_impl_wrapped_configILNS1_25lookback_scan_determinismE0ES3_S7_PKlNS0_17constant_iteratorIjlEEPlSE_SE_S6_NS0_8equal_toIlEEEE10hipError_tPvRmT2_T3_mT4_T5_T6_T7_T8_P12ihipStream_tbENKUlT_T0_E_clISt17integral_constantIbLb1EESX_IbLb0EEEEDaST_SU_EUlST_E_NS1_11comp_targetILNS1_3genE5ELNS1_11target_archE942ELNS1_3gpuE9ELNS1_3repE0EEENS1_30default_config_static_selectorELNS0_4arch9wavefront6targetE1EEEvT1_ ; -- Begin function _ZN7rocprim17ROCPRIM_400000_NS6detail17trampoline_kernelINS0_14default_configENS1_33run_length_encode_config_selectorIljNS0_4plusIjEEEEZZNS1_33reduce_by_key_impl_wrapped_configILNS1_25lookback_scan_determinismE0ES3_S7_PKlNS0_17constant_iteratorIjlEEPlSE_SE_S6_NS0_8equal_toIlEEEE10hipError_tPvRmT2_T3_mT4_T5_T6_T7_T8_P12ihipStream_tbENKUlT_T0_E_clISt17integral_constantIbLb1EESX_IbLb0EEEEDaST_SU_EUlST_E_NS1_11comp_targetILNS1_3genE5ELNS1_11target_archE942ELNS1_3gpuE9ELNS1_3repE0EEENS1_30default_config_static_selectorELNS0_4arch9wavefront6targetE1EEEvT1_
	.globl	_ZN7rocprim17ROCPRIM_400000_NS6detail17trampoline_kernelINS0_14default_configENS1_33run_length_encode_config_selectorIljNS0_4plusIjEEEEZZNS1_33reduce_by_key_impl_wrapped_configILNS1_25lookback_scan_determinismE0ES3_S7_PKlNS0_17constant_iteratorIjlEEPlSE_SE_S6_NS0_8equal_toIlEEEE10hipError_tPvRmT2_T3_mT4_T5_T6_T7_T8_P12ihipStream_tbENKUlT_T0_E_clISt17integral_constantIbLb1EESX_IbLb0EEEEDaST_SU_EUlST_E_NS1_11comp_targetILNS1_3genE5ELNS1_11target_archE942ELNS1_3gpuE9ELNS1_3repE0EEENS1_30default_config_static_selectorELNS0_4arch9wavefront6targetE1EEEvT1_
	.p2align	8
	.type	_ZN7rocprim17ROCPRIM_400000_NS6detail17trampoline_kernelINS0_14default_configENS1_33run_length_encode_config_selectorIljNS0_4plusIjEEEEZZNS1_33reduce_by_key_impl_wrapped_configILNS1_25lookback_scan_determinismE0ES3_S7_PKlNS0_17constant_iteratorIjlEEPlSE_SE_S6_NS0_8equal_toIlEEEE10hipError_tPvRmT2_T3_mT4_T5_T6_T7_T8_P12ihipStream_tbENKUlT_T0_E_clISt17integral_constantIbLb1EESX_IbLb0EEEEDaST_SU_EUlST_E_NS1_11comp_targetILNS1_3genE5ELNS1_11target_archE942ELNS1_3gpuE9ELNS1_3repE0EEENS1_30default_config_static_selectorELNS0_4arch9wavefront6targetE1EEEvT1_,@function
_ZN7rocprim17ROCPRIM_400000_NS6detail17trampoline_kernelINS0_14default_configENS1_33run_length_encode_config_selectorIljNS0_4plusIjEEEEZZNS1_33reduce_by_key_impl_wrapped_configILNS1_25lookback_scan_determinismE0ES3_S7_PKlNS0_17constant_iteratorIjlEEPlSE_SE_S6_NS0_8equal_toIlEEEE10hipError_tPvRmT2_T3_mT4_T5_T6_T7_T8_P12ihipStream_tbENKUlT_T0_E_clISt17integral_constantIbLb1EESX_IbLb0EEEEDaST_SU_EUlST_E_NS1_11comp_targetILNS1_3genE5ELNS1_11target_archE942ELNS1_3gpuE9ELNS1_3repE0EEENS1_30default_config_static_selectorELNS0_4arch9wavefront6targetE1EEEvT1_: ; @_ZN7rocprim17ROCPRIM_400000_NS6detail17trampoline_kernelINS0_14default_configENS1_33run_length_encode_config_selectorIljNS0_4plusIjEEEEZZNS1_33reduce_by_key_impl_wrapped_configILNS1_25lookback_scan_determinismE0ES3_S7_PKlNS0_17constant_iteratorIjlEEPlSE_SE_S6_NS0_8equal_toIlEEEE10hipError_tPvRmT2_T3_mT4_T5_T6_T7_T8_P12ihipStream_tbENKUlT_T0_E_clISt17integral_constantIbLb1EESX_IbLb0EEEEDaST_SU_EUlST_E_NS1_11comp_targetILNS1_3genE5ELNS1_11target_archE942ELNS1_3gpuE9ELNS1_3repE0EEENS1_30default_config_static_selectorELNS0_4arch9wavefront6targetE1EEEvT1_
; %bb.0:
	.section	.rodata,"a",@progbits
	.p2align	6, 0x0
	.amdhsa_kernel _ZN7rocprim17ROCPRIM_400000_NS6detail17trampoline_kernelINS0_14default_configENS1_33run_length_encode_config_selectorIljNS0_4plusIjEEEEZZNS1_33reduce_by_key_impl_wrapped_configILNS1_25lookback_scan_determinismE0ES3_S7_PKlNS0_17constant_iteratorIjlEEPlSE_SE_S6_NS0_8equal_toIlEEEE10hipError_tPvRmT2_T3_mT4_T5_T6_T7_T8_P12ihipStream_tbENKUlT_T0_E_clISt17integral_constantIbLb1EESX_IbLb0EEEEDaST_SU_EUlST_E_NS1_11comp_targetILNS1_3genE5ELNS1_11target_archE942ELNS1_3gpuE9ELNS1_3repE0EEENS1_30default_config_static_selectorELNS0_4arch9wavefront6targetE1EEEvT1_
		.amdhsa_group_segment_fixed_size 0
		.amdhsa_private_segment_fixed_size 0
		.amdhsa_kernarg_size 128
		.amdhsa_user_sgpr_count 6
		.amdhsa_user_sgpr_private_segment_buffer 1
		.amdhsa_user_sgpr_dispatch_ptr 0
		.amdhsa_user_sgpr_queue_ptr 0
		.amdhsa_user_sgpr_kernarg_segment_ptr 1
		.amdhsa_user_sgpr_dispatch_id 0
		.amdhsa_user_sgpr_flat_scratch_init 0
		.amdhsa_user_sgpr_kernarg_preload_length 0
		.amdhsa_user_sgpr_kernarg_preload_offset 0
		.amdhsa_user_sgpr_private_segment_size 0
		.amdhsa_uses_dynamic_stack 0
		.amdhsa_system_sgpr_private_segment_wavefront_offset 0
		.amdhsa_system_sgpr_workgroup_id_x 1
		.amdhsa_system_sgpr_workgroup_id_y 0
		.amdhsa_system_sgpr_workgroup_id_z 0
		.amdhsa_system_sgpr_workgroup_info 0
		.amdhsa_system_vgpr_workitem_id 0
		.amdhsa_next_free_vgpr 1
		.amdhsa_next_free_sgpr 0
		.amdhsa_accum_offset 4
		.amdhsa_reserve_vcc 0
		.amdhsa_reserve_flat_scratch 0
		.amdhsa_float_round_mode_32 0
		.amdhsa_float_round_mode_16_64 0
		.amdhsa_float_denorm_mode_32 3
		.amdhsa_float_denorm_mode_16_64 3
		.amdhsa_dx10_clamp 1
		.amdhsa_ieee_mode 1
		.amdhsa_fp16_overflow 0
		.amdhsa_tg_split 0
		.amdhsa_exception_fp_ieee_invalid_op 0
		.amdhsa_exception_fp_denorm_src 0
		.amdhsa_exception_fp_ieee_div_zero 0
		.amdhsa_exception_fp_ieee_overflow 0
		.amdhsa_exception_fp_ieee_underflow 0
		.amdhsa_exception_fp_ieee_inexact 0
		.amdhsa_exception_int_div_zero 0
	.end_amdhsa_kernel
	.section	.text._ZN7rocprim17ROCPRIM_400000_NS6detail17trampoline_kernelINS0_14default_configENS1_33run_length_encode_config_selectorIljNS0_4plusIjEEEEZZNS1_33reduce_by_key_impl_wrapped_configILNS1_25lookback_scan_determinismE0ES3_S7_PKlNS0_17constant_iteratorIjlEEPlSE_SE_S6_NS0_8equal_toIlEEEE10hipError_tPvRmT2_T3_mT4_T5_T6_T7_T8_P12ihipStream_tbENKUlT_T0_E_clISt17integral_constantIbLb1EESX_IbLb0EEEEDaST_SU_EUlST_E_NS1_11comp_targetILNS1_3genE5ELNS1_11target_archE942ELNS1_3gpuE9ELNS1_3repE0EEENS1_30default_config_static_selectorELNS0_4arch9wavefront6targetE1EEEvT1_,"axG",@progbits,_ZN7rocprim17ROCPRIM_400000_NS6detail17trampoline_kernelINS0_14default_configENS1_33run_length_encode_config_selectorIljNS0_4plusIjEEEEZZNS1_33reduce_by_key_impl_wrapped_configILNS1_25lookback_scan_determinismE0ES3_S7_PKlNS0_17constant_iteratorIjlEEPlSE_SE_S6_NS0_8equal_toIlEEEE10hipError_tPvRmT2_T3_mT4_T5_T6_T7_T8_P12ihipStream_tbENKUlT_T0_E_clISt17integral_constantIbLb1EESX_IbLb0EEEEDaST_SU_EUlST_E_NS1_11comp_targetILNS1_3genE5ELNS1_11target_archE942ELNS1_3gpuE9ELNS1_3repE0EEENS1_30default_config_static_selectorELNS0_4arch9wavefront6targetE1EEEvT1_,comdat
.Lfunc_end530:
	.size	_ZN7rocprim17ROCPRIM_400000_NS6detail17trampoline_kernelINS0_14default_configENS1_33run_length_encode_config_selectorIljNS0_4plusIjEEEEZZNS1_33reduce_by_key_impl_wrapped_configILNS1_25lookback_scan_determinismE0ES3_S7_PKlNS0_17constant_iteratorIjlEEPlSE_SE_S6_NS0_8equal_toIlEEEE10hipError_tPvRmT2_T3_mT4_T5_T6_T7_T8_P12ihipStream_tbENKUlT_T0_E_clISt17integral_constantIbLb1EESX_IbLb0EEEEDaST_SU_EUlST_E_NS1_11comp_targetILNS1_3genE5ELNS1_11target_archE942ELNS1_3gpuE9ELNS1_3repE0EEENS1_30default_config_static_selectorELNS0_4arch9wavefront6targetE1EEEvT1_, .Lfunc_end530-_ZN7rocprim17ROCPRIM_400000_NS6detail17trampoline_kernelINS0_14default_configENS1_33run_length_encode_config_selectorIljNS0_4plusIjEEEEZZNS1_33reduce_by_key_impl_wrapped_configILNS1_25lookback_scan_determinismE0ES3_S7_PKlNS0_17constant_iteratorIjlEEPlSE_SE_S6_NS0_8equal_toIlEEEE10hipError_tPvRmT2_T3_mT4_T5_T6_T7_T8_P12ihipStream_tbENKUlT_T0_E_clISt17integral_constantIbLb1EESX_IbLb0EEEEDaST_SU_EUlST_E_NS1_11comp_targetILNS1_3genE5ELNS1_11target_archE942ELNS1_3gpuE9ELNS1_3repE0EEENS1_30default_config_static_selectorELNS0_4arch9wavefront6targetE1EEEvT1_
                                        ; -- End function
	.section	.AMDGPU.csdata,"",@progbits
; Kernel info:
; codeLenInByte = 0
; NumSgprs: 4
; NumVgprs: 0
; NumAgprs: 0
; TotalNumVgprs: 0
; ScratchSize: 0
; MemoryBound: 0
; FloatMode: 240
; IeeeMode: 1
; LDSByteSize: 0 bytes/workgroup (compile time only)
; SGPRBlocks: 0
; VGPRBlocks: 0
; NumSGPRsForWavesPerEU: 4
; NumVGPRsForWavesPerEU: 1
; AccumOffset: 4
; Occupancy: 8
; WaveLimiterHint : 0
; COMPUTE_PGM_RSRC2:SCRATCH_EN: 0
; COMPUTE_PGM_RSRC2:USER_SGPR: 6
; COMPUTE_PGM_RSRC2:TRAP_HANDLER: 0
; COMPUTE_PGM_RSRC2:TGID_X_EN: 1
; COMPUTE_PGM_RSRC2:TGID_Y_EN: 0
; COMPUTE_PGM_RSRC2:TGID_Z_EN: 0
; COMPUTE_PGM_RSRC2:TIDIG_COMP_CNT: 0
; COMPUTE_PGM_RSRC3_GFX90A:ACCUM_OFFSET: 0
; COMPUTE_PGM_RSRC3_GFX90A:TG_SPLIT: 0
	.section	.text._ZN7rocprim17ROCPRIM_400000_NS6detail17trampoline_kernelINS0_14default_configENS1_33run_length_encode_config_selectorIljNS0_4plusIjEEEEZZNS1_33reduce_by_key_impl_wrapped_configILNS1_25lookback_scan_determinismE0ES3_S7_PKlNS0_17constant_iteratorIjlEEPlSE_SE_S6_NS0_8equal_toIlEEEE10hipError_tPvRmT2_T3_mT4_T5_T6_T7_T8_P12ihipStream_tbENKUlT_T0_E_clISt17integral_constantIbLb1EESX_IbLb0EEEEDaST_SU_EUlST_E_NS1_11comp_targetILNS1_3genE4ELNS1_11target_archE910ELNS1_3gpuE8ELNS1_3repE0EEENS1_30default_config_static_selectorELNS0_4arch9wavefront6targetE1EEEvT1_,"axG",@progbits,_ZN7rocprim17ROCPRIM_400000_NS6detail17trampoline_kernelINS0_14default_configENS1_33run_length_encode_config_selectorIljNS0_4plusIjEEEEZZNS1_33reduce_by_key_impl_wrapped_configILNS1_25lookback_scan_determinismE0ES3_S7_PKlNS0_17constant_iteratorIjlEEPlSE_SE_S6_NS0_8equal_toIlEEEE10hipError_tPvRmT2_T3_mT4_T5_T6_T7_T8_P12ihipStream_tbENKUlT_T0_E_clISt17integral_constantIbLb1EESX_IbLb0EEEEDaST_SU_EUlST_E_NS1_11comp_targetILNS1_3genE4ELNS1_11target_archE910ELNS1_3gpuE8ELNS1_3repE0EEENS1_30default_config_static_selectorELNS0_4arch9wavefront6targetE1EEEvT1_,comdat
	.protected	_ZN7rocprim17ROCPRIM_400000_NS6detail17trampoline_kernelINS0_14default_configENS1_33run_length_encode_config_selectorIljNS0_4plusIjEEEEZZNS1_33reduce_by_key_impl_wrapped_configILNS1_25lookback_scan_determinismE0ES3_S7_PKlNS0_17constant_iteratorIjlEEPlSE_SE_S6_NS0_8equal_toIlEEEE10hipError_tPvRmT2_T3_mT4_T5_T6_T7_T8_P12ihipStream_tbENKUlT_T0_E_clISt17integral_constantIbLb1EESX_IbLb0EEEEDaST_SU_EUlST_E_NS1_11comp_targetILNS1_3genE4ELNS1_11target_archE910ELNS1_3gpuE8ELNS1_3repE0EEENS1_30default_config_static_selectorELNS0_4arch9wavefront6targetE1EEEvT1_ ; -- Begin function _ZN7rocprim17ROCPRIM_400000_NS6detail17trampoline_kernelINS0_14default_configENS1_33run_length_encode_config_selectorIljNS0_4plusIjEEEEZZNS1_33reduce_by_key_impl_wrapped_configILNS1_25lookback_scan_determinismE0ES3_S7_PKlNS0_17constant_iteratorIjlEEPlSE_SE_S6_NS0_8equal_toIlEEEE10hipError_tPvRmT2_T3_mT4_T5_T6_T7_T8_P12ihipStream_tbENKUlT_T0_E_clISt17integral_constantIbLb1EESX_IbLb0EEEEDaST_SU_EUlST_E_NS1_11comp_targetILNS1_3genE4ELNS1_11target_archE910ELNS1_3gpuE8ELNS1_3repE0EEENS1_30default_config_static_selectorELNS0_4arch9wavefront6targetE1EEEvT1_
	.globl	_ZN7rocprim17ROCPRIM_400000_NS6detail17trampoline_kernelINS0_14default_configENS1_33run_length_encode_config_selectorIljNS0_4plusIjEEEEZZNS1_33reduce_by_key_impl_wrapped_configILNS1_25lookback_scan_determinismE0ES3_S7_PKlNS0_17constant_iteratorIjlEEPlSE_SE_S6_NS0_8equal_toIlEEEE10hipError_tPvRmT2_T3_mT4_T5_T6_T7_T8_P12ihipStream_tbENKUlT_T0_E_clISt17integral_constantIbLb1EESX_IbLb0EEEEDaST_SU_EUlST_E_NS1_11comp_targetILNS1_3genE4ELNS1_11target_archE910ELNS1_3gpuE8ELNS1_3repE0EEENS1_30default_config_static_selectorELNS0_4arch9wavefront6targetE1EEEvT1_
	.p2align	8
	.type	_ZN7rocprim17ROCPRIM_400000_NS6detail17trampoline_kernelINS0_14default_configENS1_33run_length_encode_config_selectorIljNS0_4plusIjEEEEZZNS1_33reduce_by_key_impl_wrapped_configILNS1_25lookback_scan_determinismE0ES3_S7_PKlNS0_17constant_iteratorIjlEEPlSE_SE_S6_NS0_8equal_toIlEEEE10hipError_tPvRmT2_T3_mT4_T5_T6_T7_T8_P12ihipStream_tbENKUlT_T0_E_clISt17integral_constantIbLb1EESX_IbLb0EEEEDaST_SU_EUlST_E_NS1_11comp_targetILNS1_3genE4ELNS1_11target_archE910ELNS1_3gpuE8ELNS1_3repE0EEENS1_30default_config_static_selectorELNS0_4arch9wavefront6targetE1EEEvT1_,@function
_ZN7rocprim17ROCPRIM_400000_NS6detail17trampoline_kernelINS0_14default_configENS1_33run_length_encode_config_selectorIljNS0_4plusIjEEEEZZNS1_33reduce_by_key_impl_wrapped_configILNS1_25lookback_scan_determinismE0ES3_S7_PKlNS0_17constant_iteratorIjlEEPlSE_SE_S6_NS0_8equal_toIlEEEE10hipError_tPvRmT2_T3_mT4_T5_T6_T7_T8_P12ihipStream_tbENKUlT_T0_E_clISt17integral_constantIbLb1EESX_IbLb0EEEEDaST_SU_EUlST_E_NS1_11comp_targetILNS1_3genE4ELNS1_11target_archE910ELNS1_3gpuE8ELNS1_3repE0EEENS1_30default_config_static_selectorELNS0_4arch9wavefront6targetE1EEEvT1_: ; @_ZN7rocprim17ROCPRIM_400000_NS6detail17trampoline_kernelINS0_14default_configENS1_33run_length_encode_config_selectorIljNS0_4plusIjEEEEZZNS1_33reduce_by_key_impl_wrapped_configILNS1_25lookback_scan_determinismE0ES3_S7_PKlNS0_17constant_iteratorIjlEEPlSE_SE_S6_NS0_8equal_toIlEEEE10hipError_tPvRmT2_T3_mT4_T5_T6_T7_T8_P12ihipStream_tbENKUlT_T0_E_clISt17integral_constantIbLb1EESX_IbLb0EEEEDaST_SU_EUlST_E_NS1_11comp_targetILNS1_3genE4ELNS1_11target_archE910ELNS1_3gpuE8ELNS1_3repE0EEENS1_30default_config_static_selectorELNS0_4arch9wavefront6targetE1EEEvT1_
; %bb.0:
	s_load_dwordx8 s[24:31], s[4:5], 0x40
	s_load_dwordx4 s[0:3], s[4:5], 0x0
	s_load_dword s7, s[4:5], 0x10
	s_load_dwordx4 s[36:39], s[4:5], 0x60
	s_waitcnt lgkmcnt(0)
	s_mul_i32 s8, s28, s27
	s_mul_hi_u32 s9, s28, s26
	s_add_i32 s8, s9, s8
	s_mul_i32 s9, s29, s26
	s_add_i32 s8, s8, s9
	s_lshl_b64 s[2:3], s[2:3], 3
	s_add_u32 s2, s0, s2
	s_addc_u32 s3, s1, s3
	s_mul_i32 s0, s6, 0xa00
	s_mov_b32 s1, 0
	s_lshl_b64 s[0:1], s[0:1], 3
	s_mul_i32 s9, s28, s26
	s_add_u32 s28, s2, s0
	s_addc_u32 s29, s3, s1
	s_add_u32 s42, s9, s6
	s_addc_u32 s43, s8, 0
	s_add_u32 s2, s30, -1
	s_addc_u32 s3, s31, -1
	s_cmp_eq_u64 s[42:43], s[2:3]
	s_cselect_b64 s[22:23], -1, 0
	s_cmp_lg_u64 s[42:43], s[2:3]
	s_mov_b64 s[8:9], -1
	s_cselect_b64 s[0:1], -1, 0
	s_mul_i32 s33, s2, 0xfffff600
	s_and_b64 vcc, exec, s[22:23]
	s_cbranch_vccnz .LBB531_2
; %bb.1:
	v_lshlrev_b32_e32 v1, 3, v0
	v_mov_b32_e32 v2, s29
	v_add_co_u32_e32 v22, vcc, s28, v1
	v_addc_co_u32_e32 v23, vcc, 0, v2, vcc
	v_add_co_u32_e32 v2, vcc, 0x1000, v22
	v_addc_co_u32_e32 v3, vcc, 0, v23, vcc
	global_load_dwordx2 v[4:5], v1, s[28:29]
	global_load_dwordx2 v[6:7], v1, s[28:29] offset:2048
	global_load_dwordx2 v[8:9], v[2:3], off
	global_load_dwordx2 v[10:11], v[2:3], off offset:2048
	v_add_co_u32_e32 v2, vcc, 0x2000, v22
	v_addc_co_u32_e32 v3, vcc, 0, v23, vcc
	v_add_co_u32_e32 v12, vcc, 0x3000, v22
	v_addc_co_u32_e32 v13, vcc, 0, v23, vcc
	global_load_dwordx2 v[14:15], v[2:3], off
	global_load_dwordx2 v[16:17], v[2:3], off offset:2048
	global_load_dwordx2 v[18:19], v[12:13], off
	global_load_dwordx2 v[20:21], v[12:13], off offset:2048
	v_add_co_u32_e32 v2, vcc, 0x4000, v22
	v_addc_co_u32_e32 v3, vcc, 0, v23, vcc
	global_load_dwordx2 v[12:13], v[2:3], off
	global_load_dwordx2 v[22:23], v[2:3], off offset:2048
	s_movk_i32 s2, 0x48
	v_mad_u32_u24 v24, v0, s2, v1
	s_mov_b64 s[2:3], -1
	s_waitcnt vmcnt(8)
	ds_write2st64_b64 v1, v[4:5], v[6:7] offset1:4
	s_waitcnt vmcnt(6)
	ds_write2st64_b64 v1, v[8:9], v[10:11] offset0:8 offset1:12
	s_waitcnt vmcnt(4)
	ds_write2st64_b64 v1, v[14:15], v[16:17] offset0:16 offset1:20
	;; [unrolled: 2-line block ×4, first 2 shown]
	s_waitcnt lgkmcnt(0)
	s_barrier
	ds_read_b128 v[18:21], v24
	ds_read_b128 v[14:17], v24 offset:16
	ds_read_b128 v[10:13], v24 offset:32
	;; [unrolled: 1-line block ×4, first 2 shown]
	s_waitcnt lgkmcnt(4)
	v_mov_b32_e32 v26, v18
	v_mov_b32_e32 v27, v19
	s_waitcnt lgkmcnt(3)
	v_mov_b32_e32 v28, v14
	v_mov_b32_e32 v29, v15
	;; [unrolled: 3-line block ×4, first 2 shown]
	s_add_i32 s33, s33, s36
	s_cbranch_execz .LBB531_3
	s_branch .LBB531_24
.LBB531_2:
	s_mov_b64 s[2:3], 0
                                        ; implicit-def: $vgpr2_vgpr3
                                        ; implicit-def: $vgpr10_vgpr11
                                        ; implicit-def: $vgpr14_vgpr15
                                        ; implicit-def: $vgpr18_vgpr19
                                        ; implicit-def: $vgpr6_vgpr7
                                        ; implicit-def: $vgpr22_vgpr23_vgpr24_vgpr25
                                        ; implicit-def: $vgpr26_vgpr27_vgpr28_vgpr29
	s_add_i32 s33, s33, s36
	s_andn2_b64 vcc, exec, s[8:9]
	s_cbranch_vccnz .LBB531_24
.LBB531_3:
	v_cmp_gt_u32_e32 vcc, s33, v0
                                        ; implicit-def: $vgpr2_vgpr3
	s_and_saveexec_b64 s[2:3], vcc
	s_cbranch_execz .LBB531_5
; %bb.4:
	v_lshlrev_b32_e32 v1, 3, v0
	global_load_dwordx2 v[2:3], v1, s[28:29]
.LBB531_5:
	s_or_b64 exec, exec, s[2:3]
	v_or_b32_e32 v1, 0x100, v0
	v_cmp_gt_u32_e32 vcc, s33, v1
                                        ; implicit-def: $vgpr4_vgpr5
	s_and_saveexec_b64 s[2:3], vcc
	s_cbranch_execz .LBB531_7
; %bb.6:
	v_lshlrev_b32_e32 v1, 3, v0
	global_load_dwordx2 v[4:5], v1, s[28:29] offset:2048
.LBB531_7:
	s_or_b64 exec, exec, s[2:3]
	v_or_b32_e32 v1, 0x200, v0
	v_cmp_gt_u32_e32 vcc, s33, v1
                                        ; implicit-def: $vgpr6_vgpr7
	s_and_saveexec_b64 s[2:3], vcc
	s_cbranch_execz .LBB531_9
; %bb.8:
	v_lshlrev_b32_e32 v1, 3, v1
	s_waitcnt lgkmcnt(0)
	global_load_dwordx2 v[6:7], v1, s[28:29]
.LBB531_9:
	s_or_b64 exec, exec, s[2:3]
	v_or_b32_e32 v1, 0x300, v0
	v_cmp_gt_u32_e32 vcc, s33, v1
                                        ; implicit-def: $vgpr8_vgpr9
	s_and_saveexec_b64 s[2:3], vcc
	s_cbranch_execz .LBB531_11
; %bb.10:
	v_lshlrev_b32_e32 v1, 3, v1
	s_waitcnt lgkmcnt(0)
	global_load_dwordx2 v[8:9], v1, s[28:29]
.LBB531_11:
	s_or_b64 exec, exec, s[2:3]
	v_or_b32_e32 v1, 0x400, v0
	v_cmp_gt_u32_e32 vcc, s33, v1
                                        ; implicit-def: $vgpr10_vgpr11
	s_and_saveexec_b64 s[2:3], vcc
	s_cbranch_execz .LBB531_13
; %bb.12:
	v_lshlrev_b32_e32 v1, 3, v1
	global_load_dwordx2 v[10:11], v1, s[28:29]
.LBB531_13:
	s_or_b64 exec, exec, s[2:3]
	v_or_b32_e32 v1, 0x500, v0
	v_cmp_gt_u32_e32 vcc, s33, v1
                                        ; implicit-def: $vgpr12_vgpr13
	s_and_saveexec_b64 s[2:3], vcc
	s_cbranch_execz .LBB531_15
; %bb.14:
	v_lshlrev_b32_e32 v1, 3, v1
	global_load_dwordx2 v[12:13], v1, s[28:29]
.LBB531_15:
	s_or_b64 exec, exec, s[2:3]
	v_or_b32_e32 v1, 0x600, v0
	v_cmp_gt_u32_e32 vcc, s33, v1
                                        ; implicit-def: $vgpr14_vgpr15
	s_and_saveexec_b64 s[2:3], vcc
	s_cbranch_execz .LBB531_17
; %bb.16:
	v_lshlrev_b32_e32 v1, 3, v1
	global_load_dwordx2 v[14:15], v1, s[28:29]
.LBB531_17:
	s_or_b64 exec, exec, s[2:3]
	v_or_b32_e32 v1, 0x700, v0
	v_cmp_gt_u32_e32 vcc, s33, v1
                                        ; implicit-def: $vgpr16_vgpr17
	s_and_saveexec_b64 s[2:3], vcc
	s_cbranch_execz .LBB531_19
; %bb.18:
	v_lshlrev_b32_e32 v1, 3, v1
	global_load_dwordx2 v[16:17], v1, s[28:29]
.LBB531_19:
	s_or_b64 exec, exec, s[2:3]
	v_or_b32_e32 v1, 0x800, v0
	v_cmp_gt_u32_e32 vcc, s33, v1
                                        ; implicit-def: $vgpr18_vgpr19
	s_and_saveexec_b64 s[2:3], vcc
	s_cbranch_execz .LBB531_21
; %bb.20:
	v_lshlrev_b32_e32 v1, 3, v1
	global_load_dwordx2 v[18:19], v1, s[28:29]
.LBB531_21:
	s_or_b64 exec, exec, s[2:3]
	v_or_b32_e32 v1, 0x900, v0
	v_cmp_gt_u32_e32 vcc, s33, v1
                                        ; implicit-def: $vgpr20_vgpr21
	s_and_saveexec_b64 s[2:3], vcc
	s_cbranch_execz .LBB531_23
; %bb.22:
	v_lshlrev_b32_e32 v1, 3, v1
	global_load_dwordx2 v[20:21], v1, s[28:29]
.LBB531_23:
	s_or_b64 exec, exec, s[2:3]
	v_lshlrev_b32_e32 v1, 3, v0
	s_movk_i32 s2, 0x48
	s_waitcnt vmcnt(0)
	ds_write2st64_b64 v1, v[2:3], v[4:5] offset1:4
	s_waitcnt lgkmcnt(1)
	ds_write2st64_b64 v1, v[6:7], v[8:9] offset0:8 offset1:12
	ds_write2st64_b64 v1, v[10:11], v[12:13] offset0:16 offset1:20
	;; [unrolled: 1-line block ×4, first 2 shown]
	v_mad_u32_u24 v1, v0, s2, v1
	s_waitcnt lgkmcnt(0)
	s_barrier
	ds_read_b128 v[18:21], v1
	ds_read_b128 v[14:17], v1 offset:16
	ds_read_b128 v[10:13], v1 offset:32
	;; [unrolled: 1-line block ×4, first 2 shown]
	v_mad_u32_u24 v1, v0, 10, 9
	v_cmp_gt_u32_e64 s[2:3], s33, v1
	s_waitcnt lgkmcnt(4)
	v_mov_b32_e32 v26, v18
	v_mov_b32_e32 v27, v19
	s_waitcnt lgkmcnt(3)
	v_mov_b32_e32 v28, v14
	v_mov_b32_e32 v29, v15
	;; [unrolled: 3-line block ×4, first 2 shown]
.LBB531_24:
	v_mov_b32_e32 v48, s7
                                        ; implicit-def: $vgpr49
	s_and_saveexec_b64 s[8:9], s[2:3]
; %bb.25:
	v_mov_b32_e32 v49, s7
; %bb.26:
	s_or_b64 exec, exec, s[8:9]
	s_load_dwordx2 s[40:41], s[4:5], 0x70
	s_cmp_eq_u64 s[42:43], 0
	s_cselect_b64 s[34:35], -1, 0
	s_cmp_lg_u64 s[42:43], 0
	s_mov_b64 s[2:3], 0
	s_cselect_b64 s[30:31], -1, 0
	s_and_b64 vcc, exec, s[0:1]
	s_waitcnt lgkmcnt(0)
	s_barrier
	s_cbranch_vccz .LBB531_32
; %bb.27:
	s_and_b64 vcc, exec, s[30:31]
	s_cbranch_vccz .LBB531_33
; %bb.28:
	s_add_u32 s0, s28, -8
	s_addc_u32 s1, s29, -1
	s_load_dwordx2 s[44:45], s[0:1], 0x0
	v_lshlrev_b32_e32 v1, 3, v0
	v_cmp_ne_u64_e32 vcc, v[6:7], v[8:9]
	v_cmp_ne_u64_e64 s[0:1], v[4:5], v[6:7]
	v_cmp_ne_u64_e64 s[2:3], v[2:3], v[4:5]
	;; [unrolled: 1-line block ×8, first 2 shown]
	v_cmp_ne_u32_e64 s[20:21], 0, v0
	s_waitcnt lgkmcnt(0)
	v_pk_mov_b32 v[30:31], s[44:45], s[44:45] op_sel:[0,1]
	ds_write_b64 v1, v[8:9]
	s_waitcnt lgkmcnt(0)
	s_barrier
	s_and_saveexec_b64 s[44:45], s[20:21]
	s_cbranch_execz .LBB531_30
; %bb.29:
	v_add_u32_e32 v1, -8, v1
	ds_read_b64 v[30:31], v1
.LBB531_30:
	s_or_b64 exec, exec, s[44:45]
	v_cndmask_b32_e64 v1, 0, 1, vcc
	v_cndmask_b32_e64 v54, 0, 1, s[0:1]
	v_cndmask_b32_e64 v55, 0, 1, s[2:3]
	;; [unrolled: 1-line block ×8, first 2 shown]
	s_waitcnt lgkmcnt(0)
	v_cmp_ne_u64_e64 s[0:1], v[30:31], v[18:19]
	s_mov_b64 s[2:3], -1
.LBB531_31:
                                        ; implicit-def: $sgpr7
	s_branch .LBB531_45
.LBB531_32:
                                        ; implicit-def: $sgpr0_sgpr1
                                        ; implicit-def: $vgpr1
                                        ; implicit-def: $vgpr54
                                        ; implicit-def: $vgpr55
                                        ; implicit-def: $vgpr56
                                        ; implicit-def: $vgpr57
                                        ; implicit-def: $vgpr58
                                        ; implicit-def: $vgpr59
                                        ; implicit-def: $vgpr60
                                        ; implicit-def: $vgpr61
                                        ; implicit-def: $sgpr7
	s_cbranch_execnz .LBB531_37
	s_branch .LBB531_45
.LBB531_33:
                                        ; implicit-def: $sgpr0_sgpr1
                                        ; implicit-def: $vgpr1
                                        ; implicit-def: $vgpr54
                                        ; implicit-def: $vgpr55
                                        ; implicit-def: $vgpr56
                                        ; implicit-def: $vgpr57
                                        ; implicit-def: $vgpr58
                                        ; implicit-def: $vgpr59
                                        ; implicit-def: $vgpr60
                                        ; implicit-def: $vgpr61
	s_cbranch_execz .LBB531_31
; %bb.34:
	v_cmp_ne_u64_e32 vcc, v[6:7], v[8:9]
	v_cndmask_b32_e64 v1, 0, 1, vcc
	v_cmp_ne_u64_e32 vcc, v[20:21], v[26:27]
	v_cndmask_b32_e64 v61, 0, 1, vcc
	;; [unrolled: 2-line block ×8, first 2 shown]
	v_cmp_ne_u64_e32 vcc, v[6:7], v[4:5]
	v_lshlrev_b32_e32 v30, 3, v0
	v_cndmask_b32_e64 v54, 0, 1, vcc
	v_cmp_ne_u32_e32 vcc, 0, v0
	ds_write_b64 v30, v[8:9]
	s_waitcnt lgkmcnt(0)
	s_barrier
	s_waitcnt lgkmcnt(0)
                                        ; implicit-def: $sgpr0_sgpr1
	s_and_saveexec_b64 s[8:9], vcc
	s_xor_b64 s[8:9], exec, s[8:9]
	s_cbranch_execz .LBB531_36
; %bb.35:
	v_add_u32_e32 v22, -8, v30
	ds_read_b64 v[22:23], v22
	s_or_b64 s[2:3], s[2:3], exec
	s_waitcnt lgkmcnt(0)
	v_cmp_ne_u64_e32 vcc, v[22:23], v[18:19]
	s_and_b64 s[0:1], vcc, exec
.LBB531_36:
	s_or_b64 exec, exec, s[8:9]
	s_mov_b32 s7, 1
	s_branch .LBB531_45
.LBB531_37:
	s_mul_hi_u32 s1, s42, 0xfffff600
	s_mul_i32 s0, s43, 0xfffff600
	s_sub_i32 s1, s1, s42
	s_add_i32 s1, s1, s0
	s_mul_i32 s0, s42, 0xfffff600
	s_add_u32 s8, s0, s36
	s_addc_u32 s9, s1, s37
	s_and_b64 vcc, exec, s[30:31]
	s_cbranch_vccz .LBB531_42
; %bb.38:
	s_add_u32 s0, s28, -8
	s_addc_u32 s1, s29, -1
	v_mad_u32_u24 v24, v0, 10, 9
	v_mov_b32_e32 v25, 0
	s_load_dwordx2 s[30:31], s[0:1], 0x0
	v_cmp_gt_u64_e32 vcc, s[8:9], v[24:25]
	v_cmp_ne_u64_e64 s[0:1], v[6:7], v[8:9]
	v_mad_u32_u24 v24, v0, 10, 8
	s_and_b64 s[2:3], vcc, s[0:1]
	v_cmp_gt_u64_e32 vcc, s[8:9], v[24:25]
	v_cmp_ne_u64_e64 s[0:1], v[4:5], v[6:7]
	v_mad_u32_u24 v24, v0, 10, 7
	s_and_b64 s[10:11], vcc, s[0:1]
	v_cmp_gt_u64_e32 vcc, s[8:9], v[24:25]
	v_cmp_ne_u64_e64 s[0:1], v[2:3], v[4:5]
	v_mad_u32_u24 v24, v0, 10, 6
	s_and_b64 s[12:13], vcc, s[0:1]
	v_cmp_gt_u64_e32 vcc, s[8:9], v[24:25]
	v_cmp_ne_u64_e64 s[0:1], v[12:13], v[2:3]
	v_mad_u32_u24 v24, v0, 10, 5
	s_and_b64 s[14:15], vcc, s[0:1]
	v_cmp_gt_u64_e32 vcc, s[8:9], v[24:25]
	v_cmp_ne_u64_e64 s[0:1], v[10:11], v[12:13]
	v_mad_u32_u24 v24, v0, 10, 4
	s_and_b64 s[16:17], vcc, s[0:1]
	v_cmp_gt_u64_e32 vcc, s[8:9], v[24:25]
	v_cmp_ne_u64_e64 s[0:1], v[16:17], v[10:11]
	v_mad_u32_u24 v24, v0, 10, 3
	v_mul_u32_u24_e32 v22, 10, v0
	s_and_b64 s[18:19], vcc, s[0:1]
	v_cmp_gt_u64_e32 vcc, s[8:9], v[24:25]
	v_cmp_ne_u64_e64 s[0:1], v[14:15], v[16:17]
	v_mad_u32_u24 v24, v0, 10, 2
	s_and_b64 s[20:21], vcc, s[0:1]
	v_cmp_gt_u64_e32 vcc, s[8:9], v[24:25]
	v_cmp_ne_u64_e64 s[0:1], v[20:21], v[14:15]
	v_or_b32_e32 v24, 1, v22
	s_and_b64 s[28:29], vcc, s[0:1]
	v_cmp_gt_u64_e32 vcc, s[8:9], v[24:25]
	v_cmp_ne_u64_e64 s[0:1], v[18:19], v[20:21]
	v_lshlrev_b32_e32 v1, 3, v0
	s_and_b64 s[0:1], vcc, s[0:1]
	v_cmp_ne_u32_e32 vcc, 0, v0
	s_waitcnt lgkmcnt(0)
	v_pk_mov_b32 v[26:27], s[30:31], s[30:31] op_sel:[0,1]
	ds_write_b64 v1, v[8:9]
	s_waitcnt lgkmcnt(0)
	s_barrier
	s_and_saveexec_b64 s[30:31], vcc
	s_cbranch_execz .LBB531_40
; %bb.39:
	v_add_u32_e32 v1, -8, v1
	ds_read_b64 v[26:27], v1
.LBB531_40:
	s_or_b64 exec, exec, s[30:31]
	v_mov_b32_e32 v23, v25
	v_cndmask_b32_e64 v61, 0, 1, s[0:1]
	v_cmp_gt_u64_e32 vcc, s[8:9], v[22:23]
	s_waitcnt lgkmcnt(0)
	v_cmp_ne_u64_e64 s[0:1], v[26:27], v[18:19]
	v_cndmask_b32_e64 v1, 0, 1, s[2:3]
	v_cndmask_b32_e64 v54, 0, 1, s[10:11]
	v_cndmask_b32_e64 v55, 0, 1, s[12:13]
	v_cndmask_b32_e64 v56, 0, 1, s[14:15]
	v_cndmask_b32_e64 v57, 0, 1, s[16:17]
	v_cndmask_b32_e64 v58, 0, 1, s[18:19]
	v_cndmask_b32_e64 v59, 0, 1, s[20:21]
	v_cndmask_b32_e64 v60, 0, 1, s[28:29]
	s_and_b64 s[0:1], vcc, s[0:1]
	s_mov_b64 s[2:3], -1
.LBB531_41:
                                        ; implicit-def: $sgpr7
	v_mov_b32_e32 v62, s7
	s_and_saveexec_b64 s[8:9], s[2:3]
	s_cbranch_execnz .LBB531_46
	s_branch .LBB531_47
.LBB531_42:
                                        ; implicit-def: $sgpr0_sgpr1
                                        ; implicit-def: $vgpr1
                                        ; implicit-def: $vgpr54
                                        ; implicit-def: $vgpr55
                                        ; implicit-def: $vgpr56
                                        ; implicit-def: $vgpr57
                                        ; implicit-def: $vgpr58
                                        ; implicit-def: $vgpr59
                                        ; implicit-def: $vgpr60
                                        ; implicit-def: $vgpr61
	s_cbranch_execz .LBB531_41
; %bb.43:
	v_mad_u32_u24 v24, v0, 10, 9
	v_mov_b32_e32 v25, 0
	v_cmp_gt_u64_e32 vcc, s[8:9], v[24:25]
	v_cmp_ne_u64_e64 s[0:1], v[6:7], v[8:9]
	s_and_b64 s[0:1], vcc, s[0:1]
	v_mad_u32_u24 v24, v0, 10, 8
	v_cndmask_b32_e64 v1, 0, 1, s[0:1]
	v_cmp_gt_u64_e32 vcc, s[8:9], v[24:25]
	v_cmp_ne_u64_e64 s[0:1], v[4:5], v[6:7]
	s_and_b64 s[0:1], vcc, s[0:1]
	v_mad_u32_u24 v24, v0, 10, 7
	v_cndmask_b32_e64 v54, 0, 1, s[0:1]
	;; [unrolled: 5-line block ×6, first 2 shown]
	v_cmp_gt_u64_e32 vcc, s[8:9], v[24:25]
	v_cmp_ne_u64_e64 s[0:1], v[14:15], v[16:17]
	s_and_b64 s[0:1], vcc, s[0:1]
	v_mad_u32_u24 v24, v0, 10, 2
	v_mul_u32_u24_e32 v22, 10, v0
	v_cndmask_b32_e64 v59, 0, 1, s[0:1]
	v_cmp_gt_u64_e32 vcc, s[8:9], v[24:25]
	v_cmp_ne_u64_e64 s[0:1], v[20:21], v[14:15]
	s_and_b64 s[0:1], vcc, s[0:1]
	v_or_b32_e32 v24, 1, v22
	v_cndmask_b32_e64 v60, 0, 1, s[0:1]
	v_cmp_gt_u64_e32 vcc, s[8:9], v[24:25]
	v_cmp_ne_u64_e64 s[0:1], v[18:19], v[20:21]
	s_and_b64 s[0:1], vcc, s[0:1]
	v_lshlrev_b32_e32 v23, 3, v0
	s_mov_b32 s7, 1
	v_cndmask_b32_e64 v61, 0, 1, s[0:1]
	v_cmp_ne_u32_e32 vcc, 0, v0
	ds_write_b64 v23, v[8:9]
	s_waitcnt lgkmcnt(0)
	s_barrier
	s_waitcnt lgkmcnt(0)
                                        ; implicit-def: $sgpr0_sgpr1
	s_and_saveexec_b64 s[10:11], vcc
	s_cbranch_execz .LBB531_130
; %bb.44:
	v_add_u32_e32 v23, -8, v23
	ds_read_b64 v[26:27], v23
	v_mov_b32_e32 v23, v25
	v_cmp_gt_u64_e32 vcc, s[8:9], v[22:23]
	s_or_b64 s[2:3], s[2:3], exec
	s_waitcnt lgkmcnt(0)
	v_cmp_ne_u64_e64 s[0:1], v[26:27], v[18:19]
	s_and_b64 s[0:1], vcc, s[0:1]
	s_and_b64 s[0:1], s[0:1], exec
	s_or_b64 exec, exec, s[10:11]
.LBB531_45:
	v_mov_b32_e32 v62, s7
	s_and_saveexec_b64 s[8:9], s[2:3]
.LBB531_46:
	v_cndmask_b32_e64 v62, 0, 1, s[0:1]
.LBB531_47:
	s_or_b64 exec, exec, s[8:9]
	s_load_dwordx4 s[28:31], s[4:5], 0x20
	s_load_dwordx2 s[36:37], s[4:5], 0x30
	s_cmp_eq_u64 s[26:27], 0
	v_add_u32_e32 v22, v61, v62
	s_cselect_b64 s[26:27], -1, 0
	s_cmp_lg_u32 s6, 0
	v_cmp_eq_u32_e64 s[14:15], 0, v61
	v_cmp_eq_u32_e64 s[12:13], 0, v60
	v_add3_u32 v53, v22, v60, v59
	v_cmp_eq_u32_e64 s[10:11], 0, v59
	v_cmp_eq_u32_e64 s[8:9], 0, v58
	;; [unrolled: 1-line block ×6, first 2 shown]
	v_cmp_eq_u32_e32 vcc, 0, v1
	v_mbcnt_lo_u32_b32 v52, -1, 0
	v_lshrrev_b32_e32 v50, 6, v0
	v_or_b32_e32 v51, 63, v0
	s_cbranch_scc0 .LBB531_78
; %bb.48:
	v_cndmask_b32_e64 v22, 0, v48, s[14:15]
	v_add_u32_e32 v22, v22, v48
	v_cndmask_b32_e64 v22, 0, v22, s[12:13]
	v_add_u32_e32 v22, v22, v48
	;; [unrolled: 2-line block ×7, first 2 shown]
	v_cndmask_b32_e64 v22, 0, v22, s[0:1]
	v_add3_u32 v23, v53, v58, v57
	v_add_u32_e32 v22, v22, v48
	v_add3_u32 v23, v23, v56, v55
	v_cndmask_b32_e32 v22, 0, v22, vcc
	v_add3_u32 v23, v23, v54, v1
	v_add_u32_e32 v22, v22, v49
	v_mbcnt_hi_u32_b32 v31, -1, v52
	v_and_b32_e32 v24, 15, v31
	v_mov_b32_dpp v26, v22 row_shr:1 row_mask:0xf bank_mask:0xf
	v_cmp_eq_u32_e32 vcc, 0, v23
	v_mov_b32_dpp v25, v23 row_shr:1 row_mask:0xf bank_mask:0xf
	v_cndmask_b32_e32 v26, 0, v26, vcc
	v_cmp_eq_u32_e32 vcc, 0, v24
	v_cndmask_b32_e64 v25, v25, 0, vcc
	v_add_u32_e32 v23, v25, v23
	v_cndmask_b32_e64 v25, v26, 0, vcc
	v_add_u32_e32 v22, v25, v22
	v_cmp_eq_u32_e32 vcc, 0, v23
	v_mov_b32_dpp v25, v23 row_shr:2 row_mask:0xf bank_mask:0xf
	v_cmp_lt_u32_e64 s[16:17], 1, v24
	v_mov_b32_dpp v26, v22 row_shr:2 row_mask:0xf bank_mask:0xf
	v_cndmask_b32_e64 v25, 0, v25, s[16:17]
	s_and_b64 vcc, s[16:17], vcc
	v_cndmask_b32_e32 v26, 0, v26, vcc
	v_add_u32_e32 v23, v23, v25
	v_add_u32_e32 v22, v26, v22
	v_cmp_eq_u32_e32 vcc, 0, v23
	v_mov_b32_dpp v25, v23 row_shr:4 row_mask:0xf bank_mask:0xf
	v_cmp_lt_u32_e64 s[16:17], 3, v24
	v_mov_b32_dpp v26, v22 row_shr:4 row_mask:0xf bank_mask:0xf
	v_cndmask_b32_e64 v25, 0, v25, s[16:17]
	s_and_b64 vcc, s[16:17], vcc
	v_cndmask_b32_e32 v26, 0, v26, vcc
	v_add_u32_e32 v23, v25, v23
	v_add_u32_e32 v22, v22, v26
	v_cmp_eq_u32_e32 vcc, 0, v23
	v_cmp_lt_u32_e64 s[16:17], 7, v24
	v_mov_b32_dpp v25, v23 row_shr:8 row_mask:0xf bank_mask:0xf
	v_mov_b32_dpp v26, v22 row_shr:8 row_mask:0xf bank_mask:0xf
	s_and_b64 vcc, s[16:17], vcc
	v_cndmask_b32_e64 v24, 0, v25, s[16:17]
	v_cndmask_b32_e32 v25, 0, v26, vcc
	v_add_u32_e32 v22, v25, v22
	v_add_u32_e32 v23, v24, v23
	v_bfe_i32 v26, v31, 4, 1
	v_mov_b32_dpp v25, v22 row_bcast:15 row_mask:0xf bank_mask:0xf
	v_mov_b32_dpp v24, v23 row_bcast:15 row_mask:0xf bank_mask:0xf
	v_cmp_eq_u32_e32 vcc, 0, v23
	v_cndmask_b32_e32 v25, 0, v25, vcc
	v_and_b32_e32 v24, v26, v24
	v_add_u32_e32 v23, v24, v23
	v_and_b32_e32 v24, v26, v25
	v_add_u32_e32 v24, v24, v22
	v_mov_b32_dpp v22, v23 row_bcast:31 row_mask:0xf bank_mask:0xf
	v_cmp_eq_u32_e32 vcc, 0, v23
	v_cmp_lt_u32_e64 s[16:17], 31, v31
	v_mov_b32_dpp v25, v24 row_bcast:31 row_mask:0xf bank_mask:0xf
	v_cndmask_b32_e64 v22, 0, v22, s[16:17]
	s_and_b64 vcc, s[16:17], vcc
	v_add_u32_e32 v22, v22, v23
	v_cndmask_b32_e32 v23, 0, v25, vcc
	v_add_u32_e32 v23, v23, v24
	v_cmp_eq_u32_e32 vcc, v51, v0
	v_lshlrev_b32_e32 v24, 3, v50
	s_and_saveexec_b64 s[16:17], vcc
	s_cbranch_execz .LBB531_50
; %bb.49:
	ds_write_b64 v24, v[22:23] offset:4112
.LBB531_50:
	s_or_b64 exec, exec, s[16:17]
	v_cmp_gt_u32_e32 vcc, 4, v0
	s_waitcnt lgkmcnt(0)
	s_barrier
	s_and_saveexec_b64 s[20:21], vcc
	s_cbranch_execz .LBB531_52
; %bb.51:
	v_lshlrev_b32_e32 v25, 3, v0
	ds_read_b64 v[26:27], v25 offset:4112
	v_and_b32_e32 v28, 3, v31
	v_cmp_lt_u32_e64 s[16:17], 1, v28
	s_waitcnt lgkmcnt(0)
	v_mov_b32_dpp v30, v27 row_shr:1 row_mask:0xf bank_mask:0xf
	v_cmp_eq_u32_e32 vcc, 0, v26
	v_mov_b32_dpp v29, v26 row_shr:1 row_mask:0xf bank_mask:0xf
	v_cndmask_b32_e32 v30, 0, v30, vcc
	v_cmp_eq_u32_e32 vcc, 0, v28
	v_cndmask_b32_e64 v29, v29, 0, vcc
	v_add_u32_e32 v26, v29, v26
	v_cndmask_b32_e64 v29, v30, 0, vcc
	v_add_u32_e32 v27, v29, v27
	v_cmp_eq_u32_e32 vcc, 0, v26
	v_mov_b32_dpp v29, v26 row_shr:2 row_mask:0xf bank_mask:0xf
	v_mov_b32_dpp v30, v27 row_shr:2 row_mask:0xf bank_mask:0xf
	v_cndmask_b32_e64 v28, 0, v29, s[16:17]
	s_and_b64 vcc, s[16:17], vcc
	v_add_u32_e32 v26, v28, v26
	v_cndmask_b32_e32 v28, 0, v30, vcc
	v_add_u32_e32 v27, v28, v27
	ds_write_b64 v25, v[26:27] offset:4112
.LBB531_52:
	s_or_b64 exec, exec, s[20:21]
	v_cmp_gt_u32_e32 vcc, 64, v0
	v_cmp_lt_u32_e64 s[16:17], 63, v0
	v_mov_b32_e32 v28, 0
	v_mov_b32_e32 v29, 0
	s_waitcnt lgkmcnt(0)
	s_barrier
	s_and_saveexec_b64 s[20:21], s[16:17]
	s_cbranch_execz .LBB531_54
; %bb.53:
	ds_read_b64 v[28:29], v24 offset:4104
	v_cmp_eq_u32_e64 s[16:17], 0, v22
	s_waitcnt lgkmcnt(0)
	v_add_u32_e32 v24, v28, v22
	v_cndmask_b32_e64 v22, 0, v29, s[16:17]
	v_add_u32_e32 v23, v22, v23
	v_mov_b32_e32 v22, v24
.LBB531_54:
	s_or_b64 exec, exec, s[20:21]
	v_add_u32_e32 v24, -1, v31
	v_and_b32_e32 v25, 64, v31
	v_cmp_lt_i32_e64 s[16:17], v24, v25
	v_cndmask_b32_e64 v24, v24, v31, s[16:17]
	v_lshlrev_b32_e32 v24, 2, v24
	ds_bpermute_b32 v36, v24, v22
	ds_bpermute_b32 v37, v24, v23
	v_cmp_eq_u32_e64 s[16:17], 0, v31
	s_and_saveexec_b64 s[42:43], vcc
	s_cbranch_execz .LBB531_77
; %bb.55:
	v_mov_b32_e32 v27, 0
	ds_read_b64 v[22:23], v27 offset:4136
	s_waitcnt lgkmcnt(0)
	v_readfirstlane_b32 s7, v22
	v_readfirstlane_b32 s46, v23
	s_and_saveexec_b64 s[20:21], s[16:17]
	s_cbranch_execz .LBB531_57
; %bb.56:
	s_add_i32 s44, s6, 64
	s_mov_b32 s45, 0
	s_lshl_b64 s[48:49], s[44:45], 4
	s_add_u32 s48, s24, s48
	s_addc_u32 s49, s25, s49
	s_and_b32 s51, s46, 0xff000000
	s_mov_b32 s50, s45
	s_and_b32 s53, s46, 0xff0000
	s_mov_b32 s52, s45
	s_or_b64 s[50:51], s[52:53], s[50:51]
	s_and_b32 s53, s46, 0xff00
	s_or_b64 s[50:51], s[50:51], s[52:53]
	s_and_b32 s53, s46, 0xff
	s_or_b64 s[44:45], s[50:51], s[52:53]
	v_mov_b32_e32 v24, s7
	v_mov_b32_e32 v25, s45
	;; [unrolled: 1-line block ×3, first 2 shown]
	v_pk_mov_b32 v[22:23], s[48:49], s[48:49] op_sel:[0,1]
	;;#ASMSTART
	global_store_dwordx4 v[22:23], v[24:27] off	
s_waitcnt vmcnt(0)
	;;#ASMEND
.LBB531_57:
	s_or_b64 exec, exec, s[20:21]
	v_xad_u32 v30, v31, -1, s6
	v_add_u32_e32 v26, 64, v30
	v_lshlrev_b64 v[22:23], 4, v[26:27]
	v_mov_b32_e32 v24, s25
	v_add_co_u32_e32 v32, vcc, s24, v22
	v_addc_co_u32_e32 v33, vcc, v24, v23, vcc
	;;#ASMSTART
	global_load_dwordx4 v[22:25], v[32:33] off glc	
s_waitcnt vmcnt(0)
	;;#ASMEND
	v_and_b32_e32 v25, 0xff, v23
	v_and_b32_e32 v26, 0xff00, v23
	v_or3_b32 v25, 0, v25, v26
	v_or3_b32 v22, v22, 0, 0
	v_and_b32_e32 v26, 0xff000000, v23
	v_and_b32_e32 v23, 0xff0000, v23
	v_or3_b32 v23, v25, v23, v26
	v_or3_b32 v22, v22, 0, 0
	v_cmp_eq_u16_sdwa s[44:45], v24, v27 src0_sel:BYTE_0 src1_sel:DWORD
	s_and_saveexec_b64 s[20:21], s[44:45]
	s_cbranch_execz .LBB531_63
; %bb.58:
	s_mov_b32 s47, 1
	s_mov_b64 s[44:45], 0
	v_mov_b32_e32 v26, 0
.LBB531_59:                             ; =>This Loop Header: Depth=1
                                        ;     Child Loop BB531_60 Depth 2
	s_max_u32 s48, s47, 1
.LBB531_60:                             ;   Parent Loop BB531_59 Depth=1
                                        ; =>  This Inner Loop Header: Depth=2
	s_add_i32 s48, s48, -1
	s_cmp_eq_u32 s48, 0
	s_sleep 1
	s_cbranch_scc0 .LBB531_60
; %bb.61:                               ;   in Loop: Header=BB531_59 Depth=1
	s_cmp_lt_u32 s47, 32
	s_cselect_b64 s[48:49], -1, 0
	s_cmp_lg_u64 s[48:49], 0
	s_addc_u32 s47, s47, 0
	;;#ASMSTART
	global_load_dwordx4 v[22:25], v[32:33] off glc	
s_waitcnt vmcnt(0)
	;;#ASMEND
	v_cmp_ne_u16_sdwa s[48:49], v24, v26 src0_sel:BYTE_0 src1_sel:DWORD
	s_or_b64 s[44:45], s[48:49], s[44:45]
	s_andn2_b64 exec, exec, s[44:45]
	s_cbranch_execnz .LBB531_59
; %bb.62:
	s_or_b64 exec, exec, s[44:45]
.LBB531_63:
	s_or_b64 exec, exec, s[20:21]
	v_mov_b32_e32 v38, 2
	v_cmp_eq_u16_sdwa s[20:21], v24, v38 src0_sel:BYTE_0 src1_sel:DWORD
	v_lshlrev_b64 v[32:33], v31, -1
	v_and_b32_e32 v25, s21, v33
	v_and_b32_e32 v39, 63, v31
	v_or_b32_e32 v25, 0x80000000, v25
	v_cmp_ne_u32_e32 vcc, 63, v39
	v_and_b32_e32 v26, s20, v32
	v_ffbl_b32_e32 v25, v25
	v_addc_co_u32_e32 v27, vcc, 0, v31, vcc
	v_add_u32_e32 v25, 32, v25
	v_ffbl_b32_e32 v26, v26
	v_lshlrev_b32_e32 v40, 2, v27
	v_min_u32_e32 v25, v26, v25
	ds_bpermute_b32 v26, v40, v23
	v_cmp_eq_u32_e32 vcc, 0, v22
	v_cmp_lt_u32_e64 s[20:21], v39, v25
	ds_bpermute_b32 v27, v40, v22
	s_and_b64 vcc, s[20:21], vcc
	s_waitcnt lgkmcnt(1)
	v_cndmask_b32_e32 v26, 0, v26, vcc
	v_cmp_gt_u32_e32 vcc, 62, v39
	v_add_u32_e32 v23, v26, v23
	v_cndmask_b32_e64 v26, 0, 1, vcc
	v_lshlrev_b32_e32 v26, 1, v26
	v_add_lshl_u32 v41, v26, v31, 2
	s_waitcnt lgkmcnt(0)
	v_cndmask_b32_e64 v27, 0, v27, s[20:21]
	ds_bpermute_b32 v26, v41, v23
	v_add_u32_e32 v22, v27, v22
	ds_bpermute_b32 v27, v41, v22
	v_add_u32_e32 v42, 2, v39
	v_cmp_eq_u32_e32 vcc, 0, v22
	s_waitcnt lgkmcnt(1)
	v_cndmask_b32_e32 v26, 0, v26, vcc
	v_cmp_gt_u32_e32 vcc, v42, v25
	v_cndmask_b32_e64 v26, v26, 0, vcc
	v_add_u32_e32 v23, v26, v23
	s_waitcnt lgkmcnt(0)
	v_cndmask_b32_e64 v26, v27, 0, vcc
	v_cmp_gt_u32_e32 vcc, 60, v39
	v_cndmask_b32_e64 v27, 0, 1, vcc
	v_lshlrev_b32_e32 v27, 2, v27
	v_add_lshl_u32 v43, v27, v31, 2
	ds_bpermute_b32 v27, v43, v23
	v_add_u32_e32 v22, v22, v26
	ds_bpermute_b32 v26, v43, v22
	v_add_u32_e32 v44, 4, v39
	v_cmp_eq_u32_e32 vcc, 0, v22
	s_waitcnt lgkmcnt(1)
	v_cndmask_b32_e32 v27, 0, v27, vcc
	v_cmp_gt_u32_e32 vcc, v44, v25
	v_cndmask_b32_e64 v27, v27, 0, vcc
	s_waitcnt lgkmcnt(0)
	v_cndmask_b32_e64 v26, v26, 0, vcc
	v_cmp_gt_u32_e32 vcc, 56, v39
	v_add_u32_e32 v23, v23, v27
	v_cndmask_b32_e64 v27, 0, 1, vcc
	v_lshlrev_b32_e32 v27, 3, v27
	v_add_lshl_u32 v45, v27, v31, 2
	ds_bpermute_b32 v27, v45, v23
	v_add_u32_e32 v22, v22, v26
	ds_bpermute_b32 v26, v45, v22
	v_add_u32_e32 v46, 8, v39
	v_cmp_eq_u32_e32 vcc, 0, v22
	s_waitcnt lgkmcnt(1)
	v_cndmask_b32_e32 v27, 0, v27, vcc
	v_cmp_gt_u32_e32 vcc, v46, v25
	v_cndmask_b32_e64 v27, v27, 0, vcc
	s_waitcnt lgkmcnt(0)
	v_cndmask_b32_e64 v26, v26, 0, vcc
	v_cmp_gt_u32_e32 vcc, 48, v39
	v_add_u32_e32 v23, v23, v27
	;; [unrolled: 16-line block ×3, first 2 shown]
	v_cndmask_b32_e64 v27, 0, 1, vcc
	v_lshlrev_b32_e32 v27, 5, v27
	v_add_lshl_u32 v64, v27, v31, 2
	ds_bpermute_b32 v27, v64, v23
	v_add_u32_e32 v22, v22, v26
	ds_bpermute_b32 v26, v64, v22
	v_add_u32_e32 v65, 32, v39
	v_cmp_eq_u32_e32 vcc, 0, v22
	s_waitcnt lgkmcnt(1)
	v_cndmask_b32_e32 v27, 0, v27, vcc
	v_cmp_gt_u32_e32 vcc, v65, v25
	v_cndmask_b32_e64 v25, v27, 0, vcc
	v_add_u32_e32 v23, v25, v23
	s_waitcnt lgkmcnt(0)
	v_cndmask_b32_e64 v25, v26, 0, vcc
	v_add_u32_e32 v22, v25, v22
	v_mov_b32_e32 v31, 0
	s_branch .LBB531_65
.LBB531_64:                             ;   in Loop: Header=BB531_65 Depth=1
	s_or_b64 exec, exec, s[20:21]
	v_cmp_eq_u16_sdwa s[20:21], v24, v38 src0_sel:BYTE_0 src1_sel:DWORD
	v_and_b32_e32 v25, s21, v33
	v_or_b32_e32 v25, 0x80000000, v25
	v_and_b32_e32 v34, s20, v32
	v_ffbl_b32_e32 v25, v25
	v_add_u32_e32 v25, 32, v25
	v_ffbl_b32_e32 v34, v34
	v_min_u32_e32 v25, v34, v25
	ds_bpermute_b32 v34, v40, v23
	v_cmp_eq_u32_e32 vcc, 0, v22
	v_cmp_lt_u32_e64 s[20:21], v39, v25
	ds_bpermute_b32 v35, v40, v22
	s_and_b64 vcc, s[20:21], vcc
	s_waitcnt lgkmcnt(1)
	v_cndmask_b32_e32 v34, 0, v34, vcc
	v_add_u32_e32 v23, v34, v23
	ds_bpermute_b32 v34, v41, v23
	s_waitcnt lgkmcnt(1)
	v_cndmask_b32_e64 v35, 0, v35, s[20:21]
	v_add_u32_e32 v22, v35, v22
	v_cmp_eq_u32_e32 vcc, 0, v22
	ds_bpermute_b32 v35, v41, v22
	s_waitcnt lgkmcnt(1)
	v_cndmask_b32_e32 v34, 0, v34, vcc
	v_cmp_gt_u32_e32 vcc, v42, v25
	v_cndmask_b32_e64 v34, v34, 0, vcc
	v_add_u32_e32 v23, v34, v23
	ds_bpermute_b32 v34, v43, v23
	s_waitcnt lgkmcnt(1)
	v_cndmask_b32_e64 v35, v35, 0, vcc
	v_add_u32_e32 v22, v22, v35
	v_cmp_eq_u32_e32 vcc, 0, v22
	ds_bpermute_b32 v35, v43, v22
	s_waitcnt lgkmcnt(1)
	v_cndmask_b32_e32 v34, 0, v34, vcc
	v_cmp_gt_u32_e32 vcc, v44, v25
	v_cndmask_b32_e64 v34, v34, 0, vcc
	v_add_u32_e32 v23, v23, v34
	ds_bpermute_b32 v34, v45, v23
	s_waitcnt lgkmcnt(1)
	v_cndmask_b32_e64 v35, v35, 0, vcc
	v_add_u32_e32 v22, v22, v35
	ds_bpermute_b32 v35, v45, v22
	v_cmp_eq_u32_e32 vcc, 0, v22
	s_waitcnt lgkmcnt(1)
	v_cndmask_b32_e32 v34, 0, v34, vcc
	v_cmp_gt_u32_e32 vcc, v46, v25
	v_cndmask_b32_e64 v34, v34, 0, vcc
	v_add_u32_e32 v23, v23, v34
	ds_bpermute_b32 v34, v47, v23
	s_waitcnt lgkmcnt(1)
	v_cndmask_b32_e64 v35, v35, 0, vcc
	v_add_u32_e32 v22, v22, v35
	ds_bpermute_b32 v35, v47, v22
	v_cmp_eq_u32_e32 vcc, 0, v22
	;; [unrolled: 11-line block ×3, first 2 shown]
	s_waitcnt lgkmcnt(1)
	v_cndmask_b32_e32 v34, 0, v34, vcc
	v_cmp_gt_u32_e32 vcc, v65, v25
	v_cndmask_b32_e64 v25, v34, 0, vcc
	v_add_u32_e32 v23, v25, v23
	s_waitcnt lgkmcnt(0)
	v_cndmask_b32_e64 v25, v35, 0, vcc
	v_cmp_eq_u32_e32 vcc, 0, v26
	v_cndmask_b32_e32 v23, 0, v23, vcc
	v_subrev_u32_e32 v30, 64, v30
	v_add3_u32 v22, v22, v26, v25
	v_add_u32_e32 v23, v23, v27
.LBB531_65:                             ; =>This Loop Header: Depth=1
                                        ;     Child Loop BB531_68 Depth 2
                                        ;       Child Loop BB531_69 Depth 3
	v_cmp_ne_u16_sdwa s[20:21], v24, v38 src0_sel:BYTE_0 src1_sel:DWORD
	v_mov_b32_e32 v27, v23
	v_cndmask_b32_e64 v23, 0, 1, s[20:21]
	;;#ASMSTART
	;;#ASMEND
	v_cmp_ne_u32_e32 vcc, 0, v23
	s_cmp_lg_u64 vcc, exec
	v_mov_b32_e32 v26, v22
	s_cbranch_scc1 .LBB531_72
; %bb.66:                               ;   in Loop: Header=BB531_65 Depth=1
	v_lshlrev_b64 v[22:23], 4, v[30:31]
	v_mov_b32_e32 v24, s25
	v_add_co_u32_e32 v34, vcc, s24, v22
	v_addc_co_u32_e32 v35, vcc, v24, v23, vcc
	;;#ASMSTART
	global_load_dwordx4 v[22:25], v[34:35] off glc	
s_waitcnt vmcnt(0)
	;;#ASMEND
	v_and_b32_e32 v25, 0xff, v23
	v_and_b32_e32 v66, 0xff00, v23
	v_or3_b32 v25, 0, v25, v66
	v_or3_b32 v22, v22, 0, 0
	v_and_b32_e32 v66, 0xff000000, v23
	v_and_b32_e32 v23, 0xff0000, v23
	v_or3_b32 v23, v25, v23, v66
	v_or3_b32 v22, v22, 0, 0
	v_cmp_eq_u16_sdwa s[44:45], v24, v31 src0_sel:BYTE_0 src1_sel:DWORD
	s_and_saveexec_b64 s[20:21], s[44:45]
	s_cbranch_execz .LBB531_64
; %bb.67:                               ;   in Loop: Header=BB531_65 Depth=1
	s_mov_b32 s47, 1
	s_mov_b64 s[44:45], 0
.LBB531_68:                             ;   Parent Loop BB531_65 Depth=1
                                        ; =>  This Loop Header: Depth=2
                                        ;       Child Loop BB531_69 Depth 3
	s_max_u32 s48, s47, 1
.LBB531_69:                             ;   Parent Loop BB531_65 Depth=1
                                        ;     Parent Loop BB531_68 Depth=2
                                        ; =>    This Inner Loop Header: Depth=3
	s_add_i32 s48, s48, -1
	s_cmp_eq_u32 s48, 0
	s_sleep 1
	s_cbranch_scc0 .LBB531_69
; %bb.70:                               ;   in Loop: Header=BB531_68 Depth=2
	s_cmp_lt_u32 s47, 32
	s_cselect_b64 s[48:49], -1, 0
	s_cmp_lg_u64 s[48:49], 0
	s_addc_u32 s47, s47, 0
	;;#ASMSTART
	global_load_dwordx4 v[22:25], v[34:35] off glc	
s_waitcnt vmcnt(0)
	;;#ASMEND
	v_cmp_ne_u16_sdwa s[48:49], v24, v31 src0_sel:BYTE_0 src1_sel:DWORD
	s_or_b64 s[44:45], s[48:49], s[44:45]
	s_andn2_b64 exec, exec, s[44:45]
	s_cbranch_execnz .LBB531_68
; %bb.71:                               ;   in Loop: Header=BB531_65 Depth=1
	s_or_b64 exec, exec, s[44:45]
	s_branch .LBB531_64
.LBB531_72:                             ;   in Loop: Header=BB531_65 Depth=1
                                        ; implicit-def: $vgpr23
                                        ; implicit-def: $vgpr22
                                        ; implicit-def: $vgpr24
	s_cbranch_execz .LBB531_65
; %bb.73:
	s_and_saveexec_b64 s[20:21], s[16:17]
	s_cbranch_execz .LBB531_75
; %bb.74:
	s_cmp_eq_u32 s7, 0
	s_cselect_b64 vcc, -1, 0
	s_mov_b32 s45, 0
	v_cndmask_b32_e32 v22, 0, v27, vcc
	s_add_i32 s44, s6, 64
	v_add_u32_e32 v22, s46, v22
	s_lshl_b64 s[44:45], s[44:45], 4
	s_add_u32 s44, s24, s44
	v_and_b32_e32 v23, 0xff000000, v22
	v_and_b32_e32 v24, 0xff0000, v22
	s_addc_u32 s45, s25, s45
	v_or_b32_e32 v23, v24, v23
	v_and_b32_e32 v24, 0xff00, v22
	v_and_b32_e32 v22, 0xff, v22
	v_add_u32_e32 v30, s7, v26
	v_mov_b32_e32 v33, 0
	v_or3_b32 v31, v23, v24, v22
	v_mov_b32_e32 v32, 2
	v_pk_mov_b32 v[22:23], s[44:45], s[44:45] op_sel:[0,1]
	;;#ASMSTART
	global_store_dwordx4 v[22:23], v[30:33] off	
s_waitcnt vmcnt(0)
	;;#ASMEND
	v_mov_b32_e32 v24, s7
	v_mov_b32_e32 v25, s46
	ds_write_b128 v33, v[24:27] offset:4096
.LBB531_75:
	s_or_b64 exec, exec, s[20:21]
	v_cmp_eq_u32_e32 vcc, 0, v0
	s_and_b64 exec, exec, vcc
	s_cbranch_execz .LBB531_77
; %bb.76:
	v_mov_b32_e32 v22, 0
	ds_write_b64 v22, v[26:27] offset:4136
.LBB531_77:
	s_or_b64 exec, exec, s[42:43]
	v_mov_b32_e32 v24, 0
	s_waitcnt lgkmcnt(0)
	s_barrier
	ds_read_b64 v[22:23], v24 offset:4136
	v_cndmask_b32_e64 v26, v36, v28, s[16:17]
	v_cmp_eq_u32_e32 vcc, 0, v26
	v_cndmask_b32_e64 v25, v37, v29, s[16:17]
	s_waitcnt lgkmcnt(0)
	v_cndmask_b32_e32 v27, 0, v23, vcc
	v_add_u32_e32 v25, v27, v25
	v_cmp_eq_u32_e32 vcc, 0, v0
	v_cndmask_b32_e32 v47, v25, v23, vcc
	v_cndmask_b32_e64 v23, v26, 0, vcc
	v_cmp_eq_u32_e32 vcc, 0, v62
	v_add_u32_e32 v46, v22, v23
	v_cndmask_b32_e32 v22, 0, v47, vcc
	v_add_u32_e32 v45, v22, v48
	v_cndmask_b32_e64 v22, 0, v45, s[14:15]
	v_add_u32_e32 v43, v22, v48
	v_cndmask_b32_e64 v22, 0, v43, s[12:13]
	;; [unrolled: 2-line block ×5, first 2 shown]
	v_add_u32_e32 v35, v22, v48
	v_add_u32_e32 v44, v46, v62
	v_cndmask_b32_e64 v22, 0, v35, s[4:5]
	v_add_u32_e32 v42, v44, v61
	v_add_u32_e32 v33, v22, v48
	s_barrier
	ds_read_b128 v[22:25], v24 offset:4096
	v_add_u32_e32 v40, v42, v60
	v_add_u32_e32 v38, v40, v59
	;; [unrolled: 1-line block ×4, first 2 shown]
	v_cndmask_b32_e64 v26, 0, v33, s[2:3]
	v_add_u32_e32 v32, v34, v56
	v_add_u32_e32 v29, v26, v48
	s_waitcnt lgkmcnt(0)
	v_cmp_eq_u32_e32 vcc, 0, v22
	v_add_u32_e32 v28, v32, v55
	v_cndmask_b32_e64 v26, 0, v29, s[0:1]
	v_cndmask_b32_e32 v25, 0, v25, vcc
	v_add_u32_e32 v30, v28, v54
	v_add_u32_e32 v31, v26, v48
	;; [unrolled: 1-line block ×3, first 2 shown]
	s_branch .LBB531_90
.LBB531_78:
                                        ; implicit-def: $vgpr22
                                        ; implicit-def: $vgpr26
                                        ; implicit-def: $vgpr30_vgpr31
                                        ; implicit-def: $vgpr28_vgpr29
                                        ; implicit-def: $vgpr32_vgpr33
                                        ; implicit-def: $vgpr34_vgpr35
                                        ; implicit-def: $vgpr46_vgpr47
                                        ; implicit-def: $vgpr44_vgpr45
                                        ; implicit-def: $vgpr42_vgpr43
                                        ; implicit-def: $vgpr40_vgpr41
                                        ; implicit-def: $vgpr38_vgpr39
                                        ; implicit-def: $vgpr36_vgpr37
	s_cbranch_execz .LBB531_90
; %bb.79:
	s_and_b64 s[0:1], s[26:27], exec
	s_cselect_b32 s1, 0, s41
	s_cselect_b32 s0, 0, s40
	s_cmp_eq_u64 s[0:1], 0
	v_mov_b32_e32 v26, v48
	s_cbranch_scc1 .LBB531_81
; %bb.80:
	v_mov_b32_e32 v22, 0
	global_load_dword v26, v22, s[0:1]
.LBB531_81:
	v_cmp_eq_u32_e64 s[0:1], 0, v61
	v_cndmask_b32_e64 v22, 0, v48, s[0:1]
	v_add_u32_e32 v22, v22, v48
	v_cmp_eq_u32_e64 s[2:3], 0, v60
	v_cndmask_b32_e64 v22, 0, v22, s[2:3]
	v_add_u32_e32 v22, v22, v48
	;; [unrolled: 3-line block ×7, first 2 shown]
	v_cmp_eq_u32_e32 vcc, 0, v54
	v_cndmask_b32_e32 v22, 0, v22, vcc
	v_add3_u32 v23, v53, v58, v57
	v_add_u32_e32 v22, v22, v48
	v_cmp_eq_u32_e64 s[14:15], 0, v1
	v_add3_u32 v23, v23, v56, v55
	v_cndmask_b32_e64 v22, 0, v22, s[14:15]
	v_add3_u32 v23, v23, v54, v1
	v_add_u32_e32 v22, v22, v49
	v_mbcnt_hi_u32_b32 v27, -1, v52
	v_and_b32_e32 v24, 15, v27
	v_mov_b32_dpp v28, v22 row_shr:1 row_mask:0xf bank_mask:0xf
	v_cmp_eq_u32_e64 s[14:15], 0, v23
	v_mov_b32_dpp v25, v23 row_shr:1 row_mask:0xf bank_mask:0xf
	v_cndmask_b32_e64 v28, 0, v28, s[14:15]
	v_cmp_eq_u32_e64 s[14:15], 0, v24
	v_cndmask_b32_e64 v25, v25, 0, s[14:15]
	v_add_u32_e32 v23, v25, v23
	v_cndmask_b32_e64 v25, v28, 0, s[14:15]
	v_add_u32_e32 v22, v25, v22
	v_cmp_eq_u32_e64 s[14:15], 0, v23
	v_mov_b32_dpp v25, v23 row_shr:2 row_mask:0xf bank_mask:0xf
	v_cmp_lt_u32_e64 s[16:17], 1, v24
	v_mov_b32_dpp v28, v22 row_shr:2 row_mask:0xf bank_mask:0xf
	v_cndmask_b32_e64 v25, 0, v25, s[16:17]
	s_and_b64 s[14:15], s[16:17], s[14:15]
	v_cndmask_b32_e64 v28, 0, v28, s[14:15]
	v_add_u32_e32 v23, v23, v25
	v_add_u32_e32 v22, v28, v22
	v_cmp_eq_u32_e64 s[14:15], 0, v23
	v_mov_b32_dpp v25, v23 row_shr:4 row_mask:0xf bank_mask:0xf
	v_cmp_lt_u32_e64 s[16:17], 3, v24
	v_mov_b32_dpp v28, v22 row_shr:4 row_mask:0xf bank_mask:0xf
	v_cndmask_b32_e64 v25, 0, v25, s[16:17]
	s_and_b64 s[14:15], s[16:17], s[14:15]
	v_cndmask_b32_e64 v28, 0, v28, s[14:15]
	v_add_u32_e32 v23, v25, v23
	v_add_u32_e32 v22, v22, v28
	v_cmp_eq_u32_e64 s[14:15], 0, v23
	v_cmp_lt_u32_e64 s[16:17], 7, v24
	v_mov_b32_dpp v25, v23 row_shr:8 row_mask:0xf bank_mask:0xf
	v_mov_b32_dpp v28, v22 row_shr:8 row_mask:0xf bank_mask:0xf
	s_and_b64 s[14:15], s[16:17], s[14:15]
	v_cndmask_b32_e64 v24, 0, v25, s[16:17]
	v_cndmask_b32_e64 v25, 0, v28, s[14:15]
	v_add_u32_e32 v22, v25, v22
	v_add_u32_e32 v23, v24, v23
	v_bfe_i32 v28, v27, 4, 1
	v_mov_b32_dpp v25, v22 row_bcast:15 row_mask:0xf bank_mask:0xf
	v_mov_b32_dpp v24, v23 row_bcast:15 row_mask:0xf bank_mask:0xf
	v_cmp_eq_u32_e64 s[14:15], 0, v23
	v_cndmask_b32_e64 v25, 0, v25, s[14:15]
	v_and_b32_e32 v24, v28, v24
	v_add_u32_e32 v23, v24, v23
	v_and_b32_e32 v24, v28, v25
	v_add_u32_e32 v24, v24, v22
	v_mov_b32_dpp v22, v23 row_bcast:31 row_mask:0xf bank_mask:0xf
	v_cmp_eq_u32_e64 s[14:15], 0, v23
	v_cmp_lt_u32_e64 s[16:17], 31, v27
	v_mov_b32_dpp v25, v24 row_bcast:31 row_mask:0xf bank_mask:0xf
	v_cndmask_b32_e64 v22, 0, v22, s[16:17]
	s_and_b64 s[14:15], s[16:17], s[14:15]
	v_add_u32_e32 v22, v22, v23
	v_cndmask_b32_e64 v23, 0, v25, s[14:15]
	v_add_u32_e32 v23, v23, v24
	v_cmp_eq_u32_e64 s[14:15], v51, v0
	s_and_saveexec_b64 s[16:17], s[14:15]
	s_cbranch_execz .LBB531_83
; %bb.82:
	v_lshlrev_b32_e32 v24, 3, v50
	ds_write_b64 v24, v[22:23] offset:4112
.LBB531_83:
	s_or_b64 exec, exec, s[16:17]
	v_cmp_gt_u32_e64 s[14:15], 4, v0
	s_waitcnt lgkmcnt(0)
	s_barrier
	s_and_saveexec_b64 s[18:19], s[14:15]
	s_cbranch_execz .LBB531_85
; %bb.84:
	v_lshlrev_b32_e32 v28, 3, v0
	ds_read_b64 v[24:25], v28 offset:4112
	v_and_b32_e32 v29, 3, v27
	v_cmp_lt_u32_e64 s[16:17], 1, v29
	s_waitcnt lgkmcnt(0)
	v_mov_b32_dpp v31, v25 row_shr:1 row_mask:0xf bank_mask:0xf
	v_cmp_eq_u32_e64 s[14:15], 0, v24
	v_mov_b32_dpp v30, v24 row_shr:1 row_mask:0xf bank_mask:0xf
	v_cndmask_b32_e64 v31, 0, v31, s[14:15]
	v_cmp_eq_u32_e64 s[14:15], 0, v29
	v_cndmask_b32_e64 v30, v30, 0, s[14:15]
	v_add_u32_e32 v24, v30, v24
	v_cndmask_b32_e64 v30, v31, 0, s[14:15]
	v_add_u32_e32 v25, v30, v25
	v_cmp_eq_u32_e64 s[14:15], 0, v24
	v_mov_b32_dpp v30, v24 row_shr:2 row_mask:0xf bank_mask:0xf
	v_mov_b32_dpp v31, v25 row_shr:2 row_mask:0xf bank_mask:0xf
	v_cndmask_b32_e64 v29, 0, v30, s[16:17]
	s_and_b64 s[14:15], s[16:17], s[14:15]
	v_add_u32_e32 v24, v29, v24
	v_cndmask_b32_e64 v29, 0, v31, s[14:15]
	v_add_u32_e32 v25, v29, v25
	ds_write_b64 v28, v[24:25] offset:4112
.LBB531_85:
	s_or_b64 exec, exec, s[18:19]
	v_cmp_lt_u32_e64 s[14:15], 63, v0
	v_mov_b32_e32 v29, 0
	v_mov_b32_e32 v24, 0
	s_waitcnt vmcnt(0)
	v_mov_b32_e32 v25, v26
	s_waitcnt lgkmcnt(0)
	s_barrier
	s_and_saveexec_b64 s[16:17], s[14:15]
	s_cbranch_execz .LBB531_87
; %bb.86:
	v_lshlrev_b32_e32 v24, 3, v50
	ds_read_b64 v[24:25], v24 offset:4104
	s_waitcnt lgkmcnt(0)
	v_cmp_eq_u32_e64 s[14:15], 0, v24
	v_cndmask_b32_e64 v28, 0, v26, s[14:15]
	v_add_u32_e32 v25, v28, v25
.LBB531_87:
	s_or_b64 exec, exec, s[16:17]
	v_cmp_eq_u32_e64 s[14:15], 0, v22
	v_add_u32_e32 v28, v24, v22
	v_cndmask_b32_e64 v22, 0, v25, s[14:15]
	v_add_u32_e32 v22, v22, v23
	v_add_u32_e32 v23, -1, v27
	v_and_b32_e32 v30, 64, v27
	v_cmp_lt_i32_e64 s[14:15], v23, v30
	v_cndmask_b32_e64 v23, v23, v27, s[14:15]
	v_lshlrev_b32_e32 v23, 2, v23
	ds_bpermute_b32 v28, v23, v28
	ds_bpermute_b32 v22, v23, v22
	v_cmp_eq_u32_e64 s[14:15], 0, v27
	v_cmp_eq_u32_e64 s[16:17], 0, v62
	s_waitcnt lgkmcnt(1)
	v_cndmask_b32_e64 v23, v28, v24, s[14:15]
	s_waitcnt lgkmcnt(0)
	v_cndmask_b32_e64 v22, v22, v25, s[14:15]
	v_cmp_eq_u32_e64 s[14:15], 0, v0
	v_cndmask_b32_e64 v47, v22, v26, s[14:15]
	v_cndmask_b32_e64 v22, 0, v47, s[16:17]
	v_add_u32_e32 v45, v22, v48
	v_cndmask_b32_e64 v22, 0, v45, s[0:1]
	v_add_u32_e32 v43, v22, v48
	;; [unrolled: 2-line block ×5, first 2 shown]
	v_cndmask_b32_e64 v22, 0, v37, s[8:9]
	v_cndmask_b32_e64 v46, v23, 0, s[14:15]
	v_add_u32_e32 v35, v22, v48
	v_add_u32_e32 v44, v46, v62
	v_cndmask_b32_e64 v22, 0, v35, s[10:11]
	v_add_u32_e32 v42, v44, v61
	v_add_u32_e32 v33, v22, v48
	ds_read_b64 v[22:23], v29 offset:4136
	v_add_u32_e32 v40, v42, v60
	v_add_u32_e32 v38, v40, v59
	;; [unrolled: 1-line block ×3, first 2 shown]
	v_cndmask_b32_e64 v24, 0, v33, s[12:13]
	v_add_u32_e32 v34, v36, v57
	v_add_u32_e32 v29, v24, v48
	;; [unrolled: 1-line block ×3, first 2 shown]
	v_cndmask_b32_e32 v24, 0, v29, vcc
	s_waitcnt lgkmcnt(0)
	v_cmp_eq_u32_e32 vcc, 0, v22
	v_add_u32_e32 v28, v32, v55
	v_add_u32_e32 v31, v24, v48
	v_cndmask_b32_e32 v24, 0, v26, vcc
	v_add_u32_e32 v30, v28, v54
	v_add_u32_e32 v26, v24, v23
	s_and_saveexec_b64 s[0:1], s[14:15]
	s_cbranch_execz .LBB531_89
; %bb.88:
	s_add_u32 s2, s24, 0x400
	v_and_b32_e32 v23, 0xff000000, v26
	v_and_b32_e32 v24, 0xff0000, v26
	s_addc_u32 s3, s25, 0
	v_or_b32_e32 v23, v24, v23
	v_and_b32_e32 v24, 0xff00, v26
	v_and_b32_e32 v27, 0xff, v26
	v_mov_b32_e32 v25, 0
	v_or3_b32 v23, v23, v24, v27
	v_mov_b32_e32 v24, 2
	v_pk_mov_b32 v[48:49], s[2:3], s[2:3] op_sel:[0,1]
	;;#ASMSTART
	global_store_dwordx4 v[48:49], v[22:25] off	
s_waitcnt vmcnt(0)
	;;#ASMEND
.LBB531_89:
	s_or_b64 exec, exec, s[0:1]
	v_mov_b32_e32 v24, 0
.LBB531_90:
	s_and_b64 s[0:1], s[26:27], exec
	s_cselect_b32 s1, 0, s39
	s_cselect_b32 s0, 0, s38
	s_cmp_eq_u64 s[0:1], 0
	v_pk_mov_b32 v[48:49], 0, 0
	s_waitcnt lgkmcnt(0)
	s_barrier
	s_cbranch_scc1 .LBB531_92
; %bb.91:
	v_mov_b32_e32 v23, 0
	global_load_dwordx2 v[48:49], v23, s[0:1]
.LBB531_92:
	s_waitcnt vmcnt(0)
	v_lshlrev_b64 v[50:51], 3, v[48:49]
	v_mov_b32_e32 v23, s29
	v_add_co_u32_e32 v27, vcc, s28, v50
	v_mov_b32_e32 v25, 0
	v_addc_co_u32_e32 v63, vcc, v23, v51, vcc
	v_lshlrev_b64 v[52:53], 3, v[24:25]
	v_add_co_u32_e32 v23, vcc, v27, v52
	v_addc_co_u32_e32 v25, vcc, v63, v53, vcc
	v_cmp_eq_u32_e32 vcc, 0, v62
	v_cndmask_b32_e64 v27, 1, 2, vcc
	v_cmp_eq_u32_e32 vcc, 0, v61
	v_cndmask_b32_e64 v63, 1, 2, vcc
	v_cmp_eq_u32_e32 vcc, 0, v60
	v_and_b32_e32 v27, v63, v27
	v_cndmask_b32_e64 v63, 1, 2, vcc
	v_cmp_eq_u32_e32 vcc, 0, v59
	v_and_b32_e32 v27, v27, v63
	;; [unrolled: 3-line block ×8, first 2 shown]
	v_cndmask_b32_e64 v63, 1, 2, vcc
	s_movk_i32 s20, 0x100
	v_and_b32_e32 v27, v27, v63
	v_cmp_gt_u32_e32 vcc, s20, v22
	v_cmp_ne_u32_e64 s[18:19], 0, v62
	v_cmp_ne_u32_e64 s[16:17], 0, v61
	;; [unrolled: 1-line block ×10, first 2 shown]
	s_mov_b64 s[24:25], -1
	v_cmp_gt_i16_e64 s[20:21], 2, v27
	s_cbranch_vccz .LBB531_99
; %bb.93:
	s_and_saveexec_b64 s[24:25], s[20:21]
	s_cbranch_execz .LBB531_98
; %bb.94:
	v_cmp_ne_u16_e32 vcc, 1, v27
	s_mov_b64 s[26:27], 0
	s_and_saveexec_b64 s[20:21], vcc
	s_xor_b64 s[20:21], exec, s[20:21]
	s_cbranch_execnz .LBB531_131
; %bb.95:
	s_andn2_saveexec_b64 s[20:21], s[20:21]
	s_cbranch_execnz .LBB531_142
.LBB531_96:
	s_or_b64 exec, exec, s[20:21]
	s_and_b64 exec, exec, s[26:27]
	s_cbranch_execz .LBB531_98
.LBB531_97:
	v_sub_u32_e32 v64, v30, v24
	v_mov_b32_e32 v65, 0
	v_lshlrev_b64 v[64:65], 3, v[64:65]
	v_add_co_u32_e32 v64, vcc, v23, v64
	v_addc_co_u32_e32 v65, vcc, v25, v65, vcc
	global_store_dwordx2 v[64:65], v[8:9], off
.LBB531_98:
	s_or_b64 exec, exec, s[24:25]
	s_mov_b64 s[24:25], 0
.LBB531_99:
	s_and_b64 vcc, exec, s[24:25]
	s_cbranch_vccz .LBB531_109
; %bb.100:
	v_cmp_gt_i16_e32 vcc, 2, v27
	s_and_saveexec_b64 s[20:21], vcc
	s_cbranch_execz .LBB531_105
; %bb.101:
	v_cmp_ne_u16_e32 vcc, 1, v27
	s_mov_b64 s[26:27], 0
	s_and_saveexec_b64 s[24:25], vcc
	s_xor_b64 s[24:25], exec, s[24:25]
	s_cbranch_execnz .LBB531_143
; %bb.102:
	s_andn2_saveexec_b64 s[0:1], s[24:25]
	s_cbranch_execnz .LBB531_154
.LBB531_103:
	s_or_b64 exec, exec, s[0:1]
	s_and_b64 exec, exec, s[26:27]
	s_cbranch_execz .LBB531_105
.LBB531_104:
	v_sub_u32_e32 v2, v30, v24
	v_lshlrev_b32_e32 v2, 3, v2
	ds_write_b64 v2, v[8:9]
.LBB531_105:
	s_or_b64 exec, exec, s[20:21]
	v_cmp_lt_u32_e32 vcc, v0, v22
	s_waitcnt lgkmcnt(0)
	s_barrier
	s_and_saveexec_b64 s[0:1], vcc
	s_cbranch_execz .LBB531_108
; %bb.106:
	v_lshlrev_b32_e32 v4, 3, v0
	s_mov_b64 s[2:3], 0
	v_mov_b32_e32 v3, 0
	v_mov_b32_e32 v2, v0
.LBB531_107:                            ; =>This Inner Loop Header: Depth=1
	ds_read_b64 v[6:7], v4
	v_lshlrev_b64 v[8:9], 3, v[2:3]
	v_add_co_u32_e32 v8, vcc, v23, v8
	v_add_u32_e32 v2, 0x100, v2
	v_addc_co_u32_e32 v9, vcc, v25, v9, vcc
	v_cmp_ge_u32_e32 vcc, v2, v22
	v_add_u32_e32 v4, 0x800, v4
	s_or_b64 s[2:3], vcc, s[2:3]
	s_waitcnt lgkmcnt(0)
	global_store_dwordx2 v[8:9], v[6:7], off
	s_andn2_b64 exec, exec, s[2:3]
	s_cbranch_execnz .LBB531_107
.LBB531_108:
	s_or_b64 exec, exec, s[0:1]
.LBB531_109:
	s_cmpk_lg_i32 s33, 0xa00
	s_cselect_b64 s[0:1], -1, 0
	v_cndmask_b32_e64 v2, 0, 1, s[34:35]
	s_and_b64 s[0:1], s[22:23], s[0:1]
	v_cmp_eq_u32_e32 vcc, 0, v0
	v_sub_u32_e32 v3, v22, v2
	v_cndmask_b32_e64 v4, 0, 1, s[0:1]
	s_and_b64 s[0:1], vcc, s[34:35]
	v_add_u32_e32 v4, v3, v4
	v_cndmask_b32_e64 v3, v62, 0, s[0:1]
	s_mul_hi_u32 s0, s33, 0xcccccccd
	s_lshr_b32 s0, s0, 3
	v_mad_i32_i24 v5, v0, -10, s33
	v_cmp_eq_u32_e32 vcc, s0, v0
	v_cmp_ne_u32_e64 s[0:1], 0, v5
	v_cndmask_b32_e64 v6, 1, v3, s[0:1]
	v_cmp_ne_u32_e64 s[0:1], 1, v5
	v_cndmask_b32_e64 v7, 1, v61, s[0:1]
	;; [unrolled: 2-line block ×10, first 2 shown]
	s_and_b64 vcc, s[22:23], vcc
	v_cndmask_b32_e32 v15, v1, v5, vcc
	v_cndmask_b32_e32 v14, v54, v14, vcc
	;; [unrolled: 1-line block ×10, first 2 shown]
	v_mov_b32_e32 v1, s31
	v_add_co_u32_e32 v5, vcc, s30, v50
	v_addc_co_u32_e32 v6, vcc, v1, v51, vcc
	v_add_co_u32_e32 v1, vcc, v5, v52
	v_addc_co_u32_e32 v5, vcc, v6, v53, vcc
	v_lshlrev_b32_e32 v6, 3, v2
	v_add_co_u32_e32 v6, vcc, v6, v1
	v_addc_co_u32_e32 v7, vcc, 0, v5, vcc
	v_add_co_u32_e32 v6, vcc, -8, v6
	v_addc_co_u32_e32 v7, vcc, -1, v7, vcc
	v_cmp_eq_u32_e32 vcc, 0, v3
	v_cmp_ne_u32_e64 s[18:19], 0, v3
	v_cndmask_b32_e64 v3, 1, 2, vcc
	v_cmp_eq_u32_e32 vcc, 0, v16
	v_cmp_ne_u32_e64 s[16:17], 0, v16
	v_cndmask_b32_e64 v16, 1, 2, vcc
	v_cmp_eq_u32_e32 vcc, 0, v8
	v_and_b32_e32 v3, v16, v3
	v_cmp_ne_u32_e64 s[14:15], 0, v8
	v_cndmask_b32_e64 v8, 1, 2, vcc
	v_cmp_eq_u32_e32 vcc, 0, v9
	v_and_b32_e32 v3, v3, v8
	v_cndmask_b32_e64 v8, 1, 2, vcc
	v_cmp_eq_u32_e32 vcc, 0, v10
	v_and_b32_e32 v3, v3, v8
	;; [unrolled: 3-line block ×7, first 2 shown]
	v_cndmask_b32_e64 v8, 1, 2, vcc
	s_movk_i32 s20, 0x100
	v_and_b32_e32 v3, v3, v8
	v_cmp_gt_u32_e32 vcc, s20, v4
	v_add_u32_e32 v2, v24, v2
	v_cmp_ne_u32_e64 s[12:13], 0, v9
	v_cmp_ne_u32_e64 s[10:11], 0, v10
	;; [unrolled: 1-line block ×7, first 2 shown]
	s_mov_b64 s[24:25], -1
	v_cmp_gt_i16_e64 s[20:21], 2, v3
	s_barrier
	s_cbranch_vccz .LBB531_116
; %bb.110:
	s_and_saveexec_b64 s[24:25], s[20:21]
	s_cbranch_execz .LBB531_115
; %bb.111:
	v_cmp_ne_u16_e32 vcc, 1, v3
	s_mov_b64 s[26:27], 0
	s_and_saveexec_b64 s[20:21], vcc
	s_xor_b64 s[20:21], exec, s[20:21]
	s_cbranch_execnz .LBB531_155
; %bb.112:
	s_andn2_saveexec_b64 s[20:21], s[20:21]
	s_cbranch_execnz .LBB531_166
.LBB531_113:
	s_or_b64 exec, exec, s[20:21]
	s_and_b64 exec, exec, s[26:27]
	s_cbranch_execz .LBB531_115
.LBB531_114:
	v_mov_b32_e32 v9, 0
	v_sub_u32_e32 v10, v30, v2
	v_mov_b32_e32 v11, v9
	v_lshlrev_b64 v[10:11], 3, v[10:11]
	v_add_co_u32_e32 v10, vcc, v6, v10
	v_mov_b32_e32 v8, v31
	v_addc_co_u32_e32 v11, vcc, v7, v11, vcc
	global_store_dwordx2 v[10:11], v[8:9], off
.LBB531_115:
	s_or_b64 exec, exec, s[24:25]
	s_mov_b64 s[24:25], 0
.LBB531_116:
	s_and_b64 vcc, exec, s[24:25]
	s_cbranch_vccz .LBB531_126
; %bb.117:
	v_cmp_gt_i16_e32 vcc, 2, v3
	s_and_saveexec_b64 s[20:21], vcc
	s_cbranch_execz .LBB531_122
; %bb.118:
	v_cmp_ne_u16_e32 vcc, 1, v3
	s_mov_b64 s[26:27], 0
	s_and_saveexec_b64 s[24:25], vcc
	s_xor_b64 s[24:25], exec, s[24:25]
	s_cbranch_execnz .LBB531_167
; %bb.119:
	s_andn2_saveexec_b64 s[0:1], s[24:25]
	s_cbranch_execnz .LBB531_178
.LBB531_120:
	s_or_b64 exec, exec, s[0:1]
	s_and_b64 exec, exec, s[26:27]
	s_cbranch_execz .LBB531_122
.LBB531_121:
	v_sub_u32_e32 v2, v30, v2
	v_lshlrev_b32_e32 v2, 2, v2
	ds_write_b32 v2, v31
.LBB531_122:
	s_or_b64 exec, exec, s[20:21]
	v_cmp_lt_u32_e32 vcc, v0, v4
	s_waitcnt lgkmcnt(0)
	s_barrier
	s_and_saveexec_b64 s[0:1], vcc
	s_cbranch_execz .LBB531_125
; %bb.123:
	v_lshlrev_b32_e32 v8, 2, v0
	s_mov_b64 s[2:3], 0
	v_mov_b32_e32 v3, 0
	v_mov_b32_e32 v2, v0
.LBB531_124:                            ; =>This Inner Loop Header: Depth=1
	ds_read_b32 v10, v8
	v_lshlrev_b64 v[12:13], 3, v[2:3]
	v_add_co_u32_e32 v12, vcc, v6, v12
	v_add_u32_e32 v2, 0x100, v2
	v_addc_co_u32_e32 v13, vcc, v7, v13, vcc
	v_cmp_ge_u32_e32 vcc, v2, v4
	v_mov_b32_e32 v11, v3
	v_add_u32_e32 v8, 0x400, v8
	s_or_b64 s[2:3], vcc, s[2:3]
	s_waitcnt lgkmcnt(0)
	global_store_dwordx2 v[12:13], v[10:11], off
	s_andn2_b64 exec, exec, s[2:3]
	s_cbranch_execnz .LBB531_124
.LBB531_125:
	s_or_b64 exec, exec, s[0:1]
.LBB531_126:
	s_movk_i32 s0, 0xff
	v_cmp_eq_u32_e32 vcc, s0, v0
	s_and_b64 s[0:1], vcc, s[22:23]
	s_and_saveexec_b64 s[2:3], s[0:1]
	s_cbranch_execz .LBB531_129
; %bb.127:
	v_add_co_u32_e32 v0, vcc, v22, v24
	v_addc_co_u32_e64 v3, s[0:1], 0, 0, vcc
	v_add_co_u32_e32 v2, vcc, v0, v48
	v_mov_b32_e32 v23, 0
	v_addc_co_u32_e32 v3, vcc, v3, v49, vcc
	s_cmpk_lg_i32 s33, 0xa00
	global_store_dwordx2 v23, v[2:3], s[36:37]
	s_cbranch_scc1 .LBB531_129
; %bb.128:
	v_lshlrev_b64 v[2:3], 3, v[22:23]
	v_add_co_u32_e32 v0, vcc, v1, v2
	v_mov_b32_e32 v27, v23
	v_addc_co_u32_e32 v1, vcc, v5, v3, vcc
	global_store_dwordx2 v[0:1], v[26:27], off offset:-8
.LBB531_129:
	s_endpgm
.LBB531_130:
	s_or_b64 exec, exec, s[10:11]
	v_mov_b32_e32 v62, s7
	s_and_saveexec_b64 s[8:9], s[2:3]
	s_cbranch_execnz .LBB531_46
	s_branch .LBB531_47
.LBB531_131:
	s_and_saveexec_b64 s[26:27], s[18:19]
	s_cbranch_execnz .LBB531_179
; %bb.132:
	s_or_b64 exec, exec, s[26:27]
	s_and_saveexec_b64 s[26:27], s[16:17]
	s_cbranch_execnz .LBB531_180
.LBB531_133:
	s_or_b64 exec, exec, s[26:27]
	s_and_saveexec_b64 s[26:27], s[14:15]
	s_cbranch_execnz .LBB531_181
.LBB531_134:
	s_or_b64 exec, exec, s[26:27]
	s_and_saveexec_b64 s[26:27], s[12:13]
	s_cbranch_execnz .LBB531_182
.LBB531_135:
	s_or_b64 exec, exec, s[26:27]
	s_and_saveexec_b64 s[26:27], s[10:11]
	s_cbranch_execnz .LBB531_183
.LBB531_136:
	s_or_b64 exec, exec, s[26:27]
	s_and_saveexec_b64 s[26:27], s[8:9]
	s_cbranch_execnz .LBB531_184
.LBB531_137:
	s_or_b64 exec, exec, s[26:27]
	s_and_saveexec_b64 s[26:27], s[6:7]
	s_cbranch_execnz .LBB531_185
.LBB531_138:
	s_or_b64 exec, exec, s[26:27]
	s_and_saveexec_b64 s[26:27], s[4:5]
	s_cbranch_execnz .LBB531_186
.LBB531_139:
	s_or_b64 exec, exec, s[26:27]
	s_and_saveexec_b64 s[26:27], s[2:3]
	s_cbranch_execz .LBB531_141
.LBB531_140:
	v_sub_u32_e32 v64, v28, v24
	v_mov_b32_e32 v65, 0
	v_lshlrev_b64 v[64:65], 3, v[64:65]
	v_add_co_u32_e32 v64, vcc, v23, v64
	v_addc_co_u32_e32 v65, vcc, v25, v65, vcc
	global_store_dwordx2 v[64:65], v[6:7], off
.LBB531_141:
	s_or_b64 exec, exec, s[26:27]
	s_and_b64 s[26:27], s[0:1], exec
	s_andn2_saveexec_b64 s[20:21], s[20:21]
	s_cbranch_execz .LBB531_96
.LBB531_142:
	v_sub_u32_e32 v64, v46, v24
	v_mov_b32_e32 v65, 0
	v_lshlrev_b64 v[66:67], 3, v[64:65]
	v_add_co_u32_e32 v66, vcc, v23, v66
	v_addc_co_u32_e32 v67, vcc, v25, v67, vcc
	v_sub_u32_e32 v64, v44, v24
	global_store_dwordx2 v[66:67], v[18:19], off
	v_lshlrev_b64 v[66:67], 3, v[64:65]
	v_add_co_u32_e32 v66, vcc, v23, v66
	v_addc_co_u32_e32 v67, vcc, v25, v67, vcc
	v_sub_u32_e32 v64, v42, v24
	global_store_dwordx2 v[66:67], v[20:21], off
	;; [unrolled: 5-line block ×7, first 2 shown]
	v_lshlrev_b64 v[66:67], 3, v[64:65]
	v_add_co_u32_e32 v66, vcc, v23, v66
	v_sub_u32_e32 v64, v28, v24
	v_addc_co_u32_e32 v67, vcc, v25, v67, vcc
	v_lshlrev_b64 v[64:65], 3, v[64:65]
	v_add_co_u32_e32 v64, vcc, v23, v64
	v_addc_co_u32_e32 v65, vcc, v25, v65, vcc
	s_or_b64 s[26:27], s[26:27], exec
	global_store_dwordx2 v[66:67], v[4:5], off
	global_store_dwordx2 v[64:65], v[6:7], off
	s_or_b64 exec, exec, s[20:21]
	s_and_b64 exec, exec, s[26:27]
	s_cbranch_execnz .LBB531_97
	s_branch .LBB531_98
.LBB531_143:
	s_and_saveexec_b64 s[26:27], s[18:19]
	s_cbranch_execnz .LBB531_187
; %bb.144:
	s_or_b64 exec, exec, s[26:27]
	s_and_saveexec_b64 s[18:19], s[16:17]
	s_cbranch_execnz .LBB531_188
.LBB531_145:
	s_or_b64 exec, exec, s[18:19]
	s_and_saveexec_b64 s[16:17], s[14:15]
	s_cbranch_execnz .LBB531_189
.LBB531_146:
	s_or_b64 exec, exec, s[16:17]
	s_and_saveexec_b64 s[14:15], s[12:13]
	s_cbranch_execnz .LBB531_190
.LBB531_147:
	s_or_b64 exec, exec, s[14:15]
	s_and_saveexec_b64 s[12:13], s[10:11]
	s_cbranch_execnz .LBB531_191
.LBB531_148:
	s_or_b64 exec, exec, s[12:13]
	s_and_saveexec_b64 s[10:11], s[8:9]
	s_cbranch_execnz .LBB531_192
.LBB531_149:
	s_or_b64 exec, exec, s[10:11]
	s_and_saveexec_b64 s[8:9], s[6:7]
	s_cbranch_execnz .LBB531_193
.LBB531_150:
	s_or_b64 exec, exec, s[8:9]
	s_and_saveexec_b64 s[6:7], s[4:5]
	s_cbranch_execnz .LBB531_194
.LBB531_151:
	s_or_b64 exec, exec, s[6:7]
	s_and_saveexec_b64 s[4:5], s[2:3]
	s_cbranch_execz .LBB531_153
.LBB531_152:
	v_sub_u32_e32 v2, v28, v24
	v_lshlrev_b32_e32 v2, 3, v2
	ds_write_b64 v2, v[6:7]
.LBB531_153:
	s_or_b64 exec, exec, s[4:5]
	s_and_b64 s[26:27], s[0:1], exec
                                        ; implicit-def: $vgpr4_vgpr5
                                        ; implicit-def: $vgpr12_vgpr13
                                        ; implicit-def: $vgpr16_vgpr17
                                        ; implicit-def: $vgpr20_vgpr21
	s_andn2_saveexec_b64 s[0:1], s[24:25]
	s_cbranch_execz .LBB531_103
.LBB531_154:
	v_sub_u32_e32 v27, v46, v24
	v_lshlrev_b32_e32 v27, 3, v27
	ds_write_b64 v27, v[18:19]
	v_sub_u32_e32 v18, v44, v24
	v_lshlrev_b32_e32 v18, 3, v18
	ds_write_b64 v18, v[20:21]
	;; [unrolled: 3-line block ×8, first 2 shown]
	v_sub_u32_e32 v2, v28, v24
	v_lshlrev_b32_e32 v2, 3, v2
	s_or_b64 s[26:27], s[26:27], exec
	ds_write_b64 v2, v[6:7]
	s_or_b64 exec, exec, s[0:1]
	s_and_b64 exec, exec, s[26:27]
	s_cbranch_execnz .LBB531_104
	s_branch .LBB531_105
.LBB531_155:
	s_and_saveexec_b64 s[26:27], s[18:19]
	s_cbranch_execnz .LBB531_195
; %bb.156:
	s_or_b64 exec, exec, s[26:27]
	s_and_saveexec_b64 s[26:27], s[16:17]
	s_cbranch_execnz .LBB531_196
.LBB531_157:
	s_or_b64 exec, exec, s[26:27]
	s_and_saveexec_b64 s[26:27], s[14:15]
	s_cbranch_execnz .LBB531_197
.LBB531_158:
	s_or_b64 exec, exec, s[26:27]
	s_and_saveexec_b64 s[26:27], s[12:13]
	s_cbranch_execnz .LBB531_198
.LBB531_159:
	s_or_b64 exec, exec, s[26:27]
	s_and_saveexec_b64 s[26:27], s[10:11]
	s_cbranch_execnz .LBB531_199
.LBB531_160:
	s_or_b64 exec, exec, s[26:27]
	s_and_saveexec_b64 s[26:27], s[8:9]
	s_cbranch_execnz .LBB531_200
.LBB531_161:
	s_or_b64 exec, exec, s[26:27]
	s_and_saveexec_b64 s[26:27], s[6:7]
	s_cbranch_execnz .LBB531_201
.LBB531_162:
	s_or_b64 exec, exec, s[26:27]
	s_and_saveexec_b64 s[26:27], s[4:5]
	s_cbranch_execnz .LBB531_202
.LBB531_163:
	s_or_b64 exec, exec, s[26:27]
	s_and_saveexec_b64 s[26:27], s[2:3]
	s_cbranch_execz .LBB531_165
.LBB531_164:
	v_sub_u32_e32 v8, v28, v2
	v_mov_b32_e32 v9, 0
	v_lshlrev_b64 v[10:11], 3, v[8:9]
	v_add_co_u32_e32 v10, vcc, v6, v10
	v_addc_co_u32_e32 v11, vcc, v7, v11, vcc
	v_mov_b32_e32 v8, v29
	global_store_dwordx2 v[10:11], v[8:9], off
.LBB531_165:
	s_or_b64 exec, exec, s[26:27]
	s_and_b64 s[26:27], s[0:1], exec
	s_andn2_saveexec_b64 s[20:21], s[20:21]
	s_cbranch_execz .LBB531_113
.LBB531_166:
	v_mov_b32_e32 v9, 0
	v_sub_u32_e32 v10, v46, v2
	v_mov_b32_e32 v11, v9
	v_lshlrev_b64 v[10:11], 3, v[10:11]
	v_add_co_u32_e32 v10, vcc, v6, v10
	v_mov_b32_e32 v8, v47
	v_addc_co_u32_e32 v11, vcc, v7, v11, vcc
	global_store_dwordx2 v[10:11], v[8:9], off
	v_sub_u32_e32 v10, v44, v2
	v_mov_b32_e32 v11, v9
	v_lshlrev_b64 v[10:11], 3, v[10:11]
	v_add_co_u32_e32 v10, vcc, v6, v10
	v_mov_b32_e32 v8, v45
	v_addc_co_u32_e32 v11, vcc, v7, v11, vcc
	global_store_dwordx2 v[10:11], v[8:9], off
	;; [unrolled: 7-line block ×8, first 2 shown]
	v_sub_u32_e32 v10, v28, v2
	v_mov_b32_e32 v11, v9
	v_lshlrev_b64 v[10:11], 3, v[10:11]
	v_add_co_u32_e32 v10, vcc, v6, v10
	v_mov_b32_e32 v8, v29
	v_addc_co_u32_e32 v11, vcc, v7, v11, vcc
	s_or_b64 s[26:27], s[26:27], exec
	global_store_dwordx2 v[10:11], v[8:9], off
	s_or_b64 exec, exec, s[20:21]
	s_and_b64 exec, exec, s[26:27]
	s_cbranch_execnz .LBB531_114
	s_branch .LBB531_115
.LBB531_167:
	s_and_saveexec_b64 s[26:27], s[18:19]
	s_cbranch_execnz .LBB531_203
; %bb.168:
	s_or_b64 exec, exec, s[26:27]
	s_and_saveexec_b64 s[18:19], s[16:17]
	s_cbranch_execnz .LBB531_204
.LBB531_169:
	s_or_b64 exec, exec, s[18:19]
	s_and_saveexec_b64 s[16:17], s[14:15]
	s_cbranch_execnz .LBB531_205
.LBB531_170:
	s_or_b64 exec, exec, s[16:17]
	s_and_saveexec_b64 s[14:15], s[12:13]
	s_cbranch_execnz .LBB531_206
.LBB531_171:
	s_or_b64 exec, exec, s[14:15]
	s_and_saveexec_b64 s[12:13], s[10:11]
	s_cbranch_execnz .LBB531_207
.LBB531_172:
	s_or_b64 exec, exec, s[12:13]
	s_and_saveexec_b64 s[10:11], s[8:9]
	s_cbranch_execnz .LBB531_208
.LBB531_173:
	s_or_b64 exec, exec, s[10:11]
	s_and_saveexec_b64 s[8:9], s[6:7]
	s_cbranch_execnz .LBB531_209
.LBB531_174:
	s_or_b64 exec, exec, s[8:9]
	s_and_saveexec_b64 s[6:7], s[4:5]
	s_cbranch_execnz .LBB531_210
.LBB531_175:
	s_or_b64 exec, exec, s[6:7]
	s_and_saveexec_b64 s[4:5], s[2:3]
	s_cbranch_execz .LBB531_177
.LBB531_176:
	v_sub_u32_e32 v3, v28, v2
	v_lshlrev_b32_e32 v3, 2, v3
	ds_write_b32 v3, v29
.LBB531_177:
	s_or_b64 exec, exec, s[4:5]
	s_and_b64 s[26:27], s[0:1], exec
                                        ; implicit-def: $vgpr28_vgpr29
                                        ; implicit-def: $vgpr32_vgpr33
                                        ; implicit-def: $vgpr34_vgpr35
                                        ; implicit-def: $vgpr46_vgpr47
                                        ; implicit-def: $vgpr44_vgpr45
                                        ; implicit-def: $vgpr42_vgpr43
                                        ; implicit-def: $vgpr40_vgpr41
                                        ; implicit-def: $vgpr38_vgpr39
                                        ; implicit-def: $vgpr36_vgpr37
	s_andn2_saveexec_b64 s[0:1], s[24:25]
	s_cbranch_execz .LBB531_120
.LBB531_178:
	v_sub_u32_e32 v3, v46, v2
	v_lshlrev_b32_e32 v3, 2, v3
	ds_write_b32 v3, v47
	v_sub_u32_e32 v3, v44, v2
	v_lshlrev_b32_e32 v3, 2, v3
	ds_write_b32 v3, v45
	;; [unrolled: 3-line block ×8, first 2 shown]
	v_sub_u32_e32 v3, v28, v2
	v_lshlrev_b32_e32 v3, 2, v3
	s_or_b64 s[26:27], s[26:27], exec
	ds_write_b32 v3, v29
	s_or_b64 exec, exec, s[0:1]
	s_and_b64 exec, exec, s[26:27]
	s_cbranch_execnz .LBB531_121
	s_branch .LBB531_122
.LBB531_179:
	v_sub_u32_e32 v64, v46, v24
	v_mov_b32_e32 v65, 0
	v_lshlrev_b64 v[64:65], 3, v[64:65]
	v_add_co_u32_e32 v64, vcc, v23, v64
	v_addc_co_u32_e32 v65, vcc, v25, v65, vcc
	global_store_dwordx2 v[64:65], v[18:19], off
	s_or_b64 exec, exec, s[26:27]
	s_and_saveexec_b64 s[26:27], s[16:17]
	s_cbranch_execz .LBB531_133
.LBB531_180:
	v_sub_u32_e32 v64, v44, v24
	v_mov_b32_e32 v65, 0
	v_lshlrev_b64 v[64:65], 3, v[64:65]
	v_add_co_u32_e32 v64, vcc, v23, v64
	v_addc_co_u32_e32 v65, vcc, v25, v65, vcc
	global_store_dwordx2 v[64:65], v[20:21], off
	s_or_b64 exec, exec, s[26:27]
	s_and_saveexec_b64 s[26:27], s[14:15]
	s_cbranch_execz .LBB531_134
.LBB531_181:
	v_sub_u32_e32 v64, v42, v24
	v_mov_b32_e32 v65, 0
	v_lshlrev_b64 v[64:65], 3, v[64:65]
	v_add_co_u32_e32 v64, vcc, v23, v64
	v_addc_co_u32_e32 v65, vcc, v25, v65, vcc
	global_store_dwordx2 v[64:65], v[14:15], off
	s_or_b64 exec, exec, s[26:27]
	s_and_saveexec_b64 s[26:27], s[12:13]
	s_cbranch_execz .LBB531_135
.LBB531_182:
	v_sub_u32_e32 v64, v40, v24
	v_mov_b32_e32 v65, 0
	v_lshlrev_b64 v[64:65], 3, v[64:65]
	v_add_co_u32_e32 v64, vcc, v23, v64
	v_addc_co_u32_e32 v65, vcc, v25, v65, vcc
	global_store_dwordx2 v[64:65], v[16:17], off
	s_or_b64 exec, exec, s[26:27]
	s_and_saveexec_b64 s[26:27], s[10:11]
	s_cbranch_execz .LBB531_136
.LBB531_183:
	v_sub_u32_e32 v64, v38, v24
	v_mov_b32_e32 v65, 0
	v_lshlrev_b64 v[64:65], 3, v[64:65]
	v_add_co_u32_e32 v64, vcc, v23, v64
	v_addc_co_u32_e32 v65, vcc, v25, v65, vcc
	global_store_dwordx2 v[64:65], v[10:11], off
	s_or_b64 exec, exec, s[26:27]
	s_and_saveexec_b64 s[26:27], s[8:9]
	s_cbranch_execz .LBB531_137
.LBB531_184:
	v_sub_u32_e32 v64, v36, v24
	v_mov_b32_e32 v65, 0
	v_lshlrev_b64 v[64:65], 3, v[64:65]
	v_add_co_u32_e32 v64, vcc, v23, v64
	v_addc_co_u32_e32 v65, vcc, v25, v65, vcc
	global_store_dwordx2 v[64:65], v[12:13], off
	s_or_b64 exec, exec, s[26:27]
	s_and_saveexec_b64 s[26:27], s[6:7]
	s_cbranch_execz .LBB531_138
.LBB531_185:
	v_sub_u32_e32 v64, v34, v24
	v_mov_b32_e32 v65, 0
	v_lshlrev_b64 v[64:65], 3, v[64:65]
	v_add_co_u32_e32 v64, vcc, v23, v64
	v_addc_co_u32_e32 v65, vcc, v25, v65, vcc
	global_store_dwordx2 v[64:65], v[2:3], off
	s_or_b64 exec, exec, s[26:27]
	s_and_saveexec_b64 s[26:27], s[4:5]
	s_cbranch_execz .LBB531_139
.LBB531_186:
	v_sub_u32_e32 v64, v32, v24
	v_mov_b32_e32 v65, 0
	v_lshlrev_b64 v[64:65], 3, v[64:65]
	v_add_co_u32_e32 v64, vcc, v23, v64
	v_addc_co_u32_e32 v65, vcc, v25, v65, vcc
	global_store_dwordx2 v[64:65], v[4:5], off
	s_or_b64 exec, exec, s[26:27]
	s_and_saveexec_b64 s[26:27], s[2:3]
	s_cbranch_execnz .LBB531_140
	s_branch .LBB531_141
.LBB531_187:
	v_sub_u32_e32 v27, v46, v24
	v_lshlrev_b32_e32 v27, 3, v27
	ds_write_b64 v27, v[18:19]
	s_or_b64 exec, exec, s[26:27]
	s_and_saveexec_b64 s[18:19], s[16:17]
	s_cbranch_execz .LBB531_145
.LBB531_188:
	v_sub_u32_e32 v18, v44, v24
	v_lshlrev_b32_e32 v18, 3, v18
	ds_write_b64 v18, v[20:21]
	s_or_b64 exec, exec, s[18:19]
	s_and_saveexec_b64 s[16:17], s[14:15]
	s_cbranch_execz .LBB531_146
.LBB531_189:
	v_sub_u32_e32 v18, v42, v24
	v_lshlrev_b32_e32 v18, 3, v18
	ds_write_b64 v18, v[14:15]
	s_or_b64 exec, exec, s[16:17]
	s_and_saveexec_b64 s[14:15], s[12:13]
	s_cbranch_execz .LBB531_147
.LBB531_190:
	v_sub_u32_e32 v14, v40, v24
	v_lshlrev_b32_e32 v14, 3, v14
	ds_write_b64 v14, v[16:17]
	s_or_b64 exec, exec, s[14:15]
	s_and_saveexec_b64 s[12:13], s[10:11]
	s_cbranch_execz .LBB531_148
.LBB531_191:
	v_sub_u32_e32 v14, v38, v24
	v_lshlrev_b32_e32 v14, 3, v14
	ds_write_b64 v14, v[10:11]
	s_or_b64 exec, exec, s[12:13]
	s_and_saveexec_b64 s[10:11], s[8:9]
	s_cbranch_execz .LBB531_149
.LBB531_192:
	v_sub_u32_e32 v10, v36, v24
	v_lshlrev_b32_e32 v10, 3, v10
	ds_write_b64 v10, v[12:13]
	s_or_b64 exec, exec, s[10:11]
	s_and_saveexec_b64 s[8:9], s[6:7]
	s_cbranch_execz .LBB531_150
.LBB531_193:
	v_sub_u32_e32 v10, v34, v24
	v_lshlrev_b32_e32 v10, 3, v10
	ds_write_b64 v10, v[2:3]
	s_or_b64 exec, exec, s[8:9]
	s_and_saveexec_b64 s[6:7], s[4:5]
	s_cbranch_execz .LBB531_151
.LBB531_194:
	v_sub_u32_e32 v2, v32, v24
	v_lshlrev_b32_e32 v2, 3, v2
	ds_write_b64 v2, v[4:5]
	s_or_b64 exec, exec, s[6:7]
	s_and_saveexec_b64 s[4:5], s[2:3]
	s_cbranch_execnz .LBB531_152
	s_branch .LBB531_153
.LBB531_195:
	v_sub_u32_e32 v8, v46, v2
	v_mov_b32_e32 v9, 0
	v_lshlrev_b64 v[10:11], 3, v[8:9]
	v_add_co_u32_e32 v10, vcc, v6, v10
	v_addc_co_u32_e32 v11, vcc, v7, v11, vcc
	v_mov_b32_e32 v8, v47
	global_store_dwordx2 v[10:11], v[8:9], off
	s_or_b64 exec, exec, s[26:27]
	s_and_saveexec_b64 s[26:27], s[16:17]
	s_cbranch_execz .LBB531_157
.LBB531_196:
	v_sub_u32_e32 v8, v44, v2
	v_mov_b32_e32 v9, 0
	v_lshlrev_b64 v[10:11], 3, v[8:9]
	v_add_co_u32_e32 v10, vcc, v6, v10
	v_addc_co_u32_e32 v11, vcc, v7, v11, vcc
	v_mov_b32_e32 v8, v45
	global_store_dwordx2 v[10:11], v[8:9], off
	s_or_b64 exec, exec, s[26:27]
	s_and_saveexec_b64 s[26:27], s[14:15]
	s_cbranch_execz .LBB531_158
.LBB531_197:
	v_sub_u32_e32 v8, v42, v2
	v_mov_b32_e32 v9, 0
	v_lshlrev_b64 v[10:11], 3, v[8:9]
	v_add_co_u32_e32 v10, vcc, v6, v10
	v_addc_co_u32_e32 v11, vcc, v7, v11, vcc
	v_mov_b32_e32 v8, v43
	global_store_dwordx2 v[10:11], v[8:9], off
	s_or_b64 exec, exec, s[26:27]
	s_and_saveexec_b64 s[26:27], s[12:13]
	s_cbranch_execz .LBB531_159
.LBB531_198:
	v_sub_u32_e32 v8, v40, v2
	v_mov_b32_e32 v9, 0
	v_lshlrev_b64 v[10:11], 3, v[8:9]
	v_add_co_u32_e32 v10, vcc, v6, v10
	v_addc_co_u32_e32 v11, vcc, v7, v11, vcc
	v_mov_b32_e32 v8, v41
	global_store_dwordx2 v[10:11], v[8:9], off
	s_or_b64 exec, exec, s[26:27]
	s_and_saveexec_b64 s[26:27], s[10:11]
	s_cbranch_execz .LBB531_160
.LBB531_199:
	v_sub_u32_e32 v8, v38, v2
	v_mov_b32_e32 v9, 0
	v_lshlrev_b64 v[10:11], 3, v[8:9]
	v_add_co_u32_e32 v10, vcc, v6, v10
	v_addc_co_u32_e32 v11, vcc, v7, v11, vcc
	v_mov_b32_e32 v8, v39
	global_store_dwordx2 v[10:11], v[8:9], off
	s_or_b64 exec, exec, s[26:27]
	s_and_saveexec_b64 s[26:27], s[8:9]
	s_cbranch_execz .LBB531_161
.LBB531_200:
	v_sub_u32_e32 v8, v36, v2
	v_mov_b32_e32 v9, 0
	v_lshlrev_b64 v[10:11], 3, v[8:9]
	v_add_co_u32_e32 v10, vcc, v6, v10
	v_addc_co_u32_e32 v11, vcc, v7, v11, vcc
	v_mov_b32_e32 v8, v37
	global_store_dwordx2 v[10:11], v[8:9], off
	s_or_b64 exec, exec, s[26:27]
	s_and_saveexec_b64 s[26:27], s[6:7]
	s_cbranch_execz .LBB531_162
.LBB531_201:
	v_sub_u32_e32 v8, v34, v2
	v_mov_b32_e32 v9, 0
	v_lshlrev_b64 v[10:11], 3, v[8:9]
	v_add_co_u32_e32 v10, vcc, v6, v10
	v_addc_co_u32_e32 v11, vcc, v7, v11, vcc
	v_mov_b32_e32 v8, v35
	global_store_dwordx2 v[10:11], v[8:9], off
	s_or_b64 exec, exec, s[26:27]
	s_and_saveexec_b64 s[26:27], s[4:5]
	s_cbranch_execz .LBB531_163
.LBB531_202:
	v_sub_u32_e32 v8, v32, v2
	v_mov_b32_e32 v9, 0
	v_lshlrev_b64 v[10:11], 3, v[8:9]
	v_add_co_u32_e32 v10, vcc, v6, v10
	v_addc_co_u32_e32 v11, vcc, v7, v11, vcc
	v_mov_b32_e32 v8, v33
	global_store_dwordx2 v[10:11], v[8:9], off
	s_or_b64 exec, exec, s[26:27]
	s_and_saveexec_b64 s[26:27], s[2:3]
	s_cbranch_execnz .LBB531_164
	s_branch .LBB531_165
.LBB531_203:
	v_sub_u32_e32 v3, v46, v2
	v_lshlrev_b32_e32 v3, 2, v3
	ds_write_b32 v3, v47
	s_or_b64 exec, exec, s[26:27]
	s_and_saveexec_b64 s[18:19], s[16:17]
	s_cbranch_execz .LBB531_169
.LBB531_204:
	v_sub_u32_e32 v3, v44, v2
	v_lshlrev_b32_e32 v3, 2, v3
	ds_write_b32 v3, v45
	s_or_b64 exec, exec, s[18:19]
	s_and_saveexec_b64 s[16:17], s[14:15]
	s_cbranch_execz .LBB531_170
.LBB531_205:
	v_sub_u32_e32 v3, v42, v2
	v_lshlrev_b32_e32 v3, 2, v3
	ds_write_b32 v3, v43
	s_or_b64 exec, exec, s[16:17]
	s_and_saveexec_b64 s[14:15], s[12:13]
	s_cbranch_execz .LBB531_171
.LBB531_206:
	v_sub_u32_e32 v3, v40, v2
	v_lshlrev_b32_e32 v3, 2, v3
	ds_write_b32 v3, v41
	s_or_b64 exec, exec, s[14:15]
	s_and_saveexec_b64 s[12:13], s[10:11]
	s_cbranch_execz .LBB531_172
.LBB531_207:
	v_sub_u32_e32 v3, v38, v2
	v_lshlrev_b32_e32 v3, 2, v3
	ds_write_b32 v3, v39
	s_or_b64 exec, exec, s[12:13]
	s_and_saveexec_b64 s[10:11], s[8:9]
	s_cbranch_execz .LBB531_173
.LBB531_208:
	v_sub_u32_e32 v3, v36, v2
	v_lshlrev_b32_e32 v3, 2, v3
	ds_write_b32 v3, v37
	s_or_b64 exec, exec, s[10:11]
	s_and_saveexec_b64 s[8:9], s[6:7]
	s_cbranch_execz .LBB531_174
.LBB531_209:
	v_sub_u32_e32 v3, v34, v2
	v_lshlrev_b32_e32 v3, 2, v3
	ds_write_b32 v3, v35
	s_or_b64 exec, exec, s[8:9]
	s_and_saveexec_b64 s[6:7], s[4:5]
	s_cbranch_execz .LBB531_175
.LBB531_210:
	v_sub_u32_e32 v3, v32, v2
	v_lshlrev_b32_e32 v3, 2, v3
	ds_write_b32 v3, v33
	s_or_b64 exec, exec, s[6:7]
	s_and_saveexec_b64 s[4:5], s[2:3]
	s_cbranch_execnz .LBB531_176
	s_branch .LBB531_177
	.section	.rodata,"a",@progbits
	.p2align	6, 0x0
	.amdhsa_kernel _ZN7rocprim17ROCPRIM_400000_NS6detail17trampoline_kernelINS0_14default_configENS1_33run_length_encode_config_selectorIljNS0_4plusIjEEEEZZNS1_33reduce_by_key_impl_wrapped_configILNS1_25lookback_scan_determinismE0ES3_S7_PKlNS0_17constant_iteratorIjlEEPlSE_SE_S6_NS0_8equal_toIlEEEE10hipError_tPvRmT2_T3_mT4_T5_T6_T7_T8_P12ihipStream_tbENKUlT_T0_E_clISt17integral_constantIbLb1EESX_IbLb0EEEEDaST_SU_EUlST_E_NS1_11comp_targetILNS1_3genE4ELNS1_11target_archE910ELNS1_3gpuE8ELNS1_3repE0EEENS1_30default_config_static_selectorELNS0_4arch9wavefront6targetE1EEEvT1_
		.amdhsa_group_segment_fixed_size 20480
		.amdhsa_private_segment_fixed_size 0
		.amdhsa_kernarg_size 128
		.amdhsa_user_sgpr_count 6
		.amdhsa_user_sgpr_private_segment_buffer 1
		.amdhsa_user_sgpr_dispatch_ptr 0
		.amdhsa_user_sgpr_queue_ptr 0
		.amdhsa_user_sgpr_kernarg_segment_ptr 1
		.amdhsa_user_sgpr_dispatch_id 0
		.amdhsa_user_sgpr_flat_scratch_init 0
		.amdhsa_user_sgpr_kernarg_preload_length 0
		.amdhsa_user_sgpr_kernarg_preload_offset 0
		.amdhsa_user_sgpr_private_segment_size 0
		.amdhsa_uses_dynamic_stack 0
		.amdhsa_system_sgpr_private_segment_wavefront_offset 0
		.amdhsa_system_sgpr_workgroup_id_x 1
		.amdhsa_system_sgpr_workgroup_id_y 0
		.amdhsa_system_sgpr_workgroup_id_z 0
		.amdhsa_system_sgpr_workgroup_info 0
		.amdhsa_system_vgpr_workitem_id 0
		.amdhsa_next_free_vgpr 68
		.amdhsa_next_free_sgpr 54
		.amdhsa_accum_offset 68
		.amdhsa_reserve_vcc 1
		.amdhsa_reserve_flat_scratch 0
		.amdhsa_float_round_mode_32 0
		.amdhsa_float_round_mode_16_64 0
		.amdhsa_float_denorm_mode_32 3
		.amdhsa_float_denorm_mode_16_64 3
		.amdhsa_dx10_clamp 1
		.amdhsa_ieee_mode 1
		.amdhsa_fp16_overflow 0
		.amdhsa_tg_split 0
		.amdhsa_exception_fp_ieee_invalid_op 0
		.amdhsa_exception_fp_denorm_src 0
		.amdhsa_exception_fp_ieee_div_zero 0
		.amdhsa_exception_fp_ieee_overflow 0
		.amdhsa_exception_fp_ieee_underflow 0
		.amdhsa_exception_fp_ieee_inexact 0
		.amdhsa_exception_int_div_zero 0
	.end_amdhsa_kernel
	.section	.text._ZN7rocprim17ROCPRIM_400000_NS6detail17trampoline_kernelINS0_14default_configENS1_33run_length_encode_config_selectorIljNS0_4plusIjEEEEZZNS1_33reduce_by_key_impl_wrapped_configILNS1_25lookback_scan_determinismE0ES3_S7_PKlNS0_17constant_iteratorIjlEEPlSE_SE_S6_NS0_8equal_toIlEEEE10hipError_tPvRmT2_T3_mT4_T5_T6_T7_T8_P12ihipStream_tbENKUlT_T0_E_clISt17integral_constantIbLb1EESX_IbLb0EEEEDaST_SU_EUlST_E_NS1_11comp_targetILNS1_3genE4ELNS1_11target_archE910ELNS1_3gpuE8ELNS1_3repE0EEENS1_30default_config_static_selectorELNS0_4arch9wavefront6targetE1EEEvT1_,"axG",@progbits,_ZN7rocprim17ROCPRIM_400000_NS6detail17trampoline_kernelINS0_14default_configENS1_33run_length_encode_config_selectorIljNS0_4plusIjEEEEZZNS1_33reduce_by_key_impl_wrapped_configILNS1_25lookback_scan_determinismE0ES3_S7_PKlNS0_17constant_iteratorIjlEEPlSE_SE_S6_NS0_8equal_toIlEEEE10hipError_tPvRmT2_T3_mT4_T5_T6_T7_T8_P12ihipStream_tbENKUlT_T0_E_clISt17integral_constantIbLb1EESX_IbLb0EEEEDaST_SU_EUlST_E_NS1_11comp_targetILNS1_3genE4ELNS1_11target_archE910ELNS1_3gpuE8ELNS1_3repE0EEENS1_30default_config_static_selectorELNS0_4arch9wavefront6targetE1EEEvT1_,comdat
.Lfunc_end531:
	.size	_ZN7rocprim17ROCPRIM_400000_NS6detail17trampoline_kernelINS0_14default_configENS1_33run_length_encode_config_selectorIljNS0_4plusIjEEEEZZNS1_33reduce_by_key_impl_wrapped_configILNS1_25lookback_scan_determinismE0ES3_S7_PKlNS0_17constant_iteratorIjlEEPlSE_SE_S6_NS0_8equal_toIlEEEE10hipError_tPvRmT2_T3_mT4_T5_T6_T7_T8_P12ihipStream_tbENKUlT_T0_E_clISt17integral_constantIbLb1EESX_IbLb0EEEEDaST_SU_EUlST_E_NS1_11comp_targetILNS1_3genE4ELNS1_11target_archE910ELNS1_3gpuE8ELNS1_3repE0EEENS1_30default_config_static_selectorELNS0_4arch9wavefront6targetE1EEEvT1_, .Lfunc_end531-_ZN7rocprim17ROCPRIM_400000_NS6detail17trampoline_kernelINS0_14default_configENS1_33run_length_encode_config_selectorIljNS0_4plusIjEEEEZZNS1_33reduce_by_key_impl_wrapped_configILNS1_25lookback_scan_determinismE0ES3_S7_PKlNS0_17constant_iteratorIjlEEPlSE_SE_S6_NS0_8equal_toIlEEEE10hipError_tPvRmT2_T3_mT4_T5_T6_T7_T8_P12ihipStream_tbENKUlT_T0_E_clISt17integral_constantIbLb1EESX_IbLb0EEEEDaST_SU_EUlST_E_NS1_11comp_targetILNS1_3genE4ELNS1_11target_archE910ELNS1_3gpuE8ELNS1_3repE0EEENS1_30default_config_static_selectorELNS0_4arch9wavefront6targetE1EEEvT1_
                                        ; -- End function
	.section	.AMDGPU.csdata,"",@progbits
; Kernel info:
; codeLenInByte = 10976
; NumSgprs: 58
; NumVgprs: 68
; NumAgprs: 0
; TotalNumVgprs: 68
; ScratchSize: 0
; MemoryBound: 0
; FloatMode: 240
; IeeeMode: 1
; LDSByteSize: 20480 bytes/workgroup (compile time only)
; SGPRBlocks: 7
; VGPRBlocks: 8
; NumSGPRsForWavesPerEU: 58
; NumVGPRsForWavesPerEU: 68
; AccumOffset: 68
; Occupancy: 3
; WaveLimiterHint : 1
; COMPUTE_PGM_RSRC2:SCRATCH_EN: 0
; COMPUTE_PGM_RSRC2:USER_SGPR: 6
; COMPUTE_PGM_RSRC2:TRAP_HANDLER: 0
; COMPUTE_PGM_RSRC2:TGID_X_EN: 1
; COMPUTE_PGM_RSRC2:TGID_Y_EN: 0
; COMPUTE_PGM_RSRC2:TGID_Z_EN: 0
; COMPUTE_PGM_RSRC2:TIDIG_COMP_CNT: 0
; COMPUTE_PGM_RSRC3_GFX90A:ACCUM_OFFSET: 16
; COMPUTE_PGM_RSRC3_GFX90A:TG_SPLIT: 0
	.section	.text._ZN7rocprim17ROCPRIM_400000_NS6detail17trampoline_kernelINS0_14default_configENS1_33run_length_encode_config_selectorIljNS0_4plusIjEEEEZZNS1_33reduce_by_key_impl_wrapped_configILNS1_25lookback_scan_determinismE0ES3_S7_PKlNS0_17constant_iteratorIjlEEPlSE_SE_S6_NS0_8equal_toIlEEEE10hipError_tPvRmT2_T3_mT4_T5_T6_T7_T8_P12ihipStream_tbENKUlT_T0_E_clISt17integral_constantIbLb1EESX_IbLb0EEEEDaST_SU_EUlST_E_NS1_11comp_targetILNS1_3genE3ELNS1_11target_archE908ELNS1_3gpuE7ELNS1_3repE0EEENS1_30default_config_static_selectorELNS0_4arch9wavefront6targetE1EEEvT1_,"axG",@progbits,_ZN7rocprim17ROCPRIM_400000_NS6detail17trampoline_kernelINS0_14default_configENS1_33run_length_encode_config_selectorIljNS0_4plusIjEEEEZZNS1_33reduce_by_key_impl_wrapped_configILNS1_25lookback_scan_determinismE0ES3_S7_PKlNS0_17constant_iteratorIjlEEPlSE_SE_S6_NS0_8equal_toIlEEEE10hipError_tPvRmT2_T3_mT4_T5_T6_T7_T8_P12ihipStream_tbENKUlT_T0_E_clISt17integral_constantIbLb1EESX_IbLb0EEEEDaST_SU_EUlST_E_NS1_11comp_targetILNS1_3genE3ELNS1_11target_archE908ELNS1_3gpuE7ELNS1_3repE0EEENS1_30default_config_static_selectorELNS0_4arch9wavefront6targetE1EEEvT1_,comdat
	.protected	_ZN7rocprim17ROCPRIM_400000_NS6detail17trampoline_kernelINS0_14default_configENS1_33run_length_encode_config_selectorIljNS0_4plusIjEEEEZZNS1_33reduce_by_key_impl_wrapped_configILNS1_25lookback_scan_determinismE0ES3_S7_PKlNS0_17constant_iteratorIjlEEPlSE_SE_S6_NS0_8equal_toIlEEEE10hipError_tPvRmT2_T3_mT4_T5_T6_T7_T8_P12ihipStream_tbENKUlT_T0_E_clISt17integral_constantIbLb1EESX_IbLb0EEEEDaST_SU_EUlST_E_NS1_11comp_targetILNS1_3genE3ELNS1_11target_archE908ELNS1_3gpuE7ELNS1_3repE0EEENS1_30default_config_static_selectorELNS0_4arch9wavefront6targetE1EEEvT1_ ; -- Begin function _ZN7rocprim17ROCPRIM_400000_NS6detail17trampoline_kernelINS0_14default_configENS1_33run_length_encode_config_selectorIljNS0_4plusIjEEEEZZNS1_33reduce_by_key_impl_wrapped_configILNS1_25lookback_scan_determinismE0ES3_S7_PKlNS0_17constant_iteratorIjlEEPlSE_SE_S6_NS0_8equal_toIlEEEE10hipError_tPvRmT2_T3_mT4_T5_T6_T7_T8_P12ihipStream_tbENKUlT_T0_E_clISt17integral_constantIbLb1EESX_IbLb0EEEEDaST_SU_EUlST_E_NS1_11comp_targetILNS1_3genE3ELNS1_11target_archE908ELNS1_3gpuE7ELNS1_3repE0EEENS1_30default_config_static_selectorELNS0_4arch9wavefront6targetE1EEEvT1_
	.globl	_ZN7rocprim17ROCPRIM_400000_NS6detail17trampoline_kernelINS0_14default_configENS1_33run_length_encode_config_selectorIljNS0_4plusIjEEEEZZNS1_33reduce_by_key_impl_wrapped_configILNS1_25lookback_scan_determinismE0ES3_S7_PKlNS0_17constant_iteratorIjlEEPlSE_SE_S6_NS0_8equal_toIlEEEE10hipError_tPvRmT2_T3_mT4_T5_T6_T7_T8_P12ihipStream_tbENKUlT_T0_E_clISt17integral_constantIbLb1EESX_IbLb0EEEEDaST_SU_EUlST_E_NS1_11comp_targetILNS1_3genE3ELNS1_11target_archE908ELNS1_3gpuE7ELNS1_3repE0EEENS1_30default_config_static_selectorELNS0_4arch9wavefront6targetE1EEEvT1_
	.p2align	8
	.type	_ZN7rocprim17ROCPRIM_400000_NS6detail17trampoline_kernelINS0_14default_configENS1_33run_length_encode_config_selectorIljNS0_4plusIjEEEEZZNS1_33reduce_by_key_impl_wrapped_configILNS1_25lookback_scan_determinismE0ES3_S7_PKlNS0_17constant_iteratorIjlEEPlSE_SE_S6_NS0_8equal_toIlEEEE10hipError_tPvRmT2_T3_mT4_T5_T6_T7_T8_P12ihipStream_tbENKUlT_T0_E_clISt17integral_constantIbLb1EESX_IbLb0EEEEDaST_SU_EUlST_E_NS1_11comp_targetILNS1_3genE3ELNS1_11target_archE908ELNS1_3gpuE7ELNS1_3repE0EEENS1_30default_config_static_selectorELNS0_4arch9wavefront6targetE1EEEvT1_,@function
_ZN7rocprim17ROCPRIM_400000_NS6detail17trampoline_kernelINS0_14default_configENS1_33run_length_encode_config_selectorIljNS0_4plusIjEEEEZZNS1_33reduce_by_key_impl_wrapped_configILNS1_25lookback_scan_determinismE0ES3_S7_PKlNS0_17constant_iteratorIjlEEPlSE_SE_S6_NS0_8equal_toIlEEEE10hipError_tPvRmT2_T3_mT4_T5_T6_T7_T8_P12ihipStream_tbENKUlT_T0_E_clISt17integral_constantIbLb1EESX_IbLb0EEEEDaST_SU_EUlST_E_NS1_11comp_targetILNS1_3genE3ELNS1_11target_archE908ELNS1_3gpuE7ELNS1_3repE0EEENS1_30default_config_static_selectorELNS0_4arch9wavefront6targetE1EEEvT1_: ; @_ZN7rocprim17ROCPRIM_400000_NS6detail17trampoline_kernelINS0_14default_configENS1_33run_length_encode_config_selectorIljNS0_4plusIjEEEEZZNS1_33reduce_by_key_impl_wrapped_configILNS1_25lookback_scan_determinismE0ES3_S7_PKlNS0_17constant_iteratorIjlEEPlSE_SE_S6_NS0_8equal_toIlEEEE10hipError_tPvRmT2_T3_mT4_T5_T6_T7_T8_P12ihipStream_tbENKUlT_T0_E_clISt17integral_constantIbLb1EESX_IbLb0EEEEDaST_SU_EUlST_E_NS1_11comp_targetILNS1_3genE3ELNS1_11target_archE908ELNS1_3gpuE7ELNS1_3repE0EEENS1_30default_config_static_selectorELNS0_4arch9wavefront6targetE1EEEvT1_
; %bb.0:
	.section	.rodata,"a",@progbits
	.p2align	6, 0x0
	.amdhsa_kernel _ZN7rocprim17ROCPRIM_400000_NS6detail17trampoline_kernelINS0_14default_configENS1_33run_length_encode_config_selectorIljNS0_4plusIjEEEEZZNS1_33reduce_by_key_impl_wrapped_configILNS1_25lookback_scan_determinismE0ES3_S7_PKlNS0_17constant_iteratorIjlEEPlSE_SE_S6_NS0_8equal_toIlEEEE10hipError_tPvRmT2_T3_mT4_T5_T6_T7_T8_P12ihipStream_tbENKUlT_T0_E_clISt17integral_constantIbLb1EESX_IbLb0EEEEDaST_SU_EUlST_E_NS1_11comp_targetILNS1_3genE3ELNS1_11target_archE908ELNS1_3gpuE7ELNS1_3repE0EEENS1_30default_config_static_selectorELNS0_4arch9wavefront6targetE1EEEvT1_
		.amdhsa_group_segment_fixed_size 0
		.amdhsa_private_segment_fixed_size 0
		.amdhsa_kernarg_size 128
		.amdhsa_user_sgpr_count 6
		.amdhsa_user_sgpr_private_segment_buffer 1
		.amdhsa_user_sgpr_dispatch_ptr 0
		.amdhsa_user_sgpr_queue_ptr 0
		.amdhsa_user_sgpr_kernarg_segment_ptr 1
		.amdhsa_user_sgpr_dispatch_id 0
		.amdhsa_user_sgpr_flat_scratch_init 0
		.amdhsa_user_sgpr_kernarg_preload_length 0
		.amdhsa_user_sgpr_kernarg_preload_offset 0
		.amdhsa_user_sgpr_private_segment_size 0
		.amdhsa_uses_dynamic_stack 0
		.amdhsa_system_sgpr_private_segment_wavefront_offset 0
		.amdhsa_system_sgpr_workgroup_id_x 1
		.amdhsa_system_sgpr_workgroup_id_y 0
		.amdhsa_system_sgpr_workgroup_id_z 0
		.amdhsa_system_sgpr_workgroup_info 0
		.amdhsa_system_vgpr_workitem_id 0
		.amdhsa_next_free_vgpr 1
		.amdhsa_next_free_sgpr 0
		.amdhsa_accum_offset 4
		.amdhsa_reserve_vcc 0
		.amdhsa_reserve_flat_scratch 0
		.amdhsa_float_round_mode_32 0
		.amdhsa_float_round_mode_16_64 0
		.amdhsa_float_denorm_mode_32 3
		.amdhsa_float_denorm_mode_16_64 3
		.amdhsa_dx10_clamp 1
		.amdhsa_ieee_mode 1
		.amdhsa_fp16_overflow 0
		.amdhsa_tg_split 0
		.amdhsa_exception_fp_ieee_invalid_op 0
		.amdhsa_exception_fp_denorm_src 0
		.amdhsa_exception_fp_ieee_div_zero 0
		.amdhsa_exception_fp_ieee_overflow 0
		.amdhsa_exception_fp_ieee_underflow 0
		.amdhsa_exception_fp_ieee_inexact 0
		.amdhsa_exception_int_div_zero 0
	.end_amdhsa_kernel
	.section	.text._ZN7rocprim17ROCPRIM_400000_NS6detail17trampoline_kernelINS0_14default_configENS1_33run_length_encode_config_selectorIljNS0_4plusIjEEEEZZNS1_33reduce_by_key_impl_wrapped_configILNS1_25lookback_scan_determinismE0ES3_S7_PKlNS0_17constant_iteratorIjlEEPlSE_SE_S6_NS0_8equal_toIlEEEE10hipError_tPvRmT2_T3_mT4_T5_T6_T7_T8_P12ihipStream_tbENKUlT_T0_E_clISt17integral_constantIbLb1EESX_IbLb0EEEEDaST_SU_EUlST_E_NS1_11comp_targetILNS1_3genE3ELNS1_11target_archE908ELNS1_3gpuE7ELNS1_3repE0EEENS1_30default_config_static_selectorELNS0_4arch9wavefront6targetE1EEEvT1_,"axG",@progbits,_ZN7rocprim17ROCPRIM_400000_NS6detail17trampoline_kernelINS0_14default_configENS1_33run_length_encode_config_selectorIljNS0_4plusIjEEEEZZNS1_33reduce_by_key_impl_wrapped_configILNS1_25lookback_scan_determinismE0ES3_S7_PKlNS0_17constant_iteratorIjlEEPlSE_SE_S6_NS0_8equal_toIlEEEE10hipError_tPvRmT2_T3_mT4_T5_T6_T7_T8_P12ihipStream_tbENKUlT_T0_E_clISt17integral_constantIbLb1EESX_IbLb0EEEEDaST_SU_EUlST_E_NS1_11comp_targetILNS1_3genE3ELNS1_11target_archE908ELNS1_3gpuE7ELNS1_3repE0EEENS1_30default_config_static_selectorELNS0_4arch9wavefront6targetE1EEEvT1_,comdat
.Lfunc_end532:
	.size	_ZN7rocprim17ROCPRIM_400000_NS6detail17trampoline_kernelINS0_14default_configENS1_33run_length_encode_config_selectorIljNS0_4plusIjEEEEZZNS1_33reduce_by_key_impl_wrapped_configILNS1_25lookback_scan_determinismE0ES3_S7_PKlNS0_17constant_iteratorIjlEEPlSE_SE_S6_NS0_8equal_toIlEEEE10hipError_tPvRmT2_T3_mT4_T5_T6_T7_T8_P12ihipStream_tbENKUlT_T0_E_clISt17integral_constantIbLb1EESX_IbLb0EEEEDaST_SU_EUlST_E_NS1_11comp_targetILNS1_3genE3ELNS1_11target_archE908ELNS1_3gpuE7ELNS1_3repE0EEENS1_30default_config_static_selectorELNS0_4arch9wavefront6targetE1EEEvT1_, .Lfunc_end532-_ZN7rocprim17ROCPRIM_400000_NS6detail17trampoline_kernelINS0_14default_configENS1_33run_length_encode_config_selectorIljNS0_4plusIjEEEEZZNS1_33reduce_by_key_impl_wrapped_configILNS1_25lookback_scan_determinismE0ES3_S7_PKlNS0_17constant_iteratorIjlEEPlSE_SE_S6_NS0_8equal_toIlEEEE10hipError_tPvRmT2_T3_mT4_T5_T6_T7_T8_P12ihipStream_tbENKUlT_T0_E_clISt17integral_constantIbLb1EESX_IbLb0EEEEDaST_SU_EUlST_E_NS1_11comp_targetILNS1_3genE3ELNS1_11target_archE908ELNS1_3gpuE7ELNS1_3repE0EEENS1_30default_config_static_selectorELNS0_4arch9wavefront6targetE1EEEvT1_
                                        ; -- End function
	.section	.AMDGPU.csdata,"",@progbits
; Kernel info:
; codeLenInByte = 0
; NumSgprs: 4
; NumVgprs: 0
; NumAgprs: 0
; TotalNumVgprs: 0
; ScratchSize: 0
; MemoryBound: 0
; FloatMode: 240
; IeeeMode: 1
; LDSByteSize: 0 bytes/workgroup (compile time only)
; SGPRBlocks: 0
; VGPRBlocks: 0
; NumSGPRsForWavesPerEU: 4
; NumVGPRsForWavesPerEU: 1
; AccumOffset: 4
; Occupancy: 8
; WaveLimiterHint : 0
; COMPUTE_PGM_RSRC2:SCRATCH_EN: 0
; COMPUTE_PGM_RSRC2:USER_SGPR: 6
; COMPUTE_PGM_RSRC2:TRAP_HANDLER: 0
; COMPUTE_PGM_RSRC2:TGID_X_EN: 1
; COMPUTE_PGM_RSRC2:TGID_Y_EN: 0
; COMPUTE_PGM_RSRC2:TGID_Z_EN: 0
; COMPUTE_PGM_RSRC2:TIDIG_COMP_CNT: 0
; COMPUTE_PGM_RSRC3_GFX90A:ACCUM_OFFSET: 0
; COMPUTE_PGM_RSRC3_GFX90A:TG_SPLIT: 0
	.section	.text._ZN7rocprim17ROCPRIM_400000_NS6detail17trampoline_kernelINS0_14default_configENS1_33run_length_encode_config_selectorIljNS0_4plusIjEEEEZZNS1_33reduce_by_key_impl_wrapped_configILNS1_25lookback_scan_determinismE0ES3_S7_PKlNS0_17constant_iteratorIjlEEPlSE_SE_S6_NS0_8equal_toIlEEEE10hipError_tPvRmT2_T3_mT4_T5_T6_T7_T8_P12ihipStream_tbENKUlT_T0_E_clISt17integral_constantIbLb1EESX_IbLb0EEEEDaST_SU_EUlST_E_NS1_11comp_targetILNS1_3genE2ELNS1_11target_archE906ELNS1_3gpuE6ELNS1_3repE0EEENS1_30default_config_static_selectorELNS0_4arch9wavefront6targetE1EEEvT1_,"axG",@progbits,_ZN7rocprim17ROCPRIM_400000_NS6detail17trampoline_kernelINS0_14default_configENS1_33run_length_encode_config_selectorIljNS0_4plusIjEEEEZZNS1_33reduce_by_key_impl_wrapped_configILNS1_25lookback_scan_determinismE0ES3_S7_PKlNS0_17constant_iteratorIjlEEPlSE_SE_S6_NS0_8equal_toIlEEEE10hipError_tPvRmT2_T3_mT4_T5_T6_T7_T8_P12ihipStream_tbENKUlT_T0_E_clISt17integral_constantIbLb1EESX_IbLb0EEEEDaST_SU_EUlST_E_NS1_11comp_targetILNS1_3genE2ELNS1_11target_archE906ELNS1_3gpuE6ELNS1_3repE0EEENS1_30default_config_static_selectorELNS0_4arch9wavefront6targetE1EEEvT1_,comdat
	.protected	_ZN7rocprim17ROCPRIM_400000_NS6detail17trampoline_kernelINS0_14default_configENS1_33run_length_encode_config_selectorIljNS0_4plusIjEEEEZZNS1_33reduce_by_key_impl_wrapped_configILNS1_25lookback_scan_determinismE0ES3_S7_PKlNS0_17constant_iteratorIjlEEPlSE_SE_S6_NS0_8equal_toIlEEEE10hipError_tPvRmT2_T3_mT4_T5_T6_T7_T8_P12ihipStream_tbENKUlT_T0_E_clISt17integral_constantIbLb1EESX_IbLb0EEEEDaST_SU_EUlST_E_NS1_11comp_targetILNS1_3genE2ELNS1_11target_archE906ELNS1_3gpuE6ELNS1_3repE0EEENS1_30default_config_static_selectorELNS0_4arch9wavefront6targetE1EEEvT1_ ; -- Begin function _ZN7rocprim17ROCPRIM_400000_NS6detail17trampoline_kernelINS0_14default_configENS1_33run_length_encode_config_selectorIljNS0_4plusIjEEEEZZNS1_33reduce_by_key_impl_wrapped_configILNS1_25lookback_scan_determinismE0ES3_S7_PKlNS0_17constant_iteratorIjlEEPlSE_SE_S6_NS0_8equal_toIlEEEE10hipError_tPvRmT2_T3_mT4_T5_T6_T7_T8_P12ihipStream_tbENKUlT_T0_E_clISt17integral_constantIbLb1EESX_IbLb0EEEEDaST_SU_EUlST_E_NS1_11comp_targetILNS1_3genE2ELNS1_11target_archE906ELNS1_3gpuE6ELNS1_3repE0EEENS1_30default_config_static_selectorELNS0_4arch9wavefront6targetE1EEEvT1_
	.globl	_ZN7rocprim17ROCPRIM_400000_NS6detail17trampoline_kernelINS0_14default_configENS1_33run_length_encode_config_selectorIljNS0_4plusIjEEEEZZNS1_33reduce_by_key_impl_wrapped_configILNS1_25lookback_scan_determinismE0ES3_S7_PKlNS0_17constant_iteratorIjlEEPlSE_SE_S6_NS0_8equal_toIlEEEE10hipError_tPvRmT2_T3_mT4_T5_T6_T7_T8_P12ihipStream_tbENKUlT_T0_E_clISt17integral_constantIbLb1EESX_IbLb0EEEEDaST_SU_EUlST_E_NS1_11comp_targetILNS1_3genE2ELNS1_11target_archE906ELNS1_3gpuE6ELNS1_3repE0EEENS1_30default_config_static_selectorELNS0_4arch9wavefront6targetE1EEEvT1_
	.p2align	8
	.type	_ZN7rocprim17ROCPRIM_400000_NS6detail17trampoline_kernelINS0_14default_configENS1_33run_length_encode_config_selectorIljNS0_4plusIjEEEEZZNS1_33reduce_by_key_impl_wrapped_configILNS1_25lookback_scan_determinismE0ES3_S7_PKlNS0_17constant_iteratorIjlEEPlSE_SE_S6_NS0_8equal_toIlEEEE10hipError_tPvRmT2_T3_mT4_T5_T6_T7_T8_P12ihipStream_tbENKUlT_T0_E_clISt17integral_constantIbLb1EESX_IbLb0EEEEDaST_SU_EUlST_E_NS1_11comp_targetILNS1_3genE2ELNS1_11target_archE906ELNS1_3gpuE6ELNS1_3repE0EEENS1_30default_config_static_selectorELNS0_4arch9wavefront6targetE1EEEvT1_,@function
_ZN7rocprim17ROCPRIM_400000_NS6detail17trampoline_kernelINS0_14default_configENS1_33run_length_encode_config_selectorIljNS0_4plusIjEEEEZZNS1_33reduce_by_key_impl_wrapped_configILNS1_25lookback_scan_determinismE0ES3_S7_PKlNS0_17constant_iteratorIjlEEPlSE_SE_S6_NS0_8equal_toIlEEEE10hipError_tPvRmT2_T3_mT4_T5_T6_T7_T8_P12ihipStream_tbENKUlT_T0_E_clISt17integral_constantIbLb1EESX_IbLb0EEEEDaST_SU_EUlST_E_NS1_11comp_targetILNS1_3genE2ELNS1_11target_archE906ELNS1_3gpuE6ELNS1_3repE0EEENS1_30default_config_static_selectorELNS0_4arch9wavefront6targetE1EEEvT1_: ; @_ZN7rocprim17ROCPRIM_400000_NS6detail17trampoline_kernelINS0_14default_configENS1_33run_length_encode_config_selectorIljNS0_4plusIjEEEEZZNS1_33reduce_by_key_impl_wrapped_configILNS1_25lookback_scan_determinismE0ES3_S7_PKlNS0_17constant_iteratorIjlEEPlSE_SE_S6_NS0_8equal_toIlEEEE10hipError_tPvRmT2_T3_mT4_T5_T6_T7_T8_P12ihipStream_tbENKUlT_T0_E_clISt17integral_constantIbLb1EESX_IbLb0EEEEDaST_SU_EUlST_E_NS1_11comp_targetILNS1_3genE2ELNS1_11target_archE906ELNS1_3gpuE6ELNS1_3repE0EEENS1_30default_config_static_selectorELNS0_4arch9wavefront6targetE1EEEvT1_
; %bb.0:
	.section	.rodata,"a",@progbits
	.p2align	6, 0x0
	.amdhsa_kernel _ZN7rocprim17ROCPRIM_400000_NS6detail17trampoline_kernelINS0_14default_configENS1_33run_length_encode_config_selectorIljNS0_4plusIjEEEEZZNS1_33reduce_by_key_impl_wrapped_configILNS1_25lookback_scan_determinismE0ES3_S7_PKlNS0_17constant_iteratorIjlEEPlSE_SE_S6_NS0_8equal_toIlEEEE10hipError_tPvRmT2_T3_mT4_T5_T6_T7_T8_P12ihipStream_tbENKUlT_T0_E_clISt17integral_constantIbLb1EESX_IbLb0EEEEDaST_SU_EUlST_E_NS1_11comp_targetILNS1_3genE2ELNS1_11target_archE906ELNS1_3gpuE6ELNS1_3repE0EEENS1_30default_config_static_selectorELNS0_4arch9wavefront6targetE1EEEvT1_
		.amdhsa_group_segment_fixed_size 0
		.amdhsa_private_segment_fixed_size 0
		.amdhsa_kernarg_size 128
		.amdhsa_user_sgpr_count 6
		.amdhsa_user_sgpr_private_segment_buffer 1
		.amdhsa_user_sgpr_dispatch_ptr 0
		.amdhsa_user_sgpr_queue_ptr 0
		.amdhsa_user_sgpr_kernarg_segment_ptr 1
		.amdhsa_user_sgpr_dispatch_id 0
		.amdhsa_user_sgpr_flat_scratch_init 0
		.amdhsa_user_sgpr_kernarg_preload_length 0
		.amdhsa_user_sgpr_kernarg_preload_offset 0
		.amdhsa_user_sgpr_private_segment_size 0
		.amdhsa_uses_dynamic_stack 0
		.amdhsa_system_sgpr_private_segment_wavefront_offset 0
		.amdhsa_system_sgpr_workgroup_id_x 1
		.amdhsa_system_sgpr_workgroup_id_y 0
		.amdhsa_system_sgpr_workgroup_id_z 0
		.amdhsa_system_sgpr_workgroup_info 0
		.amdhsa_system_vgpr_workitem_id 0
		.amdhsa_next_free_vgpr 1
		.amdhsa_next_free_sgpr 0
		.amdhsa_accum_offset 4
		.amdhsa_reserve_vcc 0
		.amdhsa_reserve_flat_scratch 0
		.amdhsa_float_round_mode_32 0
		.amdhsa_float_round_mode_16_64 0
		.amdhsa_float_denorm_mode_32 3
		.amdhsa_float_denorm_mode_16_64 3
		.amdhsa_dx10_clamp 1
		.amdhsa_ieee_mode 1
		.amdhsa_fp16_overflow 0
		.amdhsa_tg_split 0
		.amdhsa_exception_fp_ieee_invalid_op 0
		.amdhsa_exception_fp_denorm_src 0
		.amdhsa_exception_fp_ieee_div_zero 0
		.amdhsa_exception_fp_ieee_overflow 0
		.amdhsa_exception_fp_ieee_underflow 0
		.amdhsa_exception_fp_ieee_inexact 0
		.amdhsa_exception_int_div_zero 0
	.end_amdhsa_kernel
	.section	.text._ZN7rocprim17ROCPRIM_400000_NS6detail17trampoline_kernelINS0_14default_configENS1_33run_length_encode_config_selectorIljNS0_4plusIjEEEEZZNS1_33reduce_by_key_impl_wrapped_configILNS1_25lookback_scan_determinismE0ES3_S7_PKlNS0_17constant_iteratorIjlEEPlSE_SE_S6_NS0_8equal_toIlEEEE10hipError_tPvRmT2_T3_mT4_T5_T6_T7_T8_P12ihipStream_tbENKUlT_T0_E_clISt17integral_constantIbLb1EESX_IbLb0EEEEDaST_SU_EUlST_E_NS1_11comp_targetILNS1_3genE2ELNS1_11target_archE906ELNS1_3gpuE6ELNS1_3repE0EEENS1_30default_config_static_selectorELNS0_4arch9wavefront6targetE1EEEvT1_,"axG",@progbits,_ZN7rocprim17ROCPRIM_400000_NS6detail17trampoline_kernelINS0_14default_configENS1_33run_length_encode_config_selectorIljNS0_4plusIjEEEEZZNS1_33reduce_by_key_impl_wrapped_configILNS1_25lookback_scan_determinismE0ES3_S7_PKlNS0_17constant_iteratorIjlEEPlSE_SE_S6_NS0_8equal_toIlEEEE10hipError_tPvRmT2_T3_mT4_T5_T6_T7_T8_P12ihipStream_tbENKUlT_T0_E_clISt17integral_constantIbLb1EESX_IbLb0EEEEDaST_SU_EUlST_E_NS1_11comp_targetILNS1_3genE2ELNS1_11target_archE906ELNS1_3gpuE6ELNS1_3repE0EEENS1_30default_config_static_selectorELNS0_4arch9wavefront6targetE1EEEvT1_,comdat
.Lfunc_end533:
	.size	_ZN7rocprim17ROCPRIM_400000_NS6detail17trampoline_kernelINS0_14default_configENS1_33run_length_encode_config_selectorIljNS0_4plusIjEEEEZZNS1_33reduce_by_key_impl_wrapped_configILNS1_25lookback_scan_determinismE0ES3_S7_PKlNS0_17constant_iteratorIjlEEPlSE_SE_S6_NS0_8equal_toIlEEEE10hipError_tPvRmT2_T3_mT4_T5_T6_T7_T8_P12ihipStream_tbENKUlT_T0_E_clISt17integral_constantIbLb1EESX_IbLb0EEEEDaST_SU_EUlST_E_NS1_11comp_targetILNS1_3genE2ELNS1_11target_archE906ELNS1_3gpuE6ELNS1_3repE0EEENS1_30default_config_static_selectorELNS0_4arch9wavefront6targetE1EEEvT1_, .Lfunc_end533-_ZN7rocprim17ROCPRIM_400000_NS6detail17trampoline_kernelINS0_14default_configENS1_33run_length_encode_config_selectorIljNS0_4plusIjEEEEZZNS1_33reduce_by_key_impl_wrapped_configILNS1_25lookback_scan_determinismE0ES3_S7_PKlNS0_17constant_iteratorIjlEEPlSE_SE_S6_NS0_8equal_toIlEEEE10hipError_tPvRmT2_T3_mT4_T5_T6_T7_T8_P12ihipStream_tbENKUlT_T0_E_clISt17integral_constantIbLb1EESX_IbLb0EEEEDaST_SU_EUlST_E_NS1_11comp_targetILNS1_3genE2ELNS1_11target_archE906ELNS1_3gpuE6ELNS1_3repE0EEENS1_30default_config_static_selectorELNS0_4arch9wavefront6targetE1EEEvT1_
                                        ; -- End function
	.section	.AMDGPU.csdata,"",@progbits
; Kernel info:
; codeLenInByte = 0
; NumSgprs: 4
; NumVgprs: 0
; NumAgprs: 0
; TotalNumVgprs: 0
; ScratchSize: 0
; MemoryBound: 0
; FloatMode: 240
; IeeeMode: 1
; LDSByteSize: 0 bytes/workgroup (compile time only)
; SGPRBlocks: 0
; VGPRBlocks: 0
; NumSGPRsForWavesPerEU: 4
; NumVGPRsForWavesPerEU: 1
; AccumOffset: 4
; Occupancy: 8
; WaveLimiterHint : 0
; COMPUTE_PGM_RSRC2:SCRATCH_EN: 0
; COMPUTE_PGM_RSRC2:USER_SGPR: 6
; COMPUTE_PGM_RSRC2:TRAP_HANDLER: 0
; COMPUTE_PGM_RSRC2:TGID_X_EN: 1
; COMPUTE_PGM_RSRC2:TGID_Y_EN: 0
; COMPUTE_PGM_RSRC2:TGID_Z_EN: 0
; COMPUTE_PGM_RSRC2:TIDIG_COMP_CNT: 0
; COMPUTE_PGM_RSRC3_GFX90A:ACCUM_OFFSET: 0
; COMPUTE_PGM_RSRC3_GFX90A:TG_SPLIT: 0
	.section	.text._ZN7rocprim17ROCPRIM_400000_NS6detail17trampoline_kernelINS0_14default_configENS1_33run_length_encode_config_selectorIljNS0_4plusIjEEEEZZNS1_33reduce_by_key_impl_wrapped_configILNS1_25lookback_scan_determinismE0ES3_S7_PKlNS0_17constant_iteratorIjlEEPlSE_SE_S6_NS0_8equal_toIlEEEE10hipError_tPvRmT2_T3_mT4_T5_T6_T7_T8_P12ihipStream_tbENKUlT_T0_E_clISt17integral_constantIbLb1EESX_IbLb0EEEEDaST_SU_EUlST_E_NS1_11comp_targetILNS1_3genE10ELNS1_11target_archE1201ELNS1_3gpuE5ELNS1_3repE0EEENS1_30default_config_static_selectorELNS0_4arch9wavefront6targetE1EEEvT1_,"axG",@progbits,_ZN7rocprim17ROCPRIM_400000_NS6detail17trampoline_kernelINS0_14default_configENS1_33run_length_encode_config_selectorIljNS0_4plusIjEEEEZZNS1_33reduce_by_key_impl_wrapped_configILNS1_25lookback_scan_determinismE0ES3_S7_PKlNS0_17constant_iteratorIjlEEPlSE_SE_S6_NS0_8equal_toIlEEEE10hipError_tPvRmT2_T3_mT4_T5_T6_T7_T8_P12ihipStream_tbENKUlT_T0_E_clISt17integral_constantIbLb1EESX_IbLb0EEEEDaST_SU_EUlST_E_NS1_11comp_targetILNS1_3genE10ELNS1_11target_archE1201ELNS1_3gpuE5ELNS1_3repE0EEENS1_30default_config_static_selectorELNS0_4arch9wavefront6targetE1EEEvT1_,comdat
	.protected	_ZN7rocprim17ROCPRIM_400000_NS6detail17trampoline_kernelINS0_14default_configENS1_33run_length_encode_config_selectorIljNS0_4plusIjEEEEZZNS1_33reduce_by_key_impl_wrapped_configILNS1_25lookback_scan_determinismE0ES3_S7_PKlNS0_17constant_iteratorIjlEEPlSE_SE_S6_NS0_8equal_toIlEEEE10hipError_tPvRmT2_T3_mT4_T5_T6_T7_T8_P12ihipStream_tbENKUlT_T0_E_clISt17integral_constantIbLb1EESX_IbLb0EEEEDaST_SU_EUlST_E_NS1_11comp_targetILNS1_3genE10ELNS1_11target_archE1201ELNS1_3gpuE5ELNS1_3repE0EEENS1_30default_config_static_selectorELNS0_4arch9wavefront6targetE1EEEvT1_ ; -- Begin function _ZN7rocprim17ROCPRIM_400000_NS6detail17trampoline_kernelINS0_14default_configENS1_33run_length_encode_config_selectorIljNS0_4plusIjEEEEZZNS1_33reduce_by_key_impl_wrapped_configILNS1_25lookback_scan_determinismE0ES3_S7_PKlNS0_17constant_iteratorIjlEEPlSE_SE_S6_NS0_8equal_toIlEEEE10hipError_tPvRmT2_T3_mT4_T5_T6_T7_T8_P12ihipStream_tbENKUlT_T0_E_clISt17integral_constantIbLb1EESX_IbLb0EEEEDaST_SU_EUlST_E_NS1_11comp_targetILNS1_3genE10ELNS1_11target_archE1201ELNS1_3gpuE5ELNS1_3repE0EEENS1_30default_config_static_selectorELNS0_4arch9wavefront6targetE1EEEvT1_
	.globl	_ZN7rocprim17ROCPRIM_400000_NS6detail17trampoline_kernelINS0_14default_configENS1_33run_length_encode_config_selectorIljNS0_4plusIjEEEEZZNS1_33reduce_by_key_impl_wrapped_configILNS1_25lookback_scan_determinismE0ES3_S7_PKlNS0_17constant_iteratorIjlEEPlSE_SE_S6_NS0_8equal_toIlEEEE10hipError_tPvRmT2_T3_mT4_T5_T6_T7_T8_P12ihipStream_tbENKUlT_T0_E_clISt17integral_constantIbLb1EESX_IbLb0EEEEDaST_SU_EUlST_E_NS1_11comp_targetILNS1_3genE10ELNS1_11target_archE1201ELNS1_3gpuE5ELNS1_3repE0EEENS1_30default_config_static_selectorELNS0_4arch9wavefront6targetE1EEEvT1_
	.p2align	8
	.type	_ZN7rocprim17ROCPRIM_400000_NS6detail17trampoline_kernelINS0_14default_configENS1_33run_length_encode_config_selectorIljNS0_4plusIjEEEEZZNS1_33reduce_by_key_impl_wrapped_configILNS1_25lookback_scan_determinismE0ES3_S7_PKlNS0_17constant_iteratorIjlEEPlSE_SE_S6_NS0_8equal_toIlEEEE10hipError_tPvRmT2_T3_mT4_T5_T6_T7_T8_P12ihipStream_tbENKUlT_T0_E_clISt17integral_constantIbLb1EESX_IbLb0EEEEDaST_SU_EUlST_E_NS1_11comp_targetILNS1_3genE10ELNS1_11target_archE1201ELNS1_3gpuE5ELNS1_3repE0EEENS1_30default_config_static_selectorELNS0_4arch9wavefront6targetE1EEEvT1_,@function
_ZN7rocprim17ROCPRIM_400000_NS6detail17trampoline_kernelINS0_14default_configENS1_33run_length_encode_config_selectorIljNS0_4plusIjEEEEZZNS1_33reduce_by_key_impl_wrapped_configILNS1_25lookback_scan_determinismE0ES3_S7_PKlNS0_17constant_iteratorIjlEEPlSE_SE_S6_NS0_8equal_toIlEEEE10hipError_tPvRmT2_T3_mT4_T5_T6_T7_T8_P12ihipStream_tbENKUlT_T0_E_clISt17integral_constantIbLb1EESX_IbLb0EEEEDaST_SU_EUlST_E_NS1_11comp_targetILNS1_3genE10ELNS1_11target_archE1201ELNS1_3gpuE5ELNS1_3repE0EEENS1_30default_config_static_selectorELNS0_4arch9wavefront6targetE1EEEvT1_: ; @_ZN7rocprim17ROCPRIM_400000_NS6detail17trampoline_kernelINS0_14default_configENS1_33run_length_encode_config_selectorIljNS0_4plusIjEEEEZZNS1_33reduce_by_key_impl_wrapped_configILNS1_25lookback_scan_determinismE0ES3_S7_PKlNS0_17constant_iteratorIjlEEPlSE_SE_S6_NS0_8equal_toIlEEEE10hipError_tPvRmT2_T3_mT4_T5_T6_T7_T8_P12ihipStream_tbENKUlT_T0_E_clISt17integral_constantIbLb1EESX_IbLb0EEEEDaST_SU_EUlST_E_NS1_11comp_targetILNS1_3genE10ELNS1_11target_archE1201ELNS1_3gpuE5ELNS1_3repE0EEENS1_30default_config_static_selectorELNS0_4arch9wavefront6targetE1EEEvT1_
; %bb.0:
	.section	.rodata,"a",@progbits
	.p2align	6, 0x0
	.amdhsa_kernel _ZN7rocprim17ROCPRIM_400000_NS6detail17trampoline_kernelINS0_14default_configENS1_33run_length_encode_config_selectorIljNS0_4plusIjEEEEZZNS1_33reduce_by_key_impl_wrapped_configILNS1_25lookback_scan_determinismE0ES3_S7_PKlNS0_17constant_iteratorIjlEEPlSE_SE_S6_NS0_8equal_toIlEEEE10hipError_tPvRmT2_T3_mT4_T5_T6_T7_T8_P12ihipStream_tbENKUlT_T0_E_clISt17integral_constantIbLb1EESX_IbLb0EEEEDaST_SU_EUlST_E_NS1_11comp_targetILNS1_3genE10ELNS1_11target_archE1201ELNS1_3gpuE5ELNS1_3repE0EEENS1_30default_config_static_selectorELNS0_4arch9wavefront6targetE1EEEvT1_
		.amdhsa_group_segment_fixed_size 0
		.amdhsa_private_segment_fixed_size 0
		.amdhsa_kernarg_size 128
		.amdhsa_user_sgpr_count 6
		.amdhsa_user_sgpr_private_segment_buffer 1
		.amdhsa_user_sgpr_dispatch_ptr 0
		.amdhsa_user_sgpr_queue_ptr 0
		.amdhsa_user_sgpr_kernarg_segment_ptr 1
		.amdhsa_user_sgpr_dispatch_id 0
		.amdhsa_user_sgpr_flat_scratch_init 0
		.amdhsa_user_sgpr_kernarg_preload_length 0
		.amdhsa_user_sgpr_kernarg_preload_offset 0
		.amdhsa_user_sgpr_private_segment_size 0
		.amdhsa_uses_dynamic_stack 0
		.amdhsa_system_sgpr_private_segment_wavefront_offset 0
		.amdhsa_system_sgpr_workgroup_id_x 1
		.amdhsa_system_sgpr_workgroup_id_y 0
		.amdhsa_system_sgpr_workgroup_id_z 0
		.amdhsa_system_sgpr_workgroup_info 0
		.amdhsa_system_vgpr_workitem_id 0
		.amdhsa_next_free_vgpr 1
		.amdhsa_next_free_sgpr 0
		.amdhsa_accum_offset 4
		.amdhsa_reserve_vcc 0
		.amdhsa_reserve_flat_scratch 0
		.amdhsa_float_round_mode_32 0
		.amdhsa_float_round_mode_16_64 0
		.amdhsa_float_denorm_mode_32 3
		.amdhsa_float_denorm_mode_16_64 3
		.amdhsa_dx10_clamp 1
		.amdhsa_ieee_mode 1
		.amdhsa_fp16_overflow 0
		.amdhsa_tg_split 0
		.amdhsa_exception_fp_ieee_invalid_op 0
		.amdhsa_exception_fp_denorm_src 0
		.amdhsa_exception_fp_ieee_div_zero 0
		.amdhsa_exception_fp_ieee_overflow 0
		.amdhsa_exception_fp_ieee_underflow 0
		.amdhsa_exception_fp_ieee_inexact 0
		.amdhsa_exception_int_div_zero 0
	.end_amdhsa_kernel
	.section	.text._ZN7rocprim17ROCPRIM_400000_NS6detail17trampoline_kernelINS0_14default_configENS1_33run_length_encode_config_selectorIljNS0_4plusIjEEEEZZNS1_33reduce_by_key_impl_wrapped_configILNS1_25lookback_scan_determinismE0ES3_S7_PKlNS0_17constant_iteratorIjlEEPlSE_SE_S6_NS0_8equal_toIlEEEE10hipError_tPvRmT2_T3_mT4_T5_T6_T7_T8_P12ihipStream_tbENKUlT_T0_E_clISt17integral_constantIbLb1EESX_IbLb0EEEEDaST_SU_EUlST_E_NS1_11comp_targetILNS1_3genE10ELNS1_11target_archE1201ELNS1_3gpuE5ELNS1_3repE0EEENS1_30default_config_static_selectorELNS0_4arch9wavefront6targetE1EEEvT1_,"axG",@progbits,_ZN7rocprim17ROCPRIM_400000_NS6detail17trampoline_kernelINS0_14default_configENS1_33run_length_encode_config_selectorIljNS0_4plusIjEEEEZZNS1_33reduce_by_key_impl_wrapped_configILNS1_25lookback_scan_determinismE0ES3_S7_PKlNS0_17constant_iteratorIjlEEPlSE_SE_S6_NS0_8equal_toIlEEEE10hipError_tPvRmT2_T3_mT4_T5_T6_T7_T8_P12ihipStream_tbENKUlT_T0_E_clISt17integral_constantIbLb1EESX_IbLb0EEEEDaST_SU_EUlST_E_NS1_11comp_targetILNS1_3genE10ELNS1_11target_archE1201ELNS1_3gpuE5ELNS1_3repE0EEENS1_30default_config_static_selectorELNS0_4arch9wavefront6targetE1EEEvT1_,comdat
.Lfunc_end534:
	.size	_ZN7rocprim17ROCPRIM_400000_NS6detail17trampoline_kernelINS0_14default_configENS1_33run_length_encode_config_selectorIljNS0_4plusIjEEEEZZNS1_33reduce_by_key_impl_wrapped_configILNS1_25lookback_scan_determinismE0ES3_S7_PKlNS0_17constant_iteratorIjlEEPlSE_SE_S6_NS0_8equal_toIlEEEE10hipError_tPvRmT2_T3_mT4_T5_T6_T7_T8_P12ihipStream_tbENKUlT_T0_E_clISt17integral_constantIbLb1EESX_IbLb0EEEEDaST_SU_EUlST_E_NS1_11comp_targetILNS1_3genE10ELNS1_11target_archE1201ELNS1_3gpuE5ELNS1_3repE0EEENS1_30default_config_static_selectorELNS0_4arch9wavefront6targetE1EEEvT1_, .Lfunc_end534-_ZN7rocprim17ROCPRIM_400000_NS6detail17trampoline_kernelINS0_14default_configENS1_33run_length_encode_config_selectorIljNS0_4plusIjEEEEZZNS1_33reduce_by_key_impl_wrapped_configILNS1_25lookback_scan_determinismE0ES3_S7_PKlNS0_17constant_iteratorIjlEEPlSE_SE_S6_NS0_8equal_toIlEEEE10hipError_tPvRmT2_T3_mT4_T5_T6_T7_T8_P12ihipStream_tbENKUlT_T0_E_clISt17integral_constantIbLb1EESX_IbLb0EEEEDaST_SU_EUlST_E_NS1_11comp_targetILNS1_3genE10ELNS1_11target_archE1201ELNS1_3gpuE5ELNS1_3repE0EEENS1_30default_config_static_selectorELNS0_4arch9wavefront6targetE1EEEvT1_
                                        ; -- End function
	.section	.AMDGPU.csdata,"",@progbits
; Kernel info:
; codeLenInByte = 0
; NumSgprs: 4
; NumVgprs: 0
; NumAgprs: 0
; TotalNumVgprs: 0
; ScratchSize: 0
; MemoryBound: 0
; FloatMode: 240
; IeeeMode: 1
; LDSByteSize: 0 bytes/workgroup (compile time only)
; SGPRBlocks: 0
; VGPRBlocks: 0
; NumSGPRsForWavesPerEU: 4
; NumVGPRsForWavesPerEU: 1
; AccumOffset: 4
; Occupancy: 8
; WaveLimiterHint : 0
; COMPUTE_PGM_RSRC2:SCRATCH_EN: 0
; COMPUTE_PGM_RSRC2:USER_SGPR: 6
; COMPUTE_PGM_RSRC2:TRAP_HANDLER: 0
; COMPUTE_PGM_RSRC2:TGID_X_EN: 1
; COMPUTE_PGM_RSRC2:TGID_Y_EN: 0
; COMPUTE_PGM_RSRC2:TGID_Z_EN: 0
; COMPUTE_PGM_RSRC2:TIDIG_COMP_CNT: 0
; COMPUTE_PGM_RSRC3_GFX90A:ACCUM_OFFSET: 0
; COMPUTE_PGM_RSRC3_GFX90A:TG_SPLIT: 0
	.section	.text._ZN7rocprim17ROCPRIM_400000_NS6detail17trampoline_kernelINS0_14default_configENS1_33run_length_encode_config_selectorIljNS0_4plusIjEEEEZZNS1_33reduce_by_key_impl_wrapped_configILNS1_25lookback_scan_determinismE0ES3_S7_PKlNS0_17constant_iteratorIjlEEPlSE_SE_S6_NS0_8equal_toIlEEEE10hipError_tPvRmT2_T3_mT4_T5_T6_T7_T8_P12ihipStream_tbENKUlT_T0_E_clISt17integral_constantIbLb1EESX_IbLb0EEEEDaST_SU_EUlST_E_NS1_11comp_targetILNS1_3genE10ELNS1_11target_archE1200ELNS1_3gpuE4ELNS1_3repE0EEENS1_30default_config_static_selectorELNS0_4arch9wavefront6targetE1EEEvT1_,"axG",@progbits,_ZN7rocprim17ROCPRIM_400000_NS6detail17trampoline_kernelINS0_14default_configENS1_33run_length_encode_config_selectorIljNS0_4plusIjEEEEZZNS1_33reduce_by_key_impl_wrapped_configILNS1_25lookback_scan_determinismE0ES3_S7_PKlNS0_17constant_iteratorIjlEEPlSE_SE_S6_NS0_8equal_toIlEEEE10hipError_tPvRmT2_T3_mT4_T5_T6_T7_T8_P12ihipStream_tbENKUlT_T0_E_clISt17integral_constantIbLb1EESX_IbLb0EEEEDaST_SU_EUlST_E_NS1_11comp_targetILNS1_3genE10ELNS1_11target_archE1200ELNS1_3gpuE4ELNS1_3repE0EEENS1_30default_config_static_selectorELNS0_4arch9wavefront6targetE1EEEvT1_,comdat
	.protected	_ZN7rocprim17ROCPRIM_400000_NS6detail17trampoline_kernelINS0_14default_configENS1_33run_length_encode_config_selectorIljNS0_4plusIjEEEEZZNS1_33reduce_by_key_impl_wrapped_configILNS1_25lookback_scan_determinismE0ES3_S7_PKlNS0_17constant_iteratorIjlEEPlSE_SE_S6_NS0_8equal_toIlEEEE10hipError_tPvRmT2_T3_mT4_T5_T6_T7_T8_P12ihipStream_tbENKUlT_T0_E_clISt17integral_constantIbLb1EESX_IbLb0EEEEDaST_SU_EUlST_E_NS1_11comp_targetILNS1_3genE10ELNS1_11target_archE1200ELNS1_3gpuE4ELNS1_3repE0EEENS1_30default_config_static_selectorELNS0_4arch9wavefront6targetE1EEEvT1_ ; -- Begin function _ZN7rocprim17ROCPRIM_400000_NS6detail17trampoline_kernelINS0_14default_configENS1_33run_length_encode_config_selectorIljNS0_4plusIjEEEEZZNS1_33reduce_by_key_impl_wrapped_configILNS1_25lookback_scan_determinismE0ES3_S7_PKlNS0_17constant_iteratorIjlEEPlSE_SE_S6_NS0_8equal_toIlEEEE10hipError_tPvRmT2_T3_mT4_T5_T6_T7_T8_P12ihipStream_tbENKUlT_T0_E_clISt17integral_constantIbLb1EESX_IbLb0EEEEDaST_SU_EUlST_E_NS1_11comp_targetILNS1_3genE10ELNS1_11target_archE1200ELNS1_3gpuE4ELNS1_3repE0EEENS1_30default_config_static_selectorELNS0_4arch9wavefront6targetE1EEEvT1_
	.globl	_ZN7rocprim17ROCPRIM_400000_NS6detail17trampoline_kernelINS0_14default_configENS1_33run_length_encode_config_selectorIljNS0_4plusIjEEEEZZNS1_33reduce_by_key_impl_wrapped_configILNS1_25lookback_scan_determinismE0ES3_S7_PKlNS0_17constant_iteratorIjlEEPlSE_SE_S6_NS0_8equal_toIlEEEE10hipError_tPvRmT2_T3_mT4_T5_T6_T7_T8_P12ihipStream_tbENKUlT_T0_E_clISt17integral_constantIbLb1EESX_IbLb0EEEEDaST_SU_EUlST_E_NS1_11comp_targetILNS1_3genE10ELNS1_11target_archE1200ELNS1_3gpuE4ELNS1_3repE0EEENS1_30default_config_static_selectorELNS0_4arch9wavefront6targetE1EEEvT1_
	.p2align	8
	.type	_ZN7rocprim17ROCPRIM_400000_NS6detail17trampoline_kernelINS0_14default_configENS1_33run_length_encode_config_selectorIljNS0_4plusIjEEEEZZNS1_33reduce_by_key_impl_wrapped_configILNS1_25lookback_scan_determinismE0ES3_S7_PKlNS0_17constant_iteratorIjlEEPlSE_SE_S6_NS0_8equal_toIlEEEE10hipError_tPvRmT2_T3_mT4_T5_T6_T7_T8_P12ihipStream_tbENKUlT_T0_E_clISt17integral_constantIbLb1EESX_IbLb0EEEEDaST_SU_EUlST_E_NS1_11comp_targetILNS1_3genE10ELNS1_11target_archE1200ELNS1_3gpuE4ELNS1_3repE0EEENS1_30default_config_static_selectorELNS0_4arch9wavefront6targetE1EEEvT1_,@function
_ZN7rocprim17ROCPRIM_400000_NS6detail17trampoline_kernelINS0_14default_configENS1_33run_length_encode_config_selectorIljNS0_4plusIjEEEEZZNS1_33reduce_by_key_impl_wrapped_configILNS1_25lookback_scan_determinismE0ES3_S7_PKlNS0_17constant_iteratorIjlEEPlSE_SE_S6_NS0_8equal_toIlEEEE10hipError_tPvRmT2_T3_mT4_T5_T6_T7_T8_P12ihipStream_tbENKUlT_T0_E_clISt17integral_constantIbLb1EESX_IbLb0EEEEDaST_SU_EUlST_E_NS1_11comp_targetILNS1_3genE10ELNS1_11target_archE1200ELNS1_3gpuE4ELNS1_3repE0EEENS1_30default_config_static_selectorELNS0_4arch9wavefront6targetE1EEEvT1_: ; @_ZN7rocprim17ROCPRIM_400000_NS6detail17trampoline_kernelINS0_14default_configENS1_33run_length_encode_config_selectorIljNS0_4plusIjEEEEZZNS1_33reduce_by_key_impl_wrapped_configILNS1_25lookback_scan_determinismE0ES3_S7_PKlNS0_17constant_iteratorIjlEEPlSE_SE_S6_NS0_8equal_toIlEEEE10hipError_tPvRmT2_T3_mT4_T5_T6_T7_T8_P12ihipStream_tbENKUlT_T0_E_clISt17integral_constantIbLb1EESX_IbLb0EEEEDaST_SU_EUlST_E_NS1_11comp_targetILNS1_3genE10ELNS1_11target_archE1200ELNS1_3gpuE4ELNS1_3repE0EEENS1_30default_config_static_selectorELNS0_4arch9wavefront6targetE1EEEvT1_
; %bb.0:
	.section	.rodata,"a",@progbits
	.p2align	6, 0x0
	.amdhsa_kernel _ZN7rocprim17ROCPRIM_400000_NS6detail17trampoline_kernelINS0_14default_configENS1_33run_length_encode_config_selectorIljNS0_4plusIjEEEEZZNS1_33reduce_by_key_impl_wrapped_configILNS1_25lookback_scan_determinismE0ES3_S7_PKlNS0_17constant_iteratorIjlEEPlSE_SE_S6_NS0_8equal_toIlEEEE10hipError_tPvRmT2_T3_mT4_T5_T6_T7_T8_P12ihipStream_tbENKUlT_T0_E_clISt17integral_constantIbLb1EESX_IbLb0EEEEDaST_SU_EUlST_E_NS1_11comp_targetILNS1_3genE10ELNS1_11target_archE1200ELNS1_3gpuE4ELNS1_3repE0EEENS1_30default_config_static_selectorELNS0_4arch9wavefront6targetE1EEEvT1_
		.amdhsa_group_segment_fixed_size 0
		.amdhsa_private_segment_fixed_size 0
		.amdhsa_kernarg_size 128
		.amdhsa_user_sgpr_count 6
		.amdhsa_user_sgpr_private_segment_buffer 1
		.amdhsa_user_sgpr_dispatch_ptr 0
		.amdhsa_user_sgpr_queue_ptr 0
		.amdhsa_user_sgpr_kernarg_segment_ptr 1
		.amdhsa_user_sgpr_dispatch_id 0
		.amdhsa_user_sgpr_flat_scratch_init 0
		.amdhsa_user_sgpr_kernarg_preload_length 0
		.amdhsa_user_sgpr_kernarg_preload_offset 0
		.amdhsa_user_sgpr_private_segment_size 0
		.amdhsa_uses_dynamic_stack 0
		.amdhsa_system_sgpr_private_segment_wavefront_offset 0
		.amdhsa_system_sgpr_workgroup_id_x 1
		.amdhsa_system_sgpr_workgroup_id_y 0
		.amdhsa_system_sgpr_workgroup_id_z 0
		.amdhsa_system_sgpr_workgroup_info 0
		.amdhsa_system_vgpr_workitem_id 0
		.amdhsa_next_free_vgpr 1
		.amdhsa_next_free_sgpr 0
		.amdhsa_accum_offset 4
		.amdhsa_reserve_vcc 0
		.amdhsa_reserve_flat_scratch 0
		.amdhsa_float_round_mode_32 0
		.amdhsa_float_round_mode_16_64 0
		.amdhsa_float_denorm_mode_32 3
		.amdhsa_float_denorm_mode_16_64 3
		.amdhsa_dx10_clamp 1
		.amdhsa_ieee_mode 1
		.amdhsa_fp16_overflow 0
		.amdhsa_tg_split 0
		.amdhsa_exception_fp_ieee_invalid_op 0
		.amdhsa_exception_fp_denorm_src 0
		.amdhsa_exception_fp_ieee_div_zero 0
		.amdhsa_exception_fp_ieee_overflow 0
		.amdhsa_exception_fp_ieee_underflow 0
		.amdhsa_exception_fp_ieee_inexact 0
		.amdhsa_exception_int_div_zero 0
	.end_amdhsa_kernel
	.section	.text._ZN7rocprim17ROCPRIM_400000_NS6detail17trampoline_kernelINS0_14default_configENS1_33run_length_encode_config_selectorIljNS0_4plusIjEEEEZZNS1_33reduce_by_key_impl_wrapped_configILNS1_25lookback_scan_determinismE0ES3_S7_PKlNS0_17constant_iteratorIjlEEPlSE_SE_S6_NS0_8equal_toIlEEEE10hipError_tPvRmT2_T3_mT4_T5_T6_T7_T8_P12ihipStream_tbENKUlT_T0_E_clISt17integral_constantIbLb1EESX_IbLb0EEEEDaST_SU_EUlST_E_NS1_11comp_targetILNS1_3genE10ELNS1_11target_archE1200ELNS1_3gpuE4ELNS1_3repE0EEENS1_30default_config_static_selectorELNS0_4arch9wavefront6targetE1EEEvT1_,"axG",@progbits,_ZN7rocprim17ROCPRIM_400000_NS6detail17trampoline_kernelINS0_14default_configENS1_33run_length_encode_config_selectorIljNS0_4plusIjEEEEZZNS1_33reduce_by_key_impl_wrapped_configILNS1_25lookback_scan_determinismE0ES3_S7_PKlNS0_17constant_iteratorIjlEEPlSE_SE_S6_NS0_8equal_toIlEEEE10hipError_tPvRmT2_T3_mT4_T5_T6_T7_T8_P12ihipStream_tbENKUlT_T0_E_clISt17integral_constantIbLb1EESX_IbLb0EEEEDaST_SU_EUlST_E_NS1_11comp_targetILNS1_3genE10ELNS1_11target_archE1200ELNS1_3gpuE4ELNS1_3repE0EEENS1_30default_config_static_selectorELNS0_4arch9wavefront6targetE1EEEvT1_,comdat
.Lfunc_end535:
	.size	_ZN7rocprim17ROCPRIM_400000_NS6detail17trampoline_kernelINS0_14default_configENS1_33run_length_encode_config_selectorIljNS0_4plusIjEEEEZZNS1_33reduce_by_key_impl_wrapped_configILNS1_25lookback_scan_determinismE0ES3_S7_PKlNS0_17constant_iteratorIjlEEPlSE_SE_S6_NS0_8equal_toIlEEEE10hipError_tPvRmT2_T3_mT4_T5_T6_T7_T8_P12ihipStream_tbENKUlT_T0_E_clISt17integral_constantIbLb1EESX_IbLb0EEEEDaST_SU_EUlST_E_NS1_11comp_targetILNS1_3genE10ELNS1_11target_archE1200ELNS1_3gpuE4ELNS1_3repE0EEENS1_30default_config_static_selectorELNS0_4arch9wavefront6targetE1EEEvT1_, .Lfunc_end535-_ZN7rocprim17ROCPRIM_400000_NS6detail17trampoline_kernelINS0_14default_configENS1_33run_length_encode_config_selectorIljNS0_4plusIjEEEEZZNS1_33reduce_by_key_impl_wrapped_configILNS1_25lookback_scan_determinismE0ES3_S7_PKlNS0_17constant_iteratorIjlEEPlSE_SE_S6_NS0_8equal_toIlEEEE10hipError_tPvRmT2_T3_mT4_T5_T6_T7_T8_P12ihipStream_tbENKUlT_T0_E_clISt17integral_constantIbLb1EESX_IbLb0EEEEDaST_SU_EUlST_E_NS1_11comp_targetILNS1_3genE10ELNS1_11target_archE1200ELNS1_3gpuE4ELNS1_3repE0EEENS1_30default_config_static_selectorELNS0_4arch9wavefront6targetE1EEEvT1_
                                        ; -- End function
	.section	.AMDGPU.csdata,"",@progbits
; Kernel info:
; codeLenInByte = 0
; NumSgprs: 4
; NumVgprs: 0
; NumAgprs: 0
; TotalNumVgprs: 0
; ScratchSize: 0
; MemoryBound: 0
; FloatMode: 240
; IeeeMode: 1
; LDSByteSize: 0 bytes/workgroup (compile time only)
; SGPRBlocks: 0
; VGPRBlocks: 0
; NumSGPRsForWavesPerEU: 4
; NumVGPRsForWavesPerEU: 1
; AccumOffset: 4
; Occupancy: 8
; WaveLimiterHint : 0
; COMPUTE_PGM_RSRC2:SCRATCH_EN: 0
; COMPUTE_PGM_RSRC2:USER_SGPR: 6
; COMPUTE_PGM_RSRC2:TRAP_HANDLER: 0
; COMPUTE_PGM_RSRC2:TGID_X_EN: 1
; COMPUTE_PGM_RSRC2:TGID_Y_EN: 0
; COMPUTE_PGM_RSRC2:TGID_Z_EN: 0
; COMPUTE_PGM_RSRC2:TIDIG_COMP_CNT: 0
; COMPUTE_PGM_RSRC3_GFX90A:ACCUM_OFFSET: 0
; COMPUTE_PGM_RSRC3_GFX90A:TG_SPLIT: 0
	.section	.text._ZN7rocprim17ROCPRIM_400000_NS6detail17trampoline_kernelINS0_14default_configENS1_33run_length_encode_config_selectorIljNS0_4plusIjEEEEZZNS1_33reduce_by_key_impl_wrapped_configILNS1_25lookback_scan_determinismE0ES3_S7_PKlNS0_17constant_iteratorIjlEEPlSE_SE_S6_NS0_8equal_toIlEEEE10hipError_tPvRmT2_T3_mT4_T5_T6_T7_T8_P12ihipStream_tbENKUlT_T0_E_clISt17integral_constantIbLb1EESX_IbLb0EEEEDaST_SU_EUlST_E_NS1_11comp_targetILNS1_3genE9ELNS1_11target_archE1100ELNS1_3gpuE3ELNS1_3repE0EEENS1_30default_config_static_selectorELNS0_4arch9wavefront6targetE1EEEvT1_,"axG",@progbits,_ZN7rocprim17ROCPRIM_400000_NS6detail17trampoline_kernelINS0_14default_configENS1_33run_length_encode_config_selectorIljNS0_4plusIjEEEEZZNS1_33reduce_by_key_impl_wrapped_configILNS1_25lookback_scan_determinismE0ES3_S7_PKlNS0_17constant_iteratorIjlEEPlSE_SE_S6_NS0_8equal_toIlEEEE10hipError_tPvRmT2_T3_mT4_T5_T6_T7_T8_P12ihipStream_tbENKUlT_T0_E_clISt17integral_constantIbLb1EESX_IbLb0EEEEDaST_SU_EUlST_E_NS1_11comp_targetILNS1_3genE9ELNS1_11target_archE1100ELNS1_3gpuE3ELNS1_3repE0EEENS1_30default_config_static_selectorELNS0_4arch9wavefront6targetE1EEEvT1_,comdat
	.protected	_ZN7rocprim17ROCPRIM_400000_NS6detail17trampoline_kernelINS0_14default_configENS1_33run_length_encode_config_selectorIljNS0_4plusIjEEEEZZNS1_33reduce_by_key_impl_wrapped_configILNS1_25lookback_scan_determinismE0ES3_S7_PKlNS0_17constant_iteratorIjlEEPlSE_SE_S6_NS0_8equal_toIlEEEE10hipError_tPvRmT2_T3_mT4_T5_T6_T7_T8_P12ihipStream_tbENKUlT_T0_E_clISt17integral_constantIbLb1EESX_IbLb0EEEEDaST_SU_EUlST_E_NS1_11comp_targetILNS1_3genE9ELNS1_11target_archE1100ELNS1_3gpuE3ELNS1_3repE0EEENS1_30default_config_static_selectorELNS0_4arch9wavefront6targetE1EEEvT1_ ; -- Begin function _ZN7rocprim17ROCPRIM_400000_NS6detail17trampoline_kernelINS0_14default_configENS1_33run_length_encode_config_selectorIljNS0_4plusIjEEEEZZNS1_33reduce_by_key_impl_wrapped_configILNS1_25lookback_scan_determinismE0ES3_S7_PKlNS0_17constant_iteratorIjlEEPlSE_SE_S6_NS0_8equal_toIlEEEE10hipError_tPvRmT2_T3_mT4_T5_T6_T7_T8_P12ihipStream_tbENKUlT_T0_E_clISt17integral_constantIbLb1EESX_IbLb0EEEEDaST_SU_EUlST_E_NS1_11comp_targetILNS1_3genE9ELNS1_11target_archE1100ELNS1_3gpuE3ELNS1_3repE0EEENS1_30default_config_static_selectorELNS0_4arch9wavefront6targetE1EEEvT1_
	.globl	_ZN7rocprim17ROCPRIM_400000_NS6detail17trampoline_kernelINS0_14default_configENS1_33run_length_encode_config_selectorIljNS0_4plusIjEEEEZZNS1_33reduce_by_key_impl_wrapped_configILNS1_25lookback_scan_determinismE0ES3_S7_PKlNS0_17constant_iteratorIjlEEPlSE_SE_S6_NS0_8equal_toIlEEEE10hipError_tPvRmT2_T3_mT4_T5_T6_T7_T8_P12ihipStream_tbENKUlT_T0_E_clISt17integral_constantIbLb1EESX_IbLb0EEEEDaST_SU_EUlST_E_NS1_11comp_targetILNS1_3genE9ELNS1_11target_archE1100ELNS1_3gpuE3ELNS1_3repE0EEENS1_30default_config_static_selectorELNS0_4arch9wavefront6targetE1EEEvT1_
	.p2align	8
	.type	_ZN7rocprim17ROCPRIM_400000_NS6detail17trampoline_kernelINS0_14default_configENS1_33run_length_encode_config_selectorIljNS0_4plusIjEEEEZZNS1_33reduce_by_key_impl_wrapped_configILNS1_25lookback_scan_determinismE0ES3_S7_PKlNS0_17constant_iteratorIjlEEPlSE_SE_S6_NS0_8equal_toIlEEEE10hipError_tPvRmT2_T3_mT4_T5_T6_T7_T8_P12ihipStream_tbENKUlT_T0_E_clISt17integral_constantIbLb1EESX_IbLb0EEEEDaST_SU_EUlST_E_NS1_11comp_targetILNS1_3genE9ELNS1_11target_archE1100ELNS1_3gpuE3ELNS1_3repE0EEENS1_30default_config_static_selectorELNS0_4arch9wavefront6targetE1EEEvT1_,@function
_ZN7rocprim17ROCPRIM_400000_NS6detail17trampoline_kernelINS0_14default_configENS1_33run_length_encode_config_selectorIljNS0_4plusIjEEEEZZNS1_33reduce_by_key_impl_wrapped_configILNS1_25lookback_scan_determinismE0ES3_S7_PKlNS0_17constant_iteratorIjlEEPlSE_SE_S6_NS0_8equal_toIlEEEE10hipError_tPvRmT2_T3_mT4_T5_T6_T7_T8_P12ihipStream_tbENKUlT_T0_E_clISt17integral_constantIbLb1EESX_IbLb0EEEEDaST_SU_EUlST_E_NS1_11comp_targetILNS1_3genE9ELNS1_11target_archE1100ELNS1_3gpuE3ELNS1_3repE0EEENS1_30default_config_static_selectorELNS0_4arch9wavefront6targetE1EEEvT1_: ; @_ZN7rocprim17ROCPRIM_400000_NS6detail17trampoline_kernelINS0_14default_configENS1_33run_length_encode_config_selectorIljNS0_4plusIjEEEEZZNS1_33reduce_by_key_impl_wrapped_configILNS1_25lookback_scan_determinismE0ES3_S7_PKlNS0_17constant_iteratorIjlEEPlSE_SE_S6_NS0_8equal_toIlEEEE10hipError_tPvRmT2_T3_mT4_T5_T6_T7_T8_P12ihipStream_tbENKUlT_T0_E_clISt17integral_constantIbLb1EESX_IbLb0EEEEDaST_SU_EUlST_E_NS1_11comp_targetILNS1_3genE9ELNS1_11target_archE1100ELNS1_3gpuE3ELNS1_3repE0EEENS1_30default_config_static_selectorELNS0_4arch9wavefront6targetE1EEEvT1_
; %bb.0:
	.section	.rodata,"a",@progbits
	.p2align	6, 0x0
	.amdhsa_kernel _ZN7rocprim17ROCPRIM_400000_NS6detail17trampoline_kernelINS0_14default_configENS1_33run_length_encode_config_selectorIljNS0_4plusIjEEEEZZNS1_33reduce_by_key_impl_wrapped_configILNS1_25lookback_scan_determinismE0ES3_S7_PKlNS0_17constant_iteratorIjlEEPlSE_SE_S6_NS0_8equal_toIlEEEE10hipError_tPvRmT2_T3_mT4_T5_T6_T7_T8_P12ihipStream_tbENKUlT_T0_E_clISt17integral_constantIbLb1EESX_IbLb0EEEEDaST_SU_EUlST_E_NS1_11comp_targetILNS1_3genE9ELNS1_11target_archE1100ELNS1_3gpuE3ELNS1_3repE0EEENS1_30default_config_static_selectorELNS0_4arch9wavefront6targetE1EEEvT1_
		.amdhsa_group_segment_fixed_size 0
		.amdhsa_private_segment_fixed_size 0
		.amdhsa_kernarg_size 128
		.amdhsa_user_sgpr_count 6
		.amdhsa_user_sgpr_private_segment_buffer 1
		.amdhsa_user_sgpr_dispatch_ptr 0
		.amdhsa_user_sgpr_queue_ptr 0
		.amdhsa_user_sgpr_kernarg_segment_ptr 1
		.amdhsa_user_sgpr_dispatch_id 0
		.amdhsa_user_sgpr_flat_scratch_init 0
		.amdhsa_user_sgpr_kernarg_preload_length 0
		.amdhsa_user_sgpr_kernarg_preload_offset 0
		.amdhsa_user_sgpr_private_segment_size 0
		.amdhsa_uses_dynamic_stack 0
		.amdhsa_system_sgpr_private_segment_wavefront_offset 0
		.amdhsa_system_sgpr_workgroup_id_x 1
		.amdhsa_system_sgpr_workgroup_id_y 0
		.amdhsa_system_sgpr_workgroup_id_z 0
		.amdhsa_system_sgpr_workgroup_info 0
		.amdhsa_system_vgpr_workitem_id 0
		.amdhsa_next_free_vgpr 1
		.amdhsa_next_free_sgpr 0
		.amdhsa_accum_offset 4
		.amdhsa_reserve_vcc 0
		.amdhsa_reserve_flat_scratch 0
		.amdhsa_float_round_mode_32 0
		.amdhsa_float_round_mode_16_64 0
		.amdhsa_float_denorm_mode_32 3
		.amdhsa_float_denorm_mode_16_64 3
		.amdhsa_dx10_clamp 1
		.amdhsa_ieee_mode 1
		.amdhsa_fp16_overflow 0
		.amdhsa_tg_split 0
		.amdhsa_exception_fp_ieee_invalid_op 0
		.amdhsa_exception_fp_denorm_src 0
		.amdhsa_exception_fp_ieee_div_zero 0
		.amdhsa_exception_fp_ieee_overflow 0
		.amdhsa_exception_fp_ieee_underflow 0
		.amdhsa_exception_fp_ieee_inexact 0
		.amdhsa_exception_int_div_zero 0
	.end_amdhsa_kernel
	.section	.text._ZN7rocprim17ROCPRIM_400000_NS6detail17trampoline_kernelINS0_14default_configENS1_33run_length_encode_config_selectorIljNS0_4plusIjEEEEZZNS1_33reduce_by_key_impl_wrapped_configILNS1_25lookback_scan_determinismE0ES3_S7_PKlNS0_17constant_iteratorIjlEEPlSE_SE_S6_NS0_8equal_toIlEEEE10hipError_tPvRmT2_T3_mT4_T5_T6_T7_T8_P12ihipStream_tbENKUlT_T0_E_clISt17integral_constantIbLb1EESX_IbLb0EEEEDaST_SU_EUlST_E_NS1_11comp_targetILNS1_3genE9ELNS1_11target_archE1100ELNS1_3gpuE3ELNS1_3repE0EEENS1_30default_config_static_selectorELNS0_4arch9wavefront6targetE1EEEvT1_,"axG",@progbits,_ZN7rocprim17ROCPRIM_400000_NS6detail17trampoline_kernelINS0_14default_configENS1_33run_length_encode_config_selectorIljNS0_4plusIjEEEEZZNS1_33reduce_by_key_impl_wrapped_configILNS1_25lookback_scan_determinismE0ES3_S7_PKlNS0_17constant_iteratorIjlEEPlSE_SE_S6_NS0_8equal_toIlEEEE10hipError_tPvRmT2_T3_mT4_T5_T6_T7_T8_P12ihipStream_tbENKUlT_T0_E_clISt17integral_constantIbLb1EESX_IbLb0EEEEDaST_SU_EUlST_E_NS1_11comp_targetILNS1_3genE9ELNS1_11target_archE1100ELNS1_3gpuE3ELNS1_3repE0EEENS1_30default_config_static_selectorELNS0_4arch9wavefront6targetE1EEEvT1_,comdat
.Lfunc_end536:
	.size	_ZN7rocprim17ROCPRIM_400000_NS6detail17trampoline_kernelINS0_14default_configENS1_33run_length_encode_config_selectorIljNS0_4plusIjEEEEZZNS1_33reduce_by_key_impl_wrapped_configILNS1_25lookback_scan_determinismE0ES3_S7_PKlNS0_17constant_iteratorIjlEEPlSE_SE_S6_NS0_8equal_toIlEEEE10hipError_tPvRmT2_T3_mT4_T5_T6_T7_T8_P12ihipStream_tbENKUlT_T0_E_clISt17integral_constantIbLb1EESX_IbLb0EEEEDaST_SU_EUlST_E_NS1_11comp_targetILNS1_3genE9ELNS1_11target_archE1100ELNS1_3gpuE3ELNS1_3repE0EEENS1_30default_config_static_selectorELNS0_4arch9wavefront6targetE1EEEvT1_, .Lfunc_end536-_ZN7rocprim17ROCPRIM_400000_NS6detail17trampoline_kernelINS0_14default_configENS1_33run_length_encode_config_selectorIljNS0_4plusIjEEEEZZNS1_33reduce_by_key_impl_wrapped_configILNS1_25lookback_scan_determinismE0ES3_S7_PKlNS0_17constant_iteratorIjlEEPlSE_SE_S6_NS0_8equal_toIlEEEE10hipError_tPvRmT2_T3_mT4_T5_T6_T7_T8_P12ihipStream_tbENKUlT_T0_E_clISt17integral_constantIbLb1EESX_IbLb0EEEEDaST_SU_EUlST_E_NS1_11comp_targetILNS1_3genE9ELNS1_11target_archE1100ELNS1_3gpuE3ELNS1_3repE0EEENS1_30default_config_static_selectorELNS0_4arch9wavefront6targetE1EEEvT1_
                                        ; -- End function
	.section	.AMDGPU.csdata,"",@progbits
; Kernel info:
; codeLenInByte = 0
; NumSgprs: 4
; NumVgprs: 0
; NumAgprs: 0
; TotalNumVgprs: 0
; ScratchSize: 0
; MemoryBound: 0
; FloatMode: 240
; IeeeMode: 1
; LDSByteSize: 0 bytes/workgroup (compile time only)
; SGPRBlocks: 0
; VGPRBlocks: 0
; NumSGPRsForWavesPerEU: 4
; NumVGPRsForWavesPerEU: 1
; AccumOffset: 4
; Occupancy: 8
; WaveLimiterHint : 0
; COMPUTE_PGM_RSRC2:SCRATCH_EN: 0
; COMPUTE_PGM_RSRC2:USER_SGPR: 6
; COMPUTE_PGM_RSRC2:TRAP_HANDLER: 0
; COMPUTE_PGM_RSRC2:TGID_X_EN: 1
; COMPUTE_PGM_RSRC2:TGID_Y_EN: 0
; COMPUTE_PGM_RSRC2:TGID_Z_EN: 0
; COMPUTE_PGM_RSRC2:TIDIG_COMP_CNT: 0
; COMPUTE_PGM_RSRC3_GFX90A:ACCUM_OFFSET: 0
; COMPUTE_PGM_RSRC3_GFX90A:TG_SPLIT: 0
	.section	.text._ZN7rocprim17ROCPRIM_400000_NS6detail17trampoline_kernelINS0_14default_configENS1_33run_length_encode_config_selectorIljNS0_4plusIjEEEEZZNS1_33reduce_by_key_impl_wrapped_configILNS1_25lookback_scan_determinismE0ES3_S7_PKlNS0_17constant_iteratorIjlEEPlSE_SE_S6_NS0_8equal_toIlEEEE10hipError_tPvRmT2_T3_mT4_T5_T6_T7_T8_P12ihipStream_tbENKUlT_T0_E_clISt17integral_constantIbLb1EESX_IbLb0EEEEDaST_SU_EUlST_E_NS1_11comp_targetILNS1_3genE8ELNS1_11target_archE1030ELNS1_3gpuE2ELNS1_3repE0EEENS1_30default_config_static_selectorELNS0_4arch9wavefront6targetE1EEEvT1_,"axG",@progbits,_ZN7rocprim17ROCPRIM_400000_NS6detail17trampoline_kernelINS0_14default_configENS1_33run_length_encode_config_selectorIljNS0_4plusIjEEEEZZNS1_33reduce_by_key_impl_wrapped_configILNS1_25lookback_scan_determinismE0ES3_S7_PKlNS0_17constant_iteratorIjlEEPlSE_SE_S6_NS0_8equal_toIlEEEE10hipError_tPvRmT2_T3_mT4_T5_T6_T7_T8_P12ihipStream_tbENKUlT_T0_E_clISt17integral_constantIbLb1EESX_IbLb0EEEEDaST_SU_EUlST_E_NS1_11comp_targetILNS1_3genE8ELNS1_11target_archE1030ELNS1_3gpuE2ELNS1_3repE0EEENS1_30default_config_static_selectorELNS0_4arch9wavefront6targetE1EEEvT1_,comdat
	.protected	_ZN7rocprim17ROCPRIM_400000_NS6detail17trampoline_kernelINS0_14default_configENS1_33run_length_encode_config_selectorIljNS0_4plusIjEEEEZZNS1_33reduce_by_key_impl_wrapped_configILNS1_25lookback_scan_determinismE0ES3_S7_PKlNS0_17constant_iteratorIjlEEPlSE_SE_S6_NS0_8equal_toIlEEEE10hipError_tPvRmT2_T3_mT4_T5_T6_T7_T8_P12ihipStream_tbENKUlT_T0_E_clISt17integral_constantIbLb1EESX_IbLb0EEEEDaST_SU_EUlST_E_NS1_11comp_targetILNS1_3genE8ELNS1_11target_archE1030ELNS1_3gpuE2ELNS1_3repE0EEENS1_30default_config_static_selectorELNS0_4arch9wavefront6targetE1EEEvT1_ ; -- Begin function _ZN7rocprim17ROCPRIM_400000_NS6detail17trampoline_kernelINS0_14default_configENS1_33run_length_encode_config_selectorIljNS0_4plusIjEEEEZZNS1_33reduce_by_key_impl_wrapped_configILNS1_25lookback_scan_determinismE0ES3_S7_PKlNS0_17constant_iteratorIjlEEPlSE_SE_S6_NS0_8equal_toIlEEEE10hipError_tPvRmT2_T3_mT4_T5_T6_T7_T8_P12ihipStream_tbENKUlT_T0_E_clISt17integral_constantIbLb1EESX_IbLb0EEEEDaST_SU_EUlST_E_NS1_11comp_targetILNS1_3genE8ELNS1_11target_archE1030ELNS1_3gpuE2ELNS1_3repE0EEENS1_30default_config_static_selectorELNS0_4arch9wavefront6targetE1EEEvT1_
	.globl	_ZN7rocprim17ROCPRIM_400000_NS6detail17trampoline_kernelINS0_14default_configENS1_33run_length_encode_config_selectorIljNS0_4plusIjEEEEZZNS1_33reduce_by_key_impl_wrapped_configILNS1_25lookback_scan_determinismE0ES3_S7_PKlNS0_17constant_iteratorIjlEEPlSE_SE_S6_NS0_8equal_toIlEEEE10hipError_tPvRmT2_T3_mT4_T5_T6_T7_T8_P12ihipStream_tbENKUlT_T0_E_clISt17integral_constantIbLb1EESX_IbLb0EEEEDaST_SU_EUlST_E_NS1_11comp_targetILNS1_3genE8ELNS1_11target_archE1030ELNS1_3gpuE2ELNS1_3repE0EEENS1_30default_config_static_selectorELNS0_4arch9wavefront6targetE1EEEvT1_
	.p2align	8
	.type	_ZN7rocprim17ROCPRIM_400000_NS6detail17trampoline_kernelINS0_14default_configENS1_33run_length_encode_config_selectorIljNS0_4plusIjEEEEZZNS1_33reduce_by_key_impl_wrapped_configILNS1_25lookback_scan_determinismE0ES3_S7_PKlNS0_17constant_iteratorIjlEEPlSE_SE_S6_NS0_8equal_toIlEEEE10hipError_tPvRmT2_T3_mT4_T5_T6_T7_T8_P12ihipStream_tbENKUlT_T0_E_clISt17integral_constantIbLb1EESX_IbLb0EEEEDaST_SU_EUlST_E_NS1_11comp_targetILNS1_3genE8ELNS1_11target_archE1030ELNS1_3gpuE2ELNS1_3repE0EEENS1_30default_config_static_selectorELNS0_4arch9wavefront6targetE1EEEvT1_,@function
_ZN7rocprim17ROCPRIM_400000_NS6detail17trampoline_kernelINS0_14default_configENS1_33run_length_encode_config_selectorIljNS0_4plusIjEEEEZZNS1_33reduce_by_key_impl_wrapped_configILNS1_25lookback_scan_determinismE0ES3_S7_PKlNS0_17constant_iteratorIjlEEPlSE_SE_S6_NS0_8equal_toIlEEEE10hipError_tPvRmT2_T3_mT4_T5_T6_T7_T8_P12ihipStream_tbENKUlT_T0_E_clISt17integral_constantIbLb1EESX_IbLb0EEEEDaST_SU_EUlST_E_NS1_11comp_targetILNS1_3genE8ELNS1_11target_archE1030ELNS1_3gpuE2ELNS1_3repE0EEENS1_30default_config_static_selectorELNS0_4arch9wavefront6targetE1EEEvT1_: ; @_ZN7rocprim17ROCPRIM_400000_NS6detail17trampoline_kernelINS0_14default_configENS1_33run_length_encode_config_selectorIljNS0_4plusIjEEEEZZNS1_33reduce_by_key_impl_wrapped_configILNS1_25lookback_scan_determinismE0ES3_S7_PKlNS0_17constant_iteratorIjlEEPlSE_SE_S6_NS0_8equal_toIlEEEE10hipError_tPvRmT2_T3_mT4_T5_T6_T7_T8_P12ihipStream_tbENKUlT_T0_E_clISt17integral_constantIbLb1EESX_IbLb0EEEEDaST_SU_EUlST_E_NS1_11comp_targetILNS1_3genE8ELNS1_11target_archE1030ELNS1_3gpuE2ELNS1_3repE0EEENS1_30default_config_static_selectorELNS0_4arch9wavefront6targetE1EEEvT1_
; %bb.0:
	.section	.rodata,"a",@progbits
	.p2align	6, 0x0
	.amdhsa_kernel _ZN7rocprim17ROCPRIM_400000_NS6detail17trampoline_kernelINS0_14default_configENS1_33run_length_encode_config_selectorIljNS0_4plusIjEEEEZZNS1_33reduce_by_key_impl_wrapped_configILNS1_25lookback_scan_determinismE0ES3_S7_PKlNS0_17constant_iteratorIjlEEPlSE_SE_S6_NS0_8equal_toIlEEEE10hipError_tPvRmT2_T3_mT4_T5_T6_T7_T8_P12ihipStream_tbENKUlT_T0_E_clISt17integral_constantIbLb1EESX_IbLb0EEEEDaST_SU_EUlST_E_NS1_11comp_targetILNS1_3genE8ELNS1_11target_archE1030ELNS1_3gpuE2ELNS1_3repE0EEENS1_30default_config_static_selectorELNS0_4arch9wavefront6targetE1EEEvT1_
		.amdhsa_group_segment_fixed_size 0
		.amdhsa_private_segment_fixed_size 0
		.amdhsa_kernarg_size 128
		.amdhsa_user_sgpr_count 6
		.amdhsa_user_sgpr_private_segment_buffer 1
		.amdhsa_user_sgpr_dispatch_ptr 0
		.amdhsa_user_sgpr_queue_ptr 0
		.amdhsa_user_sgpr_kernarg_segment_ptr 1
		.amdhsa_user_sgpr_dispatch_id 0
		.amdhsa_user_sgpr_flat_scratch_init 0
		.amdhsa_user_sgpr_kernarg_preload_length 0
		.amdhsa_user_sgpr_kernarg_preload_offset 0
		.amdhsa_user_sgpr_private_segment_size 0
		.amdhsa_uses_dynamic_stack 0
		.amdhsa_system_sgpr_private_segment_wavefront_offset 0
		.amdhsa_system_sgpr_workgroup_id_x 1
		.amdhsa_system_sgpr_workgroup_id_y 0
		.amdhsa_system_sgpr_workgroup_id_z 0
		.amdhsa_system_sgpr_workgroup_info 0
		.amdhsa_system_vgpr_workitem_id 0
		.amdhsa_next_free_vgpr 1
		.amdhsa_next_free_sgpr 0
		.amdhsa_accum_offset 4
		.amdhsa_reserve_vcc 0
		.amdhsa_reserve_flat_scratch 0
		.amdhsa_float_round_mode_32 0
		.amdhsa_float_round_mode_16_64 0
		.amdhsa_float_denorm_mode_32 3
		.amdhsa_float_denorm_mode_16_64 3
		.amdhsa_dx10_clamp 1
		.amdhsa_ieee_mode 1
		.amdhsa_fp16_overflow 0
		.amdhsa_tg_split 0
		.amdhsa_exception_fp_ieee_invalid_op 0
		.amdhsa_exception_fp_denorm_src 0
		.amdhsa_exception_fp_ieee_div_zero 0
		.amdhsa_exception_fp_ieee_overflow 0
		.amdhsa_exception_fp_ieee_underflow 0
		.amdhsa_exception_fp_ieee_inexact 0
		.amdhsa_exception_int_div_zero 0
	.end_amdhsa_kernel
	.section	.text._ZN7rocprim17ROCPRIM_400000_NS6detail17trampoline_kernelINS0_14default_configENS1_33run_length_encode_config_selectorIljNS0_4plusIjEEEEZZNS1_33reduce_by_key_impl_wrapped_configILNS1_25lookback_scan_determinismE0ES3_S7_PKlNS0_17constant_iteratorIjlEEPlSE_SE_S6_NS0_8equal_toIlEEEE10hipError_tPvRmT2_T3_mT4_T5_T6_T7_T8_P12ihipStream_tbENKUlT_T0_E_clISt17integral_constantIbLb1EESX_IbLb0EEEEDaST_SU_EUlST_E_NS1_11comp_targetILNS1_3genE8ELNS1_11target_archE1030ELNS1_3gpuE2ELNS1_3repE0EEENS1_30default_config_static_selectorELNS0_4arch9wavefront6targetE1EEEvT1_,"axG",@progbits,_ZN7rocprim17ROCPRIM_400000_NS6detail17trampoline_kernelINS0_14default_configENS1_33run_length_encode_config_selectorIljNS0_4plusIjEEEEZZNS1_33reduce_by_key_impl_wrapped_configILNS1_25lookback_scan_determinismE0ES3_S7_PKlNS0_17constant_iteratorIjlEEPlSE_SE_S6_NS0_8equal_toIlEEEE10hipError_tPvRmT2_T3_mT4_T5_T6_T7_T8_P12ihipStream_tbENKUlT_T0_E_clISt17integral_constantIbLb1EESX_IbLb0EEEEDaST_SU_EUlST_E_NS1_11comp_targetILNS1_3genE8ELNS1_11target_archE1030ELNS1_3gpuE2ELNS1_3repE0EEENS1_30default_config_static_selectorELNS0_4arch9wavefront6targetE1EEEvT1_,comdat
.Lfunc_end537:
	.size	_ZN7rocprim17ROCPRIM_400000_NS6detail17trampoline_kernelINS0_14default_configENS1_33run_length_encode_config_selectorIljNS0_4plusIjEEEEZZNS1_33reduce_by_key_impl_wrapped_configILNS1_25lookback_scan_determinismE0ES3_S7_PKlNS0_17constant_iteratorIjlEEPlSE_SE_S6_NS0_8equal_toIlEEEE10hipError_tPvRmT2_T3_mT4_T5_T6_T7_T8_P12ihipStream_tbENKUlT_T0_E_clISt17integral_constantIbLb1EESX_IbLb0EEEEDaST_SU_EUlST_E_NS1_11comp_targetILNS1_3genE8ELNS1_11target_archE1030ELNS1_3gpuE2ELNS1_3repE0EEENS1_30default_config_static_selectorELNS0_4arch9wavefront6targetE1EEEvT1_, .Lfunc_end537-_ZN7rocprim17ROCPRIM_400000_NS6detail17trampoline_kernelINS0_14default_configENS1_33run_length_encode_config_selectorIljNS0_4plusIjEEEEZZNS1_33reduce_by_key_impl_wrapped_configILNS1_25lookback_scan_determinismE0ES3_S7_PKlNS0_17constant_iteratorIjlEEPlSE_SE_S6_NS0_8equal_toIlEEEE10hipError_tPvRmT2_T3_mT4_T5_T6_T7_T8_P12ihipStream_tbENKUlT_T0_E_clISt17integral_constantIbLb1EESX_IbLb0EEEEDaST_SU_EUlST_E_NS1_11comp_targetILNS1_3genE8ELNS1_11target_archE1030ELNS1_3gpuE2ELNS1_3repE0EEENS1_30default_config_static_selectorELNS0_4arch9wavefront6targetE1EEEvT1_
                                        ; -- End function
	.section	.AMDGPU.csdata,"",@progbits
; Kernel info:
; codeLenInByte = 0
; NumSgprs: 4
; NumVgprs: 0
; NumAgprs: 0
; TotalNumVgprs: 0
; ScratchSize: 0
; MemoryBound: 0
; FloatMode: 240
; IeeeMode: 1
; LDSByteSize: 0 bytes/workgroup (compile time only)
; SGPRBlocks: 0
; VGPRBlocks: 0
; NumSGPRsForWavesPerEU: 4
; NumVGPRsForWavesPerEU: 1
; AccumOffset: 4
; Occupancy: 8
; WaveLimiterHint : 0
; COMPUTE_PGM_RSRC2:SCRATCH_EN: 0
; COMPUTE_PGM_RSRC2:USER_SGPR: 6
; COMPUTE_PGM_RSRC2:TRAP_HANDLER: 0
; COMPUTE_PGM_RSRC2:TGID_X_EN: 1
; COMPUTE_PGM_RSRC2:TGID_Y_EN: 0
; COMPUTE_PGM_RSRC2:TGID_Z_EN: 0
; COMPUTE_PGM_RSRC2:TIDIG_COMP_CNT: 0
; COMPUTE_PGM_RSRC3_GFX90A:ACCUM_OFFSET: 0
; COMPUTE_PGM_RSRC3_GFX90A:TG_SPLIT: 0
	.section	.text._ZN7rocprim17ROCPRIM_400000_NS6detail17trampoline_kernelINS0_14default_configENS1_33run_length_encode_config_selectorIljNS0_4plusIjEEEEZZNS1_33reduce_by_key_impl_wrapped_configILNS1_25lookback_scan_determinismE0ES3_S7_PKlNS0_17constant_iteratorIjlEEPlSE_SE_S6_NS0_8equal_toIlEEEE10hipError_tPvRmT2_T3_mT4_T5_T6_T7_T8_P12ihipStream_tbENKUlT_T0_E_clISt17integral_constantIbLb0EESX_IbLb1EEEEDaST_SU_EUlST_E_NS1_11comp_targetILNS1_3genE0ELNS1_11target_archE4294967295ELNS1_3gpuE0ELNS1_3repE0EEENS1_30default_config_static_selectorELNS0_4arch9wavefront6targetE1EEEvT1_,"axG",@progbits,_ZN7rocprim17ROCPRIM_400000_NS6detail17trampoline_kernelINS0_14default_configENS1_33run_length_encode_config_selectorIljNS0_4plusIjEEEEZZNS1_33reduce_by_key_impl_wrapped_configILNS1_25lookback_scan_determinismE0ES3_S7_PKlNS0_17constant_iteratorIjlEEPlSE_SE_S6_NS0_8equal_toIlEEEE10hipError_tPvRmT2_T3_mT4_T5_T6_T7_T8_P12ihipStream_tbENKUlT_T0_E_clISt17integral_constantIbLb0EESX_IbLb1EEEEDaST_SU_EUlST_E_NS1_11comp_targetILNS1_3genE0ELNS1_11target_archE4294967295ELNS1_3gpuE0ELNS1_3repE0EEENS1_30default_config_static_selectorELNS0_4arch9wavefront6targetE1EEEvT1_,comdat
	.protected	_ZN7rocprim17ROCPRIM_400000_NS6detail17trampoline_kernelINS0_14default_configENS1_33run_length_encode_config_selectorIljNS0_4plusIjEEEEZZNS1_33reduce_by_key_impl_wrapped_configILNS1_25lookback_scan_determinismE0ES3_S7_PKlNS0_17constant_iteratorIjlEEPlSE_SE_S6_NS0_8equal_toIlEEEE10hipError_tPvRmT2_T3_mT4_T5_T6_T7_T8_P12ihipStream_tbENKUlT_T0_E_clISt17integral_constantIbLb0EESX_IbLb1EEEEDaST_SU_EUlST_E_NS1_11comp_targetILNS1_3genE0ELNS1_11target_archE4294967295ELNS1_3gpuE0ELNS1_3repE0EEENS1_30default_config_static_selectorELNS0_4arch9wavefront6targetE1EEEvT1_ ; -- Begin function _ZN7rocprim17ROCPRIM_400000_NS6detail17trampoline_kernelINS0_14default_configENS1_33run_length_encode_config_selectorIljNS0_4plusIjEEEEZZNS1_33reduce_by_key_impl_wrapped_configILNS1_25lookback_scan_determinismE0ES3_S7_PKlNS0_17constant_iteratorIjlEEPlSE_SE_S6_NS0_8equal_toIlEEEE10hipError_tPvRmT2_T3_mT4_T5_T6_T7_T8_P12ihipStream_tbENKUlT_T0_E_clISt17integral_constantIbLb0EESX_IbLb1EEEEDaST_SU_EUlST_E_NS1_11comp_targetILNS1_3genE0ELNS1_11target_archE4294967295ELNS1_3gpuE0ELNS1_3repE0EEENS1_30default_config_static_selectorELNS0_4arch9wavefront6targetE1EEEvT1_
	.globl	_ZN7rocprim17ROCPRIM_400000_NS6detail17trampoline_kernelINS0_14default_configENS1_33run_length_encode_config_selectorIljNS0_4plusIjEEEEZZNS1_33reduce_by_key_impl_wrapped_configILNS1_25lookback_scan_determinismE0ES3_S7_PKlNS0_17constant_iteratorIjlEEPlSE_SE_S6_NS0_8equal_toIlEEEE10hipError_tPvRmT2_T3_mT4_T5_T6_T7_T8_P12ihipStream_tbENKUlT_T0_E_clISt17integral_constantIbLb0EESX_IbLb1EEEEDaST_SU_EUlST_E_NS1_11comp_targetILNS1_3genE0ELNS1_11target_archE4294967295ELNS1_3gpuE0ELNS1_3repE0EEENS1_30default_config_static_selectorELNS0_4arch9wavefront6targetE1EEEvT1_
	.p2align	8
	.type	_ZN7rocprim17ROCPRIM_400000_NS6detail17trampoline_kernelINS0_14default_configENS1_33run_length_encode_config_selectorIljNS0_4plusIjEEEEZZNS1_33reduce_by_key_impl_wrapped_configILNS1_25lookback_scan_determinismE0ES3_S7_PKlNS0_17constant_iteratorIjlEEPlSE_SE_S6_NS0_8equal_toIlEEEE10hipError_tPvRmT2_T3_mT4_T5_T6_T7_T8_P12ihipStream_tbENKUlT_T0_E_clISt17integral_constantIbLb0EESX_IbLb1EEEEDaST_SU_EUlST_E_NS1_11comp_targetILNS1_3genE0ELNS1_11target_archE4294967295ELNS1_3gpuE0ELNS1_3repE0EEENS1_30default_config_static_selectorELNS0_4arch9wavefront6targetE1EEEvT1_,@function
_ZN7rocprim17ROCPRIM_400000_NS6detail17trampoline_kernelINS0_14default_configENS1_33run_length_encode_config_selectorIljNS0_4plusIjEEEEZZNS1_33reduce_by_key_impl_wrapped_configILNS1_25lookback_scan_determinismE0ES3_S7_PKlNS0_17constant_iteratorIjlEEPlSE_SE_S6_NS0_8equal_toIlEEEE10hipError_tPvRmT2_T3_mT4_T5_T6_T7_T8_P12ihipStream_tbENKUlT_T0_E_clISt17integral_constantIbLb0EESX_IbLb1EEEEDaST_SU_EUlST_E_NS1_11comp_targetILNS1_3genE0ELNS1_11target_archE4294967295ELNS1_3gpuE0ELNS1_3repE0EEENS1_30default_config_static_selectorELNS0_4arch9wavefront6targetE1EEEvT1_: ; @_ZN7rocprim17ROCPRIM_400000_NS6detail17trampoline_kernelINS0_14default_configENS1_33run_length_encode_config_selectorIljNS0_4plusIjEEEEZZNS1_33reduce_by_key_impl_wrapped_configILNS1_25lookback_scan_determinismE0ES3_S7_PKlNS0_17constant_iteratorIjlEEPlSE_SE_S6_NS0_8equal_toIlEEEE10hipError_tPvRmT2_T3_mT4_T5_T6_T7_T8_P12ihipStream_tbENKUlT_T0_E_clISt17integral_constantIbLb0EESX_IbLb1EEEEDaST_SU_EUlST_E_NS1_11comp_targetILNS1_3genE0ELNS1_11target_archE4294967295ELNS1_3gpuE0ELNS1_3repE0EEENS1_30default_config_static_selectorELNS0_4arch9wavefront6targetE1EEEvT1_
; %bb.0:
	.section	.rodata,"a",@progbits
	.p2align	6, 0x0
	.amdhsa_kernel _ZN7rocprim17ROCPRIM_400000_NS6detail17trampoline_kernelINS0_14default_configENS1_33run_length_encode_config_selectorIljNS0_4plusIjEEEEZZNS1_33reduce_by_key_impl_wrapped_configILNS1_25lookback_scan_determinismE0ES3_S7_PKlNS0_17constant_iteratorIjlEEPlSE_SE_S6_NS0_8equal_toIlEEEE10hipError_tPvRmT2_T3_mT4_T5_T6_T7_T8_P12ihipStream_tbENKUlT_T0_E_clISt17integral_constantIbLb0EESX_IbLb1EEEEDaST_SU_EUlST_E_NS1_11comp_targetILNS1_3genE0ELNS1_11target_archE4294967295ELNS1_3gpuE0ELNS1_3repE0EEENS1_30default_config_static_selectorELNS0_4arch9wavefront6targetE1EEEvT1_
		.amdhsa_group_segment_fixed_size 0
		.amdhsa_private_segment_fixed_size 0
		.amdhsa_kernarg_size 128
		.amdhsa_user_sgpr_count 6
		.amdhsa_user_sgpr_private_segment_buffer 1
		.amdhsa_user_sgpr_dispatch_ptr 0
		.amdhsa_user_sgpr_queue_ptr 0
		.amdhsa_user_sgpr_kernarg_segment_ptr 1
		.amdhsa_user_sgpr_dispatch_id 0
		.amdhsa_user_sgpr_flat_scratch_init 0
		.amdhsa_user_sgpr_kernarg_preload_length 0
		.amdhsa_user_sgpr_kernarg_preload_offset 0
		.amdhsa_user_sgpr_private_segment_size 0
		.amdhsa_uses_dynamic_stack 0
		.amdhsa_system_sgpr_private_segment_wavefront_offset 0
		.amdhsa_system_sgpr_workgroup_id_x 1
		.amdhsa_system_sgpr_workgroup_id_y 0
		.amdhsa_system_sgpr_workgroup_id_z 0
		.amdhsa_system_sgpr_workgroup_info 0
		.amdhsa_system_vgpr_workitem_id 0
		.amdhsa_next_free_vgpr 1
		.amdhsa_next_free_sgpr 0
		.amdhsa_accum_offset 4
		.amdhsa_reserve_vcc 0
		.amdhsa_reserve_flat_scratch 0
		.amdhsa_float_round_mode_32 0
		.amdhsa_float_round_mode_16_64 0
		.amdhsa_float_denorm_mode_32 3
		.amdhsa_float_denorm_mode_16_64 3
		.amdhsa_dx10_clamp 1
		.amdhsa_ieee_mode 1
		.amdhsa_fp16_overflow 0
		.amdhsa_tg_split 0
		.amdhsa_exception_fp_ieee_invalid_op 0
		.amdhsa_exception_fp_denorm_src 0
		.amdhsa_exception_fp_ieee_div_zero 0
		.amdhsa_exception_fp_ieee_overflow 0
		.amdhsa_exception_fp_ieee_underflow 0
		.amdhsa_exception_fp_ieee_inexact 0
		.amdhsa_exception_int_div_zero 0
	.end_amdhsa_kernel
	.section	.text._ZN7rocprim17ROCPRIM_400000_NS6detail17trampoline_kernelINS0_14default_configENS1_33run_length_encode_config_selectorIljNS0_4plusIjEEEEZZNS1_33reduce_by_key_impl_wrapped_configILNS1_25lookback_scan_determinismE0ES3_S7_PKlNS0_17constant_iteratorIjlEEPlSE_SE_S6_NS0_8equal_toIlEEEE10hipError_tPvRmT2_T3_mT4_T5_T6_T7_T8_P12ihipStream_tbENKUlT_T0_E_clISt17integral_constantIbLb0EESX_IbLb1EEEEDaST_SU_EUlST_E_NS1_11comp_targetILNS1_3genE0ELNS1_11target_archE4294967295ELNS1_3gpuE0ELNS1_3repE0EEENS1_30default_config_static_selectorELNS0_4arch9wavefront6targetE1EEEvT1_,"axG",@progbits,_ZN7rocprim17ROCPRIM_400000_NS6detail17trampoline_kernelINS0_14default_configENS1_33run_length_encode_config_selectorIljNS0_4plusIjEEEEZZNS1_33reduce_by_key_impl_wrapped_configILNS1_25lookback_scan_determinismE0ES3_S7_PKlNS0_17constant_iteratorIjlEEPlSE_SE_S6_NS0_8equal_toIlEEEE10hipError_tPvRmT2_T3_mT4_T5_T6_T7_T8_P12ihipStream_tbENKUlT_T0_E_clISt17integral_constantIbLb0EESX_IbLb1EEEEDaST_SU_EUlST_E_NS1_11comp_targetILNS1_3genE0ELNS1_11target_archE4294967295ELNS1_3gpuE0ELNS1_3repE0EEENS1_30default_config_static_selectorELNS0_4arch9wavefront6targetE1EEEvT1_,comdat
.Lfunc_end538:
	.size	_ZN7rocprim17ROCPRIM_400000_NS6detail17trampoline_kernelINS0_14default_configENS1_33run_length_encode_config_selectorIljNS0_4plusIjEEEEZZNS1_33reduce_by_key_impl_wrapped_configILNS1_25lookback_scan_determinismE0ES3_S7_PKlNS0_17constant_iteratorIjlEEPlSE_SE_S6_NS0_8equal_toIlEEEE10hipError_tPvRmT2_T3_mT4_T5_T6_T7_T8_P12ihipStream_tbENKUlT_T0_E_clISt17integral_constantIbLb0EESX_IbLb1EEEEDaST_SU_EUlST_E_NS1_11comp_targetILNS1_3genE0ELNS1_11target_archE4294967295ELNS1_3gpuE0ELNS1_3repE0EEENS1_30default_config_static_selectorELNS0_4arch9wavefront6targetE1EEEvT1_, .Lfunc_end538-_ZN7rocprim17ROCPRIM_400000_NS6detail17trampoline_kernelINS0_14default_configENS1_33run_length_encode_config_selectorIljNS0_4plusIjEEEEZZNS1_33reduce_by_key_impl_wrapped_configILNS1_25lookback_scan_determinismE0ES3_S7_PKlNS0_17constant_iteratorIjlEEPlSE_SE_S6_NS0_8equal_toIlEEEE10hipError_tPvRmT2_T3_mT4_T5_T6_T7_T8_P12ihipStream_tbENKUlT_T0_E_clISt17integral_constantIbLb0EESX_IbLb1EEEEDaST_SU_EUlST_E_NS1_11comp_targetILNS1_3genE0ELNS1_11target_archE4294967295ELNS1_3gpuE0ELNS1_3repE0EEENS1_30default_config_static_selectorELNS0_4arch9wavefront6targetE1EEEvT1_
                                        ; -- End function
	.section	.AMDGPU.csdata,"",@progbits
; Kernel info:
; codeLenInByte = 0
; NumSgprs: 4
; NumVgprs: 0
; NumAgprs: 0
; TotalNumVgprs: 0
; ScratchSize: 0
; MemoryBound: 0
; FloatMode: 240
; IeeeMode: 1
; LDSByteSize: 0 bytes/workgroup (compile time only)
; SGPRBlocks: 0
; VGPRBlocks: 0
; NumSGPRsForWavesPerEU: 4
; NumVGPRsForWavesPerEU: 1
; AccumOffset: 4
; Occupancy: 8
; WaveLimiterHint : 0
; COMPUTE_PGM_RSRC2:SCRATCH_EN: 0
; COMPUTE_PGM_RSRC2:USER_SGPR: 6
; COMPUTE_PGM_RSRC2:TRAP_HANDLER: 0
; COMPUTE_PGM_RSRC2:TGID_X_EN: 1
; COMPUTE_PGM_RSRC2:TGID_Y_EN: 0
; COMPUTE_PGM_RSRC2:TGID_Z_EN: 0
; COMPUTE_PGM_RSRC2:TIDIG_COMP_CNT: 0
; COMPUTE_PGM_RSRC3_GFX90A:ACCUM_OFFSET: 0
; COMPUTE_PGM_RSRC3_GFX90A:TG_SPLIT: 0
	.section	.text._ZN7rocprim17ROCPRIM_400000_NS6detail17trampoline_kernelINS0_14default_configENS1_33run_length_encode_config_selectorIljNS0_4plusIjEEEEZZNS1_33reduce_by_key_impl_wrapped_configILNS1_25lookback_scan_determinismE0ES3_S7_PKlNS0_17constant_iteratorIjlEEPlSE_SE_S6_NS0_8equal_toIlEEEE10hipError_tPvRmT2_T3_mT4_T5_T6_T7_T8_P12ihipStream_tbENKUlT_T0_E_clISt17integral_constantIbLb0EESX_IbLb1EEEEDaST_SU_EUlST_E_NS1_11comp_targetILNS1_3genE5ELNS1_11target_archE942ELNS1_3gpuE9ELNS1_3repE0EEENS1_30default_config_static_selectorELNS0_4arch9wavefront6targetE1EEEvT1_,"axG",@progbits,_ZN7rocprim17ROCPRIM_400000_NS6detail17trampoline_kernelINS0_14default_configENS1_33run_length_encode_config_selectorIljNS0_4plusIjEEEEZZNS1_33reduce_by_key_impl_wrapped_configILNS1_25lookback_scan_determinismE0ES3_S7_PKlNS0_17constant_iteratorIjlEEPlSE_SE_S6_NS0_8equal_toIlEEEE10hipError_tPvRmT2_T3_mT4_T5_T6_T7_T8_P12ihipStream_tbENKUlT_T0_E_clISt17integral_constantIbLb0EESX_IbLb1EEEEDaST_SU_EUlST_E_NS1_11comp_targetILNS1_3genE5ELNS1_11target_archE942ELNS1_3gpuE9ELNS1_3repE0EEENS1_30default_config_static_selectorELNS0_4arch9wavefront6targetE1EEEvT1_,comdat
	.protected	_ZN7rocprim17ROCPRIM_400000_NS6detail17trampoline_kernelINS0_14default_configENS1_33run_length_encode_config_selectorIljNS0_4plusIjEEEEZZNS1_33reduce_by_key_impl_wrapped_configILNS1_25lookback_scan_determinismE0ES3_S7_PKlNS0_17constant_iteratorIjlEEPlSE_SE_S6_NS0_8equal_toIlEEEE10hipError_tPvRmT2_T3_mT4_T5_T6_T7_T8_P12ihipStream_tbENKUlT_T0_E_clISt17integral_constantIbLb0EESX_IbLb1EEEEDaST_SU_EUlST_E_NS1_11comp_targetILNS1_3genE5ELNS1_11target_archE942ELNS1_3gpuE9ELNS1_3repE0EEENS1_30default_config_static_selectorELNS0_4arch9wavefront6targetE1EEEvT1_ ; -- Begin function _ZN7rocprim17ROCPRIM_400000_NS6detail17trampoline_kernelINS0_14default_configENS1_33run_length_encode_config_selectorIljNS0_4plusIjEEEEZZNS1_33reduce_by_key_impl_wrapped_configILNS1_25lookback_scan_determinismE0ES3_S7_PKlNS0_17constant_iteratorIjlEEPlSE_SE_S6_NS0_8equal_toIlEEEE10hipError_tPvRmT2_T3_mT4_T5_T6_T7_T8_P12ihipStream_tbENKUlT_T0_E_clISt17integral_constantIbLb0EESX_IbLb1EEEEDaST_SU_EUlST_E_NS1_11comp_targetILNS1_3genE5ELNS1_11target_archE942ELNS1_3gpuE9ELNS1_3repE0EEENS1_30default_config_static_selectorELNS0_4arch9wavefront6targetE1EEEvT1_
	.globl	_ZN7rocprim17ROCPRIM_400000_NS6detail17trampoline_kernelINS0_14default_configENS1_33run_length_encode_config_selectorIljNS0_4plusIjEEEEZZNS1_33reduce_by_key_impl_wrapped_configILNS1_25lookback_scan_determinismE0ES3_S7_PKlNS0_17constant_iteratorIjlEEPlSE_SE_S6_NS0_8equal_toIlEEEE10hipError_tPvRmT2_T3_mT4_T5_T6_T7_T8_P12ihipStream_tbENKUlT_T0_E_clISt17integral_constantIbLb0EESX_IbLb1EEEEDaST_SU_EUlST_E_NS1_11comp_targetILNS1_3genE5ELNS1_11target_archE942ELNS1_3gpuE9ELNS1_3repE0EEENS1_30default_config_static_selectorELNS0_4arch9wavefront6targetE1EEEvT1_
	.p2align	8
	.type	_ZN7rocprim17ROCPRIM_400000_NS6detail17trampoline_kernelINS0_14default_configENS1_33run_length_encode_config_selectorIljNS0_4plusIjEEEEZZNS1_33reduce_by_key_impl_wrapped_configILNS1_25lookback_scan_determinismE0ES3_S7_PKlNS0_17constant_iteratorIjlEEPlSE_SE_S6_NS0_8equal_toIlEEEE10hipError_tPvRmT2_T3_mT4_T5_T6_T7_T8_P12ihipStream_tbENKUlT_T0_E_clISt17integral_constantIbLb0EESX_IbLb1EEEEDaST_SU_EUlST_E_NS1_11comp_targetILNS1_3genE5ELNS1_11target_archE942ELNS1_3gpuE9ELNS1_3repE0EEENS1_30default_config_static_selectorELNS0_4arch9wavefront6targetE1EEEvT1_,@function
_ZN7rocprim17ROCPRIM_400000_NS6detail17trampoline_kernelINS0_14default_configENS1_33run_length_encode_config_selectorIljNS0_4plusIjEEEEZZNS1_33reduce_by_key_impl_wrapped_configILNS1_25lookback_scan_determinismE0ES3_S7_PKlNS0_17constant_iteratorIjlEEPlSE_SE_S6_NS0_8equal_toIlEEEE10hipError_tPvRmT2_T3_mT4_T5_T6_T7_T8_P12ihipStream_tbENKUlT_T0_E_clISt17integral_constantIbLb0EESX_IbLb1EEEEDaST_SU_EUlST_E_NS1_11comp_targetILNS1_3genE5ELNS1_11target_archE942ELNS1_3gpuE9ELNS1_3repE0EEENS1_30default_config_static_selectorELNS0_4arch9wavefront6targetE1EEEvT1_: ; @_ZN7rocprim17ROCPRIM_400000_NS6detail17trampoline_kernelINS0_14default_configENS1_33run_length_encode_config_selectorIljNS0_4plusIjEEEEZZNS1_33reduce_by_key_impl_wrapped_configILNS1_25lookback_scan_determinismE0ES3_S7_PKlNS0_17constant_iteratorIjlEEPlSE_SE_S6_NS0_8equal_toIlEEEE10hipError_tPvRmT2_T3_mT4_T5_T6_T7_T8_P12ihipStream_tbENKUlT_T0_E_clISt17integral_constantIbLb0EESX_IbLb1EEEEDaST_SU_EUlST_E_NS1_11comp_targetILNS1_3genE5ELNS1_11target_archE942ELNS1_3gpuE9ELNS1_3repE0EEENS1_30default_config_static_selectorELNS0_4arch9wavefront6targetE1EEEvT1_
; %bb.0:
	.section	.rodata,"a",@progbits
	.p2align	6, 0x0
	.amdhsa_kernel _ZN7rocprim17ROCPRIM_400000_NS6detail17trampoline_kernelINS0_14default_configENS1_33run_length_encode_config_selectorIljNS0_4plusIjEEEEZZNS1_33reduce_by_key_impl_wrapped_configILNS1_25lookback_scan_determinismE0ES3_S7_PKlNS0_17constant_iteratorIjlEEPlSE_SE_S6_NS0_8equal_toIlEEEE10hipError_tPvRmT2_T3_mT4_T5_T6_T7_T8_P12ihipStream_tbENKUlT_T0_E_clISt17integral_constantIbLb0EESX_IbLb1EEEEDaST_SU_EUlST_E_NS1_11comp_targetILNS1_3genE5ELNS1_11target_archE942ELNS1_3gpuE9ELNS1_3repE0EEENS1_30default_config_static_selectorELNS0_4arch9wavefront6targetE1EEEvT1_
		.amdhsa_group_segment_fixed_size 0
		.amdhsa_private_segment_fixed_size 0
		.amdhsa_kernarg_size 128
		.amdhsa_user_sgpr_count 6
		.amdhsa_user_sgpr_private_segment_buffer 1
		.amdhsa_user_sgpr_dispatch_ptr 0
		.amdhsa_user_sgpr_queue_ptr 0
		.amdhsa_user_sgpr_kernarg_segment_ptr 1
		.amdhsa_user_sgpr_dispatch_id 0
		.amdhsa_user_sgpr_flat_scratch_init 0
		.amdhsa_user_sgpr_kernarg_preload_length 0
		.amdhsa_user_sgpr_kernarg_preload_offset 0
		.amdhsa_user_sgpr_private_segment_size 0
		.amdhsa_uses_dynamic_stack 0
		.amdhsa_system_sgpr_private_segment_wavefront_offset 0
		.amdhsa_system_sgpr_workgroup_id_x 1
		.amdhsa_system_sgpr_workgroup_id_y 0
		.amdhsa_system_sgpr_workgroup_id_z 0
		.amdhsa_system_sgpr_workgroup_info 0
		.amdhsa_system_vgpr_workitem_id 0
		.amdhsa_next_free_vgpr 1
		.amdhsa_next_free_sgpr 0
		.amdhsa_accum_offset 4
		.amdhsa_reserve_vcc 0
		.amdhsa_reserve_flat_scratch 0
		.amdhsa_float_round_mode_32 0
		.amdhsa_float_round_mode_16_64 0
		.amdhsa_float_denorm_mode_32 3
		.amdhsa_float_denorm_mode_16_64 3
		.amdhsa_dx10_clamp 1
		.amdhsa_ieee_mode 1
		.amdhsa_fp16_overflow 0
		.amdhsa_tg_split 0
		.amdhsa_exception_fp_ieee_invalid_op 0
		.amdhsa_exception_fp_denorm_src 0
		.amdhsa_exception_fp_ieee_div_zero 0
		.amdhsa_exception_fp_ieee_overflow 0
		.amdhsa_exception_fp_ieee_underflow 0
		.amdhsa_exception_fp_ieee_inexact 0
		.amdhsa_exception_int_div_zero 0
	.end_amdhsa_kernel
	.section	.text._ZN7rocprim17ROCPRIM_400000_NS6detail17trampoline_kernelINS0_14default_configENS1_33run_length_encode_config_selectorIljNS0_4plusIjEEEEZZNS1_33reduce_by_key_impl_wrapped_configILNS1_25lookback_scan_determinismE0ES3_S7_PKlNS0_17constant_iteratorIjlEEPlSE_SE_S6_NS0_8equal_toIlEEEE10hipError_tPvRmT2_T3_mT4_T5_T6_T7_T8_P12ihipStream_tbENKUlT_T0_E_clISt17integral_constantIbLb0EESX_IbLb1EEEEDaST_SU_EUlST_E_NS1_11comp_targetILNS1_3genE5ELNS1_11target_archE942ELNS1_3gpuE9ELNS1_3repE0EEENS1_30default_config_static_selectorELNS0_4arch9wavefront6targetE1EEEvT1_,"axG",@progbits,_ZN7rocprim17ROCPRIM_400000_NS6detail17trampoline_kernelINS0_14default_configENS1_33run_length_encode_config_selectorIljNS0_4plusIjEEEEZZNS1_33reduce_by_key_impl_wrapped_configILNS1_25lookback_scan_determinismE0ES3_S7_PKlNS0_17constant_iteratorIjlEEPlSE_SE_S6_NS0_8equal_toIlEEEE10hipError_tPvRmT2_T3_mT4_T5_T6_T7_T8_P12ihipStream_tbENKUlT_T0_E_clISt17integral_constantIbLb0EESX_IbLb1EEEEDaST_SU_EUlST_E_NS1_11comp_targetILNS1_3genE5ELNS1_11target_archE942ELNS1_3gpuE9ELNS1_3repE0EEENS1_30default_config_static_selectorELNS0_4arch9wavefront6targetE1EEEvT1_,comdat
.Lfunc_end539:
	.size	_ZN7rocprim17ROCPRIM_400000_NS6detail17trampoline_kernelINS0_14default_configENS1_33run_length_encode_config_selectorIljNS0_4plusIjEEEEZZNS1_33reduce_by_key_impl_wrapped_configILNS1_25lookback_scan_determinismE0ES3_S7_PKlNS0_17constant_iteratorIjlEEPlSE_SE_S6_NS0_8equal_toIlEEEE10hipError_tPvRmT2_T3_mT4_T5_T6_T7_T8_P12ihipStream_tbENKUlT_T0_E_clISt17integral_constantIbLb0EESX_IbLb1EEEEDaST_SU_EUlST_E_NS1_11comp_targetILNS1_3genE5ELNS1_11target_archE942ELNS1_3gpuE9ELNS1_3repE0EEENS1_30default_config_static_selectorELNS0_4arch9wavefront6targetE1EEEvT1_, .Lfunc_end539-_ZN7rocprim17ROCPRIM_400000_NS6detail17trampoline_kernelINS0_14default_configENS1_33run_length_encode_config_selectorIljNS0_4plusIjEEEEZZNS1_33reduce_by_key_impl_wrapped_configILNS1_25lookback_scan_determinismE0ES3_S7_PKlNS0_17constant_iteratorIjlEEPlSE_SE_S6_NS0_8equal_toIlEEEE10hipError_tPvRmT2_T3_mT4_T5_T6_T7_T8_P12ihipStream_tbENKUlT_T0_E_clISt17integral_constantIbLb0EESX_IbLb1EEEEDaST_SU_EUlST_E_NS1_11comp_targetILNS1_3genE5ELNS1_11target_archE942ELNS1_3gpuE9ELNS1_3repE0EEENS1_30default_config_static_selectorELNS0_4arch9wavefront6targetE1EEEvT1_
                                        ; -- End function
	.section	.AMDGPU.csdata,"",@progbits
; Kernel info:
; codeLenInByte = 0
; NumSgprs: 4
; NumVgprs: 0
; NumAgprs: 0
; TotalNumVgprs: 0
; ScratchSize: 0
; MemoryBound: 0
; FloatMode: 240
; IeeeMode: 1
; LDSByteSize: 0 bytes/workgroup (compile time only)
; SGPRBlocks: 0
; VGPRBlocks: 0
; NumSGPRsForWavesPerEU: 4
; NumVGPRsForWavesPerEU: 1
; AccumOffset: 4
; Occupancy: 8
; WaveLimiterHint : 0
; COMPUTE_PGM_RSRC2:SCRATCH_EN: 0
; COMPUTE_PGM_RSRC2:USER_SGPR: 6
; COMPUTE_PGM_RSRC2:TRAP_HANDLER: 0
; COMPUTE_PGM_RSRC2:TGID_X_EN: 1
; COMPUTE_PGM_RSRC2:TGID_Y_EN: 0
; COMPUTE_PGM_RSRC2:TGID_Z_EN: 0
; COMPUTE_PGM_RSRC2:TIDIG_COMP_CNT: 0
; COMPUTE_PGM_RSRC3_GFX90A:ACCUM_OFFSET: 0
; COMPUTE_PGM_RSRC3_GFX90A:TG_SPLIT: 0
	.section	.text._ZN7rocprim17ROCPRIM_400000_NS6detail17trampoline_kernelINS0_14default_configENS1_33run_length_encode_config_selectorIljNS0_4plusIjEEEEZZNS1_33reduce_by_key_impl_wrapped_configILNS1_25lookback_scan_determinismE0ES3_S7_PKlNS0_17constant_iteratorIjlEEPlSE_SE_S6_NS0_8equal_toIlEEEE10hipError_tPvRmT2_T3_mT4_T5_T6_T7_T8_P12ihipStream_tbENKUlT_T0_E_clISt17integral_constantIbLb0EESX_IbLb1EEEEDaST_SU_EUlST_E_NS1_11comp_targetILNS1_3genE4ELNS1_11target_archE910ELNS1_3gpuE8ELNS1_3repE0EEENS1_30default_config_static_selectorELNS0_4arch9wavefront6targetE1EEEvT1_,"axG",@progbits,_ZN7rocprim17ROCPRIM_400000_NS6detail17trampoline_kernelINS0_14default_configENS1_33run_length_encode_config_selectorIljNS0_4plusIjEEEEZZNS1_33reduce_by_key_impl_wrapped_configILNS1_25lookback_scan_determinismE0ES3_S7_PKlNS0_17constant_iteratorIjlEEPlSE_SE_S6_NS0_8equal_toIlEEEE10hipError_tPvRmT2_T3_mT4_T5_T6_T7_T8_P12ihipStream_tbENKUlT_T0_E_clISt17integral_constantIbLb0EESX_IbLb1EEEEDaST_SU_EUlST_E_NS1_11comp_targetILNS1_3genE4ELNS1_11target_archE910ELNS1_3gpuE8ELNS1_3repE0EEENS1_30default_config_static_selectorELNS0_4arch9wavefront6targetE1EEEvT1_,comdat
	.protected	_ZN7rocprim17ROCPRIM_400000_NS6detail17trampoline_kernelINS0_14default_configENS1_33run_length_encode_config_selectorIljNS0_4plusIjEEEEZZNS1_33reduce_by_key_impl_wrapped_configILNS1_25lookback_scan_determinismE0ES3_S7_PKlNS0_17constant_iteratorIjlEEPlSE_SE_S6_NS0_8equal_toIlEEEE10hipError_tPvRmT2_T3_mT4_T5_T6_T7_T8_P12ihipStream_tbENKUlT_T0_E_clISt17integral_constantIbLb0EESX_IbLb1EEEEDaST_SU_EUlST_E_NS1_11comp_targetILNS1_3genE4ELNS1_11target_archE910ELNS1_3gpuE8ELNS1_3repE0EEENS1_30default_config_static_selectorELNS0_4arch9wavefront6targetE1EEEvT1_ ; -- Begin function _ZN7rocprim17ROCPRIM_400000_NS6detail17trampoline_kernelINS0_14default_configENS1_33run_length_encode_config_selectorIljNS0_4plusIjEEEEZZNS1_33reduce_by_key_impl_wrapped_configILNS1_25lookback_scan_determinismE0ES3_S7_PKlNS0_17constant_iteratorIjlEEPlSE_SE_S6_NS0_8equal_toIlEEEE10hipError_tPvRmT2_T3_mT4_T5_T6_T7_T8_P12ihipStream_tbENKUlT_T0_E_clISt17integral_constantIbLb0EESX_IbLb1EEEEDaST_SU_EUlST_E_NS1_11comp_targetILNS1_3genE4ELNS1_11target_archE910ELNS1_3gpuE8ELNS1_3repE0EEENS1_30default_config_static_selectorELNS0_4arch9wavefront6targetE1EEEvT1_
	.globl	_ZN7rocprim17ROCPRIM_400000_NS6detail17trampoline_kernelINS0_14default_configENS1_33run_length_encode_config_selectorIljNS0_4plusIjEEEEZZNS1_33reduce_by_key_impl_wrapped_configILNS1_25lookback_scan_determinismE0ES3_S7_PKlNS0_17constant_iteratorIjlEEPlSE_SE_S6_NS0_8equal_toIlEEEE10hipError_tPvRmT2_T3_mT4_T5_T6_T7_T8_P12ihipStream_tbENKUlT_T0_E_clISt17integral_constantIbLb0EESX_IbLb1EEEEDaST_SU_EUlST_E_NS1_11comp_targetILNS1_3genE4ELNS1_11target_archE910ELNS1_3gpuE8ELNS1_3repE0EEENS1_30default_config_static_selectorELNS0_4arch9wavefront6targetE1EEEvT1_
	.p2align	8
	.type	_ZN7rocprim17ROCPRIM_400000_NS6detail17trampoline_kernelINS0_14default_configENS1_33run_length_encode_config_selectorIljNS0_4plusIjEEEEZZNS1_33reduce_by_key_impl_wrapped_configILNS1_25lookback_scan_determinismE0ES3_S7_PKlNS0_17constant_iteratorIjlEEPlSE_SE_S6_NS0_8equal_toIlEEEE10hipError_tPvRmT2_T3_mT4_T5_T6_T7_T8_P12ihipStream_tbENKUlT_T0_E_clISt17integral_constantIbLb0EESX_IbLb1EEEEDaST_SU_EUlST_E_NS1_11comp_targetILNS1_3genE4ELNS1_11target_archE910ELNS1_3gpuE8ELNS1_3repE0EEENS1_30default_config_static_selectorELNS0_4arch9wavefront6targetE1EEEvT1_,@function
_ZN7rocprim17ROCPRIM_400000_NS6detail17trampoline_kernelINS0_14default_configENS1_33run_length_encode_config_selectorIljNS0_4plusIjEEEEZZNS1_33reduce_by_key_impl_wrapped_configILNS1_25lookback_scan_determinismE0ES3_S7_PKlNS0_17constant_iteratorIjlEEPlSE_SE_S6_NS0_8equal_toIlEEEE10hipError_tPvRmT2_T3_mT4_T5_T6_T7_T8_P12ihipStream_tbENKUlT_T0_E_clISt17integral_constantIbLb0EESX_IbLb1EEEEDaST_SU_EUlST_E_NS1_11comp_targetILNS1_3genE4ELNS1_11target_archE910ELNS1_3gpuE8ELNS1_3repE0EEENS1_30default_config_static_selectorELNS0_4arch9wavefront6targetE1EEEvT1_: ; @_ZN7rocprim17ROCPRIM_400000_NS6detail17trampoline_kernelINS0_14default_configENS1_33run_length_encode_config_selectorIljNS0_4plusIjEEEEZZNS1_33reduce_by_key_impl_wrapped_configILNS1_25lookback_scan_determinismE0ES3_S7_PKlNS0_17constant_iteratorIjlEEPlSE_SE_S6_NS0_8equal_toIlEEEE10hipError_tPvRmT2_T3_mT4_T5_T6_T7_T8_P12ihipStream_tbENKUlT_T0_E_clISt17integral_constantIbLb0EESX_IbLb1EEEEDaST_SU_EUlST_E_NS1_11comp_targetILNS1_3genE4ELNS1_11target_archE910ELNS1_3gpuE8ELNS1_3repE0EEENS1_30default_config_static_selectorELNS0_4arch9wavefront6targetE1EEEvT1_
; %bb.0:
	s_load_dword s12, s[4:5], 0x10
	s_load_dwordx4 s[36:39], s[4:5], 0x20
	s_load_dwordx2 s[34:35], s[4:5], 0x30
	s_load_dwordx2 s[40:41], s[4:5], 0x70
	s_load_dwordx4 s[20:23], s[4:5], 0x60
	s_load_dwordx8 s[24:31], s[4:5], 0x40
	v_cmp_ne_u32_e64 s[2:3], 0, v0
	v_cmp_eq_u32_e64 s[0:1], 0, v0
	s_and_saveexec_b64 s[6:7], s[0:1]
	s_cbranch_execz .LBB540_4
; %bb.1:
	s_mov_b64 s[10:11], exec
	v_mbcnt_lo_u32_b32 v1, s10, 0
	v_mbcnt_hi_u32_b32 v1, s11, v1
	v_cmp_eq_u32_e32 vcc, 0, v1
                                        ; implicit-def: $vgpr2
	s_and_saveexec_b64 s[8:9], vcc
	s_cbranch_execz .LBB540_3
; %bb.2:
	s_load_dwordx2 s[14:15], s[4:5], 0x78
	s_bcnt1_i32_b64 s10, s[10:11]
	v_mov_b32_e32 v2, 0
	v_mov_b32_e32 v3, s10
	s_waitcnt lgkmcnt(0)
	global_atomic_add v2, v2, v3, s[14:15] glc
.LBB540_3:
	s_or_b64 exec, exec, s[8:9]
	s_waitcnt vmcnt(0)
	v_readfirstlane_b32 s8, v2
	v_add_u32_e32 v1, s8, v1
	v_mov_b32_e32 v2, 0
	ds_write_b32 v2, v1
.LBB540_4:
	s_or_b64 exec, exec, s[6:7]
	s_load_dwordx4 s[4:7], s[4:5], 0x0
	v_mov_b32_e32 v3, 0
	s_waitcnt lgkmcnt(0)
	s_barrier
	ds_read_b32 v1, v3
	s_mul_i32 s8, s28, s27
	s_mul_hi_u32 s9, s28, s26
	s_add_i32 s8, s9, s8
	s_mul_i32 s9, s29, s26
	s_add_i32 s8, s8, s9
	s_lshl_b64 s[6:7], s[6:7], 3
	s_add_u32 s4, s4, s6
	s_mul_i32 s9, s28, s26
	s_addc_u32 s5, s5, s7
	s_waitcnt lgkmcnt(0)
	v_readfirstlane_b32 s48, v1
	s_add_u32 s42, s9, s48
	s_movk_i32 s6, 0xa00
	s_addc_u32 s43, s8, 0
	v_mul_lo_u32 v2, v1, s6
	s_add_u32 s6, s30, -1
	v_lshlrev_b64 v[2:3], 3, v[2:3]
	s_addc_u32 s7, s31, -1
	v_mov_b32_e32 v1, s5
	v_add_co_u32_e32 v30, vcc, s4, v2
	s_cmp_eq_u64 s[42:43], s[6:7]
	v_addc_co_u32_e32 v31, vcc, v1, v3, vcc
	s_cselect_b64 s[28:29], -1, 0
	s_cmp_lg_u64 s[42:43], s[6:7]
	s_mov_b64 s[8:9], -1
	s_cselect_b64 s[4:5], -1, 0
	s_mul_i32 s33, s6, 0xfffff600
	s_and_b64 vcc, exec, s[28:29]
	s_barrier
	s_cbranch_vccnz .LBB540_6
; %bb.5:
	v_lshlrev_b32_e32 v1, 3, v0
	v_add_co_u32_e32 v22, vcc, v30, v1
	v_addc_co_u32_e32 v23, vcc, 0, v31, vcc
	v_add_co_u32_e32 v2, vcc, 0x1000, v22
	v_readfirstlane_b32 s6, v30
	v_readfirstlane_b32 s7, v31
	v_addc_co_u32_e32 v3, vcc, 0, v23, vcc
	s_nop 3
	global_load_dwordx2 v[4:5], v1, s[6:7]
	global_load_dwordx2 v[6:7], v1, s[6:7] offset:2048
	global_load_dwordx2 v[8:9], v[2:3], off
	global_load_dwordx2 v[10:11], v[2:3], off offset:2048
	v_add_co_u32_e32 v2, vcc, 0x2000, v22
	v_addc_co_u32_e32 v3, vcc, 0, v23, vcc
	v_add_co_u32_e32 v12, vcc, 0x3000, v22
	v_addc_co_u32_e32 v13, vcc, 0, v23, vcc
	global_load_dwordx2 v[14:15], v[2:3], off
	global_load_dwordx2 v[16:17], v[2:3], off offset:2048
	global_load_dwordx2 v[18:19], v[12:13], off
	global_load_dwordx2 v[20:21], v[12:13], off offset:2048
	v_add_co_u32_e32 v2, vcc, 0x4000, v22
	v_addc_co_u32_e32 v3, vcc, 0, v23, vcc
	global_load_dwordx2 v[12:13], v[2:3], off
	global_load_dwordx2 v[22:23], v[2:3], off offset:2048
	s_movk_i32 s6, 0x48
	v_mad_u32_u24 v24, v0, s6, v1
	s_mov_b64 s[6:7], -1
	s_waitcnt vmcnt(8)
	ds_write2st64_b64 v1, v[4:5], v[6:7] offset1:4
	s_waitcnt vmcnt(6)
	ds_write2st64_b64 v1, v[8:9], v[10:11] offset0:8 offset1:12
	s_waitcnt vmcnt(4)
	ds_write2st64_b64 v1, v[14:15], v[16:17] offset0:16 offset1:20
	;; [unrolled: 2-line block ×4, first 2 shown]
	s_waitcnt lgkmcnt(0)
	s_barrier
	ds_read_b128 v[18:21], v24
	ds_read_b128 v[14:17], v24 offset:16
	ds_read_b128 v[10:13], v24 offset:32
	;; [unrolled: 1-line block ×4, first 2 shown]
	s_waitcnt lgkmcnt(4)
	v_mov_b32_e32 v26, v18
	v_mov_b32_e32 v27, v19
	s_waitcnt lgkmcnt(3)
	v_mov_b32_e32 v28, v14
	v_mov_b32_e32 v29, v15
	s_waitcnt lgkmcnt(2)
	v_mov_b32_e32 v22, v10
	v_mov_b32_e32 v23, v11
	s_waitcnt lgkmcnt(1)
	v_mov_b32_e32 v24, v2
	v_mov_b32_e32 v25, v3
	s_add_i32 s33, s33, s20
	s_cbranch_execz .LBB540_7
	s_branch .LBB540_28
.LBB540_6:
	s_mov_b64 s[6:7], 0
                                        ; implicit-def: $vgpr2_vgpr3
                                        ; implicit-def: $vgpr10_vgpr11
                                        ; implicit-def: $vgpr14_vgpr15
                                        ; implicit-def: $vgpr18_vgpr19
                                        ; implicit-def: $vgpr6_vgpr7
                                        ; implicit-def: $vgpr22_vgpr23_vgpr24_vgpr25
                                        ; implicit-def: $vgpr26_vgpr27_vgpr28_vgpr29
	s_add_i32 s33, s33, s20
	s_andn2_b64 vcc, exec, s[8:9]
	s_cbranch_vccnz .LBB540_28
.LBB540_7:
	v_cmp_gt_u32_e32 vcc, s33, v0
                                        ; implicit-def: $vgpr2_vgpr3
	s_and_saveexec_b64 s[6:7], vcc
	s_cbranch_execz .LBB540_9
; %bb.8:
	v_lshlrev_b32_e32 v1, 3, v0
	v_readfirstlane_b32 s8, v30
	v_readfirstlane_b32 s9, v31
	s_nop 4
	global_load_dwordx2 v[2:3], v1, s[8:9]
.LBB540_9:
	s_or_b64 exec, exec, s[6:7]
	v_or_b32_e32 v1, 0x100, v0
	v_cmp_gt_u32_e32 vcc, s33, v1
                                        ; implicit-def: $vgpr4_vgpr5
	s_and_saveexec_b64 s[6:7], vcc
	s_cbranch_execz .LBB540_11
; %bb.10:
	v_lshlrev_b32_e32 v1, 3, v0
	v_readfirstlane_b32 s8, v30
	v_readfirstlane_b32 s9, v31
	s_nop 4
	global_load_dwordx2 v[4:5], v1, s[8:9] offset:2048
.LBB540_11:
	s_or_b64 exec, exec, s[6:7]
	v_or_b32_e32 v1, 0x200, v0
	v_cmp_gt_u32_e32 vcc, s33, v1
                                        ; implicit-def: $vgpr6_vgpr7
	s_and_saveexec_b64 s[6:7], vcc
	s_cbranch_execz .LBB540_13
; %bb.12:
	v_lshlrev_b32_e32 v1, 3, v1
	v_readfirstlane_b32 s8, v30
	v_readfirstlane_b32 s9, v31
	s_waitcnt lgkmcnt(0)
	s_nop 3
	global_load_dwordx2 v[6:7], v1, s[8:9]
.LBB540_13:
	s_or_b64 exec, exec, s[6:7]
	v_or_b32_e32 v1, 0x300, v0
	v_cmp_gt_u32_e32 vcc, s33, v1
                                        ; implicit-def: $vgpr8_vgpr9
	s_and_saveexec_b64 s[6:7], vcc
	s_cbranch_execz .LBB540_15
; %bb.14:
	v_lshlrev_b32_e32 v1, 3, v1
	v_readfirstlane_b32 s8, v30
	v_readfirstlane_b32 s9, v31
	s_waitcnt lgkmcnt(0)
	s_nop 3
	global_load_dwordx2 v[8:9], v1, s[8:9]
.LBB540_15:
	s_or_b64 exec, exec, s[6:7]
	v_or_b32_e32 v1, 0x400, v0
	v_cmp_gt_u32_e32 vcc, s33, v1
                                        ; implicit-def: $vgpr10_vgpr11
	s_and_saveexec_b64 s[6:7], vcc
	s_cbranch_execz .LBB540_17
; %bb.16:
	v_lshlrev_b32_e32 v1, 3, v1
	v_readfirstlane_b32 s8, v30
	v_readfirstlane_b32 s9, v31
	s_nop 4
	global_load_dwordx2 v[10:11], v1, s[8:9]
.LBB540_17:
	s_or_b64 exec, exec, s[6:7]
	v_or_b32_e32 v1, 0x500, v0
	v_cmp_gt_u32_e32 vcc, s33, v1
                                        ; implicit-def: $vgpr12_vgpr13
	s_and_saveexec_b64 s[6:7], vcc
	s_cbranch_execz .LBB540_19
; %bb.18:
	v_lshlrev_b32_e32 v1, 3, v1
	v_readfirstlane_b32 s8, v30
	v_readfirstlane_b32 s9, v31
	s_nop 4
	global_load_dwordx2 v[12:13], v1, s[8:9]
.LBB540_19:
	s_or_b64 exec, exec, s[6:7]
	v_or_b32_e32 v1, 0x600, v0
	v_cmp_gt_u32_e32 vcc, s33, v1
                                        ; implicit-def: $vgpr14_vgpr15
	s_and_saveexec_b64 s[6:7], vcc
	s_cbranch_execz .LBB540_21
; %bb.20:
	v_lshlrev_b32_e32 v1, 3, v1
	v_readfirstlane_b32 s8, v30
	v_readfirstlane_b32 s9, v31
	s_nop 4
	global_load_dwordx2 v[14:15], v1, s[8:9]
.LBB540_21:
	s_or_b64 exec, exec, s[6:7]
	v_or_b32_e32 v1, 0x700, v0
	v_cmp_gt_u32_e32 vcc, s33, v1
                                        ; implicit-def: $vgpr16_vgpr17
	s_and_saveexec_b64 s[6:7], vcc
	s_cbranch_execz .LBB540_23
; %bb.22:
	v_lshlrev_b32_e32 v1, 3, v1
	v_readfirstlane_b32 s8, v30
	v_readfirstlane_b32 s9, v31
	s_nop 4
	global_load_dwordx2 v[16:17], v1, s[8:9]
.LBB540_23:
	s_or_b64 exec, exec, s[6:7]
	v_or_b32_e32 v1, 0x800, v0
	v_cmp_gt_u32_e32 vcc, s33, v1
                                        ; implicit-def: $vgpr18_vgpr19
	s_and_saveexec_b64 s[6:7], vcc
	s_cbranch_execz .LBB540_25
; %bb.24:
	v_lshlrev_b32_e32 v1, 3, v1
	v_readfirstlane_b32 s8, v30
	v_readfirstlane_b32 s9, v31
	s_nop 4
	global_load_dwordx2 v[18:19], v1, s[8:9]
.LBB540_25:
	s_or_b64 exec, exec, s[6:7]
	v_or_b32_e32 v1, 0x900, v0
	v_cmp_gt_u32_e32 vcc, s33, v1
                                        ; implicit-def: $vgpr20_vgpr21
	s_and_saveexec_b64 s[6:7], vcc
	s_cbranch_execz .LBB540_27
; %bb.26:
	v_lshlrev_b32_e32 v1, 3, v1
	v_readfirstlane_b32 s8, v30
	v_readfirstlane_b32 s9, v31
	s_nop 4
	global_load_dwordx2 v[20:21], v1, s[8:9]
.LBB540_27:
	s_or_b64 exec, exec, s[6:7]
	v_lshlrev_b32_e32 v1, 3, v0
	s_movk_i32 s6, 0x48
	s_waitcnt vmcnt(0)
	ds_write2st64_b64 v1, v[2:3], v[4:5] offset1:4
	s_waitcnt lgkmcnt(1)
	ds_write2st64_b64 v1, v[6:7], v[8:9] offset0:8 offset1:12
	ds_write2st64_b64 v1, v[10:11], v[12:13] offset0:16 offset1:20
	ds_write2st64_b64 v1, v[14:15], v[16:17] offset0:24 offset1:28
	ds_write2st64_b64 v1, v[18:19], v[20:21] offset0:32 offset1:36
	v_mad_u32_u24 v1, v0, s6, v1
	s_waitcnt lgkmcnt(0)
	s_barrier
	ds_read_b128 v[18:21], v1
	ds_read_b128 v[14:17], v1 offset:16
	ds_read_b128 v[10:13], v1 offset:32
	;; [unrolled: 1-line block ×4, first 2 shown]
	v_mad_u32_u24 v1, v0, 10, 9
	v_cmp_gt_u32_e64 s[6:7], s33, v1
	s_waitcnt lgkmcnt(4)
	v_mov_b32_e32 v26, v18
	v_mov_b32_e32 v27, v19
	s_waitcnt lgkmcnt(3)
	v_mov_b32_e32 v28, v14
	v_mov_b32_e32 v29, v15
	;; [unrolled: 3-line block ×4, first 2 shown]
.LBB540_28:
	v_mov_b32_e32 v48, s12
                                        ; implicit-def: $vgpr49
	s_and_saveexec_b64 s[8:9], s[6:7]
; %bb.29:
	v_mov_b32_e32 v49, s12
; %bb.30:
	s_or_b64 exec, exec, s[8:9]
	s_cmp_eq_u64 s[42:43], 0
	s_cselect_b64 s[30:31], -1, 0
	s_cmp_lg_u64 s[42:43], 0
	s_mov_b64 s[44:45], 0
	s_cselect_b64 s[46:47], -1, 0
	s_and_b64 vcc, exec, s[4:5]
	s_waitcnt lgkmcnt(0)
	s_barrier
	s_cbranch_vccz .LBB540_36
; %bb.31:
	s_and_b64 vcc, exec, s[46:47]
	s_cbranch_vccz .LBB540_37
; %bb.32:
	global_load_dwordx2 v[32:33], v[30:31], off offset:-8
	v_lshlrev_b32_e32 v1, 3, v0
	v_cmp_ne_u64_e32 vcc, v[6:7], v[8:9]
	v_cmp_ne_u64_e64 s[4:5], v[4:5], v[6:7]
	v_cmp_ne_u64_e64 s[6:7], v[2:3], v[4:5]
	;; [unrolled: 1-line block ×8, first 2 shown]
	ds_write_b64 v1, v[8:9]
	s_waitcnt lgkmcnt(0)
	s_barrier
	s_and_saveexec_b64 s[44:45], s[2:3]
	s_cbranch_execz .LBB540_34
; %bb.33:
	v_add_u32_e32 v1, -8, v1
	s_waitcnt vmcnt(0)
	ds_read_b64 v[32:33], v1
.LBB540_34:
	s_or_b64 exec, exec, s[44:45]
	v_cndmask_b32_e64 v1, 0, 1, vcc
	v_cndmask_b32_e64 v54, 0, 1, s[4:5]
	v_cndmask_b32_e64 v55, 0, 1, s[6:7]
	;; [unrolled: 1-line block ×8, first 2 shown]
	s_waitcnt vmcnt(0) lgkmcnt(0)
	v_cmp_ne_u64_e64 s[4:5], v[32:33], v[18:19]
	s_mov_b64 s[44:45], -1
.LBB540_35:
                                        ; implicit-def: $sgpr8
	s_branch .LBB540_49
.LBB540_36:
                                        ; implicit-def: $sgpr4_sgpr5
                                        ; implicit-def: $vgpr1
                                        ; implicit-def: $vgpr54
                                        ; implicit-def: $vgpr55
                                        ; implicit-def: $vgpr56
                                        ; implicit-def: $vgpr57
                                        ; implicit-def: $vgpr58
                                        ; implicit-def: $vgpr59
                                        ; implicit-def: $vgpr60
                                        ; implicit-def: $vgpr61
                                        ; implicit-def: $sgpr8
	s_cbranch_execnz .LBB540_41
	s_branch .LBB540_49
.LBB540_37:
                                        ; implicit-def: $sgpr4_sgpr5
                                        ; implicit-def: $vgpr1
                                        ; implicit-def: $vgpr54
                                        ; implicit-def: $vgpr55
                                        ; implicit-def: $vgpr56
                                        ; implicit-def: $vgpr57
                                        ; implicit-def: $vgpr58
                                        ; implicit-def: $vgpr59
                                        ; implicit-def: $vgpr60
                                        ; implicit-def: $vgpr61
	s_cbranch_execz .LBB540_35
; %bb.38:
	v_cmp_ne_u64_e32 vcc, v[6:7], v[8:9]
	v_cndmask_b32_e64 v1, 0, 1, vcc
	v_cmp_ne_u64_e32 vcc, v[20:21], v[26:27]
	v_cndmask_b32_e64 v61, 0, 1, vcc
	;; [unrolled: 2-line block ×8, first 2 shown]
	v_cmp_ne_u64_e32 vcc, v[6:7], v[4:5]
	v_lshlrev_b32_e32 v32, 3, v0
	v_cndmask_b32_e64 v54, 0, 1, vcc
	ds_write_b64 v32, v[8:9]
	s_waitcnt lgkmcnt(0)
	s_barrier
	s_waitcnt lgkmcnt(0)
                                        ; implicit-def: $sgpr4_sgpr5
	s_and_saveexec_b64 s[6:7], s[2:3]
	s_xor_b64 s[6:7], exec, s[6:7]
	s_cbranch_execz .LBB540_40
; %bb.39:
	v_add_u32_e32 v22, -8, v32
	ds_read_b64 v[22:23], v22
	s_or_b64 s[44:45], s[44:45], exec
	s_waitcnt lgkmcnt(0)
	v_cmp_ne_u64_e32 vcc, v[22:23], v[18:19]
	s_and_b64 s[4:5], vcc, exec
.LBB540_40:
	s_or_b64 exec, exec, s[6:7]
	s_mov_b32 s8, 1
	s_branch .LBB540_49
.LBB540_41:
	s_mul_hi_u32 s5, s42, 0xfffff600
	s_mul_i32 s4, s43, 0xfffff600
	s_sub_i32 s5, s5, s42
	s_add_i32 s5, s5, s4
	s_mul_i32 s4, s42, 0xfffff600
	s_add_u32 s42, s4, s20
	s_addc_u32 s43, s5, s21
	s_and_b64 vcc, exec, s[46:47]
	v_cmp_ne_u64_e64 s[20:21], v[6:7], v[8:9]
	v_cmp_ne_u64_e64 s[18:19], v[4:5], v[6:7]
	;; [unrolled: 1-line block ×9, first 2 shown]
	v_mul_u32_u24_e32 v22, 10, v0
	v_mad_u32_u24 v24, v0, 10, 9
	v_mad_u32_u24 v40, v0, 10, 8
	;; [unrolled: 1-line block ×8, first 2 shown]
	s_cbranch_vccz .LBB540_46
; %bb.42:
	global_load_dwordx2 v[30:31], v[30:31], off offset:-8
	v_mov_b32_e32 v25, 0
	v_cmp_gt_u64_e32 vcc, s[42:43], v[24:25]
	v_mov_b32_e32 v41, v25
	s_and_b64 s[20:21], vcc, s[20:21]
	v_cmp_gt_u64_e32 vcc, s[42:43], v[40:41]
	v_mov_b32_e32 v39, v25
	s_and_b64 s[18:19], vcc, s[18:19]
	;; [unrolled: 3-line block ×7, first 2 shown]
	v_cmp_gt_u64_e32 vcc, s[42:43], v[26:27]
	v_or_b32_e32 v42, 1, v22
	v_mov_b32_e32 v43, v25
	s_and_b64 s[6:7], vcc, s[6:7]
	v_cmp_gt_u64_e32 vcc, s[42:43], v[42:43]
	v_lshlrev_b32_e32 v1, 3, v0
	s_and_b64 s[4:5], vcc, s[4:5]
	ds_write_b64 v1, v[8:9]
	s_waitcnt lgkmcnt(0)
	s_barrier
	s_and_saveexec_b64 s[44:45], s[2:3]
	s_cbranch_execz .LBB540_44
; %bb.43:
	v_add_u32_e32 v1, -8, v1
	s_waitcnt vmcnt(0)
	ds_read_b64 v[30:31], v1
.LBB540_44:
	s_or_b64 exec, exec, s[44:45]
	v_mov_b32_e32 v23, v25
	v_cndmask_b32_e64 v61, 0, 1, s[4:5]
	v_cmp_gt_u64_e32 vcc, s[42:43], v[22:23]
	s_waitcnt vmcnt(0) lgkmcnt(0)
	v_cmp_ne_u64_e64 s[4:5], v[30:31], v[18:19]
	v_cndmask_b32_e64 v1, 0, 1, s[20:21]
	v_cndmask_b32_e64 v54, 0, 1, s[18:19]
	;; [unrolled: 1-line block ×8, first 2 shown]
	s_and_b64 s[4:5], vcc, s[4:5]
	s_mov_b64 s[44:45], -1
.LBB540_45:
                                        ; implicit-def: $sgpr8
	v_mov_b32_e32 v62, s8
	s_and_saveexec_b64 s[2:3], s[44:45]
	s_cbranch_execnz .LBB540_50
	s_branch .LBB540_51
.LBB540_46:
                                        ; implicit-def: $sgpr4_sgpr5
                                        ; implicit-def: $vgpr1
                                        ; implicit-def: $vgpr54
                                        ; implicit-def: $vgpr55
                                        ; implicit-def: $vgpr56
                                        ; implicit-def: $vgpr57
                                        ; implicit-def: $vgpr58
                                        ; implicit-def: $vgpr59
                                        ; implicit-def: $vgpr60
                                        ; implicit-def: $vgpr61
	s_cbranch_execz .LBB540_45
; %bb.47:
	v_mov_b32_e32 v25, 0
	v_cmp_gt_u64_e32 vcc, s[42:43], v[24:25]
	v_cmp_ne_u64_e64 s[4:5], v[6:7], v[8:9]
	s_and_b64 s[4:5], vcc, s[4:5]
	v_mov_b32_e32 v41, v25
	v_cndmask_b32_e64 v1, 0, 1, s[4:5]
	v_cmp_gt_u64_e32 vcc, s[42:43], v[40:41]
	v_cmp_ne_u64_e64 s[4:5], v[4:5], v[6:7]
	s_and_b64 s[4:5], vcc, s[4:5]
	v_mov_b32_e32 v39, v25
	v_cndmask_b32_e64 v54, 0, 1, s[4:5]
	;; [unrolled: 5-line block ×7, first 2 shown]
	v_cmp_gt_u64_e32 vcc, s[42:43], v[26:27]
	v_cmp_ne_u64_e64 s[4:5], v[20:21], v[14:15]
	s_and_b64 s[4:5], vcc, s[4:5]
	v_or_b32_e32 v24, 1, v22
	v_cndmask_b32_e64 v60, 0, 1, s[4:5]
	v_cmp_gt_u64_e32 vcc, s[42:43], v[24:25]
	v_cmp_ne_u64_e64 s[4:5], v[18:19], v[20:21]
	s_and_b64 s[4:5], vcc, s[4:5]
	v_lshlrev_b32_e32 v23, 3, v0
	s_mov_b32 s8, 1
	v_cndmask_b32_e64 v61, 0, 1, s[4:5]
	ds_write_b64 v23, v[8:9]
	s_waitcnt lgkmcnt(0)
	s_barrier
	s_waitcnt lgkmcnt(0)
                                        ; implicit-def: $sgpr4_sgpr5
	s_and_saveexec_b64 s[6:7], s[2:3]
	s_cbranch_execz .LBB540_130
; %bb.48:
	v_add_u32_e32 v23, -8, v23
	ds_read_b64 v[26:27], v23
	v_mov_b32_e32 v23, v25
	v_cmp_gt_u64_e32 vcc, s[42:43], v[22:23]
	s_or_b64 s[44:45], s[44:45], exec
	s_waitcnt lgkmcnt(0)
	v_cmp_ne_u64_e64 s[2:3], v[26:27], v[18:19]
	s_and_b64 s[2:3], vcc, s[2:3]
	s_and_b64 s[4:5], s[2:3], exec
	s_or_b64 exec, exec, s[6:7]
.LBB540_49:
	v_mov_b32_e32 v62, s8
	s_and_saveexec_b64 s[2:3], s[44:45]
.LBB540_50:
	v_cndmask_b32_e64 v62, 0, 1, s[4:5]
.LBB540_51:
	s_or_b64 exec, exec, s[2:3]
	s_cmp_eq_u64 s[26:27], 0
	v_add_u32_e32 v22, v61, v62
	s_cselect_b64 s[26:27], -1, 0
	s_cmp_lg_u32 s48, 0
	v_cmp_eq_u32_e64 s[16:17], 0, v61
	v_cmp_eq_u32_e64 s[14:15], 0, v60
	v_add3_u32 v53, v22, v60, v59
	v_cmp_eq_u32_e64 s[12:13], 0, v59
	v_cmp_eq_u32_e64 s[10:11], 0, v58
	;; [unrolled: 1-line block ×6, first 2 shown]
	v_cmp_eq_u32_e32 vcc, 0, v1
	v_mbcnt_lo_u32_b32 v52, -1, 0
	v_lshrrev_b32_e32 v50, 6, v0
	v_or_b32_e32 v51, 63, v0
	s_cbranch_scc0 .LBB540_78
; %bb.52:
	v_cndmask_b32_e64 v22, 0, v48, s[16:17]
	v_add_u32_e32 v22, v22, v48
	v_cndmask_b32_e64 v22, 0, v22, s[14:15]
	v_add_u32_e32 v22, v22, v48
	;; [unrolled: 2-line block ×7, first 2 shown]
	v_cndmask_b32_e64 v22, 0, v22, s[2:3]
	v_add3_u32 v23, v53, v58, v57
	v_add_u32_e32 v22, v22, v48
	v_add3_u32 v23, v23, v56, v55
	v_cndmask_b32_e32 v22, 0, v22, vcc
	v_add3_u32 v23, v23, v54, v1
	v_add_u32_e32 v22, v22, v49
	v_mbcnt_hi_u32_b32 v31, -1, v52
	v_and_b32_e32 v24, 15, v31
	v_mov_b32_dpp v26, v22 row_shr:1 row_mask:0xf bank_mask:0xf
	v_cmp_eq_u32_e32 vcc, 0, v23
	v_mov_b32_dpp v25, v23 row_shr:1 row_mask:0xf bank_mask:0xf
	v_cndmask_b32_e32 v26, 0, v26, vcc
	v_cmp_eq_u32_e32 vcc, 0, v24
	v_cndmask_b32_e64 v25, v25, 0, vcc
	v_add_u32_e32 v23, v25, v23
	v_cndmask_b32_e64 v25, v26, 0, vcc
	v_add_u32_e32 v22, v25, v22
	v_cmp_eq_u32_e32 vcc, 0, v23
	v_mov_b32_dpp v25, v23 row_shr:2 row_mask:0xf bank_mask:0xf
	v_cmp_lt_u32_e64 s[18:19], 1, v24
	v_mov_b32_dpp v26, v22 row_shr:2 row_mask:0xf bank_mask:0xf
	v_cndmask_b32_e64 v25, 0, v25, s[18:19]
	s_and_b64 vcc, s[18:19], vcc
	v_cndmask_b32_e32 v26, 0, v26, vcc
	v_add_u32_e32 v23, v23, v25
	v_add_u32_e32 v22, v26, v22
	v_cmp_eq_u32_e32 vcc, 0, v23
	v_mov_b32_dpp v25, v23 row_shr:4 row_mask:0xf bank_mask:0xf
	v_cmp_lt_u32_e64 s[18:19], 3, v24
	v_mov_b32_dpp v26, v22 row_shr:4 row_mask:0xf bank_mask:0xf
	v_cndmask_b32_e64 v25, 0, v25, s[18:19]
	s_and_b64 vcc, s[18:19], vcc
	v_cndmask_b32_e32 v26, 0, v26, vcc
	v_add_u32_e32 v23, v25, v23
	v_add_u32_e32 v22, v22, v26
	v_cmp_eq_u32_e32 vcc, 0, v23
	v_cmp_lt_u32_e64 s[18:19], 7, v24
	v_mov_b32_dpp v25, v23 row_shr:8 row_mask:0xf bank_mask:0xf
	v_mov_b32_dpp v26, v22 row_shr:8 row_mask:0xf bank_mask:0xf
	s_and_b64 vcc, s[18:19], vcc
	v_cndmask_b32_e64 v24, 0, v25, s[18:19]
	v_cndmask_b32_e32 v25, 0, v26, vcc
	v_add_u32_e32 v22, v25, v22
	v_add_u32_e32 v23, v24, v23
	v_bfe_i32 v26, v31, 4, 1
	v_mov_b32_dpp v25, v22 row_bcast:15 row_mask:0xf bank_mask:0xf
	v_mov_b32_dpp v24, v23 row_bcast:15 row_mask:0xf bank_mask:0xf
	v_cmp_eq_u32_e32 vcc, 0, v23
	v_cndmask_b32_e32 v25, 0, v25, vcc
	v_and_b32_e32 v24, v26, v24
	v_add_u32_e32 v23, v24, v23
	v_and_b32_e32 v24, v26, v25
	v_add_u32_e32 v24, v24, v22
	v_mov_b32_dpp v22, v23 row_bcast:31 row_mask:0xf bank_mask:0xf
	v_cmp_eq_u32_e32 vcc, 0, v23
	v_cmp_lt_u32_e64 s[18:19], 31, v31
	v_mov_b32_dpp v25, v24 row_bcast:31 row_mask:0xf bank_mask:0xf
	v_cndmask_b32_e64 v22, 0, v22, s[18:19]
	s_and_b64 vcc, s[18:19], vcc
	v_add_u32_e32 v22, v22, v23
	v_cndmask_b32_e32 v23, 0, v25, vcc
	v_add_u32_e32 v23, v23, v24
	v_cmp_eq_u32_e32 vcc, v51, v0
	v_lshlrev_b32_e32 v24, 3, v50
	s_and_saveexec_b64 s[18:19], vcc
	s_cbranch_execz .LBB540_54
; %bb.53:
	ds_write_b64 v24, v[22:23] offset:4112
.LBB540_54:
	s_or_b64 exec, exec, s[18:19]
	v_cmp_gt_u32_e32 vcc, 4, v0
	s_waitcnt lgkmcnt(0)
	s_barrier
	s_and_saveexec_b64 s[20:21], vcc
	s_cbranch_execz .LBB540_56
; %bb.55:
	v_lshlrev_b32_e32 v25, 3, v0
	ds_read_b64 v[26:27], v25 offset:4112
	v_and_b32_e32 v28, 3, v31
	v_cmp_lt_u32_e64 s[18:19], 1, v28
	s_waitcnt lgkmcnt(0)
	v_mov_b32_dpp v30, v27 row_shr:1 row_mask:0xf bank_mask:0xf
	v_cmp_eq_u32_e32 vcc, 0, v26
	v_mov_b32_dpp v29, v26 row_shr:1 row_mask:0xf bank_mask:0xf
	v_cndmask_b32_e32 v30, 0, v30, vcc
	v_cmp_eq_u32_e32 vcc, 0, v28
	v_cndmask_b32_e64 v29, v29, 0, vcc
	v_add_u32_e32 v26, v29, v26
	v_cndmask_b32_e64 v29, v30, 0, vcc
	v_add_u32_e32 v27, v29, v27
	v_cmp_eq_u32_e32 vcc, 0, v26
	v_mov_b32_dpp v29, v26 row_shr:2 row_mask:0xf bank_mask:0xf
	v_mov_b32_dpp v30, v27 row_shr:2 row_mask:0xf bank_mask:0xf
	v_cndmask_b32_e64 v28, 0, v29, s[18:19]
	s_and_b64 vcc, s[18:19], vcc
	v_add_u32_e32 v26, v28, v26
	v_cndmask_b32_e32 v28, 0, v30, vcc
	v_add_u32_e32 v27, v28, v27
	ds_write_b64 v25, v[26:27] offset:4112
.LBB540_56:
	s_or_b64 exec, exec, s[20:21]
	v_cmp_gt_u32_e32 vcc, 64, v0
	v_cmp_lt_u32_e64 s[18:19], 63, v0
	v_mov_b32_e32 v28, 0
	v_mov_b32_e32 v29, 0
	s_waitcnt lgkmcnt(0)
	s_barrier
	s_and_saveexec_b64 s[20:21], s[18:19]
	s_cbranch_execz .LBB540_58
; %bb.57:
	ds_read_b64 v[28:29], v24 offset:4104
	v_cmp_eq_u32_e64 s[18:19], 0, v22
	s_waitcnt lgkmcnt(0)
	v_add_u32_e32 v24, v28, v22
	v_cndmask_b32_e64 v22, 0, v29, s[18:19]
	v_add_u32_e32 v23, v22, v23
	v_mov_b32_e32 v22, v24
.LBB540_58:
	s_or_b64 exec, exec, s[20:21]
	v_add_u32_e32 v24, -1, v31
	v_and_b32_e32 v25, 64, v31
	v_cmp_lt_i32_e64 s[18:19], v24, v25
	v_cndmask_b32_e64 v24, v24, v31, s[18:19]
	v_lshlrev_b32_e32 v24, 2, v24
	ds_bpermute_b32 v36, v24, v22
	ds_bpermute_b32 v37, v24, v23
	v_cmp_eq_u32_e64 s[18:19], 0, v31
	s_and_saveexec_b64 s[42:43], vcc
	s_cbranch_execz .LBB540_77
; %bb.59:
	v_mov_b32_e32 v27, 0
	ds_read_b64 v[22:23], v27 offset:4136
	s_waitcnt lgkmcnt(0)
	v_readfirstlane_b32 s46, v22
	v_readfirstlane_b32 s47, v23
	s_and_saveexec_b64 s[20:21], s[18:19]
	s_cbranch_execz .LBB540_61
; %bb.60:
	s_add_i32 s44, s48, 64
	s_mov_b32 s45, 0
	s_lshl_b64 s[50:51], s[44:45], 4
	s_add_u32 s50, s24, s50
	s_addc_u32 s51, s25, s51
	s_and_b32 s53, s47, 0xff000000
	s_mov_b32 s52, s45
	s_and_b32 s55, s47, 0xff0000
	s_mov_b32 s54, s45
	s_or_b64 s[52:53], s[54:55], s[52:53]
	s_and_b32 s55, s47, 0xff00
	s_or_b64 s[52:53], s[52:53], s[54:55]
	s_and_b32 s55, s47, 0xff
	s_or_b64 s[44:45], s[52:53], s[54:55]
	v_mov_b32_e32 v24, s46
	v_mov_b32_e32 v25, s45
	;; [unrolled: 1-line block ×3, first 2 shown]
	v_pk_mov_b32 v[22:23], s[50:51], s[50:51] op_sel:[0,1]
	;;#ASMSTART
	global_store_dwordx4 v[22:23], v[24:27] off	
s_waitcnt vmcnt(0)
	;;#ASMEND
.LBB540_61:
	s_or_b64 exec, exec, s[20:21]
	v_xad_u32 v30, v31, -1, s48
	v_add_u32_e32 v26, 64, v30
	v_lshlrev_b64 v[22:23], 4, v[26:27]
	v_mov_b32_e32 v24, s25
	v_add_co_u32_e32 v32, vcc, s24, v22
	v_addc_co_u32_e32 v33, vcc, v24, v23, vcc
	;;#ASMSTART
	global_load_dwordx4 v[22:25], v[32:33] off glc	
s_waitcnt vmcnt(0)
	;;#ASMEND
	v_and_b32_e32 v25, 0xff, v23
	v_and_b32_e32 v26, 0xff00, v23
	v_or3_b32 v25, 0, v25, v26
	v_or3_b32 v22, v22, 0, 0
	v_and_b32_e32 v26, 0xff000000, v23
	v_and_b32_e32 v23, 0xff0000, v23
	v_or3_b32 v23, v25, v23, v26
	v_or3_b32 v22, v22, 0, 0
	v_cmp_eq_u16_sdwa s[44:45], v24, v27 src0_sel:BYTE_0 src1_sel:DWORD
	s_and_saveexec_b64 s[20:21], s[44:45]
	s_cbranch_execz .LBB540_65
; %bb.62:
	s_mov_b64 s[44:45], 0
	v_mov_b32_e32 v26, 0
.LBB540_63:                             ; =>This Inner Loop Header: Depth=1
	;;#ASMSTART
	global_load_dwordx4 v[22:25], v[32:33] off glc	
s_waitcnt vmcnt(0)
	;;#ASMEND
	v_cmp_ne_u16_sdwa s[50:51], v24, v26 src0_sel:BYTE_0 src1_sel:DWORD
	s_or_b64 s[44:45], s[50:51], s[44:45]
	s_andn2_b64 exec, exec, s[44:45]
	s_cbranch_execnz .LBB540_63
; %bb.64:
	s_or_b64 exec, exec, s[44:45]
.LBB540_65:
	s_or_b64 exec, exec, s[20:21]
	v_mov_b32_e32 v38, 2
	v_cmp_eq_u16_sdwa s[20:21], v24, v38 src0_sel:BYTE_0 src1_sel:DWORD
	v_lshlrev_b64 v[32:33], v31, -1
	v_and_b32_e32 v25, s21, v33
	v_and_b32_e32 v39, 63, v31
	v_or_b32_e32 v25, 0x80000000, v25
	v_cmp_ne_u32_e32 vcc, 63, v39
	v_and_b32_e32 v26, s20, v32
	v_ffbl_b32_e32 v25, v25
	v_addc_co_u32_e32 v27, vcc, 0, v31, vcc
	v_add_u32_e32 v25, 32, v25
	v_ffbl_b32_e32 v26, v26
	v_lshlrev_b32_e32 v40, 2, v27
	v_min_u32_e32 v25, v26, v25
	ds_bpermute_b32 v26, v40, v23
	v_cmp_eq_u32_e32 vcc, 0, v22
	v_cmp_lt_u32_e64 s[20:21], v39, v25
	ds_bpermute_b32 v27, v40, v22
	s_and_b64 vcc, s[20:21], vcc
	s_waitcnt lgkmcnt(1)
	v_cndmask_b32_e32 v26, 0, v26, vcc
	v_cmp_gt_u32_e32 vcc, 62, v39
	v_add_u32_e32 v23, v26, v23
	v_cndmask_b32_e64 v26, 0, 1, vcc
	v_lshlrev_b32_e32 v26, 1, v26
	v_add_lshl_u32 v41, v26, v31, 2
	s_waitcnt lgkmcnt(0)
	v_cndmask_b32_e64 v27, 0, v27, s[20:21]
	ds_bpermute_b32 v26, v41, v23
	v_add_u32_e32 v22, v27, v22
	ds_bpermute_b32 v27, v41, v22
	v_add_u32_e32 v42, 2, v39
	v_cmp_eq_u32_e32 vcc, 0, v22
	s_waitcnt lgkmcnt(1)
	v_cndmask_b32_e32 v26, 0, v26, vcc
	v_cmp_gt_u32_e32 vcc, v42, v25
	v_cndmask_b32_e64 v26, v26, 0, vcc
	v_add_u32_e32 v23, v26, v23
	s_waitcnt lgkmcnt(0)
	v_cndmask_b32_e64 v26, v27, 0, vcc
	v_cmp_gt_u32_e32 vcc, 60, v39
	v_cndmask_b32_e64 v27, 0, 1, vcc
	v_lshlrev_b32_e32 v27, 2, v27
	v_add_lshl_u32 v43, v27, v31, 2
	ds_bpermute_b32 v27, v43, v23
	v_add_u32_e32 v22, v22, v26
	ds_bpermute_b32 v26, v43, v22
	v_add_u32_e32 v44, 4, v39
	v_cmp_eq_u32_e32 vcc, 0, v22
	s_waitcnt lgkmcnt(1)
	v_cndmask_b32_e32 v27, 0, v27, vcc
	v_cmp_gt_u32_e32 vcc, v44, v25
	v_cndmask_b32_e64 v27, v27, 0, vcc
	s_waitcnt lgkmcnt(0)
	v_cndmask_b32_e64 v26, v26, 0, vcc
	v_cmp_gt_u32_e32 vcc, 56, v39
	v_add_u32_e32 v23, v23, v27
	v_cndmask_b32_e64 v27, 0, 1, vcc
	v_lshlrev_b32_e32 v27, 3, v27
	v_add_lshl_u32 v45, v27, v31, 2
	ds_bpermute_b32 v27, v45, v23
	v_add_u32_e32 v22, v22, v26
	ds_bpermute_b32 v26, v45, v22
	v_add_u32_e32 v46, 8, v39
	v_cmp_eq_u32_e32 vcc, 0, v22
	s_waitcnt lgkmcnt(1)
	v_cndmask_b32_e32 v27, 0, v27, vcc
	v_cmp_gt_u32_e32 vcc, v46, v25
	v_cndmask_b32_e64 v27, v27, 0, vcc
	s_waitcnt lgkmcnt(0)
	v_cndmask_b32_e64 v26, v26, 0, vcc
	v_cmp_gt_u32_e32 vcc, 48, v39
	v_add_u32_e32 v23, v23, v27
	;; [unrolled: 16-line block ×3, first 2 shown]
	v_cndmask_b32_e64 v27, 0, 1, vcc
	v_lshlrev_b32_e32 v27, 5, v27
	v_add_lshl_u32 v64, v27, v31, 2
	ds_bpermute_b32 v27, v64, v23
	v_add_u32_e32 v22, v22, v26
	ds_bpermute_b32 v26, v64, v22
	v_add_u32_e32 v65, 32, v39
	v_cmp_eq_u32_e32 vcc, 0, v22
	s_waitcnt lgkmcnt(1)
	v_cndmask_b32_e32 v27, 0, v27, vcc
	v_cmp_gt_u32_e32 vcc, v65, v25
	v_cndmask_b32_e64 v25, v27, 0, vcc
	v_add_u32_e32 v23, v25, v23
	s_waitcnt lgkmcnt(0)
	v_cndmask_b32_e64 v25, v26, 0, vcc
	v_add_u32_e32 v22, v25, v22
	v_mov_b32_e32 v31, 0
	s_branch .LBB540_67
.LBB540_66:                             ;   in Loop: Header=BB540_67 Depth=1
	s_or_b64 exec, exec, s[20:21]
	v_cmp_eq_u16_sdwa s[20:21], v24, v38 src0_sel:BYTE_0 src1_sel:DWORD
	v_and_b32_e32 v25, s21, v33
	v_or_b32_e32 v25, 0x80000000, v25
	v_and_b32_e32 v34, s20, v32
	v_ffbl_b32_e32 v25, v25
	v_add_u32_e32 v25, 32, v25
	v_ffbl_b32_e32 v34, v34
	v_min_u32_e32 v25, v34, v25
	ds_bpermute_b32 v34, v40, v23
	v_cmp_eq_u32_e32 vcc, 0, v22
	v_cmp_lt_u32_e64 s[20:21], v39, v25
	ds_bpermute_b32 v35, v40, v22
	s_and_b64 vcc, s[20:21], vcc
	s_waitcnt lgkmcnt(1)
	v_cndmask_b32_e32 v34, 0, v34, vcc
	v_add_u32_e32 v23, v34, v23
	ds_bpermute_b32 v34, v41, v23
	s_waitcnt lgkmcnt(1)
	v_cndmask_b32_e64 v35, 0, v35, s[20:21]
	v_add_u32_e32 v22, v35, v22
	v_cmp_eq_u32_e32 vcc, 0, v22
	ds_bpermute_b32 v35, v41, v22
	s_waitcnt lgkmcnt(1)
	v_cndmask_b32_e32 v34, 0, v34, vcc
	v_cmp_gt_u32_e32 vcc, v42, v25
	v_cndmask_b32_e64 v34, v34, 0, vcc
	v_add_u32_e32 v23, v34, v23
	ds_bpermute_b32 v34, v43, v23
	s_waitcnt lgkmcnt(1)
	v_cndmask_b32_e64 v35, v35, 0, vcc
	v_add_u32_e32 v22, v22, v35
	v_cmp_eq_u32_e32 vcc, 0, v22
	ds_bpermute_b32 v35, v43, v22
	s_waitcnt lgkmcnt(1)
	v_cndmask_b32_e32 v34, 0, v34, vcc
	v_cmp_gt_u32_e32 vcc, v44, v25
	v_cndmask_b32_e64 v34, v34, 0, vcc
	v_add_u32_e32 v23, v23, v34
	ds_bpermute_b32 v34, v45, v23
	s_waitcnt lgkmcnt(1)
	v_cndmask_b32_e64 v35, v35, 0, vcc
	v_add_u32_e32 v22, v22, v35
	ds_bpermute_b32 v35, v45, v22
	v_cmp_eq_u32_e32 vcc, 0, v22
	s_waitcnt lgkmcnt(1)
	v_cndmask_b32_e32 v34, 0, v34, vcc
	v_cmp_gt_u32_e32 vcc, v46, v25
	v_cndmask_b32_e64 v34, v34, 0, vcc
	v_add_u32_e32 v23, v23, v34
	ds_bpermute_b32 v34, v47, v23
	s_waitcnt lgkmcnt(1)
	v_cndmask_b32_e64 v35, v35, 0, vcc
	v_add_u32_e32 v22, v22, v35
	ds_bpermute_b32 v35, v47, v22
	v_cmp_eq_u32_e32 vcc, 0, v22
	s_waitcnt lgkmcnt(1)
	v_cndmask_b32_e32 v34, 0, v34, vcc
	v_cmp_gt_u32_e32 vcc, v63, v25
	v_cndmask_b32_e64 v34, v34, 0, vcc
	v_add_u32_e32 v23, v23, v34
	ds_bpermute_b32 v34, v64, v23
	s_waitcnt lgkmcnt(1)
	v_cndmask_b32_e64 v35, v35, 0, vcc
	v_add_u32_e32 v22, v22, v35
	ds_bpermute_b32 v35, v64, v22
	v_cmp_eq_u32_e32 vcc, 0, v22
	s_waitcnt lgkmcnt(1)
	v_cndmask_b32_e32 v34, 0, v34, vcc
	v_cmp_gt_u32_e32 vcc, v65, v25
	v_cndmask_b32_e64 v25, v34, 0, vcc
	v_add_u32_e32 v23, v25, v23
	s_waitcnt lgkmcnt(0)
	v_cndmask_b32_e64 v25, v35, 0, vcc
	v_cmp_eq_u32_e32 vcc, 0, v26
	v_cndmask_b32_e32 v23, 0, v23, vcc
	v_subrev_u32_e32 v30, 64, v30
	v_add3_u32 v22, v22, v26, v25
	v_add_u32_e32 v23, v23, v27
.LBB540_67:                             ; =>This Loop Header: Depth=1
                                        ;     Child Loop BB540_70 Depth 2
	v_cmp_ne_u16_sdwa s[20:21], v24, v38 src0_sel:BYTE_0 src1_sel:DWORD
	v_mov_b32_e32 v27, v23
	v_cndmask_b32_e64 v23, 0, 1, s[20:21]
	;;#ASMSTART
	;;#ASMEND
	v_cmp_ne_u32_e32 vcc, 0, v23
	s_cmp_lg_u64 vcc, exec
	v_mov_b32_e32 v26, v22
	s_cbranch_scc1 .LBB540_72
; %bb.68:                               ;   in Loop: Header=BB540_67 Depth=1
	v_lshlrev_b64 v[22:23], 4, v[30:31]
	v_mov_b32_e32 v24, s25
	v_add_co_u32_e32 v34, vcc, s24, v22
	v_addc_co_u32_e32 v35, vcc, v24, v23, vcc
	;;#ASMSTART
	global_load_dwordx4 v[22:25], v[34:35] off glc	
s_waitcnt vmcnt(0)
	;;#ASMEND
	v_and_b32_e32 v25, 0xff, v23
	v_and_b32_e32 v66, 0xff00, v23
	v_or3_b32 v25, 0, v25, v66
	v_or3_b32 v22, v22, 0, 0
	v_and_b32_e32 v66, 0xff000000, v23
	v_and_b32_e32 v23, 0xff0000, v23
	v_or3_b32 v23, v25, v23, v66
	v_or3_b32 v22, v22, 0, 0
	v_cmp_eq_u16_sdwa s[44:45], v24, v31 src0_sel:BYTE_0 src1_sel:DWORD
	s_and_saveexec_b64 s[20:21], s[44:45]
	s_cbranch_execz .LBB540_66
; %bb.69:                               ;   in Loop: Header=BB540_67 Depth=1
	s_mov_b64 s[44:45], 0
.LBB540_70:                             ;   Parent Loop BB540_67 Depth=1
                                        ; =>  This Inner Loop Header: Depth=2
	;;#ASMSTART
	global_load_dwordx4 v[22:25], v[34:35] off glc	
s_waitcnt vmcnt(0)
	;;#ASMEND
	v_cmp_ne_u16_sdwa s[50:51], v24, v31 src0_sel:BYTE_0 src1_sel:DWORD
	s_or_b64 s[44:45], s[50:51], s[44:45]
	s_andn2_b64 exec, exec, s[44:45]
	s_cbranch_execnz .LBB540_70
; %bb.71:                               ;   in Loop: Header=BB540_67 Depth=1
	s_or_b64 exec, exec, s[44:45]
	s_branch .LBB540_66
.LBB540_72:                             ;   in Loop: Header=BB540_67 Depth=1
                                        ; implicit-def: $vgpr23
                                        ; implicit-def: $vgpr22
                                        ; implicit-def: $vgpr24
	s_cbranch_execz .LBB540_67
; %bb.73:
	s_and_saveexec_b64 s[20:21], s[18:19]
	s_cbranch_execz .LBB540_75
; %bb.74:
	s_cmp_eq_u32 s46, 0
	s_cselect_b64 vcc, -1, 0
	s_mov_b32 s45, 0
	v_cndmask_b32_e32 v22, 0, v27, vcc
	s_add_i32 s44, s48, 64
	v_add_u32_e32 v22, s47, v22
	s_lshl_b64 s[44:45], s[44:45], 4
	s_add_u32 s44, s24, s44
	v_and_b32_e32 v23, 0xff000000, v22
	v_and_b32_e32 v24, 0xff0000, v22
	s_addc_u32 s45, s25, s45
	v_or_b32_e32 v23, v24, v23
	v_and_b32_e32 v24, 0xff00, v22
	v_and_b32_e32 v22, 0xff, v22
	v_add_u32_e32 v30, s46, v26
	v_mov_b32_e32 v33, 0
	v_or3_b32 v31, v23, v24, v22
	v_mov_b32_e32 v32, 2
	v_pk_mov_b32 v[22:23], s[44:45], s[44:45] op_sel:[0,1]
	;;#ASMSTART
	global_store_dwordx4 v[22:23], v[30:33] off	
s_waitcnt vmcnt(0)
	;;#ASMEND
	v_mov_b32_e32 v24, s46
	v_mov_b32_e32 v25, s47
	ds_write_b128 v33, v[24:27] offset:4096
.LBB540_75:
	s_or_b64 exec, exec, s[20:21]
	s_and_b64 exec, exec, s[0:1]
	s_cbranch_execz .LBB540_77
; %bb.76:
	v_mov_b32_e32 v22, 0
	ds_write_b64 v22, v[26:27] offset:4136
.LBB540_77:
	s_or_b64 exec, exec, s[42:43]
	v_mov_b32_e32 v24, 0
	s_waitcnt lgkmcnt(0)
	s_barrier
	ds_read_b64 v[22:23], v24 offset:4136
	v_cndmask_b32_e64 v26, v36, v28, s[18:19]
	v_cmp_eq_u32_e32 vcc, 0, v26
	v_cndmask_b32_e64 v25, v37, v29, s[18:19]
	s_waitcnt lgkmcnt(0)
	v_cndmask_b32_e32 v27, 0, v23, vcc
	v_add_u32_e32 v25, v27, v25
	v_cndmask_b32_e64 v47, v25, v23, s[0:1]
	v_cndmask_b32_e64 v23, v26, 0, s[0:1]
	v_cmp_eq_u32_e32 vcc, 0, v62
	v_add_u32_e32 v46, v22, v23
	v_cndmask_b32_e32 v22, 0, v47, vcc
	v_add_u32_e32 v45, v22, v48
	v_cndmask_b32_e64 v22, 0, v45, s[16:17]
	v_add_u32_e32 v43, v22, v48
	v_cndmask_b32_e64 v22, 0, v43, s[14:15]
	;; [unrolled: 2-line block ×5, first 2 shown]
	v_add_u32_e32 v35, v22, v48
	v_add_u32_e32 v44, v46, v62
	v_cndmask_b32_e64 v22, 0, v35, s[6:7]
	v_add_u32_e32 v42, v44, v61
	v_add_u32_e32 v33, v22, v48
	s_barrier
	ds_read_b128 v[22:25], v24 offset:4096
	v_add_u32_e32 v40, v42, v60
	v_add_u32_e32 v38, v40, v59
	;; [unrolled: 1-line block ×4, first 2 shown]
	v_cndmask_b32_e64 v26, 0, v33, s[4:5]
	v_add_u32_e32 v32, v34, v56
	v_add_u32_e32 v29, v26, v48
	s_waitcnt lgkmcnt(0)
	v_cmp_eq_u32_e32 vcc, 0, v22
	v_add_u32_e32 v28, v32, v55
	v_cndmask_b32_e64 v26, 0, v29, s[2:3]
	v_cndmask_b32_e32 v25, 0, v25, vcc
	v_add_u32_e32 v30, v28, v54
	v_add_u32_e32 v31, v26, v48
	v_add_u32_e32 v26, v25, v23
	s_branch .LBB540_90
.LBB540_78:
                                        ; implicit-def: $vgpr22
                                        ; implicit-def: $vgpr26
                                        ; implicit-def: $vgpr30_vgpr31
                                        ; implicit-def: $vgpr28_vgpr29
                                        ; implicit-def: $vgpr32_vgpr33
                                        ; implicit-def: $vgpr34_vgpr35
                                        ; implicit-def: $vgpr46_vgpr47
                                        ; implicit-def: $vgpr44_vgpr45
                                        ; implicit-def: $vgpr42_vgpr43
                                        ; implicit-def: $vgpr40_vgpr41
                                        ; implicit-def: $vgpr38_vgpr39
                                        ; implicit-def: $vgpr36_vgpr37
	s_cbranch_execz .LBB540_90
; %bb.79:
	s_and_b64 s[2:3], s[26:27], exec
	s_cselect_b32 s3, 0, s41
	s_cselect_b32 s2, 0, s40
	s_cmp_eq_u64 s[2:3], 0
	v_mov_b32_e32 v26, v48
	s_cbranch_scc1 .LBB540_81
; %bb.80:
	v_mov_b32_e32 v22, 0
	global_load_dword v26, v22, s[2:3]
.LBB540_81:
	v_cmp_eq_u32_e64 s[2:3], 0, v61
	v_cndmask_b32_e64 v22, 0, v48, s[2:3]
	v_add_u32_e32 v22, v22, v48
	v_cmp_eq_u32_e64 s[4:5], 0, v60
	v_cndmask_b32_e64 v22, 0, v22, s[4:5]
	v_add_u32_e32 v22, v22, v48
	;; [unrolled: 3-line block ×7, first 2 shown]
	v_cmp_eq_u32_e32 vcc, 0, v54
	v_cndmask_b32_e32 v22, 0, v22, vcc
	v_add3_u32 v23, v53, v58, v57
	v_add_u32_e32 v22, v22, v48
	v_cmp_eq_u32_e64 s[16:17], 0, v1
	v_add3_u32 v23, v23, v56, v55
	v_cndmask_b32_e64 v22, 0, v22, s[16:17]
	v_add3_u32 v23, v23, v54, v1
	v_add_u32_e32 v22, v22, v49
	v_mbcnt_hi_u32_b32 v27, -1, v52
	v_and_b32_e32 v24, 15, v27
	v_mov_b32_dpp v28, v22 row_shr:1 row_mask:0xf bank_mask:0xf
	v_cmp_eq_u32_e64 s[16:17], 0, v23
	v_mov_b32_dpp v25, v23 row_shr:1 row_mask:0xf bank_mask:0xf
	v_cndmask_b32_e64 v28, 0, v28, s[16:17]
	v_cmp_eq_u32_e64 s[16:17], 0, v24
	v_cndmask_b32_e64 v25, v25, 0, s[16:17]
	v_add_u32_e32 v23, v25, v23
	v_cndmask_b32_e64 v25, v28, 0, s[16:17]
	v_add_u32_e32 v22, v25, v22
	v_cmp_eq_u32_e64 s[16:17], 0, v23
	v_mov_b32_dpp v25, v23 row_shr:2 row_mask:0xf bank_mask:0xf
	v_cmp_lt_u32_e64 s[18:19], 1, v24
	v_mov_b32_dpp v28, v22 row_shr:2 row_mask:0xf bank_mask:0xf
	v_cndmask_b32_e64 v25, 0, v25, s[18:19]
	s_and_b64 s[16:17], s[18:19], s[16:17]
	v_cndmask_b32_e64 v28, 0, v28, s[16:17]
	v_add_u32_e32 v23, v23, v25
	v_add_u32_e32 v22, v28, v22
	v_cmp_eq_u32_e64 s[16:17], 0, v23
	v_mov_b32_dpp v25, v23 row_shr:4 row_mask:0xf bank_mask:0xf
	v_cmp_lt_u32_e64 s[18:19], 3, v24
	v_mov_b32_dpp v28, v22 row_shr:4 row_mask:0xf bank_mask:0xf
	v_cndmask_b32_e64 v25, 0, v25, s[18:19]
	s_and_b64 s[16:17], s[18:19], s[16:17]
	v_cndmask_b32_e64 v28, 0, v28, s[16:17]
	v_add_u32_e32 v23, v25, v23
	v_add_u32_e32 v22, v22, v28
	v_cmp_eq_u32_e64 s[16:17], 0, v23
	v_cmp_lt_u32_e64 s[18:19], 7, v24
	v_mov_b32_dpp v25, v23 row_shr:8 row_mask:0xf bank_mask:0xf
	v_mov_b32_dpp v28, v22 row_shr:8 row_mask:0xf bank_mask:0xf
	s_and_b64 s[16:17], s[18:19], s[16:17]
	v_cndmask_b32_e64 v24, 0, v25, s[18:19]
	v_cndmask_b32_e64 v25, 0, v28, s[16:17]
	v_add_u32_e32 v22, v25, v22
	v_add_u32_e32 v23, v24, v23
	v_bfe_i32 v28, v27, 4, 1
	v_mov_b32_dpp v25, v22 row_bcast:15 row_mask:0xf bank_mask:0xf
	v_mov_b32_dpp v24, v23 row_bcast:15 row_mask:0xf bank_mask:0xf
	v_cmp_eq_u32_e64 s[16:17], 0, v23
	v_cndmask_b32_e64 v25, 0, v25, s[16:17]
	v_and_b32_e32 v24, v28, v24
	v_add_u32_e32 v23, v24, v23
	v_and_b32_e32 v24, v28, v25
	v_add_u32_e32 v24, v24, v22
	v_mov_b32_dpp v22, v23 row_bcast:31 row_mask:0xf bank_mask:0xf
	v_cmp_eq_u32_e64 s[16:17], 0, v23
	v_cmp_lt_u32_e64 s[18:19], 31, v27
	v_mov_b32_dpp v25, v24 row_bcast:31 row_mask:0xf bank_mask:0xf
	v_cndmask_b32_e64 v22, 0, v22, s[18:19]
	s_and_b64 s[16:17], s[18:19], s[16:17]
	v_add_u32_e32 v22, v22, v23
	v_cndmask_b32_e64 v23, 0, v25, s[16:17]
	v_add_u32_e32 v23, v23, v24
	v_cmp_eq_u32_e64 s[16:17], v51, v0
	v_lshlrev_b32_e32 v25, 3, v50
	s_and_saveexec_b64 s[18:19], s[16:17]
	s_cbranch_execz .LBB540_83
; %bb.82:
	ds_write_b64 v25, v[22:23] offset:4112
.LBB540_83:
	s_or_b64 exec, exec, s[18:19]
	v_cmp_gt_u32_e64 s[16:17], 4, v0
	s_waitcnt lgkmcnt(0)
	s_barrier
	s_and_saveexec_b64 s[20:21], s[16:17]
	s_cbranch_execz .LBB540_85
; %bb.84:
	v_lshlrev_b32_e32 v24, 3, v0
	ds_read_b64 v[28:29], v24 offset:4112
	v_and_b32_e32 v30, 3, v27
	v_cmp_lt_u32_e64 s[18:19], 1, v30
	s_waitcnt lgkmcnt(0)
	v_mov_b32_dpp v32, v29 row_shr:1 row_mask:0xf bank_mask:0xf
	v_cmp_eq_u32_e64 s[16:17], 0, v28
	v_mov_b32_dpp v31, v28 row_shr:1 row_mask:0xf bank_mask:0xf
	v_cndmask_b32_e64 v32, 0, v32, s[16:17]
	v_cmp_eq_u32_e64 s[16:17], 0, v30
	v_cndmask_b32_e64 v31, v31, 0, s[16:17]
	v_add_u32_e32 v28, v31, v28
	v_cndmask_b32_e64 v31, v32, 0, s[16:17]
	v_add_u32_e32 v29, v31, v29
	v_cmp_eq_u32_e64 s[16:17], 0, v28
	v_mov_b32_dpp v31, v28 row_shr:2 row_mask:0xf bank_mask:0xf
	v_mov_b32_dpp v32, v29 row_shr:2 row_mask:0xf bank_mask:0xf
	v_cndmask_b32_e64 v30, 0, v31, s[18:19]
	s_and_b64 s[16:17], s[18:19], s[16:17]
	v_add_u32_e32 v28, v30, v28
	v_cndmask_b32_e64 v30, 0, v32, s[16:17]
	v_add_u32_e32 v29, v30, v29
	ds_write_b64 v24, v[28:29] offset:4112
.LBB540_85:
	s_or_b64 exec, exec, s[20:21]
	v_cmp_lt_u32_e64 s[16:17], 63, v0
	v_mov_b32_e32 v29, 0
	v_mov_b32_e32 v24, 0
	s_waitcnt vmcnt(0)
	v_mov_b32_e32 v28, v26
	s_waitcnt lgkmcnt(0)
	s_barrier
	s_and_saveexec_b64 s[18:19], s[16:17]
	s_cbranch_execz .LBB540_87
; %bb.86:
	ds_read_b64 v[24:25], v25 offset:4104
	s_waitcnt lgkmcnt(0)
	v_cmp_eq_u32_e64 s[16:17], 0, v24
	v_cndmask_b32_e64 v28, 0, v26, s[16:17]
	v_add_u32_e32 v28, v28, v25
.LBB540_87:
	s_or_b64 exec, exec, s[18:19]
	v_cmp_eq_u32_e64 s[16:17], 0, v22
	v_add_u32_e32 v25, v24, v22
	v_cndmask_b32_e64 v22, 0, v28, s[16:17]
	v_add_u32_e32 v22, v22, v23
	v_add_u32_e32 v23, -1, v27
	v_and_b32_e32 v30, 64, v27
	v_cmp_lt_i32_e64 s[16:17], v23, v30
	v_cndmask_b32_e64 v23, v23, v27, s[16:17]
	v_lshlrev_b32_e32 v23, 2, v23
	ds_bpermute_b32 v22, v23, v22
	ds_bpermute_b32 v25, v23, v25
	v_cmp_eq_u32_e64 s[16:17], 0, v27
	s_waitcnt lgkmcnt(1)
	v_cndmask_b32_e64 v22, v22, v28, s[16:17]
	s_waitcnt lgkmcnt(0)
	v_cndmask_b32_e64 v23, v25, v24, s[16:17]
	v_cndmask_b32_e64 v47, v22, v26, s[0:1]
	v_cmp_eq_u32_e64 s[16:17], 0, v62
	v_cndmask_b32_e64 v22, 0, v47, s[16:17]
	v_add_u32_e32 v45, v22, v48
	v_cndmask_b32_e64 v22, 0, v45, s[2:3]
	v_add_u32_e32 v43, v22, v48
	v_cndmask_b32_e64 v22, 0, v43, s[4:5]
	v_add_u32_e32 v41, v22, v48
	v_cndmask_b32_e64 v22, 0, v41, s[6:7]
	v_add_u32_e32 v39, v22, v48
	v_cndmask_b32_e64 v22, 0, v39, s[8:9]
	v_add_u32_e32 v37, v22, v48
	v_cndmask_b32_e64 v22, 0, v37, s[10:11]
	v_cndmask_b32_e64 v46, v23, 0, s[0:1]
	v_add_u32_e32 v35, v22, v48
	v_add_u32_e32 v44, v46, v62
	v_cndmask_b32_e64 v22, 0, v35, s[12:13]
	v_add_u32_e32 v42, v44, v61
	v_add_u32_e32 v33, v22, v48
	ds_read_b64 v[22:23], v29 offset:4136
	v_add_u32_e32 v40, v42, v60
	v_add_u32_e32 v38, v40, v59
	;; [unrolled: 1-line block ×3, first 2 shown]
	v_cndmask_b32_e64 v24, 0, v33, s[14:15]
	v_add_u32_e32 v34, v36, v57
	v_add_u32_e32 v29, v24, v48
	;; [unrolled: 1-line block ×3, first 2 shown]
	v_cndmask_b32_e32 v24, 0, v29, vcc
	s_waitcnt lgkmcnt(0)
	v_cmp_eq_u32_e32 vcc, 0, v22
	v_add_u32_e32 v28, v32, v55
	v_add_u32_e32 v31, v24, v48
	v_cndmask_b32_e32 v24, 0, v26, vcc
	v_add_u32_e32 v30, v28, v54
	v_add_u32_e32 v26, v24, v23
	s_and_saveexec_b64 s[2:3], s[0:1]
	s_cbranch_execz .LBB540_89
; %bb.88:
	s_add_u32 s4, s24, 0x400
	v_and_b32_e32 v23, 0xff000000, v26
	v_and_b32_e32 v24, 0xff0000, v26
	s_addc_u32 s5, s25, 0
	v_or_b32_e32 v23, v24, v23
	v_and_b32_e32 v24, 0xff00, v26
	v_and_b32_e32 v27, 0xff, v26
	v_mov_b32_e32 v25, 0
	v_or3_b32 v23, v23, v24, v27
	v_mov_b32_e32 v24, 2
	v_pk_mov_b32 v[48:49], s[4:5], s[4:5] op_sel:[0,1]
	;;#ASMSTART
	global_store_dwordx4 v[48:49], v[22:25] off	
s_waitcnt vmcnt(0)
	;;#ASMEND
.LBB540_89:
	s_or_b64 exec, exec, s[2:3]
	v_mov_b32_e32 v24, 0
.LBB540_90:
	s_and_b64 s[2:3], s[26:27], exec
	s_cselect_b32 s3, 0, s23
	s_cselect_b32 s2, 0, s22
	s_cmp_eq_u64 s[2:3], 0
	v_pk_mov_b32 v[48:49], 0, 0
	s_barrier
	s_cbranch_scc1 .LBB540_92
; %bb.91:
	v_mov_b32_e32 v23, 0
	global_load_dwordx2 v[48:49], v23, s[2:3]
.LBB540_92:
	s_waitcnt vmcnt(0)
	v_lshlrev_b64 v[50:51], 3, v[48:49]
	v_mov_b32_e32 v23, s37
	v_add_co_u32_e32 v27, vcc, s36, v50
	v_mov_b32_e32 v25, 0
	v_addc_co_u32_e32 v63, vcc, v23, v51, vcc
	v_lshlrev_b64 v[52:53], 3, v[24:25]
	v_add_co_u32_e32 v23, vcc, v27, v52
	v_addc_co_u32_e32 v25, vcc, v63, v53, vcc
	v_cmp_eq_u32_e32 vcc, 0, v62
	v_cndmask_b32_e64 v27, 1, 2, vcc
	v_cmp_eq_u32_e32 vcc, 0, v61
	v_cndmask_b32_e64 v63, 1, 2, vcc
	v_cmp_eq_u32_e32 vcc, 0, v60
	v_and_b32_e32 v27, v63, v27
	v_cndmask_b32_e64 v63, 1, 2, vcc
	v_cmp_eq_u32_e32 vcc, 0, v59
	v_and_b32_e32 v27, v27, v63
	;; [unrolled: 3-line block ×8, first 2 shown]
	v_cndmask_b32_e64 v63, 1, 2, vcc
	s_movk_i32 s22, 0x100
	v_and_b32_e32 v27, v27, v63
	v_cmp_gt_u32_e32 vcc, s22, v22
	v_cmp_ne_u32_e64 s[20:21], 0, v62
	v_cmp_ne_u32_e64 s[18:19], 0, v61
	;; [unrolled: 1-line block ×10, first 2 shown]
	s_mov_b64 s[24:25], -1
	v_cmp_gt_i16_e64 s[22:23], 2, v27
	s_cbranch_vccz .LBB540_99
; %bb.93:
	s_and_saveexec_b64 s[24:25], s[22:23]
	s_cbranch_execz .LBB540_98
; %bb.94:
	v_cmp_ne_u16_e32 vcc, 1, v27
	s_mov_b64 s[26:27], 0
	s_and_saveexec_b64 s[22:23], vcc
	s_xor_b64 s[22:23], exec, s[22:23]
	s_cbranch_execnz .LBB540_131
; %bb.95:
	s_andn2_saveexec_b64 s[22:23], s[22:23]
	s_cbranch_execnz .LBB540_142
.LBB540_96:
	s_or_b64 exec, exec, s[22:23]
	s_and_b64 exec, exec, s[26:27]
	s_cbranch_execz .LBB540_98
.LBB540_97:
	v_sub_u32_e32 v64, v30, v24
	v_mov_b32_e32 v65, 0
	v_lshlrev_b64 v[64:65], 3, v[64:65]
	v_add_co_u32_e32 v64, vcc, v23, v64
	v_addc_co_u32_e32 v65, vcc, v25, v65, vcc
	global_store_dwordx2 v[64:65], v[8:9], off
.LBB540_98:
	s_or_b64 exec, exec, s[24:25]
	s_mov_b64 s[24:25], 0
.LBB540_99:
	s_and_b64 vcc, exec, s[24:25]
	s_cbranch_vccz .LBB540_109
; %bb.100:
	v_cmp_gt_i16_e32 vcc, 2, v27
	s_and_saveexec_b64 s[22:23], vcc
	s_cbranch_execz .LBB540_105
; %bb.101:
	v_cmp_ne_u16_e32 vcc, 1, v27
	s_mov_b64 s[26:27], 0
	s_and_saveexec_b64 s[24:25], vcc
	s_xor_b64 s[24:25], exec, s[24:25]
	s_cbranch_execnz .LBB540_143
; %bb.102:
	s_andn2_saveexec_b64 s[2:3], s[24:25]
	s_cbranch_execnz .LBB540_154
.LBB540_103:
	s_or_b64 exec, exec, s[2:3]
	s_and_b64 exec, exec, s[26:27]
	s_cbranch_execz .LBB540_105
.LBB540_104:
	v_sub_u32_e32 v2, v30, v24
	v_lshlrev_b32_e32 v2, 3, v2
	ds_write_b64 v2, v[8:9]
.LBB540_105:
	s_or_b64 exec, exec, s[22:23]
	v_cmp_lt_u32_e32 vcc, v0, v22
	s_waitcnt lgkmcnt(0)
	s_barrier
	s_and_saveexec_b64 s[2:3], vcc
	s_cbranch_execz .LBB540_108
; %bb.106:
	v_lshlrev_b32_e32 v4, 3, v0
	s_mov_b64 s[4:5], 0
	v_mov_b32_e32 v3, 0
	v_mov_b32_e32 v2, v0
.LBB540_107:                            ; =>This Inner Loop Header: Depth=1
	ds_read_b64 v[6:7], v4
	v_lshlrev_b64 v[8:9], 3, v[2:3]
	v_add_co_u32_e32 v8, vcc, v23, v8
	v_add_u32_e32 v2, 0x100, v2
	v_addc_co_u32_e32 v9, vcc, v25, v9, vcc
	v_cmp_ge_u32_e32 vcc, v2, v22
	v_add_u32_e32 v4, 0x800, v4
	s_or_b64 s[4:5], vcc, s[4:5]
	s_waitcnt lgkmcnt(0)
	global_store_dwordx2 v[8:9], v[6:7], off
	s_andn2_b64 exec, exec, s[4:5]
	s_cbranch_execnz .LBB540_107
.LBB540_108:
	s_or_b64 exec, exec, s[2:3]
.LBB540_109:
	s_cmpk_lg_i32 s33, 0xa00
	s_cselect_b64 s[2:3], -1, 0
	v_cndmask_b32_e64 v2, 0, 1, s[30:31]
	s_and_b64 s[2:3], s[2:3], s[28:29]
	v_sub_u32_e32 v3, v22, v2
	v_cndmask_b32_e64 v4, 0, 1, s[2:3]
	s_and_b64 s[0:1], s[0:1], s[30:31]
	v_add_u32_e32 v4, v3, v4
	v_cndmask_b32_e64 v3, v62, 0, s[0:1]
	s_mul_hi_u32 s0, s33, 0xcccccccd
	s_lshr_b32 s0, s0, 3
	v_mad_i32_i24 v5, v0, -10, s33
	v_cmp_eq_u32_e32 vcc, s0, v0
	v_cmp_ne_u32_e64 s[0:1], 0, v5
	v_cndmask_b32_e64 v6, 1, v3, s[0:1]
	v_cmp_ne_u32_e64 s[0:1], 1, v5
	v_cndmask_b32_e64 v7, 1, v61, s[0:1]
	;; [unrolled: 2-line block ×10, first 2 shown]
	s_and_b64 vcc, vcc, s[28:29]
	v_cndmask_b32_e32 v15, v1, v5, vcc
	v_cndmask_b32_e32 v14, v54, v14, vcc
	;; [unrolled: 1-line block ×10, first 2 shown]
	v_mov_b32_e32 v1, s39
	v_add_co_u32_e32 v5, vcc, s38, v50
	v_addc_co_u32_e32 v6, vcc, v1, v51, vcc
	v_add_co_u32_e32 v1, vcc, v5, v52
	v_addc_co_u32_e32 v5, vcc, v6, v53, vcc
	v_lshlrev_b32_e32 v6, 3, v2
	v_add_co_u32_e32 v6, vcc, v6, v1
	v_addc_co_u32_e32 v7, vcc, 0, v5, vcc
	v_add_co_u32_e32 v6, vcc, -8, v6
	v_addc_co_u32_e32 v7, vcc, -1, v7, vcc
	v_cmp_eq_u32_e32 vcc, 0, v3
	v_cmp_ne_u32_e64 s[18:19], 0, v3
	v_cndmask_b32_e64 v3, 1, 2, vcc
	v_cmp_eq_u32_e32 vcc, 0, v16
	v_cmp_ne_u32_e64 s[16:17], 0, v16
	v_cndmask_b32_e64 v16, 1, 2, vcc
	v_cmp_eq_u32_e32 vcc, 0, v8
	v_and_b32_e32 v3, v16, v3
	v_cmp_ne_u32_e64 s[14:15], 0, v8
	v_cndmask_b32_e64 v8, 1, 2, vcc
	v_cmp_eq_u32_e32 vcc, 0, v9
	v_and_b32_e32 v3, v3, v8
	v_cndmask_b32_e64 v8, 1, 2, vcc
	v_cmp_eq_u32_e32 vcc, 0, v10
	v_and_b32_e32 v3, v3, v8
	;; [unrolled: 3-line block ×7, first 2 shown]
	v_cndmask_b32_e64 v8, 1, 2, vcc
	s_movk_i32 s20, 0x100
	v_and_b32_e32 v3, v3, v8
	v_cmp_gt_u32_e32 vcc, s20, v4
	v_add_u32_e32 v2, v24, v2
	v_cmp_ne_u32_e64 s[12:13], 0, v9
	v_cmp_ne_u32_e64 s[10:11], 0, v10
	;; [unrolled: 1-line block ×7, first 2 shown]
	s_mov_b64 s[22:23], -1
	v_cmp_gt_i16_e64 s[20:21], 2, v3
	s_barrier
	s_cbranch_vccz .LBB540_116
; %bb.110:
	s_and_saveexec_b64 s[22:23], s[20:21]
	s_cbranch_execz .LBB540_115
; %bb.111:
	v_cmp_ne_u16_e32 vcc, 1, v3
	s_mov_b64 s[24:25], 0
	s_and_saveexec_b64 s[20:21], vcc
	s_xor_b64 s[20:21], exec, s[20:21]
	s_cbranch_execnz .LBB540_155
; %bb.112:
	s_andn2_saveexec_b64 s[20:21], s[20:21]
	s_cbranch_execnz .LBB540_166
.LBB540_113:
	s_or_b64 exec, exec, s[20:21]
	s_and_b64 exec, exec, s[24:25]
	s_cbranch_execz .LBB540_115
.LBB540_114:
	v_mov_b32_e32 v9, 0
	v_sub_u32_e32 v10, v30, v2
	v_mov_b32_e32 v11, v9
	v_lshlrev_b64 v[10:11], 3, v[10:11]
	v_add_co_u32_e32 v10, vcc, v6, v10
	v_mov_b32_e32 v8, v31
	v_addc_co_u32_e32 v11, vcc, v7, v11, vcc
	global_store_dwordx2 v[10:11], v[8:9], off
.LBB540_115:
	s_or_b64 exec, exec, s[22:23]
	s_mov_b64 s[22:23], 0
.LBB540_116:
	s_and_b64 vcc, exec, s[22:23]
	s_cbranch_vccz .LBB540_126
; %bb.117:
	v_cmp_gt_i16_e32 vcc, 2, v3
	s_and_saveexec_b64 s[20:21], vcc
	s_cbranch_execz .LBB540_122
; %bb.118:
	v_cmp_ne_u16_e32 vcc, 1, v3
	s_mov_b64 s[24:25], 0
	s_and_saveexec_b64 s[22:23], vcc
	s_xor_b64 s[22:23], exec, s[22:23]
	s_cbranch_execnz .LBB540_167
; %bb.119:
	s_andn2_saveexec_b64 s[0:1], s[22:23]
	s_cbranch_execnz .LBB540_178
.LBB540_120:
	s_or_b64 exec, exec, s[0:1]
	s_and_b64 exec, exec, s[24:25]
	s_cbranch_execz .LBB540_122
.LBB540_121:
	v_sub_u32_e32 v2, v30, v2
	v_lshlrev_b32_e32 v2, 2, v2
	ds_write_b32 v2, v31
.LBB540_122:
	s_or_b64 exec, exec, s[20:21]
	v_cmp_lt_u32_e32 vcc, v0, v4
	s_waitcnt lgkmcnt(0)
	s_barrier
	s_and_saveexec_b64 s[0:1], vcc
	s_cbranch_execz .LBB540_125
; %bb.123:
	v_lshlrev_b32_e32 v8, 2, v0
	s_mov_b64 s[2:3], 0
	v_mov_b32_e32 v3, 0
	v_mov_b32_e32 v2, v0
.LBB540_124:                            ; =>This Inner Loop Header: Depth=1
	ds_read_b32 v10, v8
	v_lshlrev_b64 v[12:13], 3, v[2:3]
	v_add_co_u32_e32 v12, vcc, v6, v12
	v_add_u32_e32 v2, 0x100, v2
	v_addc_co_u32_e32 v13, vcc, v7, v13, vcc
	v_cmp_ge_u32_e32 vcc, v2, v4
	v_mov_b32_e32 v11, v3
	v_add_u32_e32 v8, 0x400, v8
	s_or_b64 s[2:3], vcc, s[2:3]
	s_waitcnt lgkmcnt(0)
	global_store_dwordx2 v[12:13], v[10:11], off
	s_andn2_b64 exec, exec, s[2:3]
	s_cbranch_execnz .LBB540_124
.LBB540_125:
	s_or_b64 exec, exec, s[0:1]
.LBB540_126:
	s_movk_i32 s0, 0xff
	v_cmp_eq_u32_e32 vcc, s0, v0
	s_and_b64 s[0:1], vcc, s[28:29]
	s_and_saveexec_b64 s[2:3], s[0:1]
	s_cbranch_execz .LBB540_129
; %bb.127:
	v_add_co_u32_e32 v0, vcc, v22, v24
	v_addc_co_u32_e64 v3, s[0:1], 0, 0, vcc
	v_add_co_u32_e32 v2, vcc, v0, v48
	v_mov_b32_e32 v23, 0
	v_addc_co_u32_e32 v3, vcc, v3, v49, vcc
	s_cmpk_lg_i32 s33, 0xa00
	global_store_dwordx2 v23, v[2:3], s[34:35]
	s_cbranch_scc1 .LBB540_129
; %bb.128:
	v_lshlrev_b64 v[2:3], 3, v[22:23]
	v_add_co_u32_e32 v0, vcc, v1, v2
	v_mov_b32_e32 v27, v23
	v_addc_co_u32_e32 v1, vcc, v5, v3, vcc
	global_store_dwordx2 v[0:1], v[26:27], off offset:-8
.LBB540_129:
	s_endpgm
.LBB540_130:
	s_or_b64 exec, exec, s[6:7]
	v_mov_b32_e32 v62, s8
	s_and_saveexec_b64 s[2:3], s[44:45]
	s_cbranch_execnz .LBB540_50
	s_branch .LBB540_51
.LBB540_131:
	s_and_saveexec_b64 s[26:27], s[20:21]
	s_cbranch_execnz .LBB540_179
; %bb.132:
	s_or_b64 exec, exec, s[26:27]
	s_and_saveexec_b64 s[26:27], s[18:19]
	s_cbranch_execnz .LBB540_180
.LBB540_133:
	s_or_b64 exec, exec, s[26:27]
	s_and_saveexec_b64 s[26:27], s[16:17]
	s_cbranch_execnz .LBB540_181
.LBB540_134:
	s_or_b64 exec, exec, s[26:27]
	s_and_saveexec_b64 s[26:27], s[14:15]
	s_cbranch_execnz .LBB540_182
.LBB540_135:
	s_or_b64 exec, exec, s[26:27]
	s_and_saveexec_b64 s[26:27], s[12:13]
	s_cbranch_execnz .LBB540_183
.LBB540_136:
	s_or_b64 exec, exec, s[26:27]
	s_and_saveexec_b64 s[26:27], s[10:11]
	s_cbranch_execnz .LBB540_184
.LBB540_137:
	s_or_b64 exec, exec, s[26:27]
	s_and_saveexec_b64 s[26:27], s[8:9]
	s_cbranch_execnz .LBB540_185
.LBB540_138:
	s_or_b64 exec, exec, s[26:27]
	s_and_saveexec_b64 s[26:27], s[6:7]
	s_cbranch_execnz .LBB540_186
.LBB540_139:
	s_or_b64 exec, exec, s[26:27]
	s_and_saveexec_b64 s[26:27], s[4:5]
	s_cbranch_execz .LBB540_141
.LBB540_140:
	v_sub_u32_e32 v64, v28, v24
	v_mov_b32_e32 v65, 0
	v_lshlrev_b64 v[64:65], 3, v[64:65]
	v_add_co_u32_e32 v64, vcc, v23, v64
	v_addc_co_u32_e32 v65, vcc, v25, v65, vcc
	global_store_dwordx2 v[64:65], v[6:7], off
.LBB540_141:
	s_or_b64 exec, exec, s[26:27]
	s_and_b64 s[26:27], s[2:3], exec
	s_andn2_saveexec_b64 s[22:23], s[22:23]
	s_cbranch_execz .LBB540_96
.LBB540_142:
	v_sub_u32_e32 v64, v46, v24
	v_mov_b32_e32 v65, 0
	v_lshlrev_b64 v[66:67], 3, v[64:65]
	v_add_co_u32_e32 v66, vcc, v23, v66
	v_addc_co_u32_e32 v67, vcc, v25, v67, vcc
	v_sub_u32_e32 v64, v44, v24
	global_store_dwordx2 v[66:67], v[18:19], off
	v_lshlrev_b64 v[66:67], 3, v[64:65]
	v_add_co_u32_e32 v66, vcc, v23, v66
	v_addc_co_u32_e32 v67, vcc, v25, v67, vcc
	v_sub_u32_e32 v64, v42, v24
	global_store_dwordx2 v[66:67], v[20:21], off
	;; [unrolled: 5-line block ×7, first 2 shown]
	v_lshlrev_b64 v[66:67], 3, v[64:65]
	v_add_co_u32_e32 v66, vcc, v23, v66
	v_sub_u32_e32 v64, v28, v24
	v_addc_co_u32_e32 v67, vcc, v25, v67, vcc
	v_lshlrev_b64 v[64:65], 3, v[64:65]
	v_add_co_u32_e32 v64, vcc, v23, v64
	v_addc_co_u32_e32 v65, vcc, v25, v65, vcc
	s_or_b64 s[26:27], s[26:27], exec
	global_store_dwordx2 v[66:67], v[4:5], off
	global_store_dwordx2 v[64:65], v[6:7], off
	s_or_b64 exec, exec, s[22:23]
	s_and_b64 exec, exec, s[26:27]
	s_cbranch_execnz .LBB540_97
	s_branch .LBB540_98
.LBB540_143:
	s_and_saveexec_b64 s[26:27], s[20:21]
	s_cbranch_execnz .LBB540_187
; %bb.144:
	s_or_b64 exec, exec, s[26:27]
	s_and_saveexec_b64 s[20:21], s[18:19]
	s_cbranch_execnz .LBB540_188
.LBB540_145:
	s_or_b64 exec, exec, s[20:21]
	s_and_saveexec_b64 s[18:19], s[16:17]
	s_cbranch_execnz .LBB540_189
.LBB540_146:
	s_or_b64 exec, exec, s[18:19]
	s_and_saveexec_b64 s[16:17], s[14:15]
	s_cbranch_execnz .LBB540_190
.LBB540_147:
	s_or_b64 exec, exec, s[16:17]
	s_and_saveexec_b64 s[14:15], s[12:13]
	s_cbranch_execnz .LBB540_191
.LBB540_148:
	s_or_b64 exec, exec, s[14:15]
	s_and_saveexec_b64 s[12:13], s[10:11]
	s_cbranch_execnz .LBB540_192
.LBB540_149:
	s_or_b64 exec, exec, s[12:13]
	s_and_saveexec_b64 s[10:11], s[8:9]
	s_cbranch_execnz .LBB540_193
.LBB540_150:
	s_or_b64 exec, exec, s[10:11]
	s_and_saveexec_b64 s[8:9], s[6:7]
	s_cbranch_execnz .LBB540_194
.LBB540_151:
	s_or_b64 exec, exec, s[8:9]
	s_and_saveexec_b64 s[6:7], s[4:5]
	s_cbranch_execz .LBB540_153
.LBB540_152:
	v_sub_u32_e32 v2, v28, v24
	v_lshlrev_b32_e32 v2, 3, v2
	ds_write_b64 v2, v[6:7]
.LBB540_153:
	s_or_b64 exec, exec, s[6:7]
	s_and_b64 s[26:27], s[2:3], exec
                                        ; implicit-def: $vgpr4_vgpr5
                                        ; implicit-def: $vgpr12_vgpr13
                                        ; implicit-def: $vgpr16_vgpr17
                                        ; implicit-def: $vgpr20_vgpr21
	s_andn2_saveexec_b64 s[2:3], s[24:25]
	s_cbranch_execz .LBB540_103
.LBB540_154:
	v_sub_u32_e32 v27, v46, v24
	v_lshlrev_b32_e32 v27, 3, v27
	ds_write_b64 v27, v[18:19]
	v_sub_u32_e32 v18, v44, v24
	v_lshlrev_b32_e32 v18, 3, v18
	ds_write_b64 v18, v[20:21]
	;; [unrolled: 3-line block ×8, first 2 shown]
	v_sub_u32_e32 v2, v28, v24
	v_lshlrev_b32_e32 v2, 3, v2
	s_or_b64 s[26:27], s[26:27], exec
	ds_write_b64 v2, v[6:7]
	s_or_b64 exec, exec, s[2:3]
	s_and_b64 exec, exec, s[26:27]
	s_cbranch_execnz .LBB540_104
	s_branch .LBB540_105
.LBB540_155:
	s_and_saveexec_b64 s[24:25], s[18:19]
	s_cbranch_execnz .LBB540_195
; %bb.156:
	s_or_b64 exec, exec, s[24:25]
	s_and_saveexec_b64 s[24:25], s[16:17]
	s_cbranch_execnz .LBB540_196
.LBB540_157:
	s_or_b64 exec, exec, s[24:25]
	s_and_saveexec_b64 s[24:25], s[14:15]
	s_cbranch_execnz .LBB540_197
.LBB540_158:
	s_or_b64 exec, exec, s[24:25]
	s_and_saveexec_b64 s[24:25], s[12:13]
	s_cbranch_execnz .LBB540_198
.LBB540_159:
	s_or_b64 exec, exec, s[24:25]
	s_and_saveexec_b64 s[24:25], s[10:11]
	s_cbranch_execnz .LBB540_199
.LBB540_160:
	s_or_b64 exec, exec, s[24:25]
	s_and_saveexec_b64 s[24:25], s[8:9]
	s_cbranch_execnz .LBB540_200
.LBB540_161:
	s_or_b64 exec, exec, s[24:25]
	s_and_saveexec_b64 s[24:25], s[6:7]
	s_cbranch_execnz .LBB540_201
.LBB540_162:
	s_or_b64 exec, exec, s[24:25]
	s_and_saveexec_b64 s[24:25], s[4:5]
	s_cbranch_execnz .LBB540_202
.LBB540_163:
	s_or_b64 exec, exec, s[24:25]
	s_and_saveexec_b64 s[24:25], s[2:3]
	s_cbranch_execz .LBB540_165
.LBB540_164:
	v_sub_u32_e32 v8, v28, v2
	v_mov_b32_e32 v9, 0
	v_lshlrev_b64 v[10:11], 3, v[8:9]
	v_add_co_u32_e32 v10, vcc, v6, v10
	v_addc_co_u32_e32 v11, vcc, v7, v11, vcc
	v_mov_b32_e32 v8, v29
	global_store_dwordx2 v[10:11], v[8:9], off
.LBB540_165:
	s_or_b64 exec, exec, s[24:25]
	s_and_b64 s[24:25], s[0:1], exec
	s_andn2_saveexec_b64 s[20:21], s[20:21]
	s_cbranch_execz .LBB540_113
.LBB540_166:
	v_mov_b32_e32 v9, 0
	v_sub_u32_e32 v10, v46, v2
	v_mov_b32_e32 v11, v9
	v_lshlrev_b64 v[10:11], 3, v[10:11]
	v_add_co_u32_e32 v10, vcc, v6, v10
	v_mov_b32_e32 v8, v47
	v_addc_co_u32_e32 v11, vcc, v7, v11, vcc
	global_store_dwordx2 v[10:11], v[8:9], off
	v_sub_u32_e32 v10, v44, v2
	v_mov_b32_e32 v11, v9
	v_lshlrev_b64 v[10:11], 3, v[10:11]
	v_add_co_u32_e32 v10, vcc, v6, v10
	v_mov_b32_e32 v8, v45
	v_addc_co_u32_e32 v11, vcc, v7, v11, vcc
	global_store_dwordx2 v[10:11], v[8:9], off
	;; [unrolled: 7-line block ×8, first 2 shown]
	v_sub_u32_e32 v10, v28, v2
	v_mov_b32_e32 v11, v9
	v_lshlrev_b64 v[10:11], 3, v[10:11]
	v_add_co_u32_e32 v10, vcc, v6, v10
	v_mov_b32_e32 v8, v29
	v_addc_co_u32_e32 v11, vcc, v7, v11, vcc
	s_or_b64 s[24:25], s[24:25], exec
	global_store_dwordx2 v[10:11], v[8:9], off
	s_or_b64 exec, exec, s[20:21]
	s_and_b64 exec, exec, s[24:25]
	s_cbranch_execnz .LBB540_114
	s_branch .LBB540_115
.LBB540_167:
	s_and_saveexec_b64 s[24:25], s[18:19]
	s_cbranch_execnz .LBB540_203
; %bb.168:
	s_or_b64 exec, exec, s[24:25]
	s_and_saveexec_b64 s[18:19], s[16:17]
	s_cbranch_execnz .LBB540_204
.LBB540_169:
	s_or_b64 exec, exec, s[18:19]
	s_and_saveexec_b64 s[16:17], s[14:15]
	s_cbranch_execnz .LBB540_205
.LBB540_170:
	s_or_b64 exec, exec, s[16:17]
	s_and_saveexec_b64 s[14:15], s[12:13]
	s_cbranch_execnz .LBB540_206
.LBB540_171:
	s_or_b64 exec, exec, s[14:15]
	s_and_saveexec_b64 s[12:13], s[10:11]
	s_cbranch_execnz .LBB540_207
.LBB540_172:
	s_or_b64 exec, exec, s[12:13]
	s_and_saveexec_b64 s[10:11], s[8:9]
	s_cbranch_execnz .LBB540_208
.LBB540_173:
	s_or_b64 exec, exec, s[10:11]
	s_and_saveexec_b64 s[8:9], s[6:7]
	s_cbranch_execnz .LBB540_209
.LBB540_174:
	s_or_b64 exec, exec, s[8:9]
	s_and_saveexec_b64 s[6:7], s[4:5]
	s_cbranch_execnz .LBB540_210
.LBB540_175:
	s_or_b64 exec, exec, s[6:7]
	s_and_saveexec_b64 s[4:5], s[2:3]
	s_cbranch_execz .LBB540_177
.LBB540_176:
	v_sub_u32_e32 v3, v28, v2
	v_lshlrev_b32_e32 v3, 2, v3
	ds_write_b32 v3, v29
.LBB540_177:
	s_or_b64 exec, exec, s[4:5]
	s_and_b64 s[24:25], s[0:1], exec
                                        ; implicit-def: $vgpr28_vgpr29
                                        ; implicit-def: $vgpr32_vgpr33
                                        ; implicit-def: $vgpr34_vgpr35
                                        ; implicit-def: $vgpr46_vgpr47
                                        ; implicit-def: $vgpr44_vgpr45
                                        ; implicit-def: $vgpr42_vgpr43
                                        ; implicit-def: $vgpr40_vgpr41
                                        ; implicit-def: $vgpr38_vgpr39
                                        ; implicit-def: $vgpr36_vgpr37
	s_andn2_saveexec_b64 s[0:1], s[22:23]
	s_cbranch_execz .LBB540_120
.LBB540_178:
	v_sub_u32_e32 v3, v46, v2
	v_lshlrev_b32_e32 v3, 2, v3
	ds_write_b32 v3, v47
	v_sub_u32_e32 v3, v44, v2
	v_lshlrev_b32_e32 v3, 2, v3
	ds_write_b32 v3, v45
	;; [unrolled: 3-line block ×8, first 2 shown]
	v_sub_u32_e32 v3, v28, v2
	v_lshlrev_b32_e32 v3, 2, v3
	s_or_b64 s[24:25], s[24:25], exec
	ds_write_b32 v3, v29
	s_or_b64 exec, exec, s[0:1]
	s_and_b64 exec, exec, s[24:25]
	s_cbranch_execnz .LBB540_121
	s_branch .LBB540_122
.LBB540_179:
	v_sub_u32_e32 v64, v46, v24
	v_mov_b32_e32 v65, 0
	v_lshlrev_b64 v[64:65], 3, v[64:65]
	v_add_co_u32_e32 v64, vcc, v23, v64
	v_addc_co_u32_e32 v65, vcc, v25, v65, vcc
	global_store_dwordx2 v[64:65], v[18:19], off
	s_or_b64 exec, exec, s[26:27]
	s_and_saveexec_b64 s[26:27], s[18:19]
	s_cbranch_execz .LBB540_133
.LBB540_180:
	v_sub_u32_e32 v64, v44, v24
	v_mov_b32_e32 v65, 0
	v_lshlrev_b64 v[64:65], 3, v[64:65]
	v_add_co_u32_e32 v64, vcc, v23, v64
	v_addc_co_u32_e32 v65, vcc, v25, v65, vcc
	global_store_dwordx2 v[64:65], v[20:21], off
	s_or_b64 exec, exec, s[26:27]
	s_and_saveexec_b64 s[26:27], s[16:17]
	s_cbranch_execz .LBB540_134
.LBB540_181:
	v_sub_u32_e32 v64, v42, v24
	v_mov_b32_e32 v65, 0
	v_lshlrev_b64 v[64:65], 3, v[64:65]
	v_add_co_u32_e32 v64, vcc, v23, v64
	v_addc_co_u32_e32 v65, vcc, v25, v65, vcc
	global_store_dwordx2 v[64:65], v[14:15], off
	s_or_b64 exec, exec, s[26:27]
	s_and_saveexec_b64 s[26:27], s[14:15]
	s_cbranch_execz .LBB540_135
.LBB540_182:
	v_sub_u32_e32 v64, v40, v24
	v_mov_b32_e32 v65, 0
	v_lshlrev_b64 v[64:65], 3, v[64:65]
	v_add_co_u32_e32 v64, vcc, v23, v64
	v_addc_co_u32_e32 v65, vcc, v25, v65, vcc
	global_store_dwordx2 v[64:65], v[16:17], off
	s_or_b64 exec, exec, s[26:27]
	s_and_saveexec_b64 s[26:27], s[12:13]
	s_cbranch_execz .LBB540_136
.LBB540_183:
	v_sub_u32_e32 v64, v38, v24
	v_mov_b32_e32 v65, 0
	v_lshlrev_b64 v[64:65], 3, v[64:65]
	v_add_co_u32_e32 v64, vcc, v23, v64
	v_addc_co_u32_e32 v65, vcc, v25, v65, vcc
	global_store_dwordx2 v[64:65], v[10:11], off
	s_or_b64 exec, exec, s[26:27]
	s_and_saveexec_b64 s[26:27], s[10:11]
	s_cbranch_execz .LBB540_137
.LBB540_184:
	v_sub_u32_e32 v64, v36, v24
	v_mov_b32_e32 v65, 0
	v_lshlrev_b64 v[64:65], 3, v[64:65]
	v_add_co_u32_e32 v64, vcc, v23, v64
	v_addc_co_u32_e32 v65, vcc, v25, v65, vcc
	global_store_dwordx2 v[64:65], v[12:13], off
	s_or_b64 exec, exec, s[26:27]
	s_and_saveexec_b64 s[26:27], s[8:9]
	s_cbranch_execz .LBB540_138
.LBB540_185:
	v_sub_u32_e32 v64, v34, v24
	v_mov_b32_e32 v65, 0
	v_lshlrev_b64 v[64:65], 3, v[64:65]
	v_add_co_u32_e32 v64, vcc, v23, v64
	v_addc_co_u32_e32 v65, vcc, v25, v65, vcc
	global_store_dwordx2 v[64:65], v[2:3], off
	s_or_b64 exec, exec, s[26:27]
	s_and_saveexec_b64 s[26:27], s[6:7]
	s_cbranch_execz .LBB540_139
.LBB540_186:
	v_sub_u32_e32 v64, v32, v24
	v_mov_b32_e32 v65, 0
	v_lshlrev_b64 v[64:65], 3, v[64:65]
	v_add_co_u32_e32 v64, vcc, v23, v64
	v_addc_co_u32_e32 v65, vcc, v25, v65, vcc
	global_store_dwordx2 v[64:65], v[4:5], off
	s_or_b64 exec, exec, s[26:27]
	s_and_saveexec_b64 s[26:27], s[4:5]
	s_cbranch_execnz .LBB540_140
	s_branch .LBB540_141
.LBB540_187:
	v_sub_u32_e32 v27, v46, v24
	v_lshlrev_b32_e32 v27, 3, v27
	ds_write_b64 v27, v[18:19]
	s_or_b64 exec, exec, s[26:27]
	s_and_saveexec_b64 s[20:21], s[18:19]
	s_cbranch_execz .LBB540_145
.LBB540_188:
	v_sub_u32_e32 v18, v44, v24
	v_lshlrev_b32_e32 v18, 3, v18
	ds_write_b64 v18, v[20:21]
	s_or_b64 exec, exec, s[20:21]
	s_and_saveexec_b64 s[18:19], s[16:17]
	s_cbranch_execz .LBB540_146
.LBB540_189:
	v_sub_u32_e32 v18, v42, v24
	v_lshlrev_b32_e32 v18, 3, v18
	ds_write_b64 v18, v[14:15]
	s_or_b64 exec, exec, s[18:19]
	s_and_saveexec_b64 s[16:17], s[14:15]
	s_cbranch_execz .LBB540_147
.LBB540_190:
	v_sub_u32_e32 v14, v40, v24
	v_lshlrev_b32_e32 v14, 3, v14
	ds_write_b64 v14, v[16:17]
	s_or_b64 exec, exec, s[16:17]
	s_and_saveexec_b64 s[14:15], s[12:13]
	s_cbranch_execz .LBB540_148
.LBB540_191:
	v_sub_u32_e32 v14, v38, v24
	v_lshlrev_b32_e32 v14, 3, v14
	ds_write_b64 v14, v[10:11]
	s_or_b64 exec, exec, s[14:15]
	s_and_saveexec_b64 s[12:13], s[10:11]
	s_cbranch_execz .LBB540_149
.LBB540_192:
	v_sub_u32_e32 v10, v36, v24
	v_lshlrev_b32_e32 v10, 3, v10
	ds_write_b64 v10, v[12:13]
	s_or_b64 exec, exec, s[12:13]
	s_and_saveexec_b64 s[10:11], s[8:9]
	s_cbranch_execz .LBB540_150
.LBB540_193:
	v_sub_u32_e32 v10, v34, v24
	v_lshlrev_b32_e32 v10, 3, v10
	ds_write_b64 v10, v[2:3]
	s_or_b64 exec, exec, s[10:11]
	s_and_saveexec_b64 s[8:9], s[6:7]
	s_cbranch_execz .LBB540_151
.LBB540_194:
	v_sub_u32_e32 v2, v32, v24
	v_lshlrev_b32_e32 v2, 3, v2
	ds_write_b64 v2, v[4:5]
	s_or_b64 exec, exec, s[8:9]
	s_and_saveexec_b64 s[6:7], s[4:5]
	s_cbranch_execnz .LBB540_152
	s_branch .LBB540_153
.LBB540_195:
	v_sub_u32_e32 v8, v46, v2
	v_mov_b32_e32 v9, 0
	v_lshlrev_b64 v[10:11], 3, v[8:9]
	v_add_co_u32_e32 v10, vcc, v6, v10
	v_addc_co_u32_e32 v11, vcc, v7, v11, vcc
	v_mov_b32_e32 v8, v47
	global_store_dwordx2 v[10:11], v[8:9], off
	s_or_b64 exec, exec, s[24:25]
	s_and_saveexec_b64 s[24:25], s[16:17]
	s_cbranch_execz .LBB540_157
.LBB540_196:
	v_sub_u32_e32 v8, v44, v2
	v_mov_b32_e32 v9, 0
	v_lshlrev_b64 v[10:11], 3, v[8:9]
	v_add_co_u32_e32 v10, vcc, v6, v10
	v_addc_co_u32_e32 v11, vcc, v7, v11, vcc
	v_mov_b32_e32 v8, v45
	global_store_dwordx2 v[10:11], v[8:9], off
	s_or_b64 exec, exec, s[24:25]
	s_and_saveexec_b64 s[24:25], s[14:15]
	s_cbranch_execz .LBB540_158
.LBB540_197:
	v_sub_u32_e32 v8, v42, v2
	v_mov_b32_e32 v9, 0
	v_lshlrev_b64 v[10:11], 3, v[8:9]
	v_add_co_u32_e32 v10, vcc, v6, v10
	v_addc_co_u32_e32 v11, vcc, v7, v11, vcc
	v_mov_b32_e32 v8, v43
	global_store_dwordx2 v[10:11], v[8:9], off
	s_or_b64 exec, exec, s[24:25]
	s_and_saveexec_b64 s[24:25], s[12:13]
	s_cbranch_execz .LBB540_159
.LBB540_198:
	v_sub_u32_e32 v8, v40, v2
	v_mov_b32_e32 v9, 0
	v_lshlrev_b64 v[10:11], 3, v[8:9]
	v_add_co_u32_e32 v10, vcc, v6, v10
	v_addc_co_u32_e32 v11, vcc, v7, v11, vcc
	v_mov_b32_e32 v8, v41
	global_store_dwordx2 v[10:11], v[8:9], off
	s_or_b64 exec, exec, s[24:25]
	s_and_saveexec_b64 s[24:25], s[10:11]
	s_cbranch_execz .LBB540_160
.LBB540_199:
	v_sub_u32_e32 v8, v38, v2
	v_mov_b32_e32 v9, 0
	v_lshlrev_b64 v[10:11], 3, v[8:9]
	v_add_co_u32_e32 v10, vcc, v6, v10
	v_addc_co_u32_e32 v11, vcc, v7, v11, vcc
	v_mov_b32_e32 v8, v39
	global_store_dwordx2 v[10:11], v[8:9], off
	s_or_b64 exec, exec, s[24:25]
	s_and_saveexec_b64 s[24:25], s[8:9]
	s_cbranch_execz .LBB540_161
.LBB540_200:
	v_sub_u32_e32 v8, v36, v2
	v_mov_b32_e32 v9, 0
	v_lshlrev_b64 v[10:11], 3, v[8:9]
	v_add_co_u32_e32 v10, vcc, v6, v10
	v_addc_co_u32_e32 v11, vcc, v7, v11, vcc
	v_mov_b32_e32 v8, v37
	global_store_dwordx2 v[10:11], v[8:9], off
	s_or_b64 exec, exec, s[24:25]
	s_and_saveexec_b64 s[24:25], s[6:7]
	s_cbranch_execz .LBB540_162
.LBB540_201:
	v_sub_u32_e32 v8, v34, v2
	v_mov_b32_e32 v9, 0
	v_lshlrev_b64 v[10:11], 3, v[8:9]
	v_add_co_u32_e32 v10, vcc, v6, v10
	v_addc_co_u32_e32 v11, vcc, v7, v11, vcc
	v_mov_b32_e32 v8, v35
	global_store_dwordx2 v[10:11], v[8:9], off
	s_or_b64 exec, exec, s[24:25]
	s_and_saveexec_b64 s[24:25], s[4:5]
	s_cbranch_execz .LBB540_163
.LBB540_202:
	v_sub_u32_e32 v8, v32, v2
	v_mov_b32_e32 v9, 0
	v_lshlrev_b64 v[10:11], 3, v[8:9]
	v_add_co_u32_e32 v10, vcc, v6, v10
	v_addc_co_u32_e32 v11, vcc, v7, v11, vcc
	v_mov_b32_e32 v8, v33
	global_store_dwordx2 v[10:11], v[8:9], off
	s_or_b64 exec, exec, s[24:25]
	s_and_saveexec_b64 s[24:25], s[2:3]
	s_cbranch_execnz .LBB540_164
	s_branch .LBB540_165
.LBB540_203:
	v_sub_u32_e32 v3, v46, v2
	v_lshlrev_b32_e32 v3, 2, v3
	ds_write_b32 v3, v47
	s_or_b64 exec, exec, s[24:25]
	s_and_saveexec_b64 s[18:19], s[16:17]
	s_cbranch_execz .LBB540_169
.LBB540_204:
	v_sub_u32_e32 v3, v44, v2
	v_lshlrev_b32_e32 v3, 2, v3
	ds_write_b32 v3, v45
	s_or_b64 exec, exec, s[18:19]
	s_and_saveexec_b64 s[16:17], s[14:15]
	s_cbranch_execz .LBB540_170
.LBB540_205:
	v_sub_u32_e32 v3, v42, v2
	v_lshlrev_b32_e32 v3, 2, v3
	ds_write_b32 v3, v43
	s_or_b64 exec, exec, s[16:17]
	s_and_saveexec_b64 s[14:15], s[12:13]
	s_cbranch_execz .LBB540_171
.LBB540_206:
	v_sub_u32_e32 v3, v40, v2
	v_lshlrev_b32_e32 v3, 2, v3
	ds_write_b32 v3, v41
	s_or_b64 exec, exec, s[14:15]
	s_and_saveexec_b64 s[12:13], s[10:11]
	s_cbranch_execz .LBB540_172
.LBB540_207:
	v_sub_u32_e32 v3, v38, v2
	v_lshlrev_b32_e32 v3, 2, v3
	ds_write_b32 v3, v39
	s_or_b64 exec, exec, s[12:13]
	s_and_saveexec_b64 s[10:11], s[8:9]
	s_cbranch_execz .LBB540_173
.LBB540_208:
	v_sub_u32_e32 v3, v36, v2
	v_lshlrev_b32_e32 v3, 2, v3
	ds_write_b32 v3, v37
	s_or_b64 exec, exec, s[10:11]
	s_and_saveexec_b64 s[8:9], s[6:7]
	s_cbranch_execz .LBB540_174
.LBB540_209:
	v_sub_u32_e32 v3, v34, v2
	v_lshlrev_b32_e32 v3, 2, v3
	ds_write_b32 v3, v35
	s_or_b64 exec, exec, s[8:9]
	s_and_saveexec_b64 s[6:7], s[4:5]
	s_cbranch_execz .LBB540_175
.LBB540_210:
	v_sub_u32_e32 v3, v32, v2
	v_lshlrev_b32_e32 v3, 2, v3
	ds_write_b32 v3, v33
	s_or_b64 exec, exec, s[6:7]
	s_and_saveexec_b64 s[4:5], s[2:3]
	s_cbranch_execnz .LBB540_176
	s_branch .LBB540_177
	.section	.rodata,"a",@progbits
	.p2align	6, 0x0
	.amdhsa_kernel _ZN7rocprim17ROCPRIM_400000_NS6detail17trampoline_kernelINS0_14default_configENS1_33run_length_encode_config_selectorIljNS0_4plusIjEEEEZZNS1_33reduce_by_key_impl_wrapped_configILNS1_25lookback_scan_determinismE0ES3_S7_PKlNS0_17constant_iteratorIjlEEPlSE_SE_S6_NS0_8equal_toIlEEEE10hipError_tPvRmT2_T3_mT4_T5_T6_T7_T8_P12ihipStream_tbENKUlT_T0_E_clISt17integral_constantIbLb0EESX_IbLb1EEEEDaST_SU_EUlST_E_NS1_11comp_targetILNS1_3genE4ELNS1_11target_archE910ELNS1_3gpuE8ELNS1_3repE0EEENS1_30default_config_static_selectorELNS0_4arch9wavefront6targetE1EEEvT1_
		.amdhsa_group_segment_fixed_size 20480
		.amdhsa_private_segment_fixed_size 0
		.amdhsa_kernarg_size 128
		.amdhsa_user_sgpr_count 6
		.amdhsa_user_sgpr_private_segment_buffer 1
		.amdhsa_user_sgpr_dispatch_ptr 0
		.amdhsa_user_sgpr_queue_ptr 0
		.amdhsa_user_sgpr_kernarg_segment_ptr 1
		.amdhsa_user_sgpr_dispatch_id 0
		.amdhsa_user_sgpr_flat_scratch_init 0
		.amdhsa_user_sgpr_kernarg_preload_length 0
		.amdhsa_user_sgpr_kernarg_preload_offset 0
		.amdhsa_user_sgpr_private_segment_size 0
		.amdhsa_uses_dynamic_stack 0
		.amdhsa_system_sgpr_private_segment_wavefront_offset 0
		.amdhsa_system_sgpr_workgroup_id_x 1
		.amdhsa_system_sgpr_workgroup_id_y 0
		.amdhsa_system_sgpr_workgroup_id_z 0
		.amdhsa_system_sgpr_workgroup_info 0
		.amdhsa_system_vgpr_workitem_id 0
		.amdhsa_next_free_vgpr 68
		.amdhsa_next_free_sgpr 56
		.amdhsa_accum_offset 68
		.amdhsa_reserve_vcc 1
		.amdhsa_reserve_flat_scratch 0
		.amdhsa_float_round_mode_32 0
		.amdhsa_float_round_mode_16_64 0
		.amdhsa_float_denorm_mode_32 3
		.amdhsa_float_denorm_mode_16_64 3
		.amdhsa_dx10_clamp 1
		.amdhsa_ieee_mode 1
		.amdhsa_fp16_overflow 0
		.amdhsa_tg_split 0
		.amdhsa_exception_fp_ieee_invalid_op 0
		.amdhsa_exception_fp_denorm_src 0
		.amdhsa_exception_fp_ieee_div_zero 0
		.amdhsa_exception_fp_ieee_overflow 0
		.amdhsa_exception_fp_ieee_underflow 0
		.amdhsa_exception_fp_ieee_inexact 0
		.amdhsa_exception_int_div_zero 0
	.end_amdhsa_kernel
	.section	.text._ZN7rocprim17ROCPRIM_400000_NS6detail17trampoline_kernelINS0_14default_configENS1_33run_length_encode_config_selectorIljNS0_4plusIjEEEEZZNS1_33reduce_by_key_impl_wrapped_configILNS1_25lookback_scan_determinismE0ES3_S7_PKlNS0_17constant_iteratorIjlEEPlSE_SE_S6_NS0_8equal_toIlEEEE10hipError_tPvRmT2_T3_mT4_T5_T6_T7_T8_P12ihipStream_tbENKUlT_T0_E_clISt17integral_constantIbLb0EESX_IbLb1EEEEDaST_SU_EUlST_E_NS1_11comp_targetILNS1_3genE4ELNS1_11target_archE910ELNS1_3gpuE8ELNS1_3repE0EEENS1_30default_config_static_selectorELNS0_4arch9wavefront6targetE1EEEvT1_,"axG",@progbits,_ZN7rocprim17ROCPRIM_400000_NS6detail17trampoline_kernelINS0_14default_configENS1_33run_length_encode_config_selectorIljNS0_4plusIjEEEEZZNS1_33reduce_by_key_impl_wrapped_configILNS1_25lookback_scan_determinismE0ES3_S7_PKlNS0_17constant_iteratorIjlEEPlSE_SE_S6_NS0_8equal_toIlEEEE10hipError_tPvRmT2_T3_mT4_T5_T6_T7_T8_P12ihipStream_tbENKUlT_T0_E_clISt17integral_constantIbLb0EESX_IbLb1EEEEDaST_SU_EUlST_E_NS1_11comp_targetILNS1_3genE4ELNS1_11target_archE910ELNS1_3gpuE8ELNS1_3repE0EEENS1_30default_config_static_selectorELNS0_4arch9wavefront6targetE1EEEvT1_,comdat
.Lfunc_end540:
	.size	_ZN7rocprim17ROCPRIM_400000_NS6detail17trampoline_kernelINS0_14default_configENS1_33run_length_encode_config_selectorIljNS0_4plusIjEEEEZZNS1_33reduce_by_key_impl_wrapped_configILNS1_25lookback_scan_determinismE0ES3_S7_PKlNS0_17constant_iteratorIjlEEPlSE_SE_S6_NS0_8equal_toIlEEEE10hipError_tPvRmT2_T3_mT4_T5_T6_T7_T8_P12ihipStream_tbENKUlT_T0_E_clISt17integral_constantIbLb0EESX_IbLb1EEEEDaST_SU_EUlST_E_NS1_11comp_targetILNS1_3genE4ELNS1_11target_archE910ELNS1_3gpuE8ELNS1_3repE0EEENS1_30default_config_static_selectorELNS0_4arch9wavefront6targetE1EEEvT1_, .Lfunc_end540-_ZN7rocprim17ROCPRIM_400000_NS6detail17trampoline_kernelINS0_14default_configENS1_33run_length_encode_config_selectorIljNS0_4plusIjEEEEZZNS1_33reduce_by_key_impl_wrapped_configILNS1_25lookback_scan_determinismE0ES3_S7_PKlNS0_17constant_iteratorIjlEEPlSE_SE_S6_NS0_8equal_toIlEEEE10hipError_tPvRmT2_T3_mT4_T5_T6_T7_T8_P12ihipStream_tbENKUlT_T0_E_clISt17integral_constantIbLb0EESX_IbLb1EEEEDaST_SU_EUlST_E_NS1_11comp_targetILNS1_3genE4ELNS1_11target_archE910ELNS1_3gpuE8ELNS1_3repE0EEENS1_30default_config_static_selectorELNS0_4arch9wavefront6targetE1EEEvT1_
                                        ; -- End function
	.section	.AMDGPU.csdata,"",@progbits
; Kernel info:
; codeLenInByte = 11096
; NumSgprs: 60
; NumVgprs: 68
; NumAgprs: 0
; TotalNumVgprs: 68
; ScratchSize: 0
; MemoryBound: 0
; FloatMode: 240
; IeeeMode: 1
; LDSByteSize: 20480 bytes/workgroup (compile time only)
; SGPRBlocks: 7
; VGPRBlocks: 8
; NumSGPRsForWavesPerEU: 60
; NumVGPRsForWavesPerEU: 68
; AccumOffset: 68
; Occupancy: 3
; WaveLimiterHint : 1
; COMPUTE_PGM_RSRC2:SCRATCH_EN: 0
; COMPUTE_PGM_RSRC2:USER_SGPR: 6
; COMPUTE_PGM_RSRC2:TRAP_HANDLER: 0
; COMPUTE_PGM_RSRC2:TGID_X_EN: 1
; COMPUTE_PGM_RSRC2:TGID_Y_EN: 0
; COMPUTE_PGM_RSRC2:TGID_Z_EN: 0
; COMPUTE_PGM_RSRC2:TIDIG_COMP_CNT: 0
; COMPUTE_PGM_RSRC3_GFX90A:ACCUM_OFFSET: 16
; COMPUTE_PGM_RSRC3_GFX90A:TG_SPLIT: 0
	.section	.text._ZN7rocprim17ROCPRIM_400000_NS6detail17trampoline_kernelINS0_14default_configENS1_33run_length_encode_config_selectorIljNS0_4plusIjEEEEZZNS1_33reduce_by_key_impl_wrapped_configILNS1_25lookback_scan_determinismE0ES3_S7_PKlNS0_17constant_iteratorIjlEEPlSE_SE_S6_NS0_8equal_toIlEEEE10hipError_tPvRmT2_T3_mT4_T5_T6_T7_T8_P12ihipStream_tbENKUlT_T0_E_clISt17integral_constantIbLb0EESX_IbLb1EEEEDaST_SU_EUlST_E_NS1_11comp_targetILNS1_3genE3ELNS1_11target_archE908ELNS1_3gpuE7ELNS1_3repE0EEENS1_30default_config_static_selectorELNS0_4arch9wavefront6targetE1EEEvT1_,"axG",@progbits,_ZN7rocprim17ROCPRIM_400000_NS6detail17trampoline_kernelINS0_14default_configENS1_33run_length_encode_config_selectorIljNS0_4plusIjEEEEZZNS1_33reduce_by_key_impl_wrapped_configILNS1_25lookback_scan_determinismE0ES3_S7_PKlNS0_17constant_iteratorIjlEEPlSE_SE_S6_NS0_8equal_toIlEEEE10hipError_tPvRmT2_T3_mT4_T5_T6_T7_T8_P12ihipStream_tbENKUlT_T0_E_clISt17integral_constantIbLb0EESX_IbLb1EEEEDaST_SU_EUlST_E_NS1_11comp_targetILNS1_3genE3ELNS1_11target_archE908ELNS1_3gpuE7ELNS1_3repE0EEENS1_30default_config_static_selectorELNS0_4arch9wavefront6targetE1EEEvT1_,comdat
	.protected	_ZN7rocprim17ROCPRIM_400000_NS6detail17trampoline_kernelINS0_14default_configENS1_33run_length_encode_config_selectorIljNS0_4plusIjEEEEZZNS1_33reduce_by_key_impl_wrapped_configILNS1_25lookback_scan_determinismE0ES3_S7_PKlNS0_17constant_iteratorIjlEEPlSE_SE_S6_NS0_8equal_toIlEEEE10hipError_tPvRmT2_T3_mT4_T5_T6_T7_T8_P12ihipStream_tbENKUlT_T0_E_clISt17integral_constantIbLb0EESX_IbLb1EEEEDaST_SU_EUlST_E_NS1_11comp_targetILNS1_3genE3ELNS1_11target_archE908ELNS1_3gpuE7ELNS1_3repE0EEENS1_30default_config_static_selectorELNS0_4arch9wavefront6targetE1EEEvT1_ ; -- Begin function _ZN7rocprim17ROCPRIM_400000_NS6detail17trampoline_kernelINS0_14default_configENS1_33run_length_encode_config_selectorIljNS0_4plusIjEEEEZZNS1_33reduce_by_key_impl_wrapped_configILNS1_25lookback_scan_determinismE0ES3_S7_PKlNS0_17constant_iteratorIjlEEPlSE_SE_S6_NS0_8equal_toIlEEEE10hipError_tPvRmT2_T3_mT4_T5_T6_T7_T8_P12ihipStream_tbENKUlT_T0_E_clISt17integral_constantIbLb0EESX_IbLb1EEEEDaST_SU_EUlST_E_NS1_11comp_targetILNS1_3genE3ELNS1_11target_archE908ELNS1_3gpuE7ELNS1_3repE0EEENS1_30default_config_static_selectorELNS0_4arch9wavefront6targetE1EEEvT1_
	.globl	_ZN7rocprim17ROCPRIM_400000_NS6detail17trampoline_kernelINS0_14default_configENS1_33run_length_encode_config_selectorIljNS0_4plusIjEEEEZZNS1_33reduce_by_key_impl_wrapped_configILNS1_25lookback_scan_determinismE0ES3_S7_PKlNS0_17constant_iteratorIjlEEPlSE_SE_S6_NS0_8equal_toIlEEEE10hipError_tPvRmT2_T3_mT4_T5_T6_T7_T8_P12ihipStream_tbENKUlT_T0_E_clISt17integral_constantIbLb0EESX_IbLb1EEEEDaST_SU_EUlST_E_NS1_11comp_targetILNS1_3genE3ELNS1_11target_archE908ELNS1_3gpuE7ELNS1_3repE0EEENS1_30default_config_static_selectorELNS0_4arch9wavefront6targetE1EEEvT1_
	.p2align	8
	.type	_ZN7rocprim17ROCPRIM_400000_NS6detail17trampoline_kernelINS0_14default_configENS1_33run_length_encode_config_selectorIljNS0_4plusIjEEEEZZNS1_33reduce_by_key_impl_wrapped_configILNS1_25lookback_scan_determinismE0ES3_S7_PKlNS0_17constant_iteratorIjlEEPlSE_SE_S6_NS0_8equal_toIlEEEE10hipError_tPvRmT2_T3_mT4_T5_T6_T7_T8_P12ihipStream_tbENKUlT_T0_E_clISt17integral_constantIbLb0EESX_IbLb1EEEEDaST_SU_EUlST_E_NS1_11comp_targetILNS1_3genE3ELNS1_11target_archE908ELNS1_3gpuE7ELNS1_3repE0EEENS1_30default_config_static_selectorELNS0_4arch9wavefront6targetE1EEEvT1_,@function
_ZN7rocprim17ROCPRIM_400000_NS6detail17trampoline_kernelINS0_14default_configENS1_33run_length_encode_config_selectorIljNS0_4plusIjEEEEZZNS1_33reduce_by_key_impl_wrapped_configILNS1_25lookback_scan_determinismE0ES3_S7_PKlNS0_17constant_iteratorIjlEEPlSE_SE_S6_NS0_8equal_toIlEEEE10hipError_tPvRmT2_T3_mT4_T5_T6_T7_T8_P12ihipStream_tbENKUlT_T0_E_clISt17integral_constantIbLb0EESX_IbLb1EEEEDaST_SU_EUlST_E_NS1_11comp_targetILNS1_3genE3ELNS1_11target_archE908ELNS1_3gpuE7ELNS1_3repE0EEENS1_30default_config_static_selectorELNS0_4arch9wavefront6targetE1EEEvT1_: ; @_ZN7rocprim17ROCPRIM_400000_NS6detail17trampoline_kernelINS0_14default_configENS1_33run_length_encode_config_selectorIljNS0_4plusIjEEEEZZNS1_33reduce_by_key_impl_wrapped_configILNS1_25lookback_scan_determinismE0ES3_S7_PKlNS0_17constant_iteratorIjlEEPlSE_SE_S6_NS0_8equal_toIlEEEE10hipError_tPvRmT2_T3_mT4_T5_T6_T7_T8_P12ihipStream_tbENKUlT_T0_E_clISt17integral_constantIbLb0EESX_IbLb1EEEEDaST_SU_EUlST_E_NS1_11comp_targetILNS1_3genE3ELNS1_11target_archE908ELNS1_3gpuE7ELNS1_3repE0EEENS1_30default_config_static_selectorELNS0_4arch9wavefront6targetE1EEEvT1_
; %bb.0:
	.section	.rodata,"a",@progbits
	.p2align	6, 0x0
	.amdhsa_kernel _ZN7rocprim17ROCPRIM_400000_NS6detail17trampoline_kernelINS0_14default_configENS1_33run_length_encode_config_selectorIljNS0_4plusIjEEEEZZNS1_33reduce_by_key_impl_wrapped_configILNS1_25lookback_scan_determinismE0ES3_S7_PKlNS0_17constant_iteratorIjlEEPlSE_SE_S6_NS0_8equal_toIlEEEE10hipError_tPvRmT2_T3_mT4_T5_T6_T7_T8_P12ihipStream_tbENKUlT_T0_E_clISt17integral_constantIbLb0EESX_IbLb1EEEEDaST_SU_EUlST_E_NS1_11comp_targetILNS1_3genE3ELNS1_11target_archE908ELNS1_3gpuE7ELNS1_3repE0EEENS1_30default_config_static_selectorELNS0_4arch9wavefront6targetE1EEEvT1_
		.amdhsa_group_segment_fixed_size 0
		.amdhsa_private_segment_fixed_size 0
		.amdhsa_kernarg_size 128
		.amdhsa_user_sgpr_count 6
		.amdhsa_user_sgpr_private_segment_buffer 1
		.amdhsa_user_sgpr_dispatch_ptr 0
		.amdhsa_user_sgpr_queue_ptr 0
		.amdhsa_user_sgpr_kernarg_segment_ptr 1
		.amdhsa_user_sgpr_dispatch_id 0
		.amdhsa_user_sgpr_flat_scratch_init 0
		.amdhsa_user_sgpr_kernarg_preload_length 0
		.amdhsa_user_sgpr_kernarg_preload_offset 0
		.amdhsa_user_sgpr_private_segment_size 0
		.amdhsa_uses_dynamic_stack 0
		.amdhsa_system_sgpr_private_segment_wavefront_offset 0
		.amdhsa_system_sgpr_workgroup_id_x 1
		.amdhsa_system_sgpr_workgroup_id_y 0
		.amdhsa_system_sgpr_workgroup_id_z 0
		.amdhsa_system_sgpr_workgroup_info 0
		.amdhsa_system_vgpr_workitem_id 0
		.amdhsa_next_free_vgpr 1
		.amdhsa_next_free_sgpr 0
		.amdhsa_accum_offset 4
		.amdhsa_reserve_vcc 0
		.amdhsa_reserve_flat_scratch 0
		.amdhsa_float_round_mode_32 0
		.amdhsa_float_round_mode_16_64 0
		.amdhsa_float_denorm_mode_32 3
		.amdhsa_float_denorm_mode_16_64 3
		.amdhsa_dx10_clamp 1
		.amdhsa_ieee_mode 1
		.amdhsa_fp16_overflow 0
		.amdhsa_tg_split 0
		.amdhsa_exception_fp_ieee_invalid_op 0
		.amdhsa_exception_fp_denorm_src 0
		.amdhsa_exception_fp_ieee_div_zero 0
		.amdhsa_exception_fp_ieee_overflow 0
		.amdhsa_exception_fp_ieee_underflow 0
		.amdhsa_exception_fp_ieee_inexact 0
		.amdhsa_exception_int_div_zero 0
	.end_amdhsa_kernel
	.section	.text._ZN7rocprim17ROCPRIM_400000_NS6detail17trampoline_kernelINS0_14default_configENS1_33run_length_encode_config_selectorIljNS0_4plusIjEEEEZZNS1_33reduce_by_key_impl_wrapped_configILNS1_25lookback_scan_determinismE0ES3_S7_PKlNS0_17constant_iteratorIjlEEPlSE_SE_S6_NS0_8equal_toIlEEEE10hipError_tPvRmT2_T3_mT4_T5_T6_T7_T8_P12ihipStream_tbENKUlT_T0_E_clISt17integral_constantIbLb0EESX_IbLb1EEEEDaST_SU_EUlST_E_NS1_11comp_targetILNS1_3genE3ELNS1_11target_archE908ELNS1_3gpuE7ELNS1_3repE0EEENS1_30default_config_static_selectorELNS0_4arch9wavefront6targetE1EEEvT1_,"axG",@progbits,_ZN7rocprim17ROCPRIM_400000_NS6detail17trampoline_kernelINS0_14default_configENS1_33run_length_encode_config_selectorIljNS0_4plusIjEEEEZZNS1_33reduce_by_key_impl_wrapped_configILNS1_25lookback_scan_determinismE0ES3_S7_PKlNS0_17constant_iteratorIjlEEPlSE_SE_S6_NS0_8equal_toIlEEEE10hipError_tPvRmT2_T3_mT4_T5_T6_T7_T8_P12ihipStream_tbENKUlT_T0_E_clISt17integral_constantIbLb0EESX_IbLb1EEEEDaST_SU_EUlST_E_NS1_11comp_targetILNS1_3genE3ELNS1_11target_archE908ELNS1_3gpuE7ELNS1_3repE0EEENS1_30default_config_static_selectorELNS0_4arch9wavefront6targetE1EEEvT1_,comdat
.Lfunc_end541:
	.size	_ZN7rocprim17ROCPRIM_400000_NS6detail17trampoline_kernelINS0_14default_configENS1_33run_length_encode_config_selectorIljNS0_4plusIjEEEEZZNS1_33reduce_by_key_impl_wrapped_configILNS1_25lookback_scan_determinismE0ES3_S7_PKlNS0_17constant_iteratorIjlEEPlSE_SE_S6_NS0_8equal_toIlEEEE10hipError_tPvRmT2_T3_mT4_T5_T6_T7_T8_P12ihipStream_tbENKUlT_T0_E_clISt17integral_constantIbLb0EESX_IbLb1EEEEDaST_SU_EUlST_E_NS1_11comp_targetILNS1_3genE3ELNS1_11target_archE908ELNS1_3gpuE7ELNS1_3repE0EEENS1_30default_config_static_selectorELNS0_4arch9wavefront6targetE1EEEvT1_, .Lfunc_end541-_ZN7rocprim17ROCPRIM_400000_NS6detail17trampoline_kernelINS0_14default_configENS1_33run_length_encode_config_selectorIljNS0_4plusIjEEEEZZNS1_33reduce_by_key_impl_wrapped_configILNS1_25lookback_scan_determinismE0ES3_S7_PKlNS0_17constant_iteratorIjlEEPlSE_SE_S6_NS0_8equal_toIlEEEE10hipError_tPvRmT2_T3_mT4_T5_T6_T7_T8_P12ihipStream_tbENKUlT_T0_E_clISt17integral_constantIbLb0EESX_IbLb1EEEEDaST_SU_EUlST_E_NS1_11comp_targetILNS1_3genE3ELNS1_11target_archE908ELNS1_3gpuE7ELNS1_3repE0EEENS1_30default_config_static_selectorELNS0_4arch9wavefront6targetE1EEEvT1_
                                        ; -- End function
	.section	.AMDGPU.csdata,"",@progbits
; Kernel info:
; codeLenInByte = 0
; NumSgprs: 4
; NumVgprs: 0
; NumAgprs: 0
; TotalNumVgprs: 0
; ScratchSize: 0
; MemoryBound: 0
; FloatMode: 240
; IeeeMode: 1
; LDSByteSize: 0 bytes/workgroup (compile time only)
; SGPRBlocks: 0
; VGPRBlocks: 0
; NumSGPRsForWavesPerEU: 4
; NumVGPRsForWavesPerEU: 1
; AccumOffset: 4
; Occupancy: 8
; WaveLimiterHint : 0
; COMPUTE_PGM_RSRC2:SCRATCH_EN: 0
; COMPUTE_PGM_RSRC2:USER_SGPR: 6
; COMPUTE_PGM_RSRC2:TRAP_HANDLER: 0
; COMPUTE_PGM_RSRC2:TGID_X_EN: 1
; COMPUTE_PGM_RSRC2:TGID_Y_EN: 0
; COMPUTE_PGM_RSRC2:TGID_Z_EN: 0
; COMPUTE_PGM_RSRC2:TIDIG_COMP_CNT: 0
; COMPUTE_PGM_RSRC3_GFX90A:ACCUM_OFFSET: 0
; COMPUTE_PGM_RSRC3_GFX90A:TG_SPLIT: 0
	.section	.text._ZN7rocprim17ROCPRIM_400000_NS6detail17trampoline_kernelINS0_14default_configENS1_33run_length_encode_config_selectorIljNS0_4plusIjEEEEZZNS1_33reduce_by_key_impl_wrapped_configILNS1_25lookback_scan_determinismE0ES3_S7_PKlNS0_17constant_iteratorIjlEEPlSE_SE_S6_NS0_8equal_toIlEEEE10hipError_tPvRmT2_T3_mT4_T5_T6_T7_T8_P12ihipStream_tbENKUlT_T0_E_clISt17integral_constantIbLb0EESX_IbLb1EEEEDaST_SU_EUlST_E_NS1_11comp_targetILNS1_3genE2ELNS1_11target_archE906ELNS1_3gpuE6ELNS1_3repE0EEENS1_30default_config_static_selectorELNS0_4arch9wavefront6targetE1EEEvT1_,"axG",@progbits,_ZN7rocprim17ROCPRIM_400000_NS6detail17trampoline_kernelINS0_14default_configENS1_33run_length_encode_config_selectorIljNS0_4plusIjEEEEZZNS1_33reduce_by_key_impl_wrapped_configILNS1_25lookback_scan_determinismE0ES3_S7_PKlNS0_17constant_iteratorIjlEEPlSE_SE_S6_NS0_8equal_toIlEEEE10hipError_tPvRmT2_T3_mT4_T5_T6_T7_T8_P12ihipStream_tbENKUlT_T0_E_clISt17integral_constantIbLb0EESX_IbLb1EEEEDaST_SU_EUlST_E_NS1_11comp_targetILNS1_3genE2ELNS1_11target_archE906ELNS1_3gpuE6ELNS1_3repE0EEENS1_30default_config_static_selectorELNS0_4arch9wavefront6targetE1EEEvT1_,comdat
	.protected	_ZN7rocprim17ROCPRIM_400000_NS6detail17trampoline_kernelINS0_14default_configENS1_33run_length_encode_config_selectorIljNS0_4plusIjEEEEZZNS1_33reduce_by_key_impl_wrapped_configILNS1_25lookback_scan_determinismE0ES3_S7_PKlNS0_17constant_iteratorIjlEEPlSE_SE_S6_NS0_8equal_toIlEEEE10hipError_tPvRmT2_T3_mT4_T5_T6_T7_T8_P12ihipStream_tbENKUlT_T0_E_clISt17integral_constantIbLb0EESX_IbLb1EEEEDaST_SU_EUlST_E_NS1_11comp_targetILNS1_3genE2ELNS1_11target_archE906ELNS1_3gpuE6ELNS1_3repE0EEENS1_30default_config_static_selectorELNS0_4arch9wavefront6targetE1EEEvT1_ ; -- Begin function _ZN7rocprim17ROCPRIM_400000_NS6detail17trampoline_kernelINS0_14default_configENS1_33run_length_encode_config_selectorIljNS0_4plusIjEEEEZZNS1_33reduce_by_key_impl_wrapped_configILNS1_25lookback_scan_determinismE0ES3_S7_PKlNS0_17constant_iteratorIjlEEPlSE_SE_S6_NS0_8equal_toIlEEEE10hipError_tPvRmT2_T3_mT4_T5_T6_T7_T8_P12ihipStream_tbENKUlT_T0_E_clISt17integral_constantIbLb0EESX_IbLb1EEEEDaST_SU_EUlST_E_NS1_11comp_targetILNS1_3genE2ELNS1_11target_archE906ELNS1_3gpuE6ELNS1_3repE0EEENS1_30default_config_static_selectorELNS0_4arch9wavefront6targetE1EEEvT1_
	.globl	_ZN7rocprim17ROCPRIM_400000_NS6detail17trampoline_kernelINS0_14default_configENS1_33run_length_encode_config_selectorIljNS0_4plusIjEEEEZZNS1_33reduce_by_key_impl_wrapped_configILNS1_25lookback_scan_determinismE0ES3_S7_PKlNS0_17constant_iteratorIjlEEPlSE_SE_S6_NS0_8equal_toIlEEEE10hipError_tPvRmT2_T3_mT4_T5_T6_T7_T8_P12ihipStream_tbENKUlT_T0_E_clISt17integral_constantIbLb0EESX_IbLb1EEEEDaST_SU_EUlST_E_NS1_11comp_targetILNS1_3genE2ELNS1_11target_archE906ELNS1_3gpuE6ELNS1_3repE0EEENS1_30default_config_static_selectorELNS0_4arch9wavefront6targetE1EEEvT1_
	.p2align	8
	.type	_ZN7rocprim17ROCPRIM_400000_NS6detail17trampoline_kernelINS0_14default_configENS1_33run_length_encode_config_selectorIljNS0_4plusIjEEEEZZNS1_33reduce_by_key_impl_wrapped_configILNS1_25lookback_scan_determinismE0ES3_S7_PKlNS0_17constant_iteratorIjlEEPlSE_SE_S6_NS0_8equal_toIlEEEE10hipError_tPvRmT2_T3_mT4_T5_T6_T7_T8_P12ihipStream_tbENKUlT_T0_E_clISt17integral_constantIbLb0EESX_IbLb1EEEEDaST_SU_EUlST_E_NS1_11comp_targetILNS1_3genE2ELNS1_11target_archE906ELNS1_3gpuE6ELNS1_3repE0EEENS1_30default_config_static_selectorELNS0_4arch9wavefront6targetE1EEEvT1_,@function
_ZN7rocprim17ROCPRIM_400000_NS6detail17trampoline_kernelINS0_14default_configENS1_33run_length_encode_config_selectorIljNS0_4plusIjEEEEZZNS1_33reduce_by_key_impl_wrapped_configILNS1_25lookback_scan_determinismE0ES3_S7_PKlNS0_17constant_iteratorIjlEEPlSE_SE_S6_NS0_8equal_toIlEEEE10hipError_tPvRmT2_T3_mT4_T5_T6_T7_T8_P12ihipStream_tbENKUlT_T0_E_clISt17integral_constantIbLb0EESX_IbLb1EEEEDaST_SU_EUlST_E_NS1_11comp_targetILNS1_3genE2ELNS1_11target_archE906ELNS1_3gpuE6ELNS1_3repE0EEENS1_30default_config_static_selectorELNS0_4arch9wavefront6targetE1EEEvT1_: ; @_ZN7rocprim17ROCPRIM_400000_NS6detail17trampoline_kernelINS0_14default_configENS1_33run_length_encode_config_selectorIljNS0_4plusIjEEEEZZNS1_33reduce_by_key_impl_wrapped_configILNS1_25lookback_scan_determinismE0ES3_S7_PKlNS0_17constant_iteratorIjlEEPlSE_SE_S6_NS0_8equal_toIlEEEE10hipError_tPvRmT2_T3_mT4_T5_T6_T7_T8_P12ihipStream_tbENKUlT_T0_E_clISt17integral_constantIbLb0EESX_IbLb1EEEEDaST_SU_EUlST_E_NS1_11comp_targetILNS1_3genE2ELNS1_11target_archE906ELNS1_3gpuE6ELNS1_3repE0EEENS1_30default_config_static_selectorELNS0_4arch9wavefront6targetE1EEEvT1_
; %bb.0:
	.section	.rodata,"a",@progbits
	.p2align	6, 0x0
	.amdhsa_kernel _ZN7rocprim17ROCPRIM_400000_NS6detail17trampoline_kernelINS0_14default_configENS1_33run_length_encode_config_selectorIljNS0_4plusIjEEEEZZNS1_33reduce_by_key_impl_wrapped_configILNS1_25lookback_scan_determinismE0ES3_S7_PKlNS0_17constant_iteratorIjlEEPlSE_SE_S6_NS0_8equal_toIlEEEE10hipError_tPvRmT2_T3_mT4_T5_T6_T7_T8_P12ihipStream_tbENKUlT_T0_E_clISt17integral_constantIbLb0EESX_IbLb1EEEEDaST_SU_EUlST_E_NS1_11comp_targetILNS1_3genE2ELNS1_11target_archE906ELNS1_3gpuE6ELNS1_3repE0EEENS1_30default_config_static_selectorELNS0_4arch9wavefront6targetE1EEEvT1_
		.amdhsa_group_segment_fixed_size 0
		.amdhsa_private_segment_fixed_size 0
		.amdhsa_kernarg_size 128
		.amdhsa_user_sgpr_count 6
		.amdhsa_user_sgpr_private_segment_buffer 1
		.amdhsa_user_sgpr_dispatch_ptr 0
		.amdhsa_user_sgpr_queue_ptr 0
		.amdhsa_user_sgpr_kernarg_segment_ptr 1
		.amdhsa_user_sgpr_dispatch_id 0
		.amdhsa_user_sgpr_flat_scratch_init 0
		.amdhsa_user_sgpr_kernarg_preload_length 0
		.amdhsa_user_sgpr_kernarg_preload_offset 0
		.amdhsa_user_sgpr_private_segment_size 0
		.amdhsa_uses_dynamic_stack 0
		.amdhsa_system_sgpr_private_segment_wavefront_offset 0
		.amdhsa_system_sgpr_workgroup_id_x 1
		.amdhsa_system_sgpr_workgroup_id_y 0
		.amdhsa_system_sgpr_workgroup_id_z 0
		.amdhsa_system_sgpr_workgroup_info 0
		.amdhsa_system_vgpr_workitem_id 0
		.amdhsa_next_free_vgpr 1
		.amdhsa_next_free_sgpr 0
		.amdhsa_accum_offset 4
		.amdhsa_reserve_vcc 0
		.amdhsa_reserve_flat_scratch 0
		.amdhsa_float_round_mode_32 0
		.amdhsa_float_round_mode_16_64 0
		.amdhsa_float_denorm_mode_32 3
		.amdhsa_float_denorm_mode_16_64 3
		.amdhsa_dx10_clamp 1
		.amdhsa_ieee_mode 1
		.amdhsa_fp16_overflow 0
		.amdhsa_tg_split 0
		.amdhsa_exception_fp_ieee_invalid_op 0
		.amdhsa_exception_fp_denorm_src 0
		.amdhsa_exception_fp_ieee_div_zero 0
		.amdhsa_exception_fp_ieee_overflow 0
		.amdhsa_exception_fp_ieee_underflow 0
		.amdhsa_exception_fp_ieee_inexact 0
		.amdhsa_exception_int_div_zero 0
	.end_amdhsa_kernel
	.section	.text._ZN7rocprim17ROCPRIM_400000_NS6detail17trampoline_kernelINS0_14default_configENS1_33run_length_encode_config_selectorIljNS0_4plusIjEEEEZZNS1_33reduce_by_key_impl_wrapped_configILNS1_25lookback_scan_determinismE0ES3_S7_PKlNS0_17constant_iteratorIjlEEPlSE_SE_S6_NS0_8equal_toIlEEEE10hipError_tPvRmT2_T3_mT4_T5_T6_T7_T8_P12ihipStream_tbENKUlT_T0_E_clISt17integral_constantIbLb0EESX_IbLb1EEEEDaST_SU_EUlST_E_NS1_11comp_targetILNS1_3genE2ELNS1_11target_archE906ELNS1_3gpuE6ELNS1_3repE0EEENS1_30default_config_static_selectorELNS0_4arch9wavefront6targetE1EEEvT1_,"axG",@progbits,_ZN7rocprim17ROCPRIM_400000_NS6detail17trampoline_kernelINS0_14default_configENS1_33run_length_encode_config_selectorIljNS0_4plusIjEEEEZZNS1_33reduce_by_key_impl_wrapped_configILNS1_25lookback_scan_determinismE0ES3_S7_PKlNS0_17constant_iteratorIjlEEPlSE_SE_S6_NS0_8equal_toIlEEEE10hipError_tPvRmT2_T3_mT4_T5_T6_T7_T8_P12ihipStream_tbENKUlT_T0_E_clISt17integral_constantIbLb0EESX_IbLb1EEEEDaST_SU_EUlST_E_NS1_11comp_targetILNS1_3genE2ELNS1_11target_archE906ELNS1_3gpuE6ELNS1_3repE0EEENS1_30default_config_static_selectorELNS0_4arch9wavefront6targetE1EEEvT1_,comdat
.Lfunc_end542:
	.size	_ZN7rocprim17ROCPRIM_400000_NS6detail17trampoline_kernelINS0_14default_configENS1_33run_length_encode_config_selectorIljNS0_4plusIjEEEEZZNS1_33reduce_by_key_impl_wrapped_configILNS1_25lookback_scan_determinismE0ES3_S7_PKlNS0_17constant_iteratorIjlEEPlSE_SE_S6_NS0_8equal_toIlEEEE10hipError_tPvRmT2_T3_mT4_T5_T6_T7_T8_P12ihipStream_tbENKUlT_T0_E_clISt17integral_constantIbLb0EESX_IbLb1EEEEDaST_SU_EUlST_E_NS1_11comp_targetILNS1_3genE2ELNS1_11target_archE906ELNS1_3gpuE6ELNS1_3repE0EEENS1_30default_config_static_selectorELNS0_4arch9wavefront6targetE1EEEvT1_, .Lfunc_end542-_ZN7rocprim17ROCPRIM_400000_NS6detail17trampoline_kernelINS0_14default_configENS1_33run_length_encode_config_selectorIljNS0_4plusIjEEEEZZNS1_33reduce_by_key_impl_wrapped_configILNS1_25lookback_scan_determinismE0ES3_S7_PKlNS0_17constant_iteratorIjlEEPlSE_SE_S6_NS0_8equal_toIlEEEE10hipError_tPvRmT2_T3_mT4_T5_T6_T7_T8_P12ihipStream_tbENKUlT_T0_E_clISt17integral_constantIbLb0EESX_IbLb1EEEEDaST_SU_EUlST_E_NS1_11comp_targetILNS1_3genE2ELNS1_11target_archE906ELNS1_3gpuE6ELNS1_3repE0EEENS1_30default_config_static_selectorELNS0_4arch9wavefront6targetE1EEEvT1_
                                        ; -- End function
	.section	.AMDGPU.csdata,"",@progbits
; Kernel info:
; codeLenInByte = 0
; NumSgprs: 4
; NumVgprs: 0
; NumAgprs: 0
; TotalNumVgprs: 0
; ScratchSize: 0
; MemoryBound: 0
; FloatMode: 240
; IeeeMode: 1
; LDSByteSize: 0 bytes/workgroup (compile time only)
; SGPRBlocks: 0
; VGPRBlocks: 0
; NumSGPRsForWavesPerEU: 4
; NumVGPRsForWavesPerEU: 1
; AccumOffset: 4
; Occupancy: 8
; WaveLimiterHint : 0
; COMPUTE_PGM_RSRC2:SCRATCH_EN: 0
; COMPUTE_PGM_RSRC2:USER_SGPR: 6
; COMPUTE_PGM_RSRC2:TRAP_HANDLER: 0
; COMPUTE_PGM_RSRC2:TGID_X_EN: 1
; COMPUTE_PGM_RSRC2:TGID_Y_EN: 0
; COMPUTE_PGM_RSRC2:TGID_Z_EN: 0
; COMPUTE_PGM_RSRC2:TIDIG_COMP_CNT: 0
; COMPUTE_PGM_RSRC3_GFX90A:ACCUM_OFFSET: 0
; COMPUTE_PGM_RSRC3_GFX90A:TG_SPLIT: 0
	.section	.text._ZN7rocprim17ROCPRIM_400000_NS6detail17trampoline_kernelINS0_14default_configENS1_33run_length_encode_config_selectorIljNS0_4plusIjEEEEZZNS1_33reduce_by_key_impl_wrapped_configILNS1_25lookback_scan_determinismE0ES3_S7_PKlNS0_17constant_iteratorIjlEEPlSE_SE_S6_NS0_8equal_toIlEEEE10hipError_tPvRmT2_T3_mT4_T5_T6_T7_T8_P12ihipStream_tbENKUlT_T0_E_clISt17integral_constantIbLb0EESX_IbLb1EEEEDaST_SU_EUlST_E_NS1_11comp_targetILNS1_3genE10ELNS1_11target_archE1201ELNS1_3gpuE5ELNS1_3repE0EEENS1_30default_config_static_selectorELNS0_4arch9wavefront6targetE1EEEvT1_,"axG",@progbits,_ZN7rocprim17ROCPRIM_400000_NS6detail17trampoline_kernelINS0_14default_configENS1_33run_length_encode_config_selectorIljNS0_4plusIjEEEEZZNS1_33reduce_by_key_impl_wrapped_configILNS1_25lookback_scan_determinismE0ES3_S7_PKlNS0_17constant_iteratorIjlEEPlSE_SE_S6_NS0_8equal_toIlEEEE10hipError_tPvRmT2_T3_mT4_T5_T6_T7_T8_P12ihipStream_tbENKUlT_T0_E_clISt17integral_constantIbLb0EESX_IbLb1EEEEDaST_SU_EUlST_E_NS1_11comp_targetILNS1_3genE10ELNS1_11target_archE1201ELNS1_3gpuE5ELNS1_3repE0EEENS1_30default_config_static_selectorELNS0_4arch9wavefront6targetE1EEEvT1_,comdat
	.protected	_ZN7rocprim17ROCPRIM_400000_NS6detail17trampoline_kernelINS0_14default_configENS1_33run_length_encode_config_selectorIljNS0_4plusIjEEEEZZNS1_33reduce_by_key_impl_wrapped_configILNS1_25lookback_scan_determinismE0ES3_S7_PKlNS0_17constant_iteratorIjlEEPlSE_SE_S6_NS0_8equal_toIlEEEE10hipError_tPvRmT2_T3_mT4_T5_T6_T7_T8_P12ihipStream_tbENKUlT_T0_E_clISt17integral_constantIbLb0EESX_IbLb1EEEEDaST_SU_EUlST_E_NS1_11comp_targetILNS1_3genE10ELNS1_11target_archE1201ELNS1_3gpuE5ELNS1_3repE0EEENS1_30default_config_static_selectorELNS0_4arch9wavefront6targetE1EEEvT1_ ; -- Begin function _ZN7rocprim17ROCPRIM_400000_NS6detail17trampoline_kernelINS0_14default_configENS1_33run_length_encode_config_selectorIljNS0_4plusIjEEEEZZNS1_33reduce_by_key_impl_wrapped_configILNS1_25lookback_scan_determinismE0ES3_S7_PKlNS0_17constant_iteratorIjlEEPlSE_SE_S6_NS0_8equal_toIlEEEE10hipError_tPvRmT2_T3_mT4_T5_T6_T7_T8_P12ihipStream_tbENKUlT_T0_E_clISt17integral_constantIbLb0EESX_IbLb1EEEEDaST_SU_EUlST_E_NS1_11comp_targetILNS1_3genE10ELNS1_11target_archE1201ELNS1_3gpuE5ELNS1_3repE0EEENS1_30default_config_static_selectorELNS0_4arch9wavefront6targetE1EEEvT1_
	.globl	_ZN7rocprim17ROCPRIM_400000_NS6detail17trampoline_kernelINS0_14default_configENS1_33run_length_encode_config_selectorIljNS0_4plusIjEEEEZZNS1_33reduce_by_key_impl_wrapped_configILNS1_25lookback_scan_determinismE0ES3_S7_PKlNS0_17constant_iteratorIjlEEPlSE_SE_S6_NS0_8equal_toIlEEEE10hipError_tPvRmT2_T3_mT4_T5_T6_T7_T8_P12ihipStream_tbENKUlT_T0_E_clISt17integral_constantIbLb0EESX_IbLb1EEEEDaST_SU_EUlST_E_NS1_11comp_targetILNS1_3genE10ELNS1_11target_archE1201ELNS1_3gpuE5ELNS1_3repE0EEENS1_30default_config_static_selectorELNS0_4arch9wavefront6targetE1EEEvT1_
	.p2align	8
	.type	_ZN7rocprim17ROCPRIM_400000_NS6detail17trampoline_kernelINS0_14default_configENS1_33run_length_encode_config_selectorIljNS0_4plusIjEEEEZZNS1_33reduce_by_key_impl_wrapped_configILNS1_25lookback_scan_determinismE0ES3_S7_PKlNS0_17constant_iteratorIjlEEPlSE_SE_S6_NS0_8equal_toIlEEEE10hipError_tPvRmT2_T3_mT4_T5_T6_T7_T8_P12ihipStream_tbENKUlT_T0_E_clISt17integral_constantIbLb0EESX_IbLb1EEEEDaST_SU_EUlST_E_NS1_11comp_targetILNS1_3genE10ELNS1_11target_archE1201ELNS1_3gpuE5ELNS1_3repE0EEENS1_30default_config_static_selectorELNS0_4arch9wavefront6targetE1EEEvT1_,@function
_ZN7rocprim17ROCPRIM_400000_NS6detail17trampoline_kernelINS0_14default_configENS1_33run_length_encode_config_selectorIljNS0_4plusIjEEEEZZNS1_33reduce_by_key_impl_wrapped_configILNS1_25lookback_scan_determinismE0ES3_S7_PKlNS0_17constant_iteratorIjlEEPlSE_SE_S6_NS0_8equal_toIlEEEE10hipError_tPvRmT2_T3_mT4_T5_T6_T7_T8_P12ihipStream_tbENKUlT_T0_E_clISt17integral_constantIbLb0EESX_IbLb1EEEEDaST_SU_EUlST_E_NS1_11comp_targetILNS1_3genE10ELNS1_11target_archE1201ELNS1_3gpuE5ELNS1_3repE0EEENS1_30default_config_static_selectorELNS0_4arch9wavefront6targetE1EEEvT1_: ; @_ZN7rocprim17ROCPRIM_400000_NS6detail17trampoline_kernelINS0_14default_configENS1_33run_length_encode_config_selectorIljNS0_4plusIjEEEEZZNS1_33reduce_by_key_impl_wrapped_configILNS1_25lookback_scan_determinismE0ES3_S7_PKlNS0_17constant_iteratorIjlEEPlSE_SE_S6_NS0_8equal_toIlEEEE10hipError_tPvRmT2_T3_mT4_T5_T6_T7_T8_P12ihipStream_tbENKUlT_T0_E_clISt17integral_constantIbLb0EESX_IbLb1EEEEDaST_SU_EUlST_E_NS1_11comp_targetILNS1_3genE10ELNS1_11target_archE1201ELNS1_3gpuE5ELNS1_3repE0EEENS1_30default_config_static_selectorELNS0_4arch9wavefront6targetE1EEEvT1_
; %bb.0:
	.section	.rodata,"a",@progbits
	.p2align	6, 0x0
	.amdhsa_kernel _ZN7rocprim17ROCPRIM_400000_NS6detail17trampoline_kernelINS0_14default_configENS1_33run_length_encode_config_selectorIljNS0_4plusIjEEEEZZNS1_33reduce_by_key_impl_wrapped_configILNS1_25lookback_scan_determinismE0ES3_S7_PKlNS0_17constant_iteratorIjlEEPlSE_SE_S6_NS0_8equal_toIlEEEE10hipError_tPvRmT2_T3_mT4_T5_T6_T7_T8_P12ihipStream_tbENKUlT_T0_E_clISt17integral_constantIbLb0EESX_IbLb1EEEEDaST_SU_EUlST_E_NS1_11comp_targetILNS1_3genE10ELNS1_11target_archE1201ELNS1_3gpuE5ELNS1_3repE0EEENS1_30default_config_static_selectorELNS0_4arch9wavefront6targetE1EEEvT1_
		.amdhsa_group_segment_fixed_size 0
		.amdhsa_private_segment_fixed_size 0
		.amdhsa_kernarg_size 128
		.amdhsa_user_sgpr_count 6
		.amdhsa_user_sgpr_private_segment_buffer 1
		.amdhsa_user_sgpr_dispatch_ptr 0
		.amdhsa_user_sgpr_queue_ptr 0
		.amdhsa_user_sgpr_kernarg_segment_ptr 1
		.amdhsa_user_sgpr_dispatch_id 0
		.amdhsa_user_sgpr_flat_scratch_init 0
		.amdhsa_user_sgpr_kernarg_preload_length 0
		.amdhsa_user_sgpr_kernarg_preload_offset 0
		.amdhsa_user_sgpr_private_segment_size 0
		.amdhsa_uses_dynamic_stack 0
		.amdhsa_system_sgpr_private_segment_wavefront_offset 0
		.amdhsa_system_sgpr_workgroup_id_x 1
		.amdhsa_system_sgpr_workgroup_id_y 0
		.amdhsa_system_sgpr_workgroup_id_z 0
		.amdhsa_system_sgpr_workgroup_info 0
		.amdhsa_system_vgpr_workitem_id 0
		.amdhsa_next_free_vgpr 1
		.amdhsa_next_free_sgpr 0
		.amdhsa_accum_offset 4
		.amdhsa_reserve_vcc 0
		.amdhsa_reserve_flat_scratch 0
		.amdhsa_float_round_mode_32 0
		.amdhsa_float_round_mode_16_64 0
		.amdhsa_float_denorm_mode_32 3
		.amdhsa_float_denorm_mode_16_64 3
		.amdhsa_dx10_clamp 1
		.amdhsa_ieee_mode 1
		.amdhsa_fp16_overflow 0
		.amdhsa_tg_split 0
		.amdhsa_exception_fp_ieee_invalid_op 0
		.amdhsa_exception_fp_denorm_src 0
		.amdhsa_exception_fp_ieee_div_zero 0
		.amdhsa_exception_fp_ieee_overflow 0
		.amdhsa_exception_fp_ieee_underflow 0
		.amdhsa_exception_fp_ieee_inexact 0
		.amdhsa_exception_int_div_zero 0
	.end_amdhsa_kernel
	.section	.text._ZN7rocprim17ROCPRIM_400000_NS6detail17trampoline_kernelINS0_14default_configENS1_33run_length_encode_config_selectorIljNS0_4plusIjEEEEZZNS1_33reduce_by_key_impl_wrapped_configILNS1_25lookback_scan_determinismE0ES3_S7_PKlNS0_17constant_iteratorIjlEEPlSE_SE_S6_NS0_8equal_toIlEEEE10hipError_tPvRmT2_T3_mT4_T5_T6_T7_T8_P12ihipStream_tbENKUlT_T0_E_clISt17integral_constantIbLb0EESX_IbLb1EEEEDaST_SU_EUlST_E_NS1_11comp_targetILNS1_3genE10ELNS1_11target_archE1201ELNS1_3gpuE5ELNS1_3repE0EEENS1_30default_config_static_selectorELNS0_4arch9wavefront6targetE1EEEvT1_,"axG",@progbits,_ZN7rocprim17ROCPRIM_400000_NS6detail17trampoline_kernelINS0_14default_configENS1_33run_length_encode_config_selectorIljNS0_4plusIjEEEEZZNS1_33reduce_by_key_impl_wrapped_configILNS1_25lookback_scan_determinismE0ES3_S7_PKlNS0_17constant_iteratorIjlEEPlSE_SE_S6_NS0_8equal_toIlEEEE10hipError_tPvRmT2_T3_mT4_T5_T6_T7_T8_P12ihipStream_tbENKUlT_T0_E_clISt17integral_constantIbLb0EESX_IbLb1EEEEDaST_SU_EUlST_E_NS1_11comp_targetILNS1_3genE10ELNS1_11target_archE1201ELNS1_3gpuE5ELNS1_3repE0EEENS1_30default_config_static_selectorELNS0_4arch9wavefront6targetE1EEEvT1_,comdat
.Lfunc_end543:
	.size	_ZN7rocprim17ROCPRIM_400000_NS6detail17trampoline_kernelINS0_14default_configENS1_33run_length_encode_config_selectorIljNS0_4plusIjEEEEZZNS1_33reduce_by_key_impl_wrapped_configILNS1_25lookback_scan_determinismE0ES3_S7_PKlNS0_17constant_iteratorIjlEEPlSE_SE_S6_NS0_8equal_toIlEEEE10hipError_tPvRmT2_T3_mT4_T5_T6_T7_T8_P12ihipStream_tbENKUlT_T0_E_clISt17integral_constantIbLb0EESX_IbLb1EEEEDaST_SU_EUlST_E_NS1_11comp_targetILNS1_3genE10ELNS1_11target_archE1201ELNS1_3gpuE5ELNS1_3repE0EEENS1_30default_config_static_selectorELNS0_4arch9wavefront6targetE1EEEvT1_, .Lfunc_end543-_ZN7rocprim17ROCPRIM_400000_NS6detail17trampoline_kernelINS0_14default_configENS1_33run_length_encode_config_selectorIljNS0_4plusIjEEEEZZNS1_33reduce_by_key_impl_wrapped_configILNS1_25lookback_scan_determinismE0ES3_S7_PKlNS0_17constant_iteratorIjlEEPlSE_SE_S6_NS0_8equal_toIlEEEE10hipError_tPvRmT2_T3_mT4_T5_T6_T7_T8_P12ihipStream_tbENKUlT_T0_E_clISt17integral_constantIbLb0EESX_IbLb1EEEEDaST_SU_EUlST_E_NS1_11comp_targetILNS1_3genE10ELNS1_11target_archE1201ELNS1_3gpuE5ELNS1_3repE0EEENS1_30default_config_static_selectorELNS0_4arch9wavefront6targetE1EEEvT1_
                                        ; -- End function
	.section	.AMDGPU.csdata,"",@progbits
; Kernel info:
; codeLenInByte = 0
; NumSgprs: 4
; NumVgprs: 0
; NumAgprs: 0
; TotalNumVgprs: 0
; ScratchSize: 0
; MemoryBound: 0
; FloatMode: 240
; IeeeMode: 1
; LDSByteSize: 0 bytes/workgroup (compile time only)
; SGPRBlocks: 0
; VGPRBlocks: 0
; NumSGPRsForWavesPerEU: 4
; NumVGPRsForWavesPerEU: 1
; AccumOffset: 4
; Occupancy: 8
; WaveLimiterHint : 0
; COMPUTE_PGM_RSRC2:SCRATCH_EN: 0
; COMPUTE_PGM_RSRC2:USER_SGPR: 6
; COMPUTE_PGM_RSRC2:TRAP_HANDLER: 0
; COMPUTE_PGM_RSRC2:TGID_X_EN: 1
; COMPUTE_PGM_RSRC2:TGID_Y_EN: 0
; COMPUTE_PGM_RSRC2:TGID_Z_EN: 0
; COMPUTE_PGM_RSRC2:TIDIG_COMP_CNT: 0
; COMPUTE_PGM_RSRC3_GFX90A:ACCUM_OFFSET: 0
; COMPUTE_PGM_RSRC3_GFX90A:TG_SPLIT: 0
	.section	.text._ZN7rocprim17ROCPRIM_400000_NS6detail17trampoline_kernelINS0_14default_configENS1_33run_length_encode_config_selectorIljNS0_4plusIjEEEEZZNS1_33reduce_by_key_impl_wrapped_configILNS1_25lookback_scan_determinismE0ES3_S7_PKlNS0_17constant_iteratorIjlEEPlSE_SE_S6_NS0_8equal_toIlEEEE10hipError_tPvRmT2_T3_mT4_T5_T6_T7_T8_P12ihipStream_tbENKUlT_T0_E_clISt17integral_constantIbLb0EESX_IbLb1EEEEDaST_SU_EUlST_E_NS1_11comp_targetILNS1_3genE10ELNS1_11target_archE1200ELNS1_3gpuE4ELNS1_3repE0EEENS1_30default_config_static_selectorELNS0_4arch9wavefront6targetE1EEEvT1_,"axG",@progbits,_ZN7rocprim17ROCPRIM_400000_NS6detail17trampoline_kernelINS0_14default_configENS1_33run_length_encode_config_selectorIljNS0_4plusIjEEEEZZNS1_33reduce_by_key_impl_wrapped_configILNS1_25lookback_scan_determinismE0ES3_S7_PKlNS0_17constant_iteratorIjlEEPlSE_SE_S6_NS0_8equal_toIlEEEE10hipError_tPvRmT2_T3_mT4_T5_T6_T7_T8_P12ihipStream_tbENKUlT_T0_E_clISt17integral_constantIbLb0EESX_IbLb1EEEEDaST_SU_EUlST_E_NS1_11comp_targetILNS1_3genE10ELNS1_11target_archE1200ELNS1_3gpuE4ELNS1_3repE0EEENS1_30default_config_static_selectorELNS0_4arch9wavefront6targetE1EEEvT1_,comdat
	.protected	_ZN7rocprim17ROCPRIM_400000_NS6detail17trampoline_kernelINS0_14default_configENS1_33run_length_encode_config_selectorIljNS0_4plusIjEEEEZZNS1_33reduce_by_key_impl_wrapped_configILNS1_25lookback_scan_determinismE0ES3_S7_PKlNS0_17constant_iteratorIjlEEPlSE_SE_S6_NS0_8equal_toIlEEEE10hipError_tPvRmT2_T3_mT4_T5_T6_T7_T8_P12ihipStream_tbENKUlT_T0_E_clISt17integral_constantIbLb0EESX_IbLb1EEEEDaST_SU_EUlST_E_NS1_11comp_targetILNS1_3genE10ELNS1_11target_archE1200ELNS1_3gpuE4ELNS1_3repE0EEENS1_30default_config_static_selectorELNS0_4arch9wavefront6targetE1EEEvT1_ ; -- Begin function _ZN7rocprim17ROCPRIM_400000_NS6detail17trampoline_kernelINS0_14default_configENS1_33run_length_encode_config_selectorIljNS0_4plusIjEEEEZZNS1_33reduce_by_key_impl_wrapped_configILNS1_25lookback_scan_determinismE0ES3_S7_PKlNS0_17constant_iteratorIjlEEPlSE_SE_S6_NS0_8equal_toIlEEEE10hipError_tPvRmT2_T3_mT4_T5_T6_T7_T8_P12ihipStream_tbENKUlT_T0_E_clISt17integral_constantIbLb0EESX_IbLb1EEEEDaST_SU_EUlST_E_NS1_11comp_targetILNS1_3genE10ELNS1_11target_archE1200ELNS1_3gpuE4ELNS1_3repE0EEENS1_30default_config_static_selectorELNS0_4arch9wavefront6targetE1EEEvT1_
	.globl	_ZN7rocprim17ROCPRIM_400000_NS6detail17trampoline_kernelINS0_14default_configENS1_33run_length_encode_config_selectorIljNS0_4plusIjEEEEZZNS1_33reduce_by_key_impl_wrapped_configILNS1_25lookback_scan_determinismE0ES3_S7_PKlNS0_17constant_iteratorIjlEEPlSE_SE_S6_NS0_8equal_toIlEEEE10hipError_tPvRmT2_T3_mT4_T5_T6_T7_T8_P12ihipStream_tbENKUlT_T0_E_clISt17integral_constantIbLb0EESX_IbLb1EEEEDaST_SU_EUlST_E_NS1_11comp_targetILNS1_3genE10ELNS1_11target_archE1200ELNS1_3gpuE4ELNS1_3repE0EEENS1_30default_config_static_selectorELNS0_4arch9wavefront6targetE1EEEvT1_
	.p2align	8
	.type	_ZN7rocprim17ROCPRIM_400000_NS6detail17trampoline_kernelINS0_14default_configENS1_33run_length_encode_config_selectorIljNS0_4plusIjEEEEZZNS1_33reduce_by_key_impl_wrapped_configILNS1_25lookback_scan_determinismE0ES3_S7_PKlNS0_17constant_iteratorIjlEEPlSE_SE_S6_NS0_8equal_toIlEEEE10hipError_tPvRmT2_T3_mT4_T5_T6_T7_T8_P12ihipStream_tbENKUlT_T0_E_clISt17integral_constantIbLb0EESX_IbLb1EEEEDaST_SU_EUlST_E_NS1_11comp_targetILNS1_3genE10ELNS1_11target_archE1200ELNS1_3gpuE4ELNS1_3repE0EEENS1_30default_config_static_selectorELNS0_4arch9wavefront6targetE1EEEvT1_,@function
_ZN7rocprim17ROCPRIM_400000_NS6detail17trampoline_kernelINS0_14default_configENS1_33run_length_encode_config_selectorIljNS0_4plusIjEEEEZZNS1_33reduce_by_key_impl_wrapped_configILNS1_25lookback_scan_determinismE0ES3_S7_PKlNS0_17constant_iteratorIjlEEPlSE_SE_S6_NS0_8equal_toIlEEEE10hipError_tPvRmT2_T3_mT4_T5_T6_T7_T8_P12ihipStream_tbENKUlT_T0_E_clISt17integral_constantIbLb0EESX_IbLb1EEEEDaST_SU_EUlST_E_NS1_11comp_targetILNS1_3genE10ELNS1_11target_archE1200ELNS1_3gpuE4ELNS1_3repE0EEENS1_30default_config_static_selectorELNS0_4arch9wavefront6targetE1EEEvT1_: ; @_ZN7rocprim17ROCPRIM_400000_NS6detail17trampoline_kernelINS0_14default_configENS1_33run_length_encode_config_selectorIljNS0_4plusIjEEEEZZNS1_33reduce_by_key_impl_wrapped_configILNS1_25lookback_scan_determinismE0ES3_S7_PKlNS0_17constant_iteratorIjlEEPlSE_SE_S6_NS0_8equal_toIlEEEE10hipError_tPvRmT2_T3_mT4_T5_T6_T7_T8_P12ihipStream_tbENKUlT_T0_E_clISt17integral_constantIbLb0EESX_IbLb1EEEEDaST_SU_EUlST_E_NS1_11comp_targetILNS1_3genE10ELNS1_11target_archE1200ELNS1_3gpuE4ELNS1_3repE0EEENS1_30default_config_static_selectorELNS0_4arch9wavefront6targetE1EEEvT1_
; %bb.0:
	.section	.rodata,"a",@progbits
	.p2align	6, 0x0
	.amdhsa_kernel _ZN7rocprim17ROCPRIM_400000_NS6detail17trampoline_kernelINS0_14default_configENS1_33run_length_encode_config_selectorIljNS0_4plusIjEEEEZZNS1_33reduce_by_key_impl_wrapped_configILNS1_25lookback_scan_determinismE0ES3_S7_PKlNS0_17constant_iteratorIjlEEPlSE_SE_S6_NS0_8equal_toIlEEEE10hipError_tPvRmT2_T3_mT4_T5_T6_T7_T8_P12ihipStream_tbENKUlT_T0_E_clISt17integral_constantIbLb0EESX_IbLb1EEEEDaST_SU_EUlST_E_NS1_11comp_targetILNS1_3genE10ELNS1_11target_archE1200ELNS1_3gpuE4ELNS1_3repE0EEENS1_30default_config_static_selectorELNS0_4arch9wavefront6targetE1EEEvT1_
		.amdhsa_group_segment_fixed_size 0
		.amdhsa_private_segment_fixed_size 0
		.amdhsa_kernarg_size 128
		.amdhsa_user_sgpr_count 6
		.amdhsa_user_sgpr_private_segment_buffer 1
		.amdhsa_user_sgpr_dispatch_ptr 0
		.amdhsa_user_sgpr_queue_ptr 0
		.amdhsa_user_sgpr_kernarg_segment_ptr 1
		.amdhsa_user_sgpr_dispatch_id 0
		.amdhsa_user_sgpr_flat_scratch_init 0
		.amdhsa_user_sgpr_kernarg_preload_length 0
		.amdhsa_user_sgpr_kernarg_preload_offset 0
		.amdhsa_user_sgpr_private_segment_size 0
		.amdhsa_uses_dynamic_stack 0
		.amdhsa_system_sgpr_private_segment_wavefront_offset 0
		.amdhsa_system_sgpr_workgroup_id_x 1
		.amdhsa_system_sgpr_workgroup_id_y 0
		.amdhsa_system_sgpr_workgroup_id_z 0
		.amdhsa_system_sgpr_workgroup_info 0
		.amdhsa_system_vgpr_workitem_id 0
		.amdhsa_next_free_vgpr 1
		.amdhsa_next_free_sgpr 0
		.amdhsa_accum_offset 4
		.amdhsa_reserve_vcc 0
		.amdhsa_reserve_flat_scratch 0
		.amdhsa_float_round_mode_32 0
		.amdhsa_float_round_mode_16_64 0
		.amdhsa_float_denorm_mode_32 3
		.amdhsa_float_denorm_mode_16_64 3
		.amdhsa_dx10_clamp 1
		.amdhsa_ieee_mode 1
		.amdhsa_fp16_overflow 0
		.amdhsa_tg_split 0
		.amdhsa_exception_fp_ieee_invalid_op 0
		.amdhsa_exception_fp_denorm_src 0
		.amdhsa_exception_fp_ieee_div_zero 0
		.amdhsa_exception_fp_ieee_overflow 0
		.amdhsa_exception_fp_ieee_underflow 0
		.amdhsa_exception_fp_ieee_inexact 0
		.amdhsa_exception_int_div_zero 0
	.end_amdhsa_kernel
	.section	.text._ZN7rocprim17ROCPRIM_400000_NS6detail17trampoline_kernelINS0_14default_configENS1_33run_length_encode_config_selectorIljNS0_4plusIjEEEEZZNS1_33reduce_by_key_impl_wrapped_configILNS1_25lookback_scan_determinismE0ES3_S7_PKlNS0_17constant_iteratorIjlEEPlSE_SE_S6_NS0_8equal_toIlEEEE10hipError_tPvRmT2_T3_mT4_T5_T6_T7_T8_P12ihipStream_tbENKUlT_T0_E_clISt17integral_constantIbLb0EESX_IbLb1EEEEDaST_SU_EUlST_E_NS1_11comp_targetILNS1_3genE10ELNS1_11target_archE1200ELNS1_3gpuE4ELNS1_3repE0EEENS1_30default_config_static_selectorELNS0_4arch9wavefront6targetE1EEEvT1_,"axG",@progbits,_ZN7rocprim17ROCPRIM_400000_NS6detail17trampoline_kernelINS0_14default_configENS1_33run_length_encode_config_selectorIljNS0_4plusIjEEEEZZNS1_33reduce_by_key_impl_wrapped_configILNS1_25lookback_scan_determinismE0ES3_S7_PKlNS0_17constant_iteratorIjlEEPlSE_SE_S6_NS0_8equal_toIlEEEE10hipError_tPvRmT2_T3_mT4_T5_T6_T7_T8_P12ihipStream_tbENKUlT_T0_E_clISt17integral_constantIbLb0EESX_IbLb1EEEEDaST_SU_EUlST_E_NS1_11comp_targetILNS1_3genE10ELNS1_11target_archE1200ELNS1_3gpuE4ELNS1_3repE0EEENS1_30default_config_static_selectorELNS0_4arch9wavefront6targetE1EEEvT1_,comdat
.Lfunc_end544:
	.size	_ZN7rocprim17ROCPRIM_400000_NS6detail17trampoline_kernelINS0_14default_configENS1_33run_length_encode_config_selectorIljNS0_4plusIjEEEEZZNS1_33reduce_by_key_impl_wrapped_configILNS1_25lookback_scan_determinismE0ES3_S7_PKlNS0_17constant_iteratorIjlEEPlSE_SE_S6_NS0_8equal_toIlEEEE10hipError_tPvRmT2_T3_mT4_T5_T6_T7_T8_P12ihipStream_tbENKUlT_T0_E_clISt17integral_constantIbLb0EESX_IbLb1EEEEDaST_SU_EUlST_E_NS1_11comp_targetILNS1_3genE10ELNS1_11target_archE1200ELNS1_3gpuE4ELNS1_3repE0EEENS1_30default_config_static_selectorELNS0_4arch9wavefront6targetE1EEEvT1_, .Lfunc_end544-_ZN7rocprim17ROCPRIM_400000_NS6detail17trampoline_kernelINS0_14default_configENS1_33run_length_encode_config_selectorIljNS0_4plusIjEEEEZZNS1_33reduce_by_key_impl_wrapped_configILNS1_25lookback_scan_determinismE0ES3_S7_PKlNS0_17constant_iteratorIjlEEPlSE_SE_S6_NS0_8equal_toIlEEEE10hipError_tPvRmT2_T3_mT4_T5_T6_T7_T8_P12ihipStream_tbENKUlT_T0_E_clISt17integral_constantIbLb0EESX_IbLb1EEEEDaST_SU_EUlST_E_NS1_11comp_targetILNS1_3genE10ELNS1_11target_archE1200ELNS1_3gpuE4ELNS1_3repE0EEENS1_30default_config_static_selectorELNS0_4arch9wavefront6targetE1EEEvT1_
                                        ; -- End function
	.section	.AMDGPU.csdata,"",@progbits
; Kernel info:
; codeLenInByte = 0
; NumSgprs: 4
; NumVgprs: 0
; NumAgprs: 0
; TotalNumVgprs: 0
; ScratchSize: 0
; MemoryBound: 0
; FloatMode: 240
; IeeeMode: 1
; LDSByteSize: 0 bytes/workgroup (compile time only)
; SGPRBlocks: 0
; VGPRBlocks: 0
; NumSGPRsForWavesPerEU: 4
; NumVGPRsForWavesPerEU: 1
; AccumOffset: 4
; Occupancy: 8
; WaveLimiterHint : 0
; COMPUTE_PGM_RSRC2:SCRATCH_EN: 0
; COMPUTE_PGM_RSRC2:USER_SGPR: 6
; COMPUTE_PGM_RSRC2:TRAP_HANDLER: 0
; COMPUTE_PGM_RSRC2:TGID_X_EN: 1
; COMPUTE_PGM_RSRC2:TGID_Y_EN: 0
; COMPUTE_PGM_RSRC2:TGID_Z_EN: 0
; COMPUTE_PGM_RSRC2:TIDIG_COMP_CNT: 0
; COMPUTE_PGM_RSRC3_GFX90A:ACCUM_OFFSET: 0
; COMPUTE_PGM_RSRC3_GFX90A:TG_SPLIT: 0
	.section	.text._ZN7rocprim17ROCPRIM_400000_NS6detail17trampoline_kernelINS0_14default_configENS1_33run_length_encode_config_selectorIljNS0_4plusIjEEEEZZNS1_33reduce_by_key_impl_wrapped_configILNS1_25lookback_scan_determinismE0ES3_S7_PKlNS0_17constant_iteratorIjlEEPlSE_SE_S6_NS0_8equal_toIlEEEE10hipError_tPvRmT2_T3_mT4_T5_T6_T7_T8_P12ihipStream_tbENKUlT_T0_E_clISt17integral_constantIbLb0EESX_IbLb1EEEEDaST_SU_EUlST_E_NS1_11comp_targetILNS1_3genE9ELNS1_11target_archE1100ELNS1_3gpuE3ELNS1_3repE0EEENS1_30default_config_static_selectorELNS0_4arch9wavefront6targetE1EEEvT1_,"axG",@progbits,_ZN7rocprim17ROCPRIM_400000_NS6detail17trampoline_kernelINS0_14default_configENS1_33run_length_encode_config_selectorIljNS0_4plusIjEEEEZZNS1_33reduce_by_key_impl_wrapped_configILNS1_25lookback_scan_determinismE0ES3_S7_PKlNS0_17constant_iteratorIjlEEPlSE_SE_S6_NS0_8equal_toIlEEEE10hipError_tPvRmT2_T3_mT4_T5_T6_T7_T8_P12ihipStream_tbENKUlT_T0_E_clISt17integral_constantIbLb0EESX_IbLb1EEEEDaST_SU_EUlST_E_NS1_11comp_targetILNS1_3genE9ELNS1_11target_archE1100ELNS1_3gpuE3ELNS1_3repE0EEENS1_30default_config_static_selectorELNS0_4arch9wavefront6targetE1EEEvT1_,comdat
	.protected	_ZN7rocprim17ROCPRIM_400000_NS6detail17trampoline_kernelINS0_14default_configENS1_33run_length_encode_config_selectorIljNS0_4plusIjEEEEZZNS1_33reduce_by_key_impl_wrapped_configILNS1_25lookback_scan_determinismE0ES3_S7_PKlNS0_17constant_iteratorIjlEEPlSE_SE_S6_NS0_8equal_toIlEEEE10hipError_tPvRmT2_T3_mT4_T5_T6_T7_T8_P12ihipStream_tbENKUlT_T0_E_clISt17integral_constantIbLb0EESX_IbLb1EEEEDaST_SU_EUlST_E_NS1_11comp_targetILNS1_3genE9ELNS1_11target_archE1100ELNS1_3gpuE3ELNS1_3repE0EEENS1_30default_config_static_selectorELNS0_4arch9wavefront6targetE1EEEvT1_ ; -- Begin function _ZN7rocprim17ROCPRIM_400000_NS6detail17trampoline_kernelINS0_14default_configENS1_33run_length_encode_config_selectorIljNS0_4plusIjEEEEZZNS1_33reduce_by_key_impl_wrapped_configILNS1_25lookback_scan_determinismE0ES3_S7_PKlNS0_17constant_iteratorIjlEEPlSE_SE_S6_NS0_8equal_toIlEEEE10hipError_tPvRmT2_T3_mT4_T5_T6_T7_T8_P12ihipStream_tbENKUlT_T0_E_clISt17integral_constantIbLb0EESX_IbLb1EEEEDaST_SU_EUlST_E_NS1_11comp_targetILNS1_3genE9ELNS1_11target_archE1100ELNS1_3gpuE3ELNS1_3repE0EEENS1_30default_config_static_selectorELNS0_4arch9wavefront6targetE1EEEvT1_
	.globl	_ZN7rocprim17ROCPRIM_400000_NS6detail17trampoline_kernelINS0_14default_configENS1_33run_length_encode_config_selectorIljNS0_4plusIjEEEEZZNS1_33reduce_by_key_impl_wrapped_configILNS1_25lookback_scan_determinismE0ES3_S7_PKlNS0_17constant_iteratorIjlEEPlSE_SE_S6_NS0_8equal_toIlEEEE10hipError_tPvRmT2_T3_mT4_T5_T6_T7_T8_P12ihipStream_tbENKUlT_T0_E_clISt17integral_constantIbLb0EESX_IbLb1EEEEDaST_SU_EUlST_E_NS1_11comp_targetILNS1_3genE9ELNS1_11target_archE1100ELNS1_3gpuE3ELNS1_3repE0EEENS1_30default_config_static_selectorELNS0_4arch9wavefront6targetE1EEEvT1_
	.p2align	8
	.type	_ZN7rocprim17ROCPRIM_400000_NS6detail17trampoline_kernelINS0_14default_configENS1_33run_length_encode_config_selectorIljNS0_4plusIjEEEEZZNS1_33reduce_by_key_impl_wrapped_configILNS1_25lookback_scan_determinismE0ES3_S7_PKlNS0_17constant_iteratorIjlEEPlSE_SE_S6_NS0_8equal_toIlEEEE10hipError_tPvRmT2_T3_mT4_T5_T6_T7_T8_P12ihipStream_tbENKUlT_T0_E_clISt17integral_constantIbLb0EESX_IbLb1EEEEDaST_SU_EUlST_E_NS1_11comp_targetILNS1_3genE9ELNS1_11target_archE1100ELNS1_3gpuE3ELNS1_3repE0EEENS1_30default_config_static_selectorELNS0_4arch9wavefront6targetE1EEEvT1_,@function
_ZN7rocprim17ROCPRIM_400000_NS6detail17trampoline_kernelINS0_14default_configENS1_33run_length_encode_config_selectorIljNS0_4plusIjEEEEZZNS1_33reduce_by_key_impl_wrapped_configILNS1_25lookback_scan_determinismE0ES3_S7_PKlNS0_17constant_iteratorIjlEEPlSE_SE_S6_NS0_8equal_toIlEEEE10hipError_tPvRmT2_T3_mT4_T5_T6_T7_T8_P12ihipStream_tbENKUlT_T0_E_clISt17integral_constantIbLb0EESX_IbLb1EEEEDaST_SU_EUlST_E_NS1_11comp_targetILNS1_3genE9ELNS1_11target_archE1100ELNS1_3gpuE3ELNS1_3repE0EEENS1_30default_config_static_selectorELNS0_4arch9wavefront6targetE1EEEvT1_: ; @_ZN7rocprim17ROCPRIM_400000_NS6detail17trampoline_kernelINS0_14default_configENS1_33run_length_encode_config_selectorIljNS0_4plusIjEEEEZZNS1_33reduce_by_key_impl_wrapped_configILNS1_25lookback_scan_determinismE0ES3_S7_PKlNS0_17constant_iteratorIjlEEPlSE_SE_S6_NS0_8equal_toIlEEEE10hipError_tPvRmT2_T3_mT4_T5_T6_T7_T8_P12ihipStream_tbENKUlT_T0_E_clISt17integral_constantIbLb0EESX_IbLb1EEEEDaST_SU_EUlST_E_NS1_11comp_targetILNS1_3genE9ELNS1_11target_archE1100ELNS1_3gpuE3ELNS1_3repE0EEENS1_30default_config_static_selectorELNS0_4arch9wavefront6targetE1EEEvT1_
; %bb.0:
	.section	.rodata,"a",@progbits
	.p2align	6, 0x0
	.amdhsa_kernel _ZN7rocprim17ROCPRIM_400000_NS6detail17trampoline_kernelINS0_14default_configENS1_33run_length_encode_config_selectorIljNS0_4plusIjEEEEZZNS1_33reduce_by_key_impl_wrapped_configILNS1_25lookback_scan_determinismE0ES3_S7_PKlNS0_17constant_iteratorIjlEEPlSE_SE_S6_NS0_8equal_toIlEEEE10hipError_tPvRmT2_T3_mT4_T5_T6_T7_T8_P12ihipStream_tbENKUlT_T0_E_clISt17integral_constantIbLb0EESX_IbLb1EEEEDaST_SU_EUlST_E_NS1_11comp_targetILNS1_3genE9ELNS1_11target_archE1100ELNS1_3gpuE3ELNS1_3repE0EEENS1_30default_config_static_selectorELNS0_4arch9wavefront6targetE1EEEvT1_
		.amdhsa_group_segment_fixed_size 0
		.amdhsa_private_segment_fixed_size 0
		.amdhsa_kernarg_size 128
		.amdhsa_user_sgpr_count 6
		.amdhsa_user_sgpr_private_segment_buffer 1
		.amdhsa_user_sgpr_dispatch_ptr 0
		.amdhsa_user_sgpr_queue_ptr 0
		.amdhsa_user_sgpr_kernarg_segment_ptr 1
		.amdhsa_user_sgpr_dispatch_id 0
		.amdhsa_user_sgpr_flat_scratch_init 0
		.amdhsa_user_sgpr_kernarg_preload_length 0
		.amdhsa_user_sgpr_kernarg_preload_offset 0
		.amdhsa_user_sgpr_private_segment_size 0
		.amdhsa_uses_dynamic_stack 0
		.amdhsa_system_sgpr_private_segment_wavefront_offset 0
		.amdhsa_system_sgpr_workgroup_id_x 1
		.amdhsa_system_sgpr_workgroup_id_y 0
		.amdhsa_system_sgpr_workgroup_id_z 0
		.amdhsa_system_sgpr_workgroup_info 0
		.amdhsa_system_vgpr_workitem_id 0
		.amdhsa_next_free_vgpr 1
		.amdhsa_next_free_sgpr 0
		.amdhsa_accum_offset 4
		.amdhsa_reserve_vcc 0
		.amdhsa_reserve_flat_scratch 0
		.amdhsa_float_round_mode_32 0
		.amdhsa_float_round_mode_16_64 0
		.amdhsa_float_denorm_mode_32 3
		.amdhsa_float_denorm_mode_16_64 3
		.amdhsa_dx10_clamp 1
		.amdhsa_ieee_mode 1
		.amdhsa_fp16_overflow 0
		.amdhsa_tg_split 0
		.amdhsa_exception_fp_ieee_invalid_op 0
		.amdhsa_exception_fp_denorm_src 0
		.amdhsa_exception_fp_ieee_div_zero 0
		.amdhsa_exception_fp_ieee_overflow 0
		.amdhsa_exception_fp_ieee_underflow 0
		.amdhsa_exception_fp_ieee_inexact 0
		.amdhsa_exception_int_div_zero 0
	.end_amdhsa_kernel
	.section	.text._ZN7rocprim17ROCPRIM_400000_NS6detail17trampoline_kernelINS0_14default_configENS1_33run_length_encode_config_selectorIljNS0_4plusIjEEEEZZNS1_33reduce_by_key_impl_wrapped_configILNS1_25lookback_scan_determinismE0ES3_S7_PKlNS0_17constant_iteratorIjlEEPlSE_SE_S6_NS0_8equal_toIlEEEE10hipError_tPvRmT2_T3_mT4_T5_T6_T7_T8_P12ihipStream_tbENKUlT_T0_E_clISt17integral_constantIbLb0EESX_IbLb1EEEEDaST_SU_EUlST_E_NS1_11comp_targetILNS1_3genE9ELNS1_11target_archE1100ELNS1_3gpuE3ELNS1_3repE0EEENS1_30default_config_static_selectorELNS0_4arch9wavefront6targetE1EEEvT1_,"axG",@progbits,_ZN7rocprim17ROCPRIM_400000_NS6detail17trampoline_kernelINS0_14default_configENS1_33run_length_encode_config_selectorIljNS0_4plusIjEEEEZZNS1_33reduce_by_key_impl_wrapped_configILNS1_25lookback_scan_determinismE0ES3_S7_PKlNS0_17constant_iteratorIjlEEPlSE_SE_S6_NS0_8equal_toIlEEEE10hipError_tPvRmT2_T3_mT4_T5_T6_T7_T8_P12ihipStream_tbENKUlT_T0_E_clISt17integral_constantIbLb0EESX_IbLb1EEEEDaST_SU_EUlST_E_NS1_11comp_targetILNS1_3genE9ELNS1_11target_archE1100ELNS1_3gpuE3ELNS1_3repE0EEENS1_30default_config_static_selectorELNS0_4arch9wavefront6targetE1EEEvT1_,comdat
.Lfunc_end545:
	.size	_ZN7rocprim17ROCPRIM_400000_NS6detail17trampoline_kernelINS0_14default_configENS1_33run_length_encode_config_selectorIljNS0_4plusIjEEEEZZNS1_33reduce_by_key_impl_wrapped_configILNS1_25lookback_scan_determinismE0ES3_S7_PKlNS0_17constant_iteratorIjlEEPlSE_SE_S6_NS0_8equal_toIlEEEE10hipError_tPvRmT2_T3_mT4_T5_T6_T7_T8_P12ihipStream_tbENKUlT_T0_E_clISt17integral_constantIbLb0EESX_IbLb1EEEEDaST_SU_EUlST_E_NS1_11comp_targetILNS1_3genE9ELNS1_11target_archE1100ELNS1_3gpuE3ELNS1_3repE0EEENS1_30default_config_static_selectorELNS0_4arch9wavefront6targetE1EEEvT1_, .Lfunc_end545-_ZN7rocprim17ROCPRIM_400000_NS6detail17trampoline_kernelINS0_14default_configENS1_33run_length_encode_config_selectorIljNS0_4plusIjEEEEZZNS1_33reduce_by_key_impl_wrapped_configILNS1_25lookback_scan_determinismE0ES3_S7_PKlNS0_17constant_iteratorIjlEEPlSE_SE_S6_NS0_8equal_toIlEEEE10hipError_tPvRmT2_T3_mT4_T5_T6_T7_T8_P12ihipStream_tbENKUlT_T0_E_clISt17integral_constantIbLb0EESX_IbLb1EEEEDaST_SU_EUlST_E_NS1_11comp_targetILNS1_3genE9ELNS1_11target_archE1100ELNS1_3gpuE3ELNS1_3repE0EEENS1_30default_config_static_selectorELNS0_4arch9wavefront6targetE1EEEvT1_
                                        ; -- End function
	.section	.AMDGPU.csdata,"",@progbits
; Kernel info:
; codeLenInByte = 0
; NumSgprs: 4
; NumVgprs: 0
; NumAgprs: 0
; TotalNumVgprs: 0
; ScratchSize: 0
; MemoryBound: 0
; FloatMode: 240
; IeeeMode: 1
; LDSByteSize: 0 bytes/workgroup (compile time only)
; SGPRBlocks: 0
; VGPRBlocks: 0
; NumSGPRsForWavesPerEU: 4
; NumVGPRsForWavesPerEU: 1
; AccumOffset: 4
; Occupancy: 8
; WaveLimiterHint : 0
; COMPUTE_PGM_RSRC2:SCRATCH_EN: 0
; COMPUTE_PGM_RSRC2:USER_SGPR: 6
; COMPUTE_PGM_RSRC2:TRAP_HANDLER: 0
; COMPUTE_PGM_RSRC2:TGID_X_EN: 1
; COMPUTE_PGM_RSRC2:TGID_Y_EN: 0
; COMPUTE_PGM_RSRC2:TGID_Z_EN: 0
; COMPUTE_PGM_RSRC2:TIDIG_COMP_CNT: 0
; COMPUTE_PGM_RSRC3_GFX90A:ACCUM_OFFSET: 0
; COMPUTE_PGM_RSRC3_GFX90A:TG_SPLIT: 0
	.section	.text._ZN7rocprim17ROCPRIM_400000_NS6detail17trampoline_kernelINS0_14default_configENS1_33run_length_encode_config_selectorIljNS0_4plusIjEEEEZZNS1_33reduce_by_key_impl_wrapped_configILNS1_25lookback_scan_determinismE0ES3_S7_PKlNS0_17constant_iteratorIjlEEPlSE_SE_S6_NS0_8equal_toIlEEEE10hipError_tPvRmT2_T3_mT4_T5_T6_T7_T8_P12ihipStream_tbENKUlT_T0_E_clISt17integral_constantIbLb0EESX_IbLb1EEEEDaST_SU_EUlST_E_NS1_11comp_targetILNS1_3genE8ELNS1_11target_archE1030ELNS1_3gpuE2ELNS1_3repE0EEENS1_30default_config_static_selectorELNS0_4arch9wavefront6targetE1EEEvT1_,"axG",@progbits,_ZN7rocprim17ROCPRIM_400000_NS6detail17trampoline_kernelINS0_14default_configENS1_33run_length_encode_config_selectorIljNS0_4plusIjEEEEZZNS1_33reduce_by_key_impl_wrapped_configILNS1_25lookback_scan_determinismE0ES3_S7_PKlNS0_17constant_iteratorIjlEEPlSE_SE_S6_NS0_8equal_toIlEEEE10hipError_tPvRmT2_T3_mT4_T5_T6_T7_T8_P12ihipStream_tbENKUlT_T0_E_clISt17integral_constantIbLb0EESX_IbLb1EEEEDaST_SU_EUlST_E_NS1_11comp_targetILNS1_3genE8ELNS1_11target_archE1030ELNS1_3gpuE2ELNS1_3repE0EEENS1_30default_config_static_selectorELNS0_4arch9wavefront6targetE1EEEvT1_,comdat
	.protected	_ZN7rocprim17ROCPRIM_400000_NS6detail17trampoline_kernelINS0_14default_configENS1_33run_length_encode_config_selectorIljNS0_4plusIjEEEEZZNS1_33reduce_by_key_impl_wrapped_configILNS1_25lookback_scan_determinismE0ES3_S7_PKlNS0_17constant_iteratorIjlEEPlSE_SE_S6_NS0_8equal_toIlEEEE10hipError_tPvRmT2_T3_mT4_T5_T6_T7_T8_P12ihipStream_tbENKUlT_T0_E_clISt17integral_constantIbLb0EESX_IbLb1EEEEDaST_SU_EUlST_E_NS1_11comp_targetILNS1_3genE8ELNS1_11target_archE1030ELNS1_3gpuE2ELNS1_3repE0EEENS1_30default_config_static_selectorELNS0_4arch9wavefront6targetE1EEEvT1_ ; -- Begin function _ZN7rocprim17ROCPRIM_400000_NS6detail17trampoline_kernelINS0_14default_configENS1_33run_length_encode_config_selectorIljNS0_4plusIjEEEEZZNS1_33reduce_by_key_impl_wrapped_configILNS1_25lookback_scan_determinismE0ES3_S7_PKlNS0_17constant_iteratorIjlEEPlSE_SE_S6_NS0_8equal_toIlEEEE10hipError_tPvRmT2_T3_mT4_T5_T6_T7_T8_P12ihipStream_tbENKUlT_T0_E_clISt17integral_constantIbLb0EESX_IbLb1EEEEDaST_SU_EUlST_E_NS1_11comp_targetILNS1_3genE8ELNS1_11target_archE1030ELNS1_3gpuE2ELNS1_3repE0EEENS1_30default_config_static_selectorELNS0_4arch9wavefront6targetE1EEEvT1_
	.globl	_ZN7rocprim17ROCPRIM_400000_NS6detail17trampoline_kernelINS0_14default_configENS1_33run_length_encode_config_selectorIljNS0_4plusIjEEEEZZNS1_33reduce_by_key_impl_wrapped_configILNS1_25lookback_scan_determinismE0ES3_S7_PKlNS0_17constant_iteratorIjlEEPlSE_SE_S6_NS0_8equal_toIlEEEE10hipError_tPvRmT2_T3_mT4_T5_T6_T7_T8_P12ihipStream_tbENKUlT_T0_E_clISt17integral_constantIbLb0EESX_IbLb1EEEEDaST_SU_EUlST_E_NS1_11comp_targetILNS1_3genE8ELNS1_11target_archE1030ELNS1_3gpuE2ELNS1_3repE0EEENS1_30default_config_static_selectorELNS0_4arch9wavefront6targetE1EEEvT1_
	.p2align	8
	.type	_ZN7rocprim17ROCPRIM_400000_NS6detail17trampoline_kernelINS0_14default_configENS1_33run_length_encode_config_selectorIljNS0_4plusIjEEEEZZNS1_33reduce_by_key_impl_wrapped_configILNS1_25lookback_scan_determinismE0ES3_S7_PKlNS0_17constant_iteratorIjlEEPlSE_SE_S6_NS0_8equal_toIlEEEE10hipError_tPvRmT2_T3_mT4_T5_T6_T7_T8_P12ihipStream_tbENKUlT_T0_E_clISt17integral_constantIbLb0EESX_IbLb1EEEEDaST_SU_EUlST_E_NS1_11comp_targetILNS1_3genE8ELNS1_11target_archE1030ELNS1_3gpuE2ELNS1_3repE0EEENS1_30default_config_static_selectorELNS0_4arch9wavefront6targetE1EEEvT1_,@function
_ZN7rocprim17ROCPRIM_400000_NS6detail17trampoline_kernelINS0_14default_configENS1_33run_length_encode_config_selectorIljNS0_4plusIjEEEEZZNS1_33reduce_by_key_impl_wrapped_configILNS1_25lookback_scan_determinismE0ES3_S7_PKlNS0_17constant_iteratorIjlEEPlSE_SE_S6_NS0_8equal_toIlEEEE10hipError_tPvRmT2_T3_mT4_T5_T6_T7_T8_P12ihipStream_tbENKUlT_T0_E_clISt17integral_constantIbLb0EESX_IbLb1EEEEDaST_SU_EUlST_E_NS1_11comp_targetILNS1_3genE8ELNS1_11target_archE1030ELNS1_3gpuE2ELNS1_3repE0EEENS1_30default_config_static_selectorELNS0_4arch9wavefront6targetE1EEEvT1_: ; @_ZN7rocprim17ROCPRIM_400000_NS6detail17trampoline_kernelINS0_14default_configENS1_33run_length_encode_config_selectorIljNS0_4plusIjEEEEZZNS1_33reduce_by_key_impl_wrapped_configILNS1_25lookback_scan_determinismE0ES3_S7_PKlNS0_17constant_iteratorIjlEEPlSE_SE_S6_NS0_8equal_toIlEEEE10hipError_tPvRmT2_T3_mT4_T5_T6_T7_T8_P12ihipStream_tbENKUlT_T0_E_clISt17integral_constantIbLb0EESX_IbLb1EEEEDaST_SU_EUlST_E_NS1_11comp_targetILNS1_3genE8ELNS1_11target_archE1030ELNS1_3gpuE2ELNS1_3repE0EEENS1_30default_config_static_selectorELNS0_4arch9wavefront6targetE1EEEvT1_
; %bb.0:
	.section	.rodata,"a",@progbits
	.p2align	6, 0x0
	.amdhsa_kernel _ZN7rocprim17ROCPRIM_400000_NS6detail17trampoline_kernelINS0_14default_configENS1_33run_length_encode_config_selectorIljNS0_4plusIjEEEEZZNS1_33reduce_by_key_impl_wrapped_configILNS1_25lookback_scan_determinismE0ES3_S7_PKlNS0_17constant_iteratorIjlEEPlSE_SE_S6_NS0_8equal_toIlEEEE10hipError_tPvRmT2_T3_mT4_T5_T6_T7_T8_P12ihipStream_tbENKUlT_T0_E_clISt17integral_constantIbLb0EESX_IbLb1EEEEDaST_SU_EUlST_E_NS1_11comp_targetILNS1_3genE8ELNS1_11target_archE1030ELNS1_3gpuE2ELNS1_3repE0EEENS1_30default_config_static_selectorELNS0_4arch9wavefront6targetE1EEEvT1_
		.amdhsa_group_segment_fixed_size 0
		.amdhsa_private_segment_fixed_size 0
		.amdhsa_kernarg_size 128
		.amdhsa_user_sgpr_count 6
		.amdhsa_user_sgpr_private_segment_buffer 1
		.amdhsa_user_sgpr_dispatch_ptr 0
		.amdhsa_user_sgpr_queue_ptr 0
		.amdhsa_user_sgpr_kernarg_segment_ptr 1
		.amdhsa_user_sgpr_dispatch_id 0
		.amdhsa_user_sgpr_flat_scratch_init 0
		.amdhsa_user_sgpr_kernarg_preload_length 0
		.amdhsa_user_sgpr_kernarg_preload_offset 0
		.amdhsa_user_sgpr_private_segment_size 0
		.amdhsa_uses_dynamic_stack 0
		.amdhsa_system_sgpr_private_segment_wavefront_offset 0
		.amdhsa_system_sgpr_workgroup_id_x 1
		.amdhsa_system_sgpr_workgroup_id_y 0
		.amdhsa_system_sgpr_workgroup_id_z 0
		.amdhsa_system_sgpr_workgroup_info 0
		.amdhsa_system_vgpr_workitem_id 0
		.amdhsa_next_free_vgpr 1
		.amdhsa_next_free_sgpr 0
		.amdhsa_accum_offset 4
		.amdhsa_reserve_vcc 0
		.amdhsa_reserve_flat_scratch 0
		.amdhsa_float_round_mode_32 0
		.amdhsa_float_round_mode_16_64 0
		.amdhsa_float_denorm_mode_32 3
		.amdhsa_float_denorm_mode_16_64 3
		.amdhsa_dx10_clamp 1
		.amdhsa_ieee_mode 1
		.amdhsa_fp16_overflow 0
		.amdhsa_tg_split 0
		.amdhsa_exception_fp_ieee_invalid_op 0
		.amdhsa_exception_fp_denorm_src 0
		.amdhsa_exception_fp_ieee_div_zero 0
		.amdhsa_exception_fp_ieee_overflow 0
		.amdhsa_exception_fp_ieee_underflow 0
		.amdhsa_exception_fp_ieee_inexact 0
		.amdhsa_exception_int_div_zero 0
	.end_amdhsa_kernel
	.section	.text._ZN7rocprim17ROCPRIM_400000_NS6detail17trampoline_kernelINS0_14default_configENS1_33run_length_encode_config_selectorIljNS0_4plusIjEEEEZZNS1_33reduce_by_key_impl_wrapped_configILNS1_25lookback_scan_determinismE0ES3_S7_PKlNS0_17constant_iteratorIjlEEPlSE_SE_S6_NS0_8equal_toIlEEEE10hipError_tPvRmT2_T3_mT4_T5_T6_T7_T8_P12ihipStream_tbENKUlT_T0_E_clISt17integral_constantIbLb0EESX_IbLb1EEEEDaST_SU_EUlST_E_NS1_11comp_targetILNS1_3genE8ELNS1_11target_archE1030ELNS1_3gpuE2ELNS1_3repE0EEENS1_30default_config_static_selectorELNS0_4arch9wavefront6targetE1EEEvT1_,"axG",@progbits,_ZN7rocprim17ROCPRIM_400000_NS6detail17trampoline_kernelINS0_14default_configENS1_33run_length_encode_config_selectorIljNS0_4plusIjEEEEZZNS1_33reduce_by_key_impl_wrapped_configILNS1_25lookback_scan_determinismE0ES3_S7_PKlNS0_17constant_iteratorIjlEEPlSE_SE_S6_NS0_8equal_toIlEEEE10hipError_tPvRmT2_T3_mT4_T5_T6_T7_T8_P12ihipStream_tbENKUlT_T0_E_clISt17integral_constantIbLb0EESX_IbLb1EEEEDaST_SU_EUlST_E_NS1_11comp_targetILNS1_3genE8ELNS1_11target_archE1030ELNS1_3gpuE2ELNS1_3repE0EEENS1_30default_config_static_selectorELNS0_4arch9wavefront6targetE1EEEvT1_,comdat
.Lfunc_end546:
	.size	_ZN7rocprim17ROCPRIM_400000_NS6detail17trampoline_kernelINS0_14default_configENS1_33run_length_encode_config_selectorIljNS0_4plusIjEEEEZZNS1_33reduce_by_key_impl_wrapped_configILNS1_25lookback_scan_determinismE0ES3_S7_PKlNS0_17constant_iteratorIjlEEPlSE_SE_S6_NS0_8equal_toIlEEEE10hipError_tPvRmT2_T3_mT4_T5_T6_T7_T8_P12ihipStream_tbENKUlT_T0_E_clISt17integral_constantIbLb0EESX_IbLb1EEEEDaST_SU_EUlST_E_NS1_11comp_targetILNS1_3genE8ELNS1_11target_archE1030ELNS1_3gpuE2ELNS1_3repE0EEENS1_30default_config_static_selectorELNS0_4arch9wavefront6targetE1EEEvT1_, .Lfunc_end546-_ZN7rocprim17ROCPRIM_400000_NS6detail17trampoline_kernelINS0_14default_configENS1_33run_length_encode_config_selectorIljNS0_4plusIjEEEEZZNS1_33reduce_by_key_impl_wrapped_configILNS1_25lookback_scan_determinismE0ES3_S7_PKlNS0_17constant_iteratorIjlEEPlSE_SE_S6_NS0_8equal_toIlEEEE10hipError_tPvRmT2_T3_mT4_T5_T6_T7_T8_P12ihipStream_tbENKUlT_T0_E_clISt17integral_constantIbLb0EESX_IbLb1EEEEDaST_SU_EUlST_E_NS1_11comp_targetILNS1_3genE8ELNS1_11target_archE1030ELNS1_3gpuE2ELNS1_3repE0EEENS1_30default_config_static_selectorELNS0_4arch9wavefront6targetE1EEEvT1_
                                        ; -- End function
	.section	.AMDGPU.csdata,"",@progbits
; Kernel info:
; codeLenInByte = 0
; NumSgprs: 4
; NumVgprs: 0
; NumAgprs: 0
; TotalNumVgprs: 0
; ScratchSize: 0
; MemoryBound: 0
; FloatMode: 240
; IeeeMode: 1
; LDSByteSize: 0 bytes/workgroup (compile time only)
; SGPRBlocks: 0
; VGPRBlocks: 0
; NumSGPRsForWavesPerEU: 4
; NumVGPRsForWavesPerEU: 1
; AccumOffset: 4
; Occupancy: 8
; WaveLimiterHint : 0
; COMPUTE_PGM_RSRC2:SCRATCH_EN: 0
; COMPUTE_PGM_RSRC2:USER_SGPR: 6
; COMPUTE_PGM_RSRC2:TRAP_HANDLER: 0
; COMPUTE_PGM_RSRC2:TGID_X_EN: 1
; COMPUTE_PGM_RSRC2:TGID_Y_EN: 0
; COMPUTE_PGM_RSRC2:TGID_Z_EN: 0
; COMPUTE_PGM_RSRC2:TIDIG_COMP_CNT: 0
; COMPUTE_PGM_RSRC3_GFX90A:ACCUM_OFFSET: 0
; COMPUTE_PGM_RSRC3_GFX90A:TG_SPLIT: 0
	.section	.text._ZN2at6native8internal12_GLOBAL__N_126adjacent_difference_kernelIPKsEEvlT_Pi,"axG",@progbits,_ZN2at6native8internal12_GLOBAL__N_126adjacent_difference_kernelIPKsEEvlT_Pi,comdat
	.globl	_ZN2at6native8internal12_GLOBAL__N_126adjacent_difference_kernelIPKsEEvlT_Pi ; -- Begin function _ZN2at6native8internal12_GLOBAL__N_126adjacent_difference_kernelIPKsEEvlT_Pi
	.p2align	8
	.type	_ZN2at6native8internal12_GLOBAL__N_126adjacent_difference_kernelIPKsEEvlT_Pi,@function
_ZN2at6native8internal12_GLOBAL__N_126adjacent_difference_kernelIPKsEEvlT_Pi: ; @_ZN2at6native8internal12_GLOBAL__N_126adjacent_difference_kernelIPKsEEvlT_Pi
; %bb.0:
	s_load_dword s7, s[4:5], 0x24
	s_load_dwordx4 s[0:3], s[4:5], 0x0
	s_add_u32 s10, s4, 24
	s_addc_u32 s11, s5, 0
	v_mov_b32_e32 v1, 0
	s_waitcnt lgkmcnt(0)
	s_and_b32 s7, s7, 0xffff
	v_mov_b32_e32 v2, s6
	v_mad_u64_u32 v[4:5], s[8:9], s7, v2, v[0:1]
	v_cmp_gt_i64_e32 vcc, s[0:1], v[4:5]
	s_and_saveexec_b64 s[8:9], vcc
	s_cbranch_execz .LBB547_5
; %bb.1:
	s_load_dword s12, s[10:11], 0x0
	s_load_dwordx2 s[8:9], s[4:5], 0x10
	s_mul_hi_u32 s13, s7, s6
	s_mul_i32 s10, s7, s6
	s_mov_b32 s6, 0
	s_waitcnt lgkmcnt(0)
	s_mul_i32 s11, s12, s7
	v_mov_b32_e32 v2, v1
	v_mov_b32_e32 v3, v4
	s_mov_b64 s[4:5], 0
	v_mov_b32_e32 v6, s9
	v_mov_b32_e32 v7, s6
	;; [unrolled: 1-line block ×4, first 2 shown]
	v_pk_mov_b32 v[4:5], v[0:1], v[0:1] op_sel:[0,1]
	s_branch .LBB547_3
.LBB547_2:                              ;   in Loop: Header=BB547_3 Depth=1
	s_or_b64 exec, exec, s[6:7]
	v_ashrrev_i64 v[10:11], 30, v[2:3]
	v_add_co_u32_e32 v10, vcc, s8, v10
	v_addc_co_u32_e32 v11, vcc, v6, v11, vcc
	v_add_co_u32_e32 v4, vcc, s11, v4
	v_addc_co_u32_e32 v5, vcc, v5, v7, vcc
	global_store_dword v[10:11], v0, off
	v_add_co_u32_e32 v10, vcc, s10, v4
	v_addc_co_u32_e32 v11, vcc, v8, v5, vcc
	v_cmp_le_i64_e32 vcc, s[0:1], v[10:11]
	s_or_b64 s[4:5], vcc, s[4:5]
	v_add_co_u32_e32 v2, vcc, 0, v2
	v_addc_co_u32_e32 v3, vcc, v3, v9, vcc
	s_andn2_b64 exec, exec, s[4:5]
	s_cbranch_execz .LBB547_5
.LBB547_3:                              ; =>This Inner Loop Header: Depth=1
	v_add_u32_e32 v0, s10, v4
	v_cmp_lt_i32_e32 vcc, 0, v0
	v_mov_b32_e32 v0, 0
	s_and_saveexec_b64 s[6:7], vcc
	s_cbranch_execz .LBB547_2
; %bb.4:                                ;   in Loop: Header=BB547_3 Depth=1
	v_add_u32_e32 v0, s10, v4
	v_lshlrev_b32_e32 v12, 1, v0
	v_add_u32_e32 v0, -1, v0
	v_lshlrev_b64 v[10:11], 1, v[0:1]
	v_mov_b32_e32 v0, s3
	v_add_co_u32_e32 v10, vcc, s2, v10
	v_addc_co_u32_e32 v11, vcc, v0, v11, vcc
	global_load_ushort v0, v12, s[2:3]
	global_load_ushort v13, v[10:11], off
	s_waitcnt vmcnt(0)
	v_cmp_ne_u16_e32 vcc, v0, v13
	v_cndmask_b32_e64 v0, 0, 1, vcc
	s_branch .LBB547_2
.LBB547_5:
	s_endpgm
	.section	.rodata,"a",@progbits
	.p2align	6, 0x0
	.amdhsa_kernel _ZN2at6native8internal12_GLOBAL__N_126adjacent_difference_kernelIPKsEEvlT_Pi
		.amdhsa_group_segment_fixed_size 0
		.amdhsa_private_segment_fixed_size 0
		.amdhsa_kernarg_size 280
		.amdhsa_user_sgpr_count 6
		.amdhsa_user_sgpr_private_segment_buffer 1
		.amdhsa_user_sgpr_dispatch_ptr 0
		.amdhsa_user_sgpr_queue_ptr 0
		.amdhsa_user_sgpr_kernarg_segment_ptr 1
		.amdhsa_user_sgpr_dispatch_id 0
		.amdhsa_user_sgpr_flat_scratch_init 0
		.amdhsa_user_sgpr_kernarg_preload_length 0
		.amdhsa_user_sgpr_kernarg_preload_offset 0
		.amdhsa_user_sgpr_private_segment_size 0
		.amdhsa_uses_dynamic_stack 0
		.amdhsa_system_sgpr_private_segment_wavefront_offset 0
		.amdhsa_system_sgpr_workgroup_id_x 1
		.amdhsa_system_sgpr_workgroup_id_y 0
		.amdhsa_system_sgpr_workgroup_id_z 0
		.amdhsa_system_sgpr_workgroup_info 0
		.amdhsa_system_vgpr_workitem_id 0
		.amdhsa_next_free_vgpr 14
		.amdhsa_next_free_sgpr 14
		.amdhsa_accum_offset 16
		.amdhsa_reserve_vcc 1
		.amdhsa_reserve_flat_scratch 0
		.amdhsa_float_round_mode_32 0
		.amdhsa_float_round_mode_16_64 0
		.amdhsa_float_denorm_mode_32 3
		.amdhsa_float_denorm_mode_16_64 3
		.amdhsa_dx10_clamp 1
		.amdhsa_ieee_mode 1
		.amdhsa_fp16_overflow 0
		.amdhsa_tg_split 0
		.amdhsa_exception_fp_ieee_invalid_op 0
		.amdhsa_exception_fp_denorm_src 0
		.amdhsa_exception_fp_ieee_div_zero 0
		.amdhsa_exception_fp_ieee_overflow 0
		.amdhsa_exception_fp_ieee_underflow 0
		.amdhsa_exception_fp_ieee_inexact 0
		.amdhsa_exception_int_div_zero 0
	.end_amdhsa_kernel
	.section	.text._ZN2at6native8internal12_GLOBAL__N_126adjacent_difference_kernelIPKsEEvlT_Pi,"axG",@progbits,_ZN2at6native8internal12_GLOBAL__N_126adjacent_difference_kernelIPKsEEvlT_Pi,comdat
.Lfunc_end547:
	.size	_ZN2at6native8internal12_GLOBAL__N_126adjacent_difference_kernelIPKsEEvlT_Pi, .Lfunc_end547-_ZN2at6native8internal12_GLOBAL__N_126adjacent_difference_kernelIPKsEEvlT_Pi
                                        ; -- End function
	.section	.AMDGPU.csdata,"",@progbits
; Kernel info:
; codeLenInByte = 300
; NumSgprs: 18
; NumVgprs: 14
; NumAgprs: 0
; TotalNumVgprs: 14
; ScratchSize: 0
; MemoryBound: 0
; FloatMode: 240
; IeeeMode: 1
; LDSByteSize: 0 bytes/workgroup (compile time only)
; SGPRBlocks: 2
; VGPRBlocks: 1
; NumSGPRsForWavesPerEU: 18
; NumVGPRsForWavesPerEU: 14
; AccumOffset: 16
; Occupancy: 8
; WaveLimiterHint : 0
; COMPUTE_PGM_RSRC2:SCRATCH_EN: 0
; COMPUTE_PGM_RSRC2:USER_SGPR: 6
; COMPUTE_PGM_RSRC2:TRAP_HANDLER: 0
; COMPUTE_PGM_RSRC2:TGID_X_EN: 1
; COMPUTE_PGM_RSRC2:TGID_Y_EN: 0
; COMPUTE_PGM_RSRC2:TGID_Z_EN: 0
; COMPUTE_PGM_RSRC2:TIDIG_COMP_CNT: 0
; COMPUTE_PGM_RSRC3_GFX90A:ACCUM_OFFSET: 3
; COMPUTE_PGM_RSRC3_GFX90A:TG_SPLIT: 0
	.section	.text._ZN7rocprim17ROCPRIM_400000_NS6detail17trampoline_kernelINS0_14default_configENS1_25partition_config_selectorILNS1_17partition_subalgoE8EsNS0_10empty_typeEbEEZZNS1_14partition_implILS5_8ELb0ES3_jPKsPS6_PKS6_NS0_5tupleIJPsS6_EEENSE_IJSB_SB_EEENS0_18inequality_wrapperIN6hipcub16HIPCUB_304000_NS8EqualityEEEPlJS6_EEE10hipError_tPvRmT3_T4_T5_T6_T7_T9_mT8_P12ihipStream_tbDpT10_ENKUlT_T0_E_clISt17integral_constantIbLb0EES17_EEDaS12_S13_EUlS12_E_NS1_11comp_targetILNS1_3genE0ELNS1_11target_archE4294967295ELNS1_3gpuE0ELNS1_3repE0EEENS1_30default_config_static_selectorELNS0_4arch9wavefront6targetE1EEEvT1_,"axG",@progbits,_ZN7rocprim17ROCPRIM_400000_NS6detail17trampoline_kernelINS0_14default_configENS1_25partition_config_selectorILNS1_17partition_subalgoE8EsNS0_10empty_typeEbEEZZNS1_14partition_implILS5_8ELb0ES3_jPKsPS6_PKS6_NS0_5tupleIJPsS6_EEENSE_IJSB_SB_EEENS0_18inequality_wrapperIN6hipcub16HIPCUB_304000_NS8EqualityEEEPlJS6_EEE10hipError_tPvRmT3_T4_T5_T6_T7_T9_mT8_P12ihipStream_tbDpT10_ENKUlT_T0_E_clISt17integral_constantIbLb0EES17_EEDaS12_S13_EUlS12_E_NS1_11comp_targetILNS1_3genE0ELNS1_11target_archE4294967295ELNS1_3gpuE0ELNS1_3repE0EEENS1_30default_config_static_selectorELNS0_4arch9wavefront6targetE1EEEvT1_,comdat
	.protected	_ZN7rocprim17ROCPRIM_400000_NS6detail17trampoline_kernelINS0_14default_configENS1_25partition_config_selectorILNS1_17partition_subalgoE8EsNS0_10empty_typeEbEEZZNS1_14partition_implILS5_8ELb0ES3_jPKsPS6_PKS6_NS0_5tupleIJPsS6_EEENSE_IJSB_SB_EEENS0_18inequality_wrapperIN6hipcub16HIPCUB_304000_NS8EqualityEEEPlJS6_EEE10hipError_tPvRmT3_T4_T5_T6_T7_T9_mT8_P12ihipStream_tbDpT10_ENKUlT_T0_E_clISt17integral_constantIbLb0EES17_EEDaS12_S13_EUlS12_E_NS1_11comp_targetILNS1_3genE0ELNS1_11target_archE4294967295ELNS1_3gpuE0ELNS1_3repE0EEENS1_30default_config_static_selectorELNS0_4arch9wavefront6targetE1EEEvT1_ ; -- Begin function _ZN7rocprim17ROCPRIM_400000_NS6detail17trampoline_kernelINS0_14default_configENS1_25partition_config_selectorILNS1_17partition_subalgoE8EsNS0_10empty_typeEbEEZZNS1_14partition_implILS5_8ELb0ES3_jPKsPS6_PKS6_NS0_5tupleIJPsS6_EEENSE_IJSB_SB_EEENS0_18inequality_wrapperIN6hipcub16HIPCUB_304000_NS8EqualityEEEPlJS6_EEE10hipError_tPvRmT3_T4_T5_T6_T7_T9_mT8_P12ihipStream_tbDpT10_ENKUlT_T0_E_clISt17integral_constantIbLb0EES17_EEDaS12_S13_EUlS12_E_NS1_11comp_targetILNS1_3genE0ELNS1_11target_archE4294967295ELNS1_3gpuE0ELNS1_3repE0EEENS1_30default_config_static_selectorELNS0_4arch9wavefront6targetE1EEEvT1_
	.globl	_ZN7rocprim17ROCPRIM_400000_NS6detail17trampoline_kernelINS0_14default_configENS1_25partition_config_selectorILNS1_17partition_subalgoE8EsNS0_10empty_typeEbEEZZNS1_14partition_implILS5_8ELb0ES3_jPKsPS6_PKS6_NS0_5tupleIJPsS6_EEENSE_IJSB_SB_EEENS0_18inequality_wrapperIN6hipcub16HIPCUB_304000_NS8EqualityEEEPlJS6_EEE10hipError_tPvRmT3_T4_T5_T6_T7_T9_mT8_P12ihipStream_tbDpT10_ENKUlT_T0_E_clISt17integral_constantIbLb0EES17_EEDaS12_S13_EUlS12_E_NS1_11comp_targetILNS1_3genE0ELNS1_11target_archE4294967295ELNS1_3gpuE0ELNS1_3repE0EEENS1_30default_config_static_selectorELNS0_4arch9wavefront6targetE1EEEvT1_
	.p2align	8
	.type	_ZN7rocprim17ROCPRIM_400000_NS6detail17trampoline_kernelINS0_14default_configENS1_25partition_config_selectorILNS1_17partition_subalgoE8EsNS0_10empty_typeEbEEZZNS1_14partition_implILS5_8ELb0ES3_jPKsPS6_PKS6_NS0_5tupleIJPsS6_EEENSE_IJSB_SB_EEENS0_18inequality_wrapperIN6hipcub16HIPCUB_304000_NS8EqualityEEEPlJS6_EEE10hipError_tPvRmT3_T4_T5_T6_T7_T9_mT8_P12ihipStream_tbDpT10_ENKUlT_T0_E_clISt17integral_constantIbLb0EES17_EEDaS12_S13_EUlS12_E_NS1_11comp_targetILNS1_3genE0ELNS1_11target_archE4294967295ELNS1_3gpuE0ELNS1_3repE0EEENS1_30default_config_static_selectorELNS0_4arch9wavefront6targetE1EEEvT1_,@function
_ZN7rocprim17ROCPRIM_400000_NS6detail17trampoline_kernelINS0_14default_configENS1_25partition_config_selectorILNS1_17partition_subalgoE8EsNS0_10empty_typeEbEEZZNS1_14partition_implILS5_8ELb0ES3_jPKsPS6_PKS6_NS0_5tupleIJPsS6_EEENSE_IJSB_SB_EEENS0_18inequality_wrapperIN6hipcub16HIPCUB_304000_NS8EqualityEEEPlJS6_EEE10hipError_tPvRmT3_T4_T5_T6_T7_T9_mT8_P12ihipStream_tbDpT10_ENKUlT_T0_E_clISt17integral_constantIbLb0EES17_EEDaS12_S13_EUlS12_E_NS1_11comp_targetILNS1_3genE0ELNS1_11target_archE4294967295ELNS1_3gpuE0ELNS1_3repE0EEENS1_30default_config_static_selectorELNS0_4arch9wavefront6targetE1EEEvT1_: ; @_ZN7rocprim17ROCPRIM_400000_NS6detail17trampoline_kernelINS0_14default_configENS1_25partition_config_selectorILNS1_17partition_subalgoE8EsNS0_10empty_typeEbEEZZNS1_14partition_implILS5_8ELb0ES3_jPKsPS6_PKS6_NS0_5tupleIJPsS6_EEENSE_IJSB_SB_EEENS0_18inequality_wrapperIN6hipcub16HIPCUB_304000_NS8EqualityEEEPlJS6_EEE10hipError_tPvRmT3_T4_T5_T6_T7_T9_mT8_P12ihipStream_tbDpT10_ENKUlT_T0_E_clISt17integral_constantIbLb0EES17_EEDaS12_S13_EUlS12_E_NS1_11comp_targetILNS1_3genE0ELNS1_11target_archE4294967295ELNS1_3gpuE0ELNS1_3repE0EEENS1_30default_config_static_selectorELNS0_4arch9wavefront6targetE1EEEvT1_
; %bb.0:
	.section	.rodata,"a",@progbits
	.p2align	6, 0x0
	.amdhsa_kernel _ZN7rocprim17ROCPRIM_400000_NS6detail17trampoline_kernelINS0_14default_configENS1_25partition_config_selectorILNS1_17partition_subalgoE8EsNS0_10empty_typeEbEEZZNS1_14partition_implILS5_8ELb0ES3_jPKsPS6_PKS6_NS0_5tupleIJPsS6_EEENSE_IJSB_SB_EEENS0_18inequality_wrapperIN6hipcub16HIPCUB_304000_NS8EqualityEEEPlJS6_EEE10hipError_tPvRmT3_T4_T5_T6_T7_T9_mT8_P12ihipStream_tbDpT10_ENKUlT_T0_E_clISt17integral_constantIbLb0EES17_EEDaS12_S13_EUlS12_E_NS1_11comp_targetILNS1_3genE0ELNS1_11target_archE4294967295ELNS1_3gpuE0ELNS1_3repE0EEENS1_30default_config_static_selectorELNS0_4arch9wavefront6targetE1EEEvT1_
		.amdhsa_group_segment_fixed_size 0
		.amdhsa_private_segment_fixed_size 0
		.amdhsa_kernarg_size 112
		.amdhsa_user_sgpr_count 6
		.amdhsa_user_sgpr_private_segment_buffer 1
		.amdhsa_user_sgpr_dispatch_ptr 0
		.amdhsa_user_sgpr_queue_ptr 0
		.amdhsa_user_sgpr_kernarg_segment_ptr 1
		.amdhsa_user_sgpr_dispatch_id 0
		.amdhsa_user_sgpr_flat_scratch_init 0
		.amdhsa_user_sgpr_kernarg_preload_length 0
		.amdhsa_user_sgpr_kernarg_preload_offset 0
		.amdhsa_user_sgpr_private_segment_size 0
		.amdhsa_uses_dynamic_stack 0
		.amdhsa_system_sgpr_private_segment_wavefront_offset 0
		.amdhsa_system_sgpr_workgroup_id_x 1
		.amdhsa_system_sgpr_workgroup_id_y 0
		.amdhsa_system_sgpr_workgroup_id_z 0
		.amdhsa_system_sgpr_workgroup_info 0
		.amdhsa_system_vgpr_workitem_id 0
		.amdhsa_next_free_vgpr 1
		.amdhsa_next_free_sgpr 0
		.amdhsa_accum_offset 4
		.amdhsa_reserve_vcc 0
		.amdhsa_reserve_flat_scratch 0
		.amdhsa_float_round_mode_32 0
		.amdhsa_float_round_mode_16_64 0
		.amdhsa_float_denorm_mode_32 3
		.amdhsa_float_denorm_mode_16_64 3
		.amdhsa_dx10_clamp 1
		.amdhsa_ieee_mode 1
		.amdhsa_fp16_overflow 0
		.amdhsa_tg_split 0
		.amdhsa_exception_fp_ieee_invalid_op 0
		.amdhsa_exception_fp_denorm_src 0
		.amdhsa_exception_fp_ieee_div_zero 0
		.amdhsa_exception_fp_ieee_overflow 0
		.amdhsa_exception_fp_ieee_underflow 0
		.amdhsa_exception_fp_ieee_inexact 0
		.amdhsa_exception_int_div_zero 0
	.end_amdhsa_kernel
	.section	.text._ZN7rocprim17ROCPRIM_400000_NS6detail17trampoline_kernelINS0_14default_configENS1_25partition_config_selectorILNS1_17partition_subalgoE8EsNS0_10empty_typeEbEEZZNS1_14partition_implILS5_8ELb0ES3_jPKsPS6_PKS6_NS0_5tupleIJPsS6_EEENSE_IJSB_SB_EEENS0_18inequality_wrapperIN6hipcub16HIPCUB_304000_NS8EqualityEEEPlJS6_EEE10hipError_tPvRmT3_T4_T5_T6_T7_T9_mT8_P12ihipStream_tbDpT10_ENKUlT_T0_E_clISt17integral_constantIbLb0EES17_EEDaS12_S13_EUlS12_E_NS1_11comp_targetILNS1_3genE0ELNS1_11target_archE4294967295ELNS1_3gpuE0ELNS1_3repE0EEENS1_30default_config_static_selectorELNS0_4arch9wavefront6targetE1EEEvT1_,"axG",@progbits,_ZN7rocprim17ROCPRIM_400000_NS6detail17trampoline_kernelINS0_14default_configENS1_25partition_config_selectorILNS1_17partition_subalgoE8EsNS0_10empty_typeEbEEZZNS1_14partition_implILS5_8ELb0ES3_jPKsPS6_PKS6_NS0_5tupleIJPsS6_EEENSE_IJSB_SB_EEENS0_18inequality_wrapperIN6hipcub16HIPCUB_304000_NS8EqualityEEEPlJS6_EEE10hipError_tPvRmT3_T4_T5_T6_T7_T9_mT8_P12ihipStream_tbDpT10_ENKUlT_T0_E_clISt17integral_constantIbLb0EES17_EEDaS12_S13_EUlS12_E_NS1_11comp_targetILNS1_3genE0ELNS1_11target_archE4294967295ELNS1_3gpuE0ELNS1_3repE0EEENS1_30default_config_static_selectorELNS0_4arch9wavefront6targetE1EEEvT1_,comdat
.Lfunc_end548:
	.size	_ZN7rocprim17ROCPRIM_400000_NS6detail17trampoline_kernelINS0_14default_configENS1_25partition_config_selectorILNS1_17partition_subalgoE8EsNS0_10empty_typeEbEEZZNS1_14partition_implILS5_8ELb0ES3_jPKsPS6_PKS6_NS0_5tupleIJPsS6_EEENSE_IJSB_SB_EEENS0_18inequality_wrapperIN6hipcub16HIPCUB_304000_NS8EqualityEEEPlJS6_EEE10hipError_tPvRmT3_T4_T5_T6_T7_T9_mT8_P12ihipStream_tbDpT10_ENKUlT_T0_E_clISt17integral_constantIbLb0EES17_EEDaS12_S13_EUlS12_E_NS1_11comp_targetILNS1_3genE0ELNS1_11target_archE4294967295ELNS1_3gpuE0ELNS1_3repE0EEENS1_30default_config_static_selectorELNS0_4arch9wavefront6targetE1EEEvT1_, .Lfunc_end548-_ZN7rocprim17ROCPRIM_400000_NS6detail17trampoline_kernelINS0_14default_configENS1_25partition_config_selectorILNS1_17partition_subalgoE8EsNS0_10empty_typeEbEEZZNS1_14partition_implILS5_8ELb0ES3_jPKsPS6_PKS6_NS0_5tupleIJPsS6_EEENSE_IJSB_SB_EEENS0_18inequality_wrapperIN6hipcub16HIPCUB_304000_NS8EqualityEEEPlJS6_EEE10hipError_tPvRmT3_T4_T5_T6_T7_T9_mT8_P12ihipStream_tbDpT10_ENKUlT_T0_E_clISt17integral_constantIbLb0EES17_EEDaS12_S13_EUlS12_E_NS1_11comp_targetILNS1_3genE0ELNS1_11target_archE4294967295ELNS1_3gpuE0ELNS1_3repE0EEENS1_30default_config_static_selectorELNS0_4arch9wavefront6targetE1EEEvT1_
                                        ; -- End function
	.section	.AMDGPU.csdata,"",@progbits
; Kernel info:
; codeLenInByte = 0
; NumSgprs: 4
; NumVgprs: 0
; NumAgprs: 0
; TotalNumVgprs: 0
; ScratchSize: 0
; MemoryBound: 0
; FloatMode: 240
; IeeeMode: 1
; LDSByteSize: 0 bytes/workgroup (compile time only)
; SGPRBlocks: 0
; VGPRBlocks: 0
; NumSGPRsForWavesPerEU: 4
; NumVGPRsForWavesPerEU: 1
; AccumOffset: 4
; Occupancy: 8
; WaveLimiterHint : 0
; COMPUTE_PGM_RSRC2:SCRATCH_EN: 0
; COMPUTE_PGM_RSRC2:USER_SGPR: 6
; COMPUTE_PGM_RSRC2:TRAP_HANDLER: 0
; COMPUTE_PGM_RSRC2:TGID_X_EN: 1
; COMPUTE_PGM_RSRC2:TGID_Y_EN: 0
; COMPUTE_PGM_RSRC2:TGID_Z_EN: 0
; COMPUTE_PGM_RSRC2:TIDIG_COMP_CNT: 0
; COMPUTE_PGM_RSRC3_GFX90A:ACCUM_OFFSET: 0
; COMPUTE_PGM_RSRC3_GFX90A:TG_SPLIT: 0
	.section	.text._ZN7rocprim17ROCPRIM_400000_NS6detail17trampoline_kernelINS0_14default_configENS1_25partition_config_selectorILNS1_17partition_subalgoE8EsNS0_10empty_typeEbEEZZNS1_14partition_implILS5_8ELb0ES3_jPKsPS6_PKS6_NS0_5tupleIJPsS6_EEENSE_IJSB_SB_EEENS0_18inequality_wrapperIN6hipcub16HIPCUB_304000_NS8EqualityEEEPlJS6_EEE10hipError_tPvRmT3_T4_T5_T6_T7_T9_mT8_P12ihipStream_tbDpT10_ENKUlT_T0_E_clISt17integral_constantIbLb0EES17_EEDaS12_S13_EUlS12_E_NS1_11comp_targetILNS1_3genE5ELNS1_11target_archE942ELNS1_3gpuE9ELNS1_3repE0EEENS1_30default_config_static_selectorELNS0_4arch9wavefront6targetE1EEEvT1_,"axG",@progbits,_ZN7rocprim17ROCPRIM_400000_NS6detail17trampoline_kernelINS0_14default_configENS1_25partition_config_selectorILNS1_17partition_subalgoE8EsNS0_10empty_typeEbEEZZNS1_14partition_implILS5_8ELb0ES3_jPKsPS6_PKS6_NS0_5tupleIJPsS6_EEENSE_IJSB_SB_EEENS0_18inequality_wrapperIN6hipcub16HIPCUB_304000_NS8EqualityEEEPlJS6_EEE10hipError_tPvRmT3_T4_T5_T6_T7_T9_mT8_P12ihipStream_tbDpT10_ENKUlT_T0_E_clISt17integral_constantIbLb0EES17_EEDaS12_S13_EUlS12_E_NS1_11comp_targetILNS1_3genE5ELNS1_11target_archE942ELNS1_3gpuE9ELNS1_3repE0EEENS1_30default_config_static_selectorELNS0_4arch9wavefront6targetE1EEEvT1_,comdat
	.protected	_ZN7rocprim17ROCPRIM_400000_NS6detail17trampoline_kernelINS0_14default_configENS1_25partition_config_selectorILNS1_17partition_subalgoE8EsNS0_10empty_typeEbEEZZNS1_14partition_implILS5_8ELb0ES3_jPKsPS6_PKS6_NS0_5tupleIJPsS6_EEENSE_IJSB_SB_EEENS0_18inequality_wrapperIN6hipcub16HIPCUB_304000_NS8EqualityEEEPlJS6_EEE10hipError_tPvRmT3_T4_T5_T6_T7_T9_mT8_P12ihipStream_tbDpT10_ENKUlT_T0_E_clISt17integral_constantIbLb0EES17_EEDaS12_S13_EUlS12_E_NS1_11comp_targetILNS1_3genE5ELNS1_11target_archE942ELNS1_3gpuE9ELNS1_3repE0EEENS1_30default_config_static_selectorELNS0_4arch9wavefront6targetE1EEEvT1_ ; -- Begin function _ZN7rocprim17ROCPRIM_400000_NS6detail17trampoline_kernelINS0_14default_configENS1_25partition_config_selectorILNS1_17partition_subalgoE8EsNS0_10empty_typeEbEEZZNS1_14partition_implILS5_8ELb0ES3_jPKsPS6_PKS6_NS0_5tupleIJPsS6_EEENSE_IJSB_SB_EEENS0_18inequality_wrapperIN6hipcub16HIPCUB_304000_NS8EqualityEEEPlJS6_EEE10hipError_tPvRmT3_T4_T5_T6_T7_T9_mT8_P12ihipStream_tbDpT10_ENKUlT_T0_E_clISt17integral_constantIbLb0EES17_EEDaS12_S13_EUlS12_E_NS1_11comp_targetILNS1_3genE5ELNS1_11target_archE942ELNS1_3gpuE9ELNS1_3repE0EEENS1_30default_config_static_selectorELNS0_4arch9wavefront6targetE1EEEvT1_
	.globl	_ZN7rocprim17ROCPRIM_400000_NS6detail17trampoline_kernelINS0_14default_configENS1_25partition_config_selectorILNS1_17partition_subalgoE8EsNS0_10empty_typeEbEEZZNS1_14partition_implILS5_8ELb0ES3_jPKsPS6_PKS6_NS0_5tupleIJPsS6_EEENSE_IJSB_SB_EEENS0_18inequality_wrapperIN6hipcub16HIPCUB_304000_NS8EqualityEEEPlJS6_EEE10hipError_tPvRmT3_T4_T5_T6_T7_T9_mT8_P12ihipStream_tbDpT10_ENKUlT_T0_E_clISt17integral_constantIbLb0EES17_EEDaS12_S13_EUlS12_E_NS1_11comp_targetILNS1_3genE5ELNS1_11target_archE942ELNS1_3gpuE9ELNS1_3repE0EEENS1_30default_config_static_selectorELNS0_4arch9wavefront6targetE1EEEvT1_
	.p2align	8
	.type	_ZN7rocprim17ROCPRIM_400000_NS6detail17trampoline_kernelINS0_14default_configENS1_25partition_config_selectorILNS1_17partition_subalgoE8EsNS0_10empty_typeEbEEZZNS1_14partition_implILS5_8ELb0ES3_jPKsPS6_PKS6_NS0_5tupleIJPsS6_EEENSE_IJSB_SB_EEENS0_18inequality_wrapperIN6hipcub16HIPCUB_304000_NS8EqualityEEEPlJS6_EEE10hipError_tPvRmT3_T4_T5_T6_T7_T9_mT8_P12ihipStream_tbDpT10_ENKUlT_T0_E_clISt17integral_constantIbLb0EES17_EEDaS12_S13_EUlS12_E_NS1_11comp_targetILNS1_3genE5ELNS1_11target_archE942ELNS1_3gpuE9ELNS1_3repE0EEENS1_30default_config_static_selectorELNS0_4arch9wavefront6targetE1EEEvT1_,@function
_ZN7rocprim17ROCPRIM_400000_NS6detail17trampoline_kernelINS0_14default_configENS1_25partition_config_selectorILNS1_17partition_subalgoE8EsNS0_10empty_typeEbEEZZNS1_14partition_implILS5_8ELb0ES3_jPKsPS6_PKS6_NS0_5tupleIJPsS6_EEENSE_IJSB_SB_EEENS0_18inequality_wrapperIN6hipcub16HIPCUB_304000_NS8EqualityEEEPlJS6_EEE10hipError_tPvRmT3_T4_T5_T6_T7_T9_mT8_P12ihipStream_tbDpT10_ENKUlT_T0_E_clISt17integral_constantIbLb0EES17_EEDaS12_S13_EUlS12_E_NS1_11comp_targetILNS1_3genE5ELNS1_11target_archE942ELNS1_3gpuE9ELNS1_3repE0EEENS1_30default_config_static_selectorELNS0_4arch9wavefront6targetE1EEEvT1_: ; @_ZN7rocprim17ROCPRIM_400000_NS6detail17trampoline_kernelINS0_14default_configENS1_25partition_config_selectorILNS1_17partition_subalgoE8EsNS0_10empty_typeEbEEZZNS1_14partition_implILS5_8ELb0ES3_jPKsPS6_PKS6_NS0_5tupleIJPsS6_EEENSE_IJSB_SB_EEENS0_18inequality_wrapperIN6hipcub16HIPCUB_304000_NS8EqualityEEEPlJS6_EEE10hipError_tPvRmT3_T4_T5_T6_T7_T9_mT8_P12ihipStream_tbDpT10_ENKUlT_T0_E_clISt17integral_constantIbLb0EES17_EEDaS12_S13_EUlS12_E_NS1_11comp_targetILNS1_3genE5ELNS1_11target_archE942ELNS1_3gpuE9ELNS1_3repE0EEENS1_30default_config_static_selectorELNS0_4arch9wavefront6targetE1EEEvT1_
; %bb.0:
	.section	.rodata,"a",@progbits
	.p2align	6, 0x0
	.amdhsa_kernel _ZN7rocprim17ROCPRIM_400000_NS6detail17trampoline_kernelINS0_14default_configENS1_25partition_config_selectorILNS1_17partition_subalgoE8EsNS0_10empty_typeEbEEZZNS1_14partition_implILS5_8ELb0ES3_jPKsPS6_PKS6_NS0_5tupleIJPsS6_EEENSE_IJSB_SB_EEENS0_18inequality_wrapperIN6hipcub16HIPCUB_304000_NS8EqualityEEEPlJS6_EEE10hipError_tPvRmT3_T4_T5_T6_T7_T9_mT8_P12ihipStream_tbDpT10_ENKUlT_T0_E_clISt17integral_constantIbLb0EES17_EEDaS12_S13_EUlS12_E_NS1_11comp_targetILNS1_3genE5ELNS1_11target_archE942ELNS1_3gpuE9ELNS1_3repE0EEENS1_30default_config_static_selectorELNS0_4arch9wavefront6targetE1EEEvT1_
		.amdhsa_group_segment_fixed_size 0
		.amdhsa_private_segment_fixed_size 0
		.amdhsa_kernarg_size 112
		.amdhsa_user_sgpr_count 6
		.amdhsa_user_sgpr_private_segment_buffer 1
		.amdhsa_user_sgpr_dispatch_ptr 0
		.amdhsa_user_sgpr_queue_ptr 0
		.amdhsa_user_sgpr_kernarg_segment_ptr 1
		.amdhsa_user_sgpr_dispatch_id 0
		.amdhsa_user_sgpr_flat_scratch_init 0
		.amdhsa_user_sgpr_kernarg_preload_length 0
		.amdhsa_user_sgpr_kernarg_preload_offset 0
		.amdhsa_user_sgpr_private_segment_size 0
		.amdhsa_uses_dynamic_stack 0
		.amdhsa_system_sgpr_private_segment_wavefront_offset 0
		.amdhsa_system_sgpr_workgroup_id_x 1
		.amdhsa_system_sgpr_workgroup_id_y 0
		.amdhsa_system_sgpr_workgroup_id_z 0
		.amdhsa_system_sgpr_workgroup_info 0
		.amdhsa_system_vgpr_workitem_id 0
		.amdhsa_next_free_vgpr 1
		.amdhsa_next_free_sgpr 0
		.amdhsa_accum_offset 4
		.amdhsa_reserve_vcc 0
		.amdhsa_reserve_flat_scratch 0
		.amdhsa_float_round_mode_32 0
		.amdhsa_float_round_mode_16_64 0
		.amdhsa_float_denorm_mode_32 3
		.amdhsa_float_denorm_mode_16_64 3
		.amdhsa_dx10_clamp 1
		.amdhsa_ieee_mode 1
		.amdhsa_fp16_overflow 0
		.amdhsa_tg_split 0
		.amdhsa_exception_fp_ieee_invalid_op 0
		.amdhsa_exception_fp_denorm_src 0
		.amdhsa_exception_fp_ieee_div_zero 0
		.amdhsa_exception_fp_ieee_overflow 0
		.amdhsa_exception_fp_ieee_underflow 0
		.amdhsa_exception_fp_ieee_inexact 0
		.amdhsa_exception_int_div_zero 0
	.end_amdhsa_kernel
	.section	.text._ZN7rocprim17ROCPRIM_400000_NS6detail17trampoline_kernelINS0_14default_configENS1_25partition_config_selectorILNS1_17partition_subalgoE8EsNS0_10empty_typeEbEEZZNS1_14partition_implILS5_8ELb0ES3_jPKsPS6_PKS6_NS0_5tupleIJPsS6_EEENSE_IJSB_SB_EEENS0_18inequality_wrapperIN6hipcub16HIPCUB_304000_NS8EqualityEEEPlJS6_EEE10hipError_tPvRmT3_T4_T5_T6_T7_T9_mT8_P12ihipStream_tbDpT10_ENKUlT_T0_E_clISt17integral_constantIbLb0EES17_EEDaS12_S13_EUlS12_E_NS1_11comp_targetILNS1_3genE5ELNS1_11target_archE942ELNS1_3gpuE9ELNS1_3repE0EEENS1_30default_config_static_selectorELNS0_4arch9wavefront6targetE1EEEvT1_,"axG",@progbits,_ZN7rocprim17ROCPRIM_400000_NS6detail17trampoline_kernelINS0_14default_configENS1_25partition_config_selectorILNS1_17partition_subalgoE8EsNS0_10empty_typeEbEEZZNS1_14partition_implILS5_8ELb0ES3_jPKsPS6_PKS6_NS0_5tupleIJPsS6_EEENSE_IJSB_SB_EEENS0_18inequality_wrapperIN6hipcub16HIPCUB_304000_NS8EqualityEEEPlJS6_EEE10hipError_tPvRmT3_T4_T5_T6_T7_T9_mT8_P12ihipStream_tbDpT10_ENKUlT_T0_E_clISt17integral_constantIbLb0EES17_EEDaS12_S13_EUlS12_E_NS1_11comp_targetILNS1_3genE5ELNS1_11target_archE942ELNS1_3gpuE9ELNS1_3repE0EEENS1_30default_config_static_selectorELNS0_4arch9wavefront6targetE1EEEvT1_,comdat
.Lfunc_end549:
	.size	_ZN7rocprim17ROCPRIM_400000_NS6detail17trampoline_kernelINS0_14default_configENS1_25partition_config_selectorILNS1_17partition_subalgoE8EsNS0_10empty_typeEbEEZZNS1_14partition_implILS5_8ELb0ES3_jPKsPS6_PKS6_NS0_5tupleIJPsS6_EEENSE_IJSB_SB_EEENS0_18inequality_wrapperIN6hipcub16HIPCUB_304000_NS8EqualityEEEPlJS6_EEE10hipError_tPvRmT3_T4_T5_T6_T7_T9_mT8_P12ihipStream_tbDpT10_ENKUlT_T0_E_clISt17integral_constantIbLb0EES17_EEDaS12_S13_EUlS12_E_NS1_11comp_targetILNS1_3genE5ELNS1_11target_archE942ELNS1_3gpuE9ELNS1_3repE0EEENS1_30default_config_static_selectorELNS0_4arch9wavefront6targetE1EEEvT1_, .Lfunc_end549-_ZN7rocprim17ROCPRIM_400000_NS6detail17trampoline_kernelINS0_14default_configENS1_25partition_config_selectorILNS1_17partition_subalgoE8EsNS0_10empty_typeEbEEZZNS1_14partition_implILS5_8ELb0ES3_jPKsPS6_PKS6_NS0_5tupleIJPsS6_EEENSE_IJSB_SB_EEENS0_18inequality_wrapperIN6hipcub16HIPCUB_304000_NS8EqualityEEEPlJS6_EEE10hipError_tPvRmT3_T4_T5_T6_T7_T9_mT8_P12ihipStream_tbDpT10_ENKUlT_T0_E_clISt17integral_constantIbLb0EES17_EEDaS12_S13_EUlS12_E_NS1_11comp_targetILNS1_3genE5ELNS1_11target_archE942ELNS1_3gpuE9ELNS1_3repE0EEENS1_30default_config_static_selectorELNS0_4arch9wavefront6targetE1EEEvT1_
                                        ; -- End function
	.section	.AMDGPU.csdata,"",@progbits
; Kernel info:
; codeLenInByte = 0
; NumSgprs: 4
; NumVgprs: 0
; NumAgprs: 0
; TotalNumVgprs: 0
; ScratchSize: 0
; MemoryBound: 0
; FloatMode: 240
; IeeeMode: 1
; LDSByteSize: 0 bytes/workgroup (compile time only)
; SGPRBlocks: 0
; VGPRBlocks: 0
; NumSGPRsForWavesPerEU: 4
; NumVGPRsForWavesPerEU: 1
; AccumOffset: 4
; Occupancy: 8
; WaveLimiterHint : 0
; COMPUTE_PGM_RSRC2:SCRATCH_EN: 0
; COMPUTE_PGM_RSRC2:USER_SGPR: 6
; COMPUTE_PGM_RSRC2:TRAP_HANDLER: 0
; COMPUTE_PGM_RSRC2:TGID_X_EN: 1
; COMPUTE_PGM_RSRC2:TGID_Y_EN: 0
; COMPUTE_PGM_RSRC2:TGID_Z_EN: 0
; COMPUTE_PGM_RSRC2:TIDIG_COMP_CNT: 0
; COMPUTE_PGM_RSRC3_GFX90A:ACCUM_OFFSET: 0
; COMPUTE_PGM_RSRC3_GFX90A:TG_SPLIT: 0
	.section	.text._ZN7rocprim17ROCPRIM_400000_NS6detail17trampoline_kernelINS0_14default_configENS1_25partition_config_selectorILNS1_17partition_subalgoE8EsNS0_10empty_typeEbEEZZNS1_14partition_implILS5_8ELb0ES3_jPKsPS6_PKS6_NS0_5tupleIJPsS6_EEENSE_IJSB_SB_EEENS0_18inequality_wrapperIN6hipcub16HIPCUB_304000_NS8EqualityEEEPlJS6_EEE10hipError_tPvRmT3_T4_T5_T6_T7_T9_mT8_P12ihipStream_tbDpT10_ENKUlT_T0_E_clISt17integral_constantIbLb0EES17_EEDaS12_S13_EUlS12_E_NS1_11comp_targetILNS1_3genE4ELNS1_11target_archE910ELNS1_3gpuE8ELNS1_3repE0EEENS1_30default_config_static_selectorELNS0_4arch9wavefront6targetE1EEEvT1_,"axG",@progbits,_ZN7rocprim17ROCPRIM_400000_NS6detail17trampoline_kernelINS0_14default_configENS1_25partition_config_selectorILNS1_17partition_subalgoE8EsNS0_10empty_typeEbEEZZNS1_14partition_implILS5_8ELb0ES3_jPKsPS6_PKS6_NS0_5tupleIJPsS6_EEENSE_IJSB_SB_EEENS0_18inequality_wrapperIN6hipcub16HIPCUB_304000_NS8EqualityEEEPlJS6_EEE10hipError_tPvRmT3_T4_T5_T6_T7_T9_mT8_P12ihipStream_tbDpT10_ENKUlT_T0_E_clISt17integral_constantIbLb0EES17_EEDaS12_S13_EUlS12_E_NS1_11comp_targetILNS1_3genE4ELNS1_11target_archE910ELNS1_3gpuE8ELNS1_3repE0EEENS1_30default_config_static_selectorELNS0_4arch9wavefront6targetE1EEEvT1_,comdat
	.protected	_ZN7rocprim17ROCPRIM_400000_NS6detail17trampoline_kernelINS0_14default_configENS1_25partition_config_selectorILNS1_17partition_subalgoE8EsNS0_10empty_typeEbEEZZNS1_14partition_implILS5_8ELb0ES3_jPKsPS6_PKS6_NS0_5tupleIJPsS6_EEENSE_IJSB_SB_EEENS0_18inequality_wrapperIN6hipcub16HIPCUB_304000_NS8EqualityEEEPlJS6_EEE10hipError_tPvRmT3_T4_T5_T6_T7_T9_mT8_P12ihipStream_tbDpT10_ENKUlT_T0_E_clISt17integral_constantIbLb0EES17_EEDaS12_S13_EUlS12_E_NS1_11comp_targetILNS1_3genE4ELNS1_11target_archE910ELNS1_3gpuE8ELNS1_3repE0EEENS1_30default_config_static_selectorELNS0_4arch9wavefront6targetE1EEEvT1_ ; -- Begin function _ZN7rocprim17ROCPRIM_400000_NS6detail17trampoline_kernelINS0_14default_configENS1_25partition_config_selectorILNS1_17partition_subalgoE8EsNS0_10empty_typeEbEEZZNS1_14partition_implILS5_8ELb0ES3_jPKsPS6_PKS6_NS0_5tupleIJPsS6_EEENSE_IJSB_SB_EEENS0_18inequality_wrapperIN6hipcub16HIPCUB_304000_NS8EqualityEEEPlJS6_EEE10hipError_tPvRmT3_T4_T5_T6_T7_T9_mT8_P12ihipStream_tbDpT10_ENKUlT_T0_E_clISt17integral_constantIbLb0EES17_EEDaS12_S13_EUlS12_E_NS1_11comp_targetILNS1_3genE4ELNS1_11target_archE910ELNS1_3gpuE8ELNS1_3repE0EEENS1_30default_config_static_selectorELNS0_4arch9wavefront6targetE1EEEvT1_
	.globl	_ZN7rocprim17ROCPRIM_400000_NS6detail17trampoline_kernelINS0_14default_configENS1_25partition_config_selectorILNS1_17partition_subalgoE8EsNS0_10empty_typeEbEEZZNS1_14partition_implILS5_8ELb0ES3_jPKsPS6_PKS6_NS0_5tupleIJPsS6_EEENSE_IJSB_SB_EEENS0_18inequality_wrapperIN6hipcub16HIPCUB_304000_NS8EqualityEEEPlJS6_EEE10hipError_tPvRmT3_T4_T5_T6_T7_T9_mT8_P12ihipStream_tbDpT10_ENKUlT_T0_E_clISt17integral_constantIbLb0EES17_EEDaS12_S13_EUlS12_E_NS1_11comp_targetILNS1_3genE4ELNS1_11target_archE910ELNS1_3gpuE8ELNS1_3repE0EEENS1_30default_config_static_selectorELNS0_4arch9wavefront6targetE1EEEvT1_
	.p2align	8
	.type	_ZN7rocprim17ROCPRIM_400000_NS6detail17trampoline_kernelINS0_14default_configENS1_25partition_config_selectorILNS1_17partition_subalgoE8EsNS0_10empty_typeEbEEZZNS1_14partition_implILS5_8ELb0ES3_jPKsPS6_PKS6_NS0_5tupleIJPsS6_EEENSE_IJSB_SB_EEENS0_18inequality_wrapperIN6hipcub16HIPCUB_304000_NS8EqualityEEEPlJS6_EEE10hipError_tPvRmT3_T4_T5_T6_T7_T9_mT8_P12ihipStream_tbDpT10_ENKUlT_T0_E_clISt17integral_constantIbLb0EES17_EEDaS12_S13_EUlS12_E_NS1_11comp_targetILNS1_3genE4ELNS1_11target_archE910ELNS1_3gpuE8ELNS1_3repE0EEENS1_30default_config_static_selectorELNS0_4arch9wavefront6targetE1EEEvT1_,@function
_ZN7rocprim17ROCPRIM_400000_NS6detail17trampoline_kernelINS0_14default_configENS1_25partition_config_selectorILNS1_17partition_subalgoE8EsNS0_10empty_typeEbEEZZNS1_14partition_implILS5_8ELb0ES3_jPKsPS6_PKS6_NS0_5tupleIJPsS6_EEENSE_IJSB_SB_EEENS0_18inequality_wrapperIN6hipcub16HIPCUB_304000_NS8EqualityEEEPlJS6_EEE10hipError_tPvRmT3_T4_T5_T6_T7_T9_mT8_P12ihipStream_tbDpT10_ENKUlT_T0_E_clISt17integral_constantIbLb0EES17_EEDaS12_S13_EUlS12_E_NS1_11comp_targetILNS1_3genE4ELNS1_11target_archE910ELNS1_3gpuE8ELNS1_3repE0EEENS1_30default_config_static_selectorELNS0_4arch9wavefront6targetE1EEEvT1_: ; @_ZN7rocprim17ROCPRIM_400000_NS6detail17trampoline_kernelINS0_14default_configENS1_25partition_config_selectorILNS1_17partition_subalgoE8EsNS0_10empty_typeEbEEZZNS1_14partition_implILS5_8ELb0ES3_jPKsPS6_PKS6_NS0_5tupleIJPsS6_EEENSE_IJSB_SB_EEENS0_18inequality_wrapperIN6hipcub16HIPCUB_304000_NS8EqualityEEEPlJS6_EEE10hipError_tPvRmT3_T4_T5_T6_T7_T9_mT8_P12ihipStream_tbDpT10_ENKUlT_T0_E_clISt17integral_constantIbLb0EES17_EEDaS12_S13_EUlS12_E_NS1_11comp_targetILNS1_3genE4ELNS1_11target_archE910ELNS1_3gpuE8ELNS1_3repE0EEENS1_30default_config_static_selectorELNS0_4arch9wavefront6targetE1EEEvT1_
; %bb.0:
	s_load_dwordx2 s[8:9], s[4:5], 0x50
	s_load_dwordx4 s[0:3], s[4:5], 0x8
	s_load_dwordx4 s[48:51], s[4:5], 0x40
	s_load_dword s7, s[4:5], 0x68
	s_waitcnt lgkmcnt(0)
	v_mov_b32_e32 v3, s9
	s_lshl_b64 s[10:11], s[2:3], 1
	s_add_u32 s10, s0, s10
	s_mul_i32 s9, s7, 0x1600
	s_addc_u32 s11, s1, s11
	s_add_i32 s1, s9, s2
	s_add_i32 s12, s7, -1
	s_sub_i32 s7, s8, s1
	v_mov_b32_e32 v2, s8
	s_add_u32 s8, s2, s9
	s_addc_u32 s9, s3, 0
	s_cmp_eq_u32 s6, s12
	s_load_dwordx2 s[50:51], s[50:51], 0x0
	v_cmp_ge_u64_e32 vcc, s[8:9], v[2:3]
	s_cselect_b64 s[52:53], -1, 0
	s_mul_i32 s0, s6, 0x1600
	s_mov_b32 s1, 0
	s_and_b64 s[56:57], s[52:53], vcc
	s_xor_b64 s[54:55], s[56:57], -1
	s_lshl_b64 s[0:1], s[0:1], 1
	s_add_u32 s0, s10, s0
	s_mov_b64 s[8:9], -1
	s_addc_u32 s1, s11, s1
	s_and_b64 vcc, exec, s[54:55]
	s_cbranch_vccz .LBB550_2
; %bb.1:
	v_lshlrev_b32_e32 v1, 1, v0
	v_mov_b32_e32 v2, s1
	v_add_co_u32_e32 v4, vcc, s0, v1
	v_addc_co_u32_e32 v5, vcc, 0, v2, vcc
	v_add_co_u32_e32 v2, vcc, 0x1000, v4
	v_addc_co_u32_e32 v3, vcc, 0, v5, vcc
	global_load_ushort v6, v1, s[0:1]
	global_load_ushort v7, v1, s[0:1] offset:512
	global_load_ushort v8, v1, s[0:1] offset:1024
	;; [unrolled: 1-line block ×7, first 2 shown]
	global_load_ushort v14, v[2:3], off
	global_load_ushort v15, v[2:3], off offset:512
	global_load_ushort v16, v[2:3], off offset:1024
	global_load_ushort v17, v[2:3], off offset:1536
	global_load_ushort v18, v[2:3], off offset:2048
	global_load_ushort v19, v[2:3], off offset:2560
	global_load_ushort v20, v[2:3], off offset:3072
	global_load_ushort v21, v[2:3], off offset:3584
	v_add_co_u32_e32 v2, vcc, 0x2000, v4
	v_addc_co_u32_e32 v3, vcc, 0, v5, vcc
	global_load_ushort v4, v[2:3], off
	global_load_ushort v5, v[2:3], off offset:512
	global_load_ushort v22, v[2:3], off offset:1024
	;; [unrolled: 1-line block ×5, first 2 shown]
	s_mov_b64 s[8:9], 0
	s_waitcnt vmcnt(21)
	ds_write_b16 v1, v6
	s_waitcnt vmcnt(20)
	ds_write_b16 v1, v7 offset:512
	s_waitcnt vmcnt(19)
	ds_write_b16 v1, v8 offset:1024
	;; [unrolled: 2-line block ×21, first 2 shown]
	s_waitcnt lgkmcnt(0)
	s_barrier
.LBB550_2:
	s_andn2_b64 vcc, exec, s[8:9]
	s_addk_i32 s7, 0x1600
	s_cbranch_vccnz .LBB550_48
; %bb.3:
	v_cmp_gt_u32_e32 vcc, s7, v0
                                        ; implicit-def: $vgpr1
	s_and_saveexec_b64 s[8:9], vcc
	s_cbranch_execz .LBB550_5
; %bb.4:
	v_lshlrev_b32_e32 v1, 1, v0
	global_load_ushort v1, v1, s[0:1]
.LBB550_5:
	s_or_b64 exec, exec, s[8:9]
	v_or_b32_e32 v2, 0x100, v0
	v_cmp_gt_u32_e32 vcc, s7, v2
                                        ; implicit-def: $vgpr2
	s_and_saveexec_b64 s[8:9], vcc
	s_cbranch_execz .LBB550_7
; %bb.6:
	v_lshlrev_b32_e32 v2, 1, v0
	global_load_ushort v2, v2, s[0:1] offset:512
.LBB550_7:
	s_or_b64 exec, exec, s[8:9]
	v_or_b32_e32 v3, 0x200, v0
	v_cmp_gt_u32_e32 vcc, s7, v3
                                        ; implicit-def: $vgpr3
	s_and_saveexec_b64 s[8:9], vcc
	s_cbranch_execz .LBB550_9
; %bb.8:
	v_lshlrev_b32_e32 v3, 1, v0
	global_load_ushort v3, v3, s[0:1] offset:1024
.LBB550_9:
	s_or_b64 exec, exec, s[8:9]
	v_or_b32_e32 v4, 0x300, v0
	v_cmp_gt_u32_e32 vcc, s7, v4
                                        ; implicit-def: $vgpr4
	s_and_saveexec_b64 s[8:9], vcc
	s_cbranch_execz .LBB550_11
; %bb.10:
	v_lshlrev_b32_e32 v4, 1, v0
	global_load_ushort v4, v4, s[0:1] offset:1536
.LBB550_11:
	s_or_b64 exec, exec, s[8:9]
	v_or_b32_e32 v5, 0x400, v0
	v_cmp_gt_u32_e32 vcc, s7, v5
                                        ; implicit-def: $vgpr5
	s_and_saveexec_b64 s[8:9], vcc
	s_cbranch_execz .LBB550_13
; %bb.12:
	v_lshlrev_b32_e32 v5, 1, v0
	global_load_ushort v5, v5, s[0:1] offset:2048
.LBB550_13:
	s_or_b64 exec, exec, s[8:9]
	v_or_b32_e32 v6, 0x500, v0
	v_cmp_gt_u32_e32 vcc, s7, v6
                                        ; implicit-def: $vgpr6
	s_and_saveexec_b64 s[8:9], vcc
	s_cbranch_execz .LBB550_15
; %bb.14:
	v_lshlrev_b32_e32 v6, 1, v0
	global_load_ushort v6, v6, s[0:1] offset:2560
.LBB550_15:
	s_or_b64 exec, exec, s[8:9]
	v_or_b32_e32 v7, 0x600, v0
	v_cmp_gt_u32_e32 vcc, s7, v7
                                        ; implicit-def: $vgpr7
	s_and_saveexec_b64 s[8:9], vcc
	s_cbranch_execz .LBB550_17
; %bb.16:
	v_lshlrev_b32_e32 v7, 1, v0
	global_load_ushort v7, v7, s[0:1] offset:3072
.LBB550_17:
	s_or_b64 exec, exec, s[8:9]
	v_or_b32_e32 v8, 0x700, v0
	v_cmp_gt_u32_e32 vcc, s7, v8
                                        ; implicit-def: $vgpr8
	s_and_saveexec_b64 s[8:9], vcc
	s_cbranch_execz .LBB550_19
; %bb.18:
	v_lshlrev_b32_e32 v8, 1, v0
	global_load_ushort v8, v8, s[0:1] offset:3584
.LBB550_19:
	s_or_b64 exec, exec, s[8:9]
	v_or_b32_e32 v10, 0x800, v0
	v_cmp_gt_u32_e32 vcc, s7, v10
                                        ; implicit-def: $vgpr9
	s_and_saveexec_b64 s[8:9], vcc
	s_cbranch_execz .LBB550_21
; %bb.20:
	v_lshlrev_b32_e32 v9, 1, v10
	global_load_ushort v9, v9, s[0:1]
.LBB550_21:
	s_or_b64 exec, exec, s[8:9]
	v_or_b32_e32 v11, 0x900, v0
	v_cmp_gt_u32_e32 vcc, s7, v11
                                        ; implicit-def: $vgpr10
	s_and_saveexec_b64 s[8:9], vcc
	s_cbranch_execz .LBB550_23
; %bb.22:
	v_lshlrev_b32_e32 v10, 1, v11
	global_load_ushort v10, v10, s[0:1]
.LBB550_23:
	s_or_b64 exec, exec, s[8:9]
	v_or_b32_e32 v12, 0xa00, v0
	v_cmp_gt_u32_e32 vcc, s7, v12
                                        ; implicit-def: $vgpr11
	s_and_saveexec_b64 s[8:9], vcc
	s_cbranch_execz .LBB550_25
; %bb.24:
	v_lshlrev_b32_e32 v11, 1, v12
	global_load_ushort v11, v11, s[0:1]
.LBB550_25:
	s_or_b64 exec, exec, s[8:9]
	v_or_b32_e32 v13, 0xb00, v0
	v_cmp_gt_u32_e32 vcc, s7, v13
                                        ; implicit-def: $vgpr12
	s_and_saveexec_b64 s[8:9], vcc
	s_cbranch_execz .LBB550_27
; %bb.26:
	v_lshlrev_b32_e32 v12, 1, v13
	global_load_ushort v12, v12, s[0:1]
.LBB550_27:
	s_or_b64 exec, exec, s[8:9]
	v_or_b32_e32 v14, 0xc00, v0
	v_cmp_gt_u32_e32 vcc, s7, v14
                                        ; implicit-def: $vgpr13
	s_and_saveexec_b64 s[8:9], vcc
	s_cbranch_execz .LBB550_29
; %bb.28:
	v_lshlrev_b32_e32 v13, 1, v14
	global_load_ushort v13, v13, s[0:1]
.LBB550_29:
	s_or_b64 exec, exec, s[8:9]
	v_or_b32_e32 v15, 0xd00, v0
	v_cmp_gt_u32_e32 vcc, s7, v15
                                        ; implicit-def: $vgpr14
	s_and_saveexec_b64 s[8:9], vcc
	s_cbranch_execz .LBB550_31
; %bb.30:
	v_lshlrev_b32_e32 v14, 1, v15
	global_load_ushort v14, v14, s[0:1]
.LBB550_31:
	s_or_b64 exec, exec, s[8:9]
	v_or_b32_e32 v16, 0xe00, v0
	v_cmp_gt_u32_e32 vcc, s7, v16
                                        ; implicit-def: $vgpr15
	s_and_saveexec_b64 s[8:9], vcc
	s_cbranch_execz .LBB550_33
; %bb.32:
	v_lshlrev_b32_e32 v15, 1, v16
	global_load_ushort v15, v15, s[0:1]
.LBB550_33:
	s_or_b64 exec, exec, s[8:9]
	v_or_b32_e32 v17, 0xf00, v0
	v_cmp_gt_u32_e32 vcc, s7, v17
                                        ; implicit-def: $vgpr16
	s_and_saveexec_b64 s[8:9], vcc
	s_cbranch_execz .LBB550_35
; %bb.34:
	v_lshlrev_b32_e32 v16, 1, v17
	global_load_ushort v16, v16, s[0:1]
.LBB550_35:
	s_or_b64 exec, exec, s[8:9]
	v_or_b32_e32 v18, 0x1000, v0
	v_cmp_gt_u32_e32 vcc, s7, v18
                                        ; implicit-def: $vgpr17
	s_and_saveexec_b64 s[8:9], vcc
	s_cbranch_execz .LBB550_37
; %bb.36:
	v_lshlrev_b32_e32 v17, 1, v18
	global_load_ushort v17, v17, s[0:1]
.LBB550_37:
	s_or_b64 exec, exec, s[8:9]
	v_or_b32_e32 v19, 0x1100, v0
	v_cmp_gt_u32_e32 vcc, s7, v19
                                        ; implicit-def: $vgpr18
	s_and_saveexec_b64 s[8:9], vcc
	s_cbranch_execz .LBB550_39
; %bb.38:
	v_lshlrev_b32_e32 v18, 1, v19
	global_load_ushort v18, v18, s[0:1]
.LBB550_39:
	s_or_b64 exec, exec, s[8:9]
	v_or_b32_e32 v20, 0x1200, v0
	v_cmp_gt_u32_e32 vcc, s7, v20
                                        ; implicit-def: $vgpr19
	s_and_saveexec_b64 s[8:9], vcc
	s_cbranch_execz .LBB550_41
; %bb.40:
	v_lshlrev_b32_e32 v19, 1, v20
	global_load_ushort v19, v19, s[0:1]
.LBB550_41:
	s_or_b64 exec, exec, s[8:9]
	v_or_b32_e32 v21, 0x1300, v0
	v_cmp_gt_u32_e32 vcc, s7, v21
                                        ; implicit-def: $vgpr20
	s_and_saveexec_b64 s[8:9], vcc
	s_cbranch_execz .LBB550_43
; %bb.42:
	v_lshlrev_b32_e32 v20, 1, v21
	global_load_ushort v20, v20, s[0:1]
.LBB550_43:
	s_or_b64 exec, exec, s[8:9]
	v_or_b32_e32 v22, 0x1400, v0
	v_cmp_gt_u32_e32 vcc, s7, v22
                                        ; implicit-def: $vgpr21
	s_and_saveexec_b64 s[8:9], vcc
	s_cbranch_execz .LBB550_45
; %bb.44:
	v_lshlrev_b32_e32 v21, 1, v22
	global_load_ushort v21, v21, s[0:1]
.LBB550_45:
	s_or_b64 exec, exec, s[8:9]
	v_or_b32_e32 v23, 0x1500, v0
	v_cmp_gt_u32_e32 vcc, s7, v23
                                        ; implicit-def: $vgpr22
	s_and_saveexec_b64 s[8:9], vcc
	s_cbranch_execz .LBB550_47
; %bb.46:
	v_lshlrev_b32_e32 v22, 1, v23
	global_load_ushort v22, v22, s[0:1]
.LBB550_47:
	s_or_b64 exec, exec, s[8:9]
	v_lshlrev_b32_e32 v23, 1, v0
	s_waitcnt vmcnt(0)
	ds_write_b16 v23, v1
	ds_write_b16 v23, v2 offset:512
	ds_write_b16 v23, v3 offset:1024
	;; [unrolled: 1-line block ×21, first 2 shown]
	s_waitcnt lgkmcnt(0)
	s_barrier
.LBB550_48:
	v_mul_u32_u24_e32 v19, 22, v0
	v_lshlrev_b32_e32 v34, 1, v19
	s_waitcnt lgkmcnt(0)
	ds_read_b32 v60, v34 offset:40
	ds_read2_b32 v[2:3], v34 offset0:8 offset1:9
	ds_read2_b32 v[4:5], v34 offset0:6 offset1:7
	ds_read2_b32 v[10:11], v34 offset1:1
	ds_read2_b32 v[8:9], v34 offset0:2 offset1:3
	ds_read2_b32 v[6:7], v34 offset0:4 offset1:5
	s_cmp_lg_u32 s6, 0
	s_cselect_b64 s[58:59], -1, 0
	s_cmp_lg_u64 s[2:3], 0
	s_cselect_b64 s[2:3], -1, 0
	s_or_b64 s[2:3], s[58:59], s[2:3]
	v_mad_u32_u24 v12, v0, 22, 21
	v_mad_u32_u24 v13, v0, 22, 20
	s_waitcnt lgkmcnt(5)
	v_lshrrev_b32_e32 v1, 16, v60
	v_mad_u32_u24 v14, v0, 22, 19
	s_waitcnt lgkmcnt(4)
	v_lshrrev_b32_e32 v62, 16, v2
	v_lshrrev_b32_e32 v61, 16, v3
	v_mad_u32_u24 v15, v0, 22, 18
	v_mad_u32_u24 v16, v0, 22, 17
	;; [unrolled: 1-line block ×4, first 2 shown]
	s_waitcnt lgkmcnt(3)
	v_lshrrev_b32_e32 v64, 16, v4
	v_lshrrev_b32_e32 v63, 16, v5
	v_mad_u32_u24 v20, v0, 22, 14
	s_waitcnt lgkmcnt(2)
	v_lshrrev_b32_e32 v74, 16, v10
	v_lshrrev_b32_e32 v71, 16, v11
	v_or_b32_e32 v33, 1, v19
	v_mad_u32_u24 v32, v0, 22, 2
	v_mad_u32_u24 v30, v0, 22, 3
	;; [unrolled: 1-line block ×3, first 2 shown]
	s_waitcnt lgkmcnt(1)
	v_lshrrev_b32_e32 v69, 16, v8
	v_lshrrev_b32_e32 v67, 16, v9
	v_mad_u32_u24 v31, v0, 22, 5
	v_mad_u32_u24 v29, v0, 22, 6
	;; [unrolled: 1-line block ×4, first 2 shown]
	s_waitcnt lgkmcnt(0)
	v_lshrrev_b32_e32 v66, 16, v6
	v_lshrrev_b32_e32 v65, 16, v7
	v_mad_u32_u24 v27, v0, 22, 9
	v_mad_u32_u24 v25, v0, 22, 10
	;; [unrolled: 1-line block ×5, first 2 shown]
	s_mov_b64 s[60:61], 0
	s_and_b64 vcc, exec, s[2:3]
	s_barrier
	s_cbranch_vccz .LBB550_53
; %bb.49:
	v_mov_b32_e32 v35, 0
	global_load_ushort v35, v35, s[0:1] offset:-2
	v_lshlrev_b32_e32 v36, 1, v0
	s_and_b64 vcc, exec, s[54:55]
	ds_write_b16 v36, v1
	s_cbranch_vccz .LBB550_55
; %bb.50:
	v_cmp_ne_u32_e32 vcc, 0, v0
	s_waitcnt vmcnt(0)
	v_mov_b32_e32 v37, v35
	s_waitcnt lgkmcnt(0)
	s_barrier
	s_and_saveexec_b64 s[0:1], vcc
	s_cbranch_execz .LBB550_52
; %bb.51:
	v_add_u32_e32 v37, -2, v36
	ds_read_u16 v37, v37
.LBB550_52:
	s_or_b64 exec, exec, s[0:1]
	v_cmp_ne_u16_e32 vcc, v60, v1
	v_cndmask_b32_e64 v68, 0, 1, vcc
	v_cmp_ne_u16_e32 vcc, v61, v60
	v_cndmask_b32_e64 v70, 0, 1, vcc
	;; [unrolled: 2-line block ×21, first 2 shown]
	s_waitcnt lgkmcnt(0)
	v_cmp_ne_u16_e64 s[0:1], v37, v10
	s_branch .LBB550_59
.LBB550_53:
                                        ; implicit-def: $sgpr0_sgpr1
                                        ; implicit-def: $vgpr91
                                        ; implicit-def: $vgpr90
                                        ; implicit-def: $vgpr89
                                        ; implicit-def: $vgpr88
                                        ; implicit-def: $vgpr87
                                        ; implicit-def: $vgpr86
                                        ; implicit-def: $vgpr85
                                        ; implicit-def: $vgpr84
                                        ; implicit-def: $vgpr83
                                        ; implicit-def: $vgpr82
                                        ; implicit-def: $vgpr81
                                        ; implicit-def: $vgpr80
                                        ; implicit-def: $vgpr79
                                        ; implicit-def: $vgpr78
                                        ; implicit-def: $vgpr77
                                        ; implicit-def: $vgpr76
                                        ; implicit-def: $vgpr75
                                        ; implicit-def: $vgpr73
                                        ; implicit-def: $vgpr72
                                        ; implicit-def: $vgpr70
                                        ; implicit-def: $vgpr68
	s_branch .LBB550_60
.LBB550_54:
                                        ; implicit-def: $sgpr8
	s_branch .LBB550_68
.LBB550_55:
                                        ; implicit-def: $sgpr0_sgpr1
                                        ; implicit-def: $vgpr91
                                        ; implicit-def: $vgpr90
                                        ; implicit-def: $vgpr89
                                        ; implicit-def: $vgpr88
                                        ; implicit-def: $vgpr87
                                        ; implicit-def: $vgpr86
                                        ; implicit-def: $vgpr85
                                        ; implicit-def: $vgpr84
                                        ; implicit-def: $vgpr83
                                        ; implicit-def: $vgpr82
                                        ; implicit-def: $vgpr81
                                        ; implicit-def: $vgpr80
                                        ; implicit-def: $vgpr79
                                        ; implicit-def: $vgpr78
                                        ; implicit-def: $vgpr77
                                        ; implicit-def: $vgpr76
                                        ; implicit-def: $vgpr75
                                        ; implicit-def: $vgpr73
                                        ; implicit-def: $vgpr72
                                        ; implicit-def: $vgpr70
                                        ; implicit-def: $vgpr68
	s_cbranch_execz .LBB550_59
; %bb.56:
	v_cmp_ne_u32_e32 vcc, 0, v0
	s_waitcnt lgkmcnt(0)
	s_barrier
	s_and_saveexec_b64 s[0:1], vcc
	s_cbranch_execz .LBB550_58
; %bb.57:
	s_waitcnt vmcnt(0)
	v_add_u32_e32 v35, -2, v36
	ds_read_u16 v35, v35
.LBB550_58:
	s_or_b64 exec, exec, s[0:1]
	v_cmp_gt_u32_e32 vcc, s7, v12
	v_cmp_ne_u16_e64 s[0:1], v60, v1
	s_and_b64 s[0:1], vcc, s[0:1]
	v_cndmask_b32_e64 v68, 0, 1, s[0:1]
	v_cmp_gt_u32_e32 vcc, s7, v13
	v_cmp_ne_u16_e64 s[0:1], v61, v60
	s_and_b64 s[0:1], vcc, s[0:1]
	v_cndmask_b32_e64 v70, 0, 1, s[0:1]
	;; [unrolled: 4-line block ×21, first 2 shown]
	v_cmp_gt_u32_e32 vcc, s7, v19
	s_waitcnt vmcnt(0) lgkmcnt(0)
	v_cmp_ne_u16_e64 s[0:1], v35, v10
	s_and_b64 s[0:1], vcc, s[0:1]
.LBB550_59:
	s_mov_b64 s[60:61], -1
	s_cbranch_execnz .LBB550_54
.LBB550_60:
	s_movk_i32 s0, 0xffd6
	v_mad_i32_i24 v34, v0, s0, v34
	s_and_b64 vcc, exec, s[54:55]
	v_cmp_ne_u16_e64 s[0:1], v60, v1
	v_cmp_ne_u16_e64 s[2:3], v61, v60
	;; [unrolled: 1-line block ×21, first 2 shown]
	ds_write_b16 v34, v1
	s_cbranch_vccz .LBB550_64
; %bb.61:
	v_cndmask_b32_e64 v68, 0, 1, s[0:1]
	v_cndmask_b32_e64 v70, 0, 1, s[2:3]
	;; [unrolled: 1-line block ×21, first 2 shown]
	v_cmp_ne_u32_e32 vcc, 0, v0
	s_waitcnt lgkmcnt(0)
	s_barrier
	s_waitcnt lgkmcnt(0)
                                        ; implicit-def: $sgpr0_sgpr1
	s_and_saveexec_b64 s[2:3], vcc
	s_xor_b64 s[2:3], exec, s[2:3]
	s_cbranch_execz .LBB550_63
; %bb.62:
	s_waitcnt vmcnt(0)
	v_add_u32_e32 v35, -2, v34
	ds_read_u16 v35, v35
	s_or_b64 s[60:61], s[60:61], exec
	s_waitcnt lgkmcnt(0)
	v_cmp_ne_u16_e32 vcc, v35, v10
	s_and_b64 s[0:1], vcc, exec
.LBB550_63:
	s_or_b64 exec, exec, s[2:3]
	s_mov_b32 s8, 1
	s_branch .LBB550_68
.LBB550_64:
                                        ; implicit-def: $sgpr0_sgpr1
                                        ; implicit-def: $vgpr91
                                        ; implicit-def: $vgpr90
                                        ; implicit-def: $vgpr89
                                        ; implicit-def: $vgpr88
                                        ; implicit-def: $vgpr87
                                        ; implicit-def: $vgpr86
                                        ; implicit-def: $vgpr85
                                        ; implicit-def: $vgpr84
                                        ; implicit-def: $vgpr83
                                        ; implicit-def: $vgpr82
                                        ; implicit-def: $vgpr81
                                        ; implicit-def: $vgpr80
                                        ; implicit-def: $vgpr79
                                        ; implicit-def: $vgpr78
                                        ; implicit-def: $vgpr77
                                        ; implicit-def: $vgpr76
                                        ; implicit-def: $vgpr75
                                        ; implicit-def: $vgpr73
                                        ; implicit-def: $vgpr72
                                        ; implicit-def: $vgpr70
                                        ; implicit-def: $vgpr68
                                        ; implicit-def: $sgpr8
	s_cbranch_execz .LBB550_68
; %bb.65:
	v_cmp_gt_u32_e32 vcc, s7, v12
	v_cmp_ne_u16_e64 s[0:1], v60, v1
	s_and_b64 s[0:1], vcc, s[0:1]
	v_cndmask_b32_e64 v68, 0, 1, s[0:1]
	v_cmp_gt_u32_e32 vcc, s7, v13
	v_cmp_ne_u16_e64 s[0:1], v61, v60
	s_and_b64 s[0:1], vcc, s[0:1]
	v_cndmask_b32_e64 v70, 0, 1, s[0:1]
	;; [unrolled: 4-line block ×21, first 2 shown]
	v_cmp_ne_u32_e32 vcc, 0, v0
	s_waitcnt lgkmcnt(0)
	s_barrier
	s_waitcnt lgkmcnt(0)
                                        ; implicit-def: $sgpr0_sgpr1
	s_and_saveexec_b64 s[2:3], vcc
	s_cbranch_execz .LBB550_67
; %bb.66:
	v_add_u32_e32 v34, -2, v34
	ds_read_u16 v34, v34
	v_cmp_gt_u32_e32 vcc, s7, v19
	s_or_b64 s[60:61], s[60:61], exec
	s_waitcnt lgkmcnt(0)
	v_cmp_ne_u16_e64 s[0:1], v34, v10
	s_and_b64 s[0:1], vcc, s[0:1]
	s_and_b64 s[0:1], s[0:1], exec
.LBB550_67:
	s_or_b64 exec, exec, s[2:3]
	s_mov_b32 s8, 1
.LBB550_68:
	v_mov_b32_e32 v92, s8
	s_and_saveexec_b64 s[2:3], s[60:61]
; %bb.69:
	v_cndmask_b32_e64 v92, 0, 1, s[0:1]
; %bb.70:
	s_or_b64 exec, exec, s[2:3]
	s_load_dwordx2 s[20:21], s[4:5], 0x60
	s_andn2_b64 vcc, exec, s[56:57]
	s_cbranch_vccnz .LBB550_72
; %bb.71:
	v_cmp_gt_u32_e32 vcc, s7, v19
	v_cndmask_b32_e32 v92, 0, v92, vcc
	v_cmp_gt_u32_e32 vcc, s7, v33
	v_cndmask_b32_e32 v91, 0, v91, vcc
	;; [unrolled: 2-line block ×22, first 2 shown]
.LBB550_72:
	v_and_b32_e32 v47, 0xff, v73
	v_and_b32_e32 v49, 0xff, v72
	v_add_u32_sdwa v12, v70, v68 dst_sel:DWORD dst_unused:UNUSED_PAD src0_sel:BYTE_0 src1_sel:BYTE_0
	v_and_b32_e32 v43, 0xff, v76
	v_and_b32_e32 v45, 0xff, v75
	v_add3_u32 v12, v12, v49, v47
	v_and_b32_e32 v39, 0xff, v78
	v_and_b32_e32 v41, 0xff, v77
	v_add3_u32 v12, v12, v45, v43
	s_waitcnt vmcnt(0)
	v_and_b32_e32 v35, 0xff, v80
	v_and_b32_e32 v37, 0xff, v79
	v_add3_u32 v12, v12, v41, v39
	v_and_b32_e32 v32, 0xff, v82
	v_and_b32_e32 v33, 0xff, v81
	v_add3_u32 v12, v12, v37, v35
	;; [unrolled: 3-line block ×7, first 2 shown]
	v_add3_u32 v38, v12, v23, v22
	v_mbcnt_lo_u32_b32 v12, -1, 0
	v_mbcnt_hi_u32_b32 v34, -1, v12
	v_and_b32_e32 v12, 15, v34
	v_cmp_eq_u32_e64 s[14:15], 0, v12
	v_cmp_lt_u32_e64 s[12:13], 1, v12
	v_cmp_lt_u32_e64 s[10:11], 3, v12
	;; [unrolled: 1-line block ×3, first 2 shown]
	v_and_b32_e32 v12, 16, v34
	v_cmp_eq_u32_e64 s[18:19], 0, v12
	v_or_b32_e32 v12, 63, v0
	v_cmp_lt_u32_e64 s[0:1], 31, v34
	v_lshrrev_b32_e32 v36, 6, v0
	v_cmp_eq_u32_e64 s[2:3], v12, v0
	s_and_b64 vcc, exec, s[58:59]
	s_waitcnt lgkmcnt(0)
	s_barrier
	s_cbranch_vccz .LBB550_99
; %bb.73:
	v_mov_b32_dpp v12, v38 row_shr:1 row_mask:0xf bank_mask:0xf
	v_cndmask_b32_e64 v12, v12, 0, s[14:15]
	v_add_u32_e32 v12, v12, v38
	s_nop 1
	v_mov_b32_dpp v13, v12 row_shr:2 row_mask:0xf bank_mask:0xf
	v_cndmask_b32_e64 v13, 0, v13, s[12:13]
	v_add_u32_e32 v12, v12, v13
	s_nop 1
	;; [unrolled: 4-line block ×4, first 2 shown]
	v_mov_b32_dpp v13, v12 row_bcast:15 row_mask:0xf bank_mask:0xf
	v_cndmask_b32_e64 v13, v13, 0, s[18:19]
	v_add_u32_e32 v12, v12, v13
	s_nop 1
	v_mov_b32_dpp v13, v12 row_bcast:31 row_mask:0xf bank_mask:0xf
	v_cndmask_b32_e64 v13, 0, v13, s[0:1]
	v_add_u32_e32 v12, v12, v13
	s_and_saveexec_b64 s[16:17], s[2:3]
	s_cbranch_execz .LBB550_75
; %bb.74:
	v_lshlrev_b32_e32 v13, 2, v36
	ds_write_b32 v13, v12
.LBB550_75:
	s_or_b64 exec, exec, s[16:17]
	v_cmp_gt_u32_e32 vcc, 4, v0
	s_waitcnt lgkmcnt(0)
	s_barrier
	s_and_saveexec_b64 s[16:17], vcc
	s_cbranch_execz .LBB550_77
; %bb.76:
	v_lshlrev_b32_e32 v13, 2, v0
	ds_read_b32 v14, v13
	v_and_b32_e32 v15, 3, v34
	v_cmp_ne_u32_e32 vcc, 0, v15
	s_waitcnt lgkmcnt(0)
	v_mov_b32_dpp v16, v14 row_shr:1 row_mask:0xf bank_mask:0xf
	v_cndmask_b32_e32 v16, 0, v16, vcc
	v_add_u32_e32 v14, v16, v14
	v_cmp_lt_u32_e32 vcc, 1, v15
	s_nop 0
	v_mov_b32_dpp v16, v14 row_shr:2 row_mask:0xf bank_mask:0xf
	v_cndmask_b32_e32 v15, 0, v16, vcc
	v_add_u32_e32 v14, v14, v15
	ds_write_b32 v13, v14
.LBB550_77:
	s_or_b64 exec, exec, s[16:17]
	v_cmp_gt_u32_e32 vcc, 64, v0
	v_cmp_lt_u32_e64 s[16:17], 63, v0
	s_waitcnt lgkmcnt(0)
	s_barrier
	s_waitcnt lgkmcnt(0)
                                        ; implicit-def: $vgpr40
	s_and_saveexec_b64 s[22:23], s[16:17]
	s_cbranch_execz .LBB550_79
; %bb.78:
	v_lshl_add_u32 v13, v36, 2, -4
	ds_read_b32 v40, v13
	s_waitcnt lgkmcnt(0)
	v_add_u32_e32 v12, v40, v12
.LBB550_79:
	s_or_b64 exec, exec, s[22:23]
	v_add_u32_e32 v13, -1, v34
	v_and_b32_e32 v14, 64, v34
	v_cmp_lt_i32_e64 s[16:17], v13, v14
	v_cndmask_b32_e64 v13, v13, v34, s[16:17]
	v_lshlrev_b32_e32 v13, 2, v13
	ds_bpermute_b32 v42, v13, v12
	v_cmp_eq_u32_e64 s[16:17], 0, v34
	s_and_saveexec_b64 s[22:23], vcc
	s_cbranch_execz .LBB550_98
; %bb.80:
	v_mov_b32_e32 v19, 0
	ds_read_b32 v12, v19 offset:12
	s_and_saveexec_b64 s[24:25], s[16:17]
	s_cbranch_execz .LBB550_82
; %bb.81:
	s_add_i32 s26, s6, 64
	s_mov_b32 s27, 0
	s_lshl_b64 s[26:27], s[26:27], 3
	s_add_u32 s26, s20, s26
	v_mov_b32_e32 v13, 1
	s_addc_u32 s27, s21, s27
	s_waitcnt lgkmcnt(0)
	global_store_dwordx2 v19, v[12:13], s[26:27]
.LBB550_82:
	s_or_b64 exec, exec, s[24:25]
	v_xad_u32 v14, v34, -1, s6
	v_add_u32_e32 v18, 64, v14
	v_lshlrev_b64 v[16:17], 3, v[18:19]
	v_mov_b32_e32 v13, s21
	v_add_co_u32_e32 v20, vcc, s20, v16
	v_addc_co_u32_e32 v21, vcc, v13, v17, vcc
	global_load_dwordx2 v[16:17], v[20:21], off glc
	s_waitcnt vmcnt(0)
	v_cmp_eq_u16_sdwa s[26:27], v17, v19 src0_sel:BYTE_0 src1_sel:DWORD
	s_and_saveexec_b64 s[24:25], s[26:27]
	s_cbranch_execz .LBB550_86
; %bb.83:
	s_mov_b64 s[26:27], 0
	v_mov_b32_e32 v13, 0
.LBB550_84:                             ; =>This Inner Loop Header: Depth=1
	global_load_dwordx2 v[16:17], v[20:21], off glc
	s_waitcnt vmcnt(0)
	v_cmp_ne_u16_sdwa s[28:29], v17, v13 src0_sel:BYTE_0 src1_sel:DWORD
	s_or_b64 s[26:27], s[28:29], s[26:27]
	s_andn2_b64 exec, exec, s[26:27]
	s_cbranch_execnz .LBB550_84
; %bb.85:
	s_or_b64 exec, exec, s[26:27]
.LBB550_86:
	s_or_b64 exec, exec, s[24:25]
	v_and_b32_e32 v46, 63, v34
	v_mov_b32_e32 v44, 2
	v_cmp_ne_u32_e32 vcc, 63, v46
	v_cmp_eq_u16_sdwa s[24:25], v17, v44 src0_sel:BYTE_0 src1_sel:DWORD
	v_lshlrev_b64 v[18:19], v34, -1
	v_addc_co_u32_e32 v20, vcc, 0, v34, vcc
	v_and_b32_e32 v13, s25, v19
	v_lshlrev_b32_e32 v48, 2, v20
	v_or_b32_e32 v13, 0x80000000, v13
	ds_bpermute_b32 v20, v48, v16
	v_and_b32_e32 v15, s24, v18
	v_ffbl_b32_e32 v13, v13
	v_add_u32_e32 v13, 32, v13
	v_ffbl_b32_e32 v15, v15
	v_min_u32_e32 v13, v15, v13
	v_cmp_lt_u32_e32 vcc, v46, v13
	s_waitcnt lgkmcnt(0)
	v_cndmask_b32_e32 v15, 0, v20, vcc
	v_cmp_gt_u32_e32 vcc, 62, v46
	v_add_u32_e32 v15, v15, v16
	v_cndmask_b32_e64 v16, 0, 1, vcc
	v_lshlrev_b32_e32 v16, 1, v16
	v_add_lshl_u32 v50, v16, v34, 2
	ds_bpermute_b32 v16, v50, v15
	v_add_u32_e32 v51, 2, v46
	v_cmp_le_u32_e32 vcc, v51, v13
	v_add_u32_e32 v53, 4, v46
	v_add_u32_e32 v55, 8, v46
	s_waitcnt lgkmcnt(0)
	v_cndmask_b32_e32 v16, 0, v16, vcc
	v_cmp_gt_u32_e32 vcc, 60, v46
	v_add_u32_e32 v15, v15, v16
	v_cndmask_b32_e64 v16, 0, 1, vcc
	v_lshlrev_b32_e32 v16, 2, v16
	v_add_lshl_u32 v52, v16, v34, 2
	ds_bpermute_b32 v16, v52, v15
	v_cmp_le_u32_e32 vcc, v53, v13
	v_add_u32_e32 v57, 16, v46
	v_add_u32_e32 v59, 32, v46
	s_waitcnt lgkmcnt(0)
	v_cndmask_b32_e32 v16, 0, v16, vcc
	v_cmp_gt_u32_e32 vcc, 56, v46
	v_add_u32_e32 v15, v15, v16
	v_cndmask_b32_e64 v16, 0, 1, vcc
	v_lshlrev_b32_e32 v16, 3, v16
	v_add_lshl_u32 v54, v16, v34, 2
	ds_bpermute_b32 v16, v54, v15
	v_cmp_le_u32_e32 vcc, v55, v13
	s_waitcnt lgkmcnt(0)
	v_cndmask_b32_e32 v16, 0, v16, vcc
	v_cmp_gt_u32_e32 vcc, 48, v46
	v_add_u32_e32 v15, v15, v16
	v_cndmask_b32_e64 v16, 0, 1, vcc
	v_lshlrev_b32_e32 v16, 4, v16
	v_add_lshl_u32 v56, v16, v34, 2
	ds_bpermute_b32 v16, v56, v15
	v_cmp_le_u32_e32 vcc, v57, v13
	;; [unrolled: 9-line block ×3, first 2 shown]
	s_waitcnt lgkmcnt(0)
	v_cndmask_b32_e32 v13, 0, v16, vcc
	v_add_u32_e32 v16, v15, v13
	v_mov_b32_e32 v15, 0
	s_branch .LBB550_88
.LBB550_87:                             ;   in Loop: Header=BB550_88 Depth=1
	s_or_b64 exec, exec, s[24:25]
	v_cmp_eq_u16_sdwa s[24:25], v17, v44 src0_sel:BYTE_0 src1_sel:DWORD
	v_and_b32_e32 v20, s25, v19
	v_or_b32_e32 v20, 0x80000000, v20
	ds_bpermute_b32 v93, v48, v16
	v_and_b32_e32 v21, s24, v18
	v_ffbl_b32_e32 v20, v20
	v_add_u32_e32 v20, 32, v20
	v_ffbl_b32_e32 v21, v21
	v_min_u32_e32 v20, v21, v20
	v_cmp_lt_u32_e32 vcc, v46, v20
	s_waitcnt lgkmcnt(0)
	v_cndmask_b32_e32 v21, 0, v93, vcc
	v_add_u32_e32 v16, v21, v16
	ds_bpermute_b32 v21, v50, v16
	v_cmp_le_u32_e32 vcc, v51, v20
	v_subrev_u32_e32 v14, 64, v14
	s_waitcnt lgkmcnt(0)
	v_cndmask_b32_e32 v21, 0, v21, vcc
	v_add_u32_e32 v16, v16, v21
	ds_bpermute_b32 v21, v52, v16
	v_cmp_le_u32_e32 vcc, v53, v20
	s_waitcnt lgkmcnt(0)
	v_cndmask_b32_e32 v21, 0, v21, vcc
	v_add_u32_e32 v16, v16, v21
	ds_bpermute_b32 v21, v54, v16
	v_cmp_le_u32_e32 vcc, v55, v20
	;; [unrolled: 5-line block ×4, first 2 shown]
	s_waitcnt lgkmcnt(0)
	v_cndmask_b32_e32 v20, 0, v21, vcc
	v_add3_u32 v16, v20, v13, v16
.LBB550_88:                             ; =>This Loop Header: Depth=1
                                        ;     Child Loop BB550_91 Depth 2
	v_cmp_ne_u16_sdwa s[24:25], v17, v44 src0_sel:BYTE_0 src1_sel:DWORD
	v_cndmask_b32_e64 v13, 0, 1, s[24:25]
	;;#ASMSTART
	;;#ASMEND
	v_cmp_ne_u32_e32 vcc, 0, v13
	s_cmp_lg_u64 vcc, exec
	v_mov_b32_e32 v13, v16
	s_cbranch_scc1 .LBB550_93
; %bb.89:                               ;   in Loop: Header=BB550_88 Depth=1
	v_lshlrev_b64 v[16:17], 3, v[14:15]
	v_mov_b32_e32 v21, s21
	v_add_co_u32_e32 v20, vcc, s20, v16
	v_addc_co_u32_e32 v21, vcc, v21, v17, vcc
	global_load_dwordx2 v[16:17], v[20:21], off glc
	s_waitcnt vmcnt(0)
	v_cmp_eq_u16_sdwa s[26:27], v17, v15 src0_sel:BYTE_0 src1_sel:DWORD
	s_and_saveexec_b64 s[24:25], s[26:27]
	s_cbranch_execz .LBB550_87
; %bb.90:                               ;   in Loop: Header=BB550_88 Depth=1
	s_mov_b64 s[26:27], 0
.LBB550_91:                             ;   Parent Loop BB550_88 Depth=1
                                        ; =>  This Inner Loop Header: Depth=2
	global_load_dwordx2 v[16:17], v[20:21], off glc
	s_waitcnt vmcnt(0)
	v_cmp_ne_u16_sdwa s[28:29], v17, v15 src0_sel:BYTE_0 src1_sel:DWORD
	s_or_b64 s[26:27], s[28:29], s[26:27]
	s_andn2_b64 exec, exec, s[26:27]
	s_cbranch_execnz .LBB550_91
; %bb.92:                               ;   in Loop: Header=BB550_88 Depth=1
	s_or_b64 exec, exec, s[26:27]
	s_branch .LBB550_87
.LBB550_93:                             ;   in Loop: Header=BB550_88 Depth=1
                                        ; implicit-def: $vgpr16
                                        ; implicit-def: $vgpr17
	s_cbranch_execz .LBB550_88
; %bb.94:
	s_and_saveexec_b64 s[24:25], s[16:17]
	s_cbranch_execz .LBB550_96
; %bb.95:
	s_add_i32 s6, s6, 64
	s_mov_b32 s7, 0
	s_lshl_b64 s[6:7], s[6:7], 3
	s_add_u32 s6, s20, s6
	v_add_u32_e32 v14, v13, v12
	v_mov_b32_e32 v15, 2
	s_addc_u32 s7, s21, s7
	v_mov_b32_e32 v16, 0
	global_store_dwordx2 v16, v[14:15], s[6:7]
	ds_write_b64 v16, v[12:13] offset:11264
.LBB550_96:
	s_or_b64 exec, exec, s[24:25]
	v_cmp_eq_u32_e32 vcc, 0, v0
	s_and_b64 exec, exec, vcc
	s_cbranch_execz .LBB550_98
; %bb.97:
	v_mov_b32_e32 v12, 0
	ds_write_b32 v12, v13 offset:12
.LBB550_98:
	s_or_b64 exec, exec, s[22:23]
	v_mov_b32_e32 v12, 0
	s_waitcnt lgkmcnt(0)
	s_barrier
	ds_read_b32 v15, v12 offset:12
	s_waitcnt lgkmcnt(0)
	s_barrier
	ds_read_b64 v[12:13], v12 offset:11264
	v_cndmask_b32_e64 v14, v42, v40, s[16:17]
	v_cmp_ne_u32_e32 vcc, 0, v0
	v_cndmask_b32_e32 v14, 0, v14, vcc
	v_add_u32_e32 v52, v15, v14
	s_waitcnt lgkmcnt(0)
	v_mov_b32_e32 v14, v13
	s_load_dwordx2 s[4:5], s[4:5], 0x28
	s_branch .LBB550_109
.LBB550_99:
                                        ; implicit-def: $vgpr14
                                        ; implicit-def: $vgpr12
                                        ; implicit-def: $vgpr52
	s_load_dwordx2 s[4:5], s[4:5], 0x28
	s_cbranch_execz .LBB550_109
; %bb.100:
	v_mov_b32_dpp v12, v38 row_shr:1 row_mask:0xf bank_mask:0xf
	v_cndmask_b32_e64 v12, v12, 0, s[14:15]
	v_add_u32_e32 v12, v12, v38
	s_nop 1
	v_mov_b32_dpp v13, v12 row_shr:2 row_mask:0xf bank_mask:0xf
	v_cndmask_b32_e64 v13, 0, v13, s[12:13]
	v_add_u32_e32 v12, v12, v13
	s_nop 1
	;; [unrolled: 4-line block ×4, first 2 shown]
	v_mov_b32_dpp v13, v12 row_bcast:15 row_mask:0xf bank_mask:0xf
	v_cndmask_b32_e64 v13, v13, 0, s[18:19]
	v_add_u32_e32 v12, v12, v13
	s_nop 1
	v_mov_b32_dpp v13, v12 row_bcast:31 row_mask:0xf bank_mask:0xf
	v_cndmask_b32_e64 v13, 0, v13, s[0:1]
	v_add_u32_e32 v12, v12, v13
	s_and_saveexec_b64 s[0:1], s[2:3]
	s_cbranch_execz .LBB550_102
; %bb.101:
	v_lshlrev_b32_e32 v13, 2, v36
	ds_write_b32 v13, v12
.LBB550_102:
	s_or_b64 exec, exec, s[0:1]
	v_cmp_gt_u32_e32 vcc, 4, v0
	s_waitcnt lgkmcnt(0)
	s_barrier
	s_and_saveexec_b64 s[0:1], vcc
	s_cbranch_execz .LBB550_104
; %bb.103:
	v_lshlrev_b32_e32 v13, 2, v0
	ds_read_b32 v14, v13
	v_and_b32_e32 v15, 3, v34
	v_cmp_ne_u32_e32 vcc, 0, v15
	s_waitcnt lgkmcnt(0)
	v_mov_b32_dpp v16, v14 row_shr:1 row_mask:0xf bank_mask:0xf
	v_cndmask_b32_e32 v16, 0, v16, vcc
	v_add_u32_e32 v14, v16, v14
	v_cmp_lt_u32_e32 vcc, 1, v15
	s_nop 0
	v_mov_b32_dpp v16, v14 row_shr:2 row_mask:0xf bank_mask:0xf
	v_cndmask_b32_e32 v15, 0, v16, vcc
	v_add_u32_e32 v14, v14, v15
	ds_write_b32 v13, v14
.LBB550_104:
	s_or_b64 exec, exec, s[0:1]
	v_cmp_lt_u32_e32 vcc, 63, v0
	v_mov_b32_e32 v13, 0
	v_mov_b32_e32 v14, 0
	s_waitcnt lgkmcnt(0)
	s_barrier
	s_and_saveexec_b64 s[0:1], vcc
	s_cbranch_execz .LBB550_106
; %bb.105:
	v_lshl_add_u32 v14, v36, 2, -4
	ds_read_b32 v14, v14
.LBB550_106:
	s_or_b64 exec, exec, s[0:1]
	v_add_u32_e32 v15, -1, v34
	v_and_b32_e32 v16, 64, v34
	v_cmp_lt_i32_e32 vcc, v15, v16
	v_cndmask_b32_e32 v15, v15, v34, vcc
	s_waitcnt lgkmcnt(0)
	v_add_u32_e32 v12, v14, v12
	v_lshlrev_b32_e32 v15, 2, v15
	ds_bpermute_b32 v15, v15, v12
	ds_read_b32 v12, v13 offset:12
	v_cmp_eq_u32_e32 vcc, 0, v0
	s_and_saveexec_b64 s[0:1], vcc
	s_cbranch_execz .LBB550_108
; %bb.107:
	v_mov_b32_e32 v16, 0
	v_mov_b32_e32 v13, 2
	s_waitcnt lgkmcnt(0)
	global_store_dwordx2 v16, v[12:13], s[20:21] offset:512
.LBB550_108:
	s_or_b64 exec, exec, s[0:1]
	v_cmp_eq_u32_e64 s[0:1], 0, v34
	s_waitcnt lgkmcnt(1)
	v_cndmask_b32_e64 v13, v15, v14, s[0:1]
	v_mov_b32_e32 v14, 0
	v_cndmask_b32_e64 v52, v13, 0, vcc
	s_waitcnt lgkmcnt(0)
	s_barrier
.LBB550_109:
	v_add_u32_e32 v58, v52, v22
	v_add_u32_e32 v56, v58, v23
	;; [unrolled: 1-line block ×19, first 2 shown]
	s_movk_i32 s0, 0x101
	v_add_u32_e32 v18, v20, v49
	v_cmp_gt_u32_e32 vcc, s0, v12
	v_add_u32_sdwa v16, v18, v70 dst_sel:DWORD dst_unused:UNUSED_PAD src0_sel:DWORD src1_sel:BYTE_0
	s_mov_b64 s[0:1], -1
	s_cbranch_vccnz .LBB550_113
; %bb.110:
	s_and_b64 vcc, exec, s[0:1]
	s_cbranch_vccnz .LBB550_180
.LBB550_111:
	v_cmp_eq_u32_e32 vcc, 0, v0
	s_and_b64 s[0:1], vcc, s[52:53]
	s_and_saveexec_b64 s[2:3], s[0:1]
	s_cbranch_execnz .LBB550_240
.LBB550_112:
	s_endpgm
.LBB550_113:
	v_add_u32_e32 v13, v14, v12
	s_lshl_b64 s[0:1], s[50:51], 1
	s_waitcnt lgkmcnt(0)
	s_add_u32 s2, s4, s0
	v_cmp_lt_u32_e32 vcc, v52, v13
	s_addc_u32 s3, s5, s1
	s_or_b64 s[6:7], s[54:55], vcc
	s_and_saveexec_b64 s[0:1], s[6:7]
	s_cbranch_execz .LBB550_116
; %bb.114:
	v_and_b32_e32 v15, 1, v92
	v_cmp_eq_u32_e32 vcc, 1, v15
	s_and_b64 exec, exec, vcc
	s_cbranch_execz .LBB550_116
; %bb.115:
	v_mov_b32_e32 v53, 0
	v_lshlrev_b64 v[94:95], 1, v[52:53]
	v_mov_b32_e32 v15, s3
	v_add_co_u32_e32 v94, vcc, s2, v94
	v_addc_co_u32_e32 v95, vcc, v15, v95, vcc
	global_store_short v[94:95], v10, off
.LBB550_116:
	s_or_b64 exec, exec, s[0:1]
	v_cmp_lt_u32_e32 vcc, v58, v13
	s_or_b64 s[6:7], s[54:55], vcc
	s_and_saveexec_b64 s[0:1], s[6:7]
	s_cbranch_execz .LBB550_119
; %bb.117:
	v_and_b32_e32 v15, 1, v91
	v_cmp_eq_u32_e32 vcc, 1, v15
	s_and_b64 exec, exec, vcc
	s_cbranch_execz .LBB550_119
; %bb.118:
	v_mov_b32_e32 v59, 0
	v_lshlrev_b64 v[94:95], 1, v[58:59]
	v_mov_b32_e32 v15, s3
	v_add_co_u32_e32 v94, vcc, s2, v94
	v_addc_co_u32_e32 v95, vcc, v15, v95, vcc
	global_store_short v[94:95], v74, off
.LBB550_119:
	s_or_b64 exec, exec, s[0:1]
	v_cmp_lt_u32_e32 vcc, v56, v13
	;; [unrolled: 18-line block ×21, first 2 shown]
	s_or_b64 s[6:7], s[54:55], vcc
	s_and_saveexec_b64 s[0:1], s[6:7]
	s_cbranch_execz .LBB550_179
; %bb.177:
	v_and_b32_e32 v13, 1, v68
	v_cmp_eq_u32_e32 vcc, 1, v13
	s_and_b64 exec, exec, vcc
	s_cbranch_execz .LBB550_179
; %bb.178:
	v_mov_b32_e32 v17, 0
	v_lshlrev_b64 v[94:95], 1, v[16:17]
	v_mov_b32_e32 v13, s3
	v_add_co_u32_e32 v94, vcc, s2, v94
	v_addc_co_u32_e32 v95, vcc, v13, v95, vcc
	global_store_short v[94:95], v1, off
.LBB550_179:
	s_or_b64 exec, exec, s[0:1]
	s_branch .LBB550_111
.LBB550_180:
	v_and_b32_e32 v13, 1, v92
	v_cmp_eq_u32_e32 vcc, 1, v13
	s_and_saveexec_b64 s[0:1], vcc
	s_cbranch_execz .LBB550_182
; %bb.181:
	v_sub_u32_e32 v13, v52, v14
	v_lshlrev_b32_e32 v13, 1, v13
	ds_write_b16 v13, v10
.LBB550_182:
	s_or_b64 exec, exec, s[0:1]
	v_and_b32_e32 v10, 1, v91
	v_cmp_eq_u32_e32 vcc, 1, v10
	s_and_saveexec_b64 s[0:1], vcc
	s_cbranch_execz .LBB550_184
; %bb.183:
	v_sub_u32_e32 v10, v58, v14
	v_lshlrev_b32_e32 v10, 1, v10
	ds_write_b16 v10, v74
.LBB550_184:
	s_or_b64 exec, exec, s[0:1]
	;; [unrolled: 10-line block ×22, first 2 shown]
	v_cmp_lt_u32_e32 vcc, v0, v12
	s_waitcnt lgkmcnt(0)
	s_barrier
	s_and_saveexec_b64 s[6:7], vcc
	s_cbranch_execz .LBB550_239
; %bb.225:
	s_lshl_b64 s[0:1], s[50:51], 1
	v_mov_b32_e32 v15, 0
	s_add_u32 s0, s4, s0
	s_addc_u32 s1, s5, s1
	v_lshlrev_b64 v[2:3], 1, v[14:15]
	v_mov_b32_e32 v1, s1
	v_add_co_u32_e32 v10, vcc, s0, v2
	v_addc_co_u32_e32 v11, vcc, v1, v3, vcc
	v_xad_u32 v1, v0, -1, v12
	s_movk_i32 s0, 0x1700
	v_cmp_gt_u32_e32 vcc, s0, v1
	s_movk_i32 s0, 0x16ff
	v_cmp_lt_u32_e64 s[0:1], s0, v1
	v_mov_b32_e32 v2, v0
	s_and_saveexec_b64 s[4:5], s[0:1]
	s_cbranch_execz .LBB550_236
; %bb.226:
	v_sub_u32_e32 v2, v0, v12
	v_or_b32_e32 v2, 0xff, v2
	v_cmp_ge_u32_e64 s[0:1], v2, v0
	s_mov_b64 s[2:3], -1
	v_mov_b32_e32 v2, v0
	s_and_saveexec_b64 s[8:9], s[0:1]
	s_cbranch_execz .LBB550_235
; %bb.227:
	v_lshrrev_b32_e32 v13, 8, v1
	v_add_u32_e32 v4, -3, v13
	v_or_b32_e32 v3, 0x300, v0
	v_or_b32_e32 v2, 0x200, v0
	v_lshrrev_b32_e32 v5, 2, v4
	v_or_b32_e32 v1, 0x100, v0
	v_add_u32_e32 v16, 1, v5
	v_cmp_lt_u32_e64 s[0:1], 11, v4
	v_pk_mov_b32 v[6:7], v[2:3], v[2:3] op_sel:[0,1]
	v_mov_b32_e32 v19, 0
	v_lshlrev_b32_e32 v15, 1, v0
	v_pk_mov_b32 v[4:5], v[0:1], v[0:1] op_sel:[0,1]
	s_and_saveexec_b64 s[10:11], s[0:1]
	s_cbranch_execz .LBB550_231
; %bb.228:
	v_pk_mov_b32 v[6:7], v[2:3], v[2:3] op_sel:[0,1]
	v_and_b32_e32 v17, 0x7ffffffc, v16
	s_mov_b32 s14, 0
	s_mov_b64 s[12:13], 0
	v_mov_b32_e32 v9, 0
	v_mov_b32_e32 v18, v15
	v_pk_mov_b32 v[4:5], v[0:1], v[0:1] op_sel:[0,1]
.LBB550_229:                            ; =>This Inner Loop Header: Depth=1
	v_mov_b32_e32 v8, v4
	v_lshlrev_b64 v[36:37], 1, v[8:9]
	v_add_u32_e32 v22, 0x400, v5
	v_mov_b32_e32 v23, v9
	v_add_co_u32_e64 v36, s[2:3], v10, v36
	v_lshlrev_b64 v[22:23], 1, v[22:23]
	v_addc_co_u32_e64 v37, s[2:3], v11, v37, s[2:3]
	v_add_u32_e32 v20, 0x400, v6
	v_mov_b32_e32 v21, v9
	v_add_co_u32_e64 v22, s[2:3], v10, v22
	v_lshlrev_b64 v[20:21], 1, v[20:21]
	v_addc_co_u32_e64 v23, s[2:3], v11, v23, s[2:3]
	v_add_u32_e32 v2, 0x400, v7
	v_mov_b32_e32 v3, v9
	v_add_co_u32_e64 v20, s[2:3], v10, v20
	v_add_u32_e32 v17, -4, v17
	v_mov_b32_e32 v8, v5
	v_lshlrev_b64 v[2:3], 1, v[2:3]
	v_addc_co_u32_e64 v21, s[2:3], v11, v21, s[2:3]
	v_add_u32_e32 v28, 0x800, v5
	v_mov_b32_e32 v29, v9
	s_add_i32 s14, s14, 16
	v_cmp_eq_u32_e64 s[0:1], 0, v17
	v_lshlrev_b64 v[38:39], 1, v[8:9]
	v_add_co_u32_e64 v2, s[2:3], v10, v2
	v_lshlrev_b64 v[28:29], 1, v[28:29]
	v_mov_b32_e32 v8, v6
	v_addc_co_u32_e64 v3, s[2:3], v11, v3, s[2:3]
	s_or_b64 s[12:13], s[0:1], s[12:13]
	v_add_co_u32_e64 v38, s[0:1], v10, v38
	v_add_u32_e32 v26, 0x800, v6
	v_mov_b32_e32 v27, v9
	v_add_co_u32_e64 v28, s[2:3], v10, v28
	v_addc_co_u32_e64 v39, s[0:1], v11, v39, s[0:1]
	v_lshlrev_b64 v[40:41], 1, v[8:9]
	v_lshlrev_b64 v[26:27], 1, v[26:27]
	v_addc_co_u32_e64 v29, s[2:3], v11, v29, s[2:3]
	v_mov_b32_e32 v8, v7
	v_add_co_u32_e64 v40, s[0:1], v10, v40
	ds_read_u16 v1, v18
	ds_read_u16 v44, v18 offset:512
	ds_read_u16 v45, v18 offset:1024
	;; [unrolled: 1-line block ×7, first 2 shown]
	v_add_u32_e32 v24, 0x800, v7
	v_mov_b32_e32 v25, v9
	v_add_co_u32_e64 v26, s[2:3], v10, v26
	v_addc_co_u32_e64 v41, s[0:1], v11, v41, s[0:1]
	v_lshlrev_b64 v[42:43], 1, v[8:9]
	v_lshlrev_b64 v[24:25], 1, v[24:25]
	v_addc_co_u32_e64 v27, s[2:3], v11, v27, s[2:3]
	v_add_u32_e32 v8, 0x400, v4
	v_add_co_u32_e64 v42, s[0:1], v10, v42
	v_add_u32_e32 v34, 0xc00, v5
	ds_read_u16 v51, v18 offset:4096
	ds_read_u16 v52, v18 offset:4608
	;; [unrolled: 1-line block ×8, first 2 shown]
	v_mov_b32_e32 v35, v9
	v_add_co_u32_e64 v24, s[2:3], v10, v24
	v_addc_co_u32_e64 v43, s[0:1], v11, v43, s[0:1]
	s_waitcnt lgkmcnt(14)
	global_store_short v[36:37], v1, off
	global_store_short v[38:39], v44, off
	s_waitcnt lgkmcnt(13)
	global_store_short v[40:41], v45, off
	v_lshlrev_b64 v[36:37], 1, v[8:9]
	v_lshlrev_b64 v[34:35], 1, v[34:35]
	v_addc_co_u32_e64 v25, s[2:3], v11, v25, s[2:3]
	v_add_u32_e32 v8, 0x800, v4
	v_add_co_u32_e64 v36, s[0:1], v10, v36
	v_add_u32_e32 v32, 0xc00, v6
	v_mov_b32_e32 v33, v9
	v_add_co_u32_e64 v34, s[2:3], v10, v34
	v_addc_co_u32_e64 v37, s[0:1], v11, v37, s[0:1]
	v_lshlrev_b64 v[38:39], 1, v[8:9]
	v_lshlrev_b64 v[32:33], 1, v[32:33]
	v_addc_co_u32_e64 v35, s[2:3], v11, v35, s[2:3]
	s_waitcnt lgkmcnt(12)
	global_store_short v[42:43], v46, off
	v_add_u32_e32 v8, 0xc00, v4
	s_waitcnt lgkmcnt(11)
	global_store_short v[36:37], v47, off
	s_waitcnt lgkmcnt(10)
	global_store_short v[22:23], v48, off
	;; [unrolled: 2-line block ×4, first 2 shown]
	v_add_co_u32_e64 v2, s[0:1], v10, v38
	v_add_u32_e32 v30, 0xc00, v7
	v_mov_b32_e32 v31, v9
	v_add_co_u32_e64 v32, s[2:3], v10, v32
	v_addc_co_u32_e64 v3, s[0:1], v11, v39, s[0:1]
	v_lshlrev_b64 v[20:21], 1, v[8:9]
	v_lshlrev_b64 v[30:31], 1, v[30:31]
	v_addc_co_u32_e64 v33, s[2:3], v11, v33, s[2:3]
	s_waitcnt lgkmcnt(7)
	global_store_short v[2:3], v51, off
	s_waitcnt lgkmcnt(6)
	global_store_short v[28:29], v52, off
	;; [unrolled: 2-line block ×4, first 2 shown]
	v_add_co_u32_e64 v2, s[0:1], v10, v20
	v_add_u32_e32 v18, 0x2000, v18
	v_add_u32_e32 v5, 0x1000, v5
	v_mov_b32_e32 v19, s14
	v_add_co_u32_e64 v30, s[2:3], v10, v30
	v_add_u32_e32 v6, 0x1000, v6
	v_add_u32_e32 v7, 0x1000, v7
	;; [unrolled: 1-line block ×3, first 2 shown]
	v_addc_co_u32_e64 v3, s[0:1], v11, v21, s[0:1]
	v_addc_co_u32_e64 v31, s[2:3], v11, v31, s[2:3]
	s_waitcnt lgkmcnt(3)
	global_store_short v[2:3], v55, off
	s_waitcnt lgkmcnt(2)
	global_store_short v[34:35], v56, off
	;; [unrolled: 2-line block ×4, first 2 shown]
	s_andn2_b64 exec, exec, s[12:13]
	s_cbranch_execnz .LBB550_229
; %bb.230:
	s_or_b64 exec, exec, s[12:13]
.LBB550_231:
	s_or_b64 exec, exec, s[10:11]
	v_and_b32_e32 v1, 3, v16
	v_cmp_ne_u32_e64 s[0:1], 0, v1
	s_and_saveexec_b64 s[10:11], s[0:1]
	s_cbranch_execz .LBB550_234
; %bb.232:
	v_lshl_or_b32 v8, v19, 9, v15
	s_mov_b64 s[12:13], 0
	v_mov_b32_e32 v3, 0
.LBB550_233:                            ; =>This Inner Loop Header: Depth=1
	v_mov_b32_e32 v2, v4
	v_add_u32_e32 v1, -1, v1
	v_lshlrev_b64 v[16:17], 1, v[2:3]
	v_mov_b32_e32 v2, v5
	v_cmp_eq_u32_e64 s[0:1], 0, v1
	v_lshlrev_b64 v[18:19], 1, v[2:3]
	ds_read_u16 v9, v8
	ds_read_u16 v15, v8 offset:512
	ds_read_u16 v24, v8 offset:1024
	;; [unrolled: 1-line block ×3, first 2 shown]
	v_mov_b32_e32 v2, v6
	s_or_b64 s[12:13], s[0:1], s[12:13]
	v_add_co_u32_e64 v18, s[0:1], v10, v18
	v_addc_co_u32_e64 v19, s[0:1], v11, v19, s[0:1]
	v_lshlrev_b64 v[20:21], 1, v[2:3]
	v_mov_b32_e32 v2, v7
	v_add_co_u32_e64 v20, s[0:1], v10, v20
	v_add_co_u32_e64 v16, s[2:3], v10, v16
	v_addc_co_u32_e64 v21, s[0:1], v11, v21, s[0:1]
	v_lshlrev_b64 v[22:23], 1, v[2:3]
	v_add_u32_e32 v4, 0x400, v4
	v_add_u32_e32 v8, 0x800, v8
	;; [unrolled: 1-line block ×3, first 2 shown]
	v_addc_co_u32_e64 v17, s[2:3], v11, v17, s[2:3]
	v_add_u32_e32 v6, 0x400, v6
	v_add_u32_e32 v7, 0x400, v7
	v_add_co_u32_e64 v22, s[0:1], v10, v22
	v_addc_co_u32_e64 v23, s[0:1], v11, v23, s[0:1]
	s_waitcnt lgkmcnt(3)
	global_store_short v[16:17], v9, off
	s_waitcnt lgkmcnt(2)
	global_store_short v[18:19], v15, off
	;; [unrolled: 2-line block ×4, first 2 shown]
	s_andn2_b64 exec, exec, s[12:13]
	s_cbranch_execnz .LBB550_233
.LBB550_234:
	s_or_b64 exec, exec, s[10:11]
	v_add_u32_e32 v1, 1, v13
	v_and_b32_e32 v3, 0x1fffffc, v1
	v_cmp_ne_u32_e64 s[0:1], v1, v3
	v_lshl_or_b32 v2, v3, 8, v0
	s_orn2_b64 s[2:3], s[0:1], exec
.LBB550_235:
	s_or_b64 exec, exec, s[8:9]
	s_andn2_b64 s[0:1], vcc, exec
	s_and_b64 s[2:3], s[2:3], exec
	s_or_b64 vcc, s[0:1], s[2:3]
.LBB550_236:
	s_or_b64 exec, exec, s[4:5]
	s_and_b64 exec, exec, vcc
	s_cbranch_execz .LBB550_239
; %bb.237:
	v_lshlrev_b32_e32 v1, 1, v2
	s_mov_b64 s[0:1], 0
	v_mov_b32_e32 v3, 0
.LBB550_238:                            ; =>This Inner Loop Header: Depth=1
	ds_read_u16 v6, v1
	v_lshlrev_b64 v[4:5], 1, v[2:3]
	v_add_co_u32_e32 v4, vcc, v10, v4
	v_add_u32_e32 v2, 0x100, v2
	v_addc_co_u32_e32 v5, vcc, v11, v5, vcc
	v_cmp_ge_u32_e32 vcc, v2, v12
	v_add_u32_e32 v1, 0x200, v1
	s_or_b64 s[0:1], vcc, s[0:1]
	s_waitcnt lgkmcnt(0)
	global_store_short v[4:5], v6, off
	s_andn2_b64 exec, exec, s[0:1]
	s_cbranch_execnz .LBB550_238
.LBB550_239:
	s_or_b64 exec, exec, s[6:7]
	v_cmp_eq_u32_e32 vcc, 0, v0
	s_and_b64 s[0:1], vcc, s[52:53]
	s_and_saveexec_b64 s[2:3], s[0:1]
	s_cbranch_execz .LBB550_112
.LBB550_240:
	v_mov_b32_e32 v0, s51
	v_add_co_u32_e32 v1, vcc, s50, v12
	v_addc_co_u32_e32 v3, vcc, 0, v0, vcc
	v_add_co_u32_e32 v0, vcc, v1, v14
	v_mov_b32_e32 v2, 0
	v_addc_co_u32_e32 v1, vcc, 0, v3, vcc
	global_store_dwordx2 v2, v[0:1], s[48:49]
	s_endpgm
	.section	.rodata,"a",@progbits
	.p2align	6, 0x0
	.amdhsa_kernel _ZN7rocprim17ROCPRIM_400000_NS6detail17trampoline_kernelINS0_14default_configENS1_25partition_config_selectorILNS1_17partition_subalgoE8EsNS0_10empty_typeEbEEZZNS1_14partition_implILS5_8ELb0ES3_jPKsPS6_PKS6_NS0_5tupleIJPsS6_EEENSE_IJSB_SB_EEENS0_18inequality_wrapperIN6hipcub16HIPCUB_304000_NS8EqualityEEEPlJS6_EEE10hipError_tPvRmT3_T4_T5_T6_T7_T9_mT8_P12ihipStream_tbDpT10_ENKUlT_T0_E_clISt17integral_constantIbLb0EES17_EEDaS12_S13_EUlS12_E_NS1_11comp_targetILNS1_3genE4ELNS1_11target_archE910ELNS1_3gpuE8ELNS1_3repE0EEENS1_30default_config_static_selectorELNS0_4arch9wavefront6targetE1EEEvT1_
		.amdhsa_group_segment_fixed_size 11272
		.amdhsa_private_segment_fixed_size 0
		.amdhsa_kernarg_size 112
		.amdhsa_user_sgpr_count 6
		.amdhsa_user_sgpr_private_segment_buffer 1
		.amdhsa_user_sgpr_dispatch_ptr 0
		.amdhsa_user_sgpr_queue_ptr 0
		.amdhsa_user_sgpr_kernarg_segment_ptr 1
		.amdhsa_user_sgpr_dispatch_id 0
		.amdhsa_user_sgpr_flat_scratch_init 0
		.amdhsa_user_sgpr_kernarg_preload_length 0
		.amdhsa_user_sgpr_kernarg_preload_offset 0
		.amdhsa_user_sgpr_private_segment_size 0
		.amdhsa_uses_dynamic_stack 0
		.amdhsa_system_sgpr_private_segment_wavefront_offset 0
		.amdhsa_system_sgpr_workgroup_id_x 1
		.amdhsa_system_sgpr_workgroup_id_y 0
		.amdhsa_system_sgpr_workgroup_id_z 0
		.amdhsa_system_sgpr_workgroup_info 0
		.amdhsa_system_vgpr_workitem_id 0
		.amdhsa_next_free_vgpr 96
		.amdhsa_next_free_sgpr 62
		.amdhsa_accum_offset 96
		.amdhsa_reserve_vcc 1
		.amdhsa_reserve_flat_scratch 0
		.amdhsa_float_round_mode_32 0
		.amdhsa_float_round_mode_16_64 0
		.amdhsa_float_denorm_mode_32 3
		.amdhsa_float_denorm_mode_16_64 3
		.amdhsa_dx10_clamp 1
		.amdhsa_ieee_mode 1
		.amdhsa_fp16_overflow 0
		.amdhsa_tg_split 0
		.amdhsa_exception_fp_ieee_invalid_op 0
		.amdhsa_exception_fp_denorm_src 0
		.amdhsa_exception_fp_ieee_div_zero 0
		.amdhsa_exception_fp_ieee_overflow 0
		.amdhsa_exception_fp_ieee_underflow 0
		.amdhsa_exception_fp_ieee_inexact 0
		.amdhsa_exception_int_div_zero 0
	.end_amdhsa_kernel
	.section	.text._ZN7rocprim17ROCPRIM_400000_NS6detail17trampoline_kernelINS0_14default_configENS1_25partition_config_selectorILNS1_17partition_subalgoE8EsNS0_10empty_typeEbEEZZNS1_14partition_implILS5_8ELb0ES3_jPKsPS6_PKS6_NS0_5tupleIJPsS6_EEENSE_IJSB_SB_EEENS0_18inequality_wrapperIN6hipcub16HIPCUB_304000_NS8EqualityEEEPlJS6_EEE10hipError_tPvRmT3_T4_T5_T6_T7_T9_mT8_P12ihipStream_tbDpT10_ENKUlT_T0_E_clISt17integral_constantIbLb0EES17_EEDaS12_S13_EUlS12_E_NS1_11comp_targetILNS1_3genE4ELNS1_11target_archE910ELNS1_3gpuE8ELNS1_3repE0EEENS1_30default_config_static_selectorELNS0_4arch9wavefront6targetE1EEEvT1_,"axG",@progbits,_ZN7rocprim17ROCPRIM_400000_NS6detail17trampoline_kernelINS0_14default_configENS1_25partition_config_selectorILNS1_17partition_subalgoE8EsNS0_10empty_typeEbEEZZNS1_14partition_implILS5_8ELb0ES3_jPKsPS6_PKS6_NS0_5tupleIJPsS6_EEENSE_IJSB_SB_EEENS0_18inequality_wrapperIN6hipcub16HIPCUB_304000_NS8EqualityEEEPlJS6_EEE10hipError_tPvRmT3_T4_T5_T6_T7_T9_mT8_P12ihipStream_tbDpT10_ENKUlT_T0_E_clISt17integral_constantIbLb0EES17_EEDaS12_S13_EUlS12_E_NS1_11comp_targetILNS1_3genE4ELNS1_11target_archE910ELNS1_3gpuE8ELNS1_3repE0EEENS1_30default_config_static_selectorELNS0_4arch9wavefront6targetE1EEEvT1_,comdat
.Lfunc_end550:
	.size	_ZN7rocprim17ROCPRIM_400000_NS6detail17trampoline_kernelINS0_14default_configENS1_25partition_config_selectorILNS1_17partition_subalgoE8EsNS0_10empty_typeEbEEZZNS1_14partition_implILS5_8ELb0ES3_jPKsPS6_PKS6_NS0_5tupleIJPsS6_EEENSE_IJSB_SB_EEENS0_18inequality_wrapperIN6hipcub16HIPCUB_304000_NS8EqualityEEEPlJS6_EEE10hipError_tPvRmT3_T4_T5_T6_T7_T9_mT8_P12ihipStream_tbDpT10_ENKUlT_T0_E_clISt17integral_constantIbLb0EES17_EEDaS12_S13_EUlS12_E_NS1_11comp_targetILNS1_3genE4ELNS1_11target_archE910ELNS1_3gpuE8ELNS1_3repE0EEENS1_30default_config_static_selectorELNS0_4arch9wavefront6targetE1EEEvT1_, .Lfunc_end550-_ZN7rocprim17ROCPRIM_400000_NS6detail17trampoline_kernelINS0_14default_configENS1_25partition_config_selectorILNS1_17partition_subalgoE8EsNS0_10empty_typeEbEEZZNS1_14partition_implILS5_8ELb0ES3_jPKsPS6_PKS6_NS0_5tupleIJPsS6_EEENSE_IJSB_SB_EEENS0_18inequality_wrapperIN6hipcub16HIPCUB_304000_NS8EqualityEEEPlJS6_EEE10hipError_tPvRmT3_T4_T5_T6_T7_T9_mT8_P12ihipStream_tbDpT10_ENKUlT_T0_E_clISt17integral_constantIbLb0EES17_EEDaS12_S13_EUlS12_E_NS1_11comp_targetILNS1_3genE4ELNS1_11target_archE910ELNS1_3gpuE8ELNS1_3repE0EEENS1_30default_config_static_selectorELNS0_4arch9wavefront6targetE1EEEvT1_
                                        ; -- End function
	.section	.AMDGPU.csdata,"",@progbits
; Kernel info:
; codeLenInByte = 10412
; NumSgprs: 66
; NumVgprs: 96
; NumAgprs: 0
; TotalNumVgprs: 96
; ScratchSize: 0
; MemoryBound: 0
; FloatMode: 240
; IeeeMode: 1
; LDSByteSize: 11272 bytes/workgroup (compile time only)
; SGPRBlocks: 8
; VGPRBlocks: 11
; NumSGPRsForWavesPerEU: 66
; NumVGPRsForWavesPerEU: 96
; AccumOffset: 96
; Occupancy: 5
; WaveLimiterHint : 1
; COMPUTE_PGM_RSRC2:SCRATCH_EN: 0
; COMPUTE_PGM_RSRC2:USER_SGPR: 6
; COMPUTE_PGM_RSRC2:TRAP_HANDLER: 0
; COMPUTE_PGM_RSRC2:TGID_X_EN: 1
; COMPUTE_PGM_RSRC2:TGID_Y_EN: 0
; COMPUTE_PGM_RSRC2:TGID_Z_EN: 0
; COMPUTE_PGM_RSRC2:TIDIG_COMP_CNT: 0
; COMPUTE_PGM_RSRC3_GFX90A:ACCUM_OFFSET: 23
; COMPUTE_PGM_RSRC3_GFX90A:TG_SPLIT: 0
	.section	.text._ZN7rocprim17ROCPRIM_400000_NS6detail17trampoline_kernelINS0_14default_configENS1_25partition_config_selectorILNS1_17partition_subalgoE8EsNS0_10empty_typeEbEEZZNS1_14partition_implILS5_8ELb0ES3_jPKsPS6_PKS6_NS0_5tupleIJPsS6_EEENSE_IJSB_SB_EEENS0_18inequality_wrapperIN6hipcub16HIPCUB_304000_NS8EqualityEEEPlJS6_EEE10hipError_tPvRmT3_T4_T5_T6_T7_T9_mT8_P12ihipStream_tbDpT10_ENKUlT_T0_E_clISt17integral_constantIbLb0EES17_EEDaS12_S13_EUlS12_E_NS1_11comp_targetILNS1_3genE3ELNS1_11target_archE908ELNS1_3gpuE7ELNS1_3repE0EEENS1_30default_config_static_selectorELNS0_4arch9wavefront6targetE1EEEvT1_,"axG",@progbits,_ZN7rocprim17ROCPRIM_400000_NS6detail17trampoline_kernelINS0_14default_configENS1_25partition_config_selectorILNS1_17partition_subalgoE8EsNS0_10empty_typeEbEEZZNS1_14partition_implILS5_8ELb0ES3_jPKsPS6_PKS6_NS0_5tupleIJPsS6_EEENSE_IJSB_SB_EEENS0_18inequality_wrapperIN6hipcub16HIPCUB_304000_NS8EqualityEEEPlJS6_EEE10hipError_tPvRmT3_T4_T5_T6_T7_T9_mT8_P12ihipStream_tbDpT10_ENKUlT_T0_E_clISt17integral_constantIbLb0EES17_EEDaS12_S13_EUlS12_E_NS1_11comp_targetILNS1_3genE3ELNS1_11target_archE908ELNS1_3gpuE7ELNS1_3repE0EEENS1_30default_config_static_selectorELNS0_4arch9wavefront6targetE1EEEvT1_,comdat
	.protected	_ZN7rocprim17ROCPRIM_400000_NS6detail17trampoline_kernelINS0_14default_configENS1_25partition_config_selectorILNS1_17partition_subalgoE8EsNS0_10empty_typeEbEEZZNS1_14partition_implILS5_8ELb0ES3_jPKsPS6_PKS6_NS0_5tupleIJPsS6_EEENSE_IJSB_SB_EEENS0_18inequality_wrapperIN6hipcub16HIPCUB_304000_NS8EqualityEEEPlJS6_EEE10hipError_tPvRmT3_T4_T5_T6_T7_T9_mT8_P12ihipStream_tbDpT10_ENKUlT_T0_E_clISt17integral_constantIbLb0EES17_EEDaS12_S13_EUlS12_E_NS1_11comp_targetILNS1_3genE3ELNS1_11target_archE908ELNS1_3gpuE7ELNS1_3repE0EEENS1_30default_config_static_selectorELNS0_4arch9wavefront6targetE1EEEvT1_ ; -- Begin function _ZN7rocprim17ROCPRIM_400000_NS6detail17trampoline_kernelINS0_14default_configENS1_25partition_config_selectorILNS1_17partition_subalgoE8EsNS0_10empty_typeEbEEZZNS1_14partition_implILS5_8ELb0ES3_jPKsPS6_PKS6_NS0_5tupleIJPsS6_EEENSE_IJSB_SB_EEENS0_18inequality_wrapperIN6hipcub16HIPCUB_304000_NS8EqualityEEEPlJS6_EEE10hipError_tPvRmT3_T4_T5_T6_T7_T9_mT8_P12ihipStream_tbDpT10_ENKUlT_T0_E_clISt17integral_constantIbLb0EES17_EEDaS12_S13_EUlS12_E_NS1_11comp_targetILNS1_3genE3ELNS1_11target_archE908ELNS1_3gpuE7ELNS1_3repE0EEENS1_30default_config_static_selectorELNS0_4arch9wavefront6targetE1EEEvT1_
	.globl	_ZN7rocprim17ROCPRIM_400000_NS6detail17trampoline_kernelINS0_14default_configENS1_25partition_config_selectorILNS1_17partition_subalgoE8EsNS0_10empty_typeEbEEZZNS1_14partition_implILS5_8ELb0ES3_jPKsPS6_PKS6_NS0_5tupleIJPsS6_EEENSE_IJSB_SB_EEENS0_18inequality_wrapperIN6hipcub16HIPCUB_304000_NS8EqualityEEEPlJS6_EEE10hipError_tPvRmT3_T4_T5_T6_T7_T9_mT8_P12ihipStream_tbDpT10_ENKUlT_T0_E_clISt17integral_constantIbLb0EES17_EEDaS12_S13_EUlS12_E_NS1_11comp_targetILNS1_3genE3ELNS1_11target_archE908ELNS1_3gpuE7ELNS1_3repE0EEENS1_30default_config_static_selectorELNS0_4arch9wavefront6targetE1EEEvT1_
	.p2align	8
	.type	_ZN7rocprim17ROCPRIM_400000_NS6detail17trampoline_kernelINS0_14default_configENS1_25partition_config_selectorILNS1_17partition_subalgoE8EsNS0_10empty_typeEbEEZZNS1_14partition_implILS5_8ELb0ES3_jPKsPS6_PKS6_NS0_5tupleIJPsS6_EEENSE_IJSB_SB_EEENS0_18inequality_wrapperIN6hipcub16HIPCUB_304000_NS8EqualityEEEPlJS6_EEE10hipError_tPvRmT3_T4_T5_T6_T7_T9_mT8_P12ihipStream_tbDpT10_ENKUlT_T0_E_clISt17integral_constantIbLb0EES17_EEDaS12_S13_EUlS12_E_NS1_11comp_targetILNS1_3genE3ELNS1_11target_archE908ELNS1_3gpuE7ELNS1_3repE0EEENS1_30default_config_static_selectorELNS0_4arch9wavefront6targetE1EEEvT1_,@function
_ZN7rocprim17ROCPRIM_400000_NS6detail17trampoline_kernelINS0_14default_configENS1_25partition_config_selectorILNS1_17partition_subalgoE8EsNS0_10empty_typeEbEEZZNS1_14partition_implILS5_8ELb0ES3_jPKsPS6_PKS6_NS0_5tupleIJPsS6_EEENSE_IJSB_SB_EEENS0_18inequality_wrapperIN6hipcub16HIPCUB_304000_NS8EqualityEEEPlJS6_EEE10hipError_tPvRmT3_T4_T5_T6_T7_T9_mT8_P12ihipStream_tbDpT10_ENKUlT_T0_E_clISt17integral_constantIbLb0EES17_EEDaS12_S13_EUlS12_E_NS1_11comp_targetILNS1_3genE3ELNS1_11target_archE908ELNS1_3gpuE7ELNS1_3repE0EEENS1_30default_config_static_selectorELNS0_4arch9wavefront6targetE1EEEvT1_: ; @_ZN7rocprim17ROCPRIM_400000_NS6detail17trampoline_kernelINS0_14default_configENS1_25partition_config_selectorILNS1_17partition_subalgoE8EsNS0_10empty_typeEbEEZZNS1_14partition_implILS5_8ELb0ES3_jPKsPS6_PKS6_NS0_5tupleIJPsS6_EEENSE_IJSB_SB_EEENS0_18inequality_wrapperIN6hipcub16HIPCUB_304000_NS8EqualityEEEPlJS6_EEE10hipError_tPvRmT3_T4_T5_T6_T7_T9_mT8_P12ihipStream_tbDpT10_ENKUlT_T0_E_clISt17integral_constantIbLb0EES17_EEDaS12_S13_EUlS12_E_NS1_11comp_targetILNS1_3genE3ELNS1_11target_archE908ELNS1_3gpuE7ELNS1_3repE0EEENS1_30default_config_static_selectorELNS0_4arch9wavefront6targetE1EEEvT1_
; %bb.0:
	.section	.rodata,"a",@progbits
	.p2align	6, 0x0
	.amdhsa_kernel _ZN7rocprim17ROCPRIM_400000_NS6detail17trampoline_kernelINS0_14default_configENS1_25partition_config_selectorILNS1_17partition_subalgoE8EsNS0_10empty_typeEbEEZZNS1_14partition_implILS5_8ELb0ES3_jPKsPS6_PKS6_NS0_5tupleIJPsS6_EEENSE_IJSB_SB_EEENS0_18inequality_wrapperIN6hipcub16HIPCUB_304000_NS8EqualityEEEPlJS6_EEE10hipError_tPvRmT3_T4_T5_T6_T7_T9_mT8_P12ihipStream_tbDpT10_ENKUlT_T0_E_clISt17integral_constantIbLb0EES17_EEDaS12_S13_EUlS12_E_NS1_11comp_targetILNS1_3genE3ELNS1_11target_archE908ELNS1_3gpuE7ELNS1_3repE0EEENS1_30default_config_static_selectorELNS0_4arch9wavefront6targetE1EEEvT1_
		.amdhsa_group_segment_fixed_size 0
		.amdhsa_private_segment_fixed_size 0
		.amdhsa_kernarg_size 112
		.amdhsa_user_sgpr_count 6
		.amdhsa_user_sgpr_private_segment_buffer 1
		.amdhsa_user_sgpr_dispatch_ptr 0
		.amdhsa_user_sgpr_queue_ptr 0
		.amdhsa_user_sgpr_kernarg_segment_ptr 1
		.amdhsa_user_sgpr_dispatch_id 0
		.amdhsa_user_sgpr_flat_scratch_init 0
		.amdhsa_user_sgpr_kernarg_preload_length 0
		.amdhsa_user_sgpr_kernarg_preload_offset 0
		.amdhsa_user_sgpr_private_segment_size 0
		.amdhsa_uses_dynamic_stack 0
		.amdhsa_system_sgpr_private_segment_wavefront_offset 0
		.amdhsa_system_sgpr_workgroup_id_x 1
		.amdhsa_system_sgpr_workgroup_id_y 0
		.amdhsa_system_sgpr_workgroup_id_z 0
		.amdhsa_system_sgpr_workgroup_info 0
		.amdhsa_system_vgpr_workitem_id 0
		.amdhsa_next_free_vgpr 1
		.amdhsa_next_free_sgpr 0
		.amdhsa_accum_offset 4
		.amdhsa_reserve_vcc 0
		.amdhsa_reserve_flat_scratch 0
		.amdhsa_float_round_mode_32 0
		.amdhsa_float_round_mode_16_64 0
		.amdhsa_float_denorm_mode_32 3
		.amdhsa_float_denorm_mode_16_64 3
		.amdhsa_dx10_clamp 1
		.amdhsa_ieee_mode 1
		.amdhsa_fp16_overflow 0
		.amdhsa_tg_split 0
		.amdhsa_exception_fp_ieee_invalid_op 0
		.amdhsa_exception_fp_denorm_src 0
		.amdhsa_exception_fp_ieee_div_zero 0
		.amdhsa_exception_fp_ieee_overflow 0
		.amdhsa_exception_fp_ieee_underflow 0
		.amdhsa_exception_fp_ieee_inexact 0
		.amdhsa_exception_int_div_zero 0
	.end_amdhsa_kernel
	.section	.text._ZN7rocprim17ROCPRIM_400000_NS6detail17trampoline_kernelINS0_14default_configENS1_25partition_config_selectorILNS1_17partition_subalgoE8EsNS0_10empty_typeEbEEZZNS1_14partition_implILS5_8ELb0ES3_jPKsPS6_PKS6_NS0_5tupleIJPsS6_EEENSE_IJSB_SB_EEENS0_18inequality_wrapperIN6hipcub16HIPCUB_304000_NS8EqualityEEEPlJS6_EEE10hipError_tPvRmT3_T4_T5_T6_T7_T9_mT8_P12ihipStream_tbDpT10_ENKUlT_T0_E_clISt17integral_constantIbLb0EES17_EEDaS12_S13_EUlS12_E_NS1_11comp_targetILNS1_3genE3ELNS1_11target_archE908ELNS1_3gpuE7ELNS1_3repE0EEENS1_30default_config_static_selectorELNS0_4arch9wavefront6targetE1EEEvT1_,"axG",@progbits,_ZN7rocprim17ROCPRIM_400000_NS6detail17trampoline_kernelINS0_14default_configENS1_25partition_config_selectorILNS1_17partition_subalgoE8EsNS0_10empty_typeEbEEZZNS1_14partition_implILS5_8ELb0ES3_jPKsPS6_PKS6_NS0_5tupleIJPsS6_EEENSE_IJSB_SB_EEENS0_18inequality_wrapperIN6hipcub16HIPCUB_304000_NS8EqualityEEEPlJS6_EEE10hipError_tPvRmT3_T4_T5_T6_T7_T9_mT8_P12ihipStream_tbDpT10_ENKUlT_T0_E_clISt17integral_constantIbLb0EES17_EEDaS12_S13_EUlS12_E_NS1_11comp_targetILNS1_3genE3ELNS1_11target_archE908ELNS1_3gpuE7ELNS1_3repE0EEENS1_30default_config_static_selectorELNS0_4arch9wavefront6targetE1EEEvT1_,comdat
.Lfunc_end551:
	.size	_ZN7rocprim17ROCPRIM_400000_NS6detail17trampoline_kernelINS0_14default_configENS1_25partition_config_selectorILNS1_17partition_subalgoE8EsNS0_10empty_typeEbEEZZNS1_14partition_implILS5_8ELb0ES3_jPKsPS6_PKS6_NS0_5tupleIJPsS6_EEENSE_IJSB_SB_EEENS0_18inequality_wrapperIN6hipcub16HIPCUB_304000_NS8EqualityEEEPlJS6_EEE10hipError_tPvRmT3_T4_T5_T6_T7_T9_mT8_P12ihipStream_tbDpT10_ENKUlT_T0_E_clISt17integral_constantIbLb0EES17_EEDaS12_S13_EUlS12_E_NS1_11comp_targetILNS1_3genE3ELNS1_11target_archE908ELNS1_3gpuE7ELNS1_3repE0EEENS1_30default_config_static_selectorELNS0_4arch9wavefront6targetE1EEEvT1_, .Lfunc_end551-_ZN7rocprim17ROCPRIM_400000_NS6detail17trampoline_kernelINS0_14default_configENS1_25partition_config_selectorILNS1_17partition_subalgoE8EsNS0_10empty_typeEbEEZZNS1_14partition_implILS5_8ELb0ES3_jPKsPS6_PKS6_NS0_5tupleIJPsS6_EEENSE_IJSB_SB_EEENS0_18inequality_wrapperIN6hipcub16HIPCUB_304000_NS8EqualityEEEPlJS6_EEE10hipError_tPvRmT3_T4_T5_T6_T7_T9_mT8_P12ihipStream_tbDpT10_ENKUlT_T0_E_clISt17integral_constantIbLb0EES17_EEDaS12_S13_EUlS12_E_NS1_11comp_targetILNS1_3genE3ELNS1_11target_archE908ELNS1_3gpuE7ELNS1_3repE0EEENS1_30default_config_static_selectorELNS0_4arch9wavefront6targetE1EEEvT1_
                                        ; -- End function
	.section	.AMDGPU.csdata,"",@progbits
; Kernel info:
; codeLenInByte = 0
; NumSgprs: 4
; NumVgprs: 0
; NumAgprs: 0
; TotalNumVgprs: 0
; ScratchSize: 0
; MemoryBound: 0
; FloatMode: 240
; IeeeMode: 1
; LDSByteSize: 0 bytes/workgroup (compile time only)
; SGPRBlocks: 0
; VGPRBlocks: 0
; NumSGPRsForWavesPerEU: 4
; NumVGPRsForWavesPerEU: 1
; AccumOffset: 4
; Occupancy: 8
; WaveLimiterHint : 0
; COMPUTE_PGM_RSRC2:SCRATCH_EN: 0
; COMPUTE_PGM_RSRC2:USER_SGPR: 6
; COMPUTE_PGM_RSRC2:TRAP_HANDLER: 0
; COMPUTE_PGM_RSRC2:TGID_X_EN: 1
; COMPUTE_PGM_RSRC2:TGID_Y_EN: 0
; COMPUTE_PGM_RSRC2:TGID_Z_EN: 0
; COMPUTE_PGM_RSRC2:TIDIG_COMP_CNT: 0
; COMPUTE_PGM_RSRC3_GFX90A:ACCUM_OFFSET: 0
; COMPUTE_PGM_RSRC3_GFX90A:TG_SPLIT: 0
	.section	.text._ZN7rocprim17ROCPRIM_400000_NS6detail17trampoline_kernelINS0_14default_configENS1_25partition_config_selectorILNS1_17partition_subalgoE8EsNS0_10empty_typeEbEEZZNS1_14partition_implILS5_8ELb0ES3_jPKsPS6_PKS6_NS0_5tupleIJPsS6_EEENSE_IJSB_SB_EEENS0_18inequality_wrapperIN6hipcub16HIPCUB_304000_NS8EqualityEEEPlJS6_EEE10hipError_tPvRmT3_T4_T5_T6_T7_T9_mT8_P12ihipStream_tbDpT10_ENKUlT_T0_E_clISt17integral_constantIbLb0EES17_EEDaS12_S13_EUlS12_E_NS1_11comp_targetILNS1_3genE2ELNS1_11target_archE906ELNS1_3gpuE6ELNS1_3repE0EEENS1_30default_config_static_selectorELNS0_4arch9wavefront6targetE1EEEvT1_,"axG",@progbits,_ZN7rocprim17ROCPRIM_400000_NS6detail17trampoline_kernelINS0_14default_configENS1_25partition_config_selectorILNS1_17partition_subalgoE8EsNS0_10empty_typeEbEEZZNS1_14partition_implILS5_8ELb0ES3_jPKsPS6_PKS6_NS0_5tupleIJPsS6_EEENSE_IJSB_SB_EEENS0_18inequality_wrapperIN6hipcub16HIPCUB_304000_NS8EqualityEEEPlJS6_EEE10hipError_tPvRmT3_T4_T5_T6_T7_T9_mT8_P12ihipStream_tbDpT10_ENKUlT_T0_E_clISt17integral_constantIbLb0EES17_EEDaS12_S13_EUlS12_E_NS1_11comp_targetILNS1_3genE2ELNS1_11target_archE906ELNS1_3gpuE6ELNS1_3repE0EEENS1_30default_config_static_selectorELNS0_4arch9wavefront6targetE1EEEvT1_,comdat
	.protected	_ZN7rocprim17ROCPRIM_400000_NS6detail17trampoline_kernelINS0_14default_configENS1_25partition_config_selectorILNS1_17partition_subalgoE8EsNS0_10empty_typeEbEEZZNS1_14partition_implILS5_8ELb0ES3_jPKsPS6_PKS6_NS0_5tupleIJPsS6_EEENSE_IJSB_SB_EEENS0_18inequality_wrapperIN6hipcub16HIPCUB_304000_NS8EqualityEEEPlJS6_EEE10hipError_tPvRmT3_T4_T5_T6_T7_T9_mT8_P12ihipStream_tbDpT10_ENKUlT_T0_E_clISt17integral_constantIbLb0EES17_EEDaS12_S13_EUlS12_E_NS1_11comp_targetILNS1_3genE2ELNS1_11target_archE906ELNS1_3gpuE6ELNS1_3repE0EEENS1_30default_config_static_selectorELNS0_4arch9wavefront6targetE1EEEvT1_ ; -- Begin function _ZN7rocprim17ROCPRIM_400000_NS6detail17trampoline_kernelINS0_14default_configENS1_25partition_config_selectorILNS1_17partition_subalgoE8EsNS0_10empty_typeEbEEZZNS1_14partition_implILS5_8ELb0ES3_jPKsPS6_PKS6_NS0_5tupleIJPsS6_EEENSE_IJSB_SB_EEENS0_18inequality_wrapperIN6hipcub16HIPCUB_304000_NS8EqualityEEEPlJS6_EEE10hipError_tPvRmT3_T4_T5_T6_T7_T9_mT8_P12ihipStream_tbDpT10_ENKUlT_T0_E_clISt17integral_constantIbLb0EES17_EEDaS12_S13_EUlS12_E_NS1_11comp_targetILNS1_3genE2ELNS1_11target_archE906ELNS1_3gpuE6ELNS1_3repE0EEENS1_30default_config_static_selectorELNS0_4arch9wavefront6targetE1EEEvT1_
	.globl	_ZN7rocprim17ROCPRIM_400000_NS6detail17trampoline_kernelINS0_14default_configENS1_25partition_config_selectorILNS1_17partition_subalgoE8EsNS0_10empty_typeEbEEZZNS1_14partition_implILS5_8ELb0ES3_jPKsPS6_PKS6_NS0_5tupleIJPsS6_EEENSE_IJSB_SB_EEENS0_18inequality_wrapperIN6hipcub16HIPCUB_304000_NS8EqualityEEEPlJS6_EEE10hipError_tPvRmT3_T4_T5_T6_T7_T9_mT8_P12ihipStream_tbDpT10_ENKUlT_T0_E_clISt17integral_constantIbLb0EES17_EEDaS12_S13_EUlS12_E_NS1_11comp_targetILNS1_3genE2ELNS1_11target_archE906ELNS1_3gpuE6ELNS1_3repE0EEENS1_30default_config_static_selectorELNS0_4arch9wavefront6targetE1EEEvT1_
	.p2align	8
	.type	_ZN7rocprim17ROCPRIM_400000_NS6detail17trampoline_kernelINS0_14default_configENS1_25partition_config_selectorILNS1_17partition_subalgoE8EsNS0_10empty_typeEbEEZZNS1_14partition_implILS5_8ELb0ES3_jPKsPS6_PKS6_NS0_5tupleIJPsS6_EEENSE_IJSB_SB_EEENS0_18inequality_wrapperIN6hipcub16HIPCUB_304000_NS8EqualityEEEPlJS6_EEE10hipError_tPvRmT3_T4_T5_T6_T7_T9_mT8_P12ihipStream_tbDpT10_ENKUlT_T0_E_clISt17integral_constantIbLb0EES17_EEDaS12_S13_EUlS12_E_NS1_11comp_targetILNS1_3genE2ELNS1_11target_archE906ELNS1_3gpuE6ELNS1_3repE0EEENS1_30default_config_static_selectorELNS0_4arch9wavefront6targetE1EEEvT1_,@function
_ZN7rocprim17ROCPRIM_400000_NS6detail17trampoline_kernelINS0_14default_configENS1_25partition_config_selectorILNS1_17partition_subalgoE8EsNS0_10empty_typeEbEEZZNS1_14partition_implILS5_8ELb0ES3_jPKsPS6_PKS6_NS0_5tupleIJPsS6_EEENSE_IJSB_SB_EEENS0_18inequality_wrapperIN6hipcub16HIPCUB_304000_NS8EqualityEEEPlJS6_EEE10hipError_tPvRmT3_T4_T5_T6_T7_T9_mT8_P12ihipStream_tbDpT10_ENKUlT_T0_E_clISt17integral_constantIbLb0EES17_EEDaS12_S13_EUlS12_E_NS1_11comp_targetILNS1_3genE2ELNS1_11target_archE906ELNS1_3gpuE6ELNS1_3repE0EEENS1_30default_config_static_selectorELNS0_4arch9wavefront6targetE1EEEvT1_: ; @_ZN7rocprim17ROCPRIM_400000_NS6detail17trampoline_kernelINS0_14default_configENS1_25partition_config_selectorILNS1_17partition_subalgoE8EsNS0_10empty_typeEbEEZZNS1_14partition_implILS5_8ELb0ES3_jPKsPS6_PKS6_NS0_5tupleIJPsS6_EEENSE_IJSB_SB_EEENS0_18inequality_wrapperIN6hipcub16HIPCUB_304000_NS8EqualityEEEPlJS6_EEE10hipError_tPvRmT3_T4_T5_T6_T7_T9_mT8_P12ihipStream_tbDpT10_ENKUlT_T0_E_clISt17integral_constantIbLb0EES17_EEDaS12_S13_EUlS12_E_NS1_11comp_targetILNS1_3genE2ELNS1_11target_archE906ELNS1_3gpuE6ELNS1_3repE0EEENS1_30default_config_static_selectorELNS0_4arch9wavefront6targetE1EEEvT1_
; %bb.0:
	.section	.rodata,"a",@progbits
	.p2align	6, 0x0
	.amdhsa_kernel _ZN7rocprim17ROCPRIM_400000_NS6detail17trampoline_kernelINS0_14default_configENS1_25partition_config_selectorILNS1_17partition_subalgoE8EsNS0_10empty_typeEbEEZZNS1_14partition_implILS5_8ELb0ES3_jPKsPS6_PKS6_NS0_5tupleIJPsS6_EEENSE_IJSB_SB_EEENS0_18inequality_wrapperIN6hipcub16HIPCUB_304000_NS8EqualityEEEPlJS6_EEE10hipError_tPvRmT3_T4_T5_T6_T7_T9_mT8_P12ihipStream_tbDpT10_ENKUlT_T0_E_clISt17integral_constantIbLb0EES17_EEDaS12_S13_EUlS12_E_NS1_11comp_targetILNS1_3genE2ELNS1_11target_archE906ELNS1_3gpuE6ELNS1_3repE0EEENS1_30default_config_static_selectorELNS0_4arch9wavefront6targetE1EEEvT1_
		.amdhsa_group_segment_fixed_size 0
		.amdhsa_private_segment_fixed_size 0
		.amdhsa_kernarg_size 112
		.amdhsa_user_sgpr_count 6
		.amdhsa_user_sgpr_private_segment_buffer 1
		.amdhsa_user_sgpr_dispatch_ptr 0
		.amdhsa_user_sgpr_queue_ptr 0
		.amdhsa_user_sgpr_kernarg_segment_ptr 1
		.amdhsa_user_sgpr_dispatch_id 0
		.amdhsa_user_sgpr_flat_scratch_init 0
		.amdhsa_user_sgpr_kernarg_preload_length 0
		.amdhsa_user_sgpr_kernarg_preload_offset 0
		.amdhsa_user_sgpr_private_segment_size 0
		.amdhsa_uses_dynamic_stack 0
		.amdhsa_system_sgpr_private_segment_wavefront_offset 0
		.amdhsa_system_sgpr_workgroup_id_x 1
		.amdhsa_system_sgpr_workgroup_id_y 0
		.amdhsa_system_sgpr_workgroup_id_z 0
		.amdhsa_system_sgpr_workgroup_info 0
		.amdhsa_system_vgpr_workitem_id 0
		.amdhsa_next_free_vgpr 1
		.amdhsa_next_free_sgpr 0
		.amdhsa_accum_offset 4
		.amdhsa_reserve_vcc 0
		.amdhsa_reserve_flat_scratch 0
		.amdhsa_float_round_mode_32 0
		.amdhsa_float_round_mode_16_64 0
		.amdhsa_float_denorm_mode_32 3
		.amdhsa_float_denorm_mode_16_64 3
		.amdhsa_dx10_clamp 1
		.amdhsa_ieee_mode 1
		.amdhsa_fp16_overflow 0
		.amdhsa_tg_split 0
		.amdhsa_exception_fp_ieee_invalid_op 0
		.amdhsa_exception_fp_denorm_src 0
		.amdhsa_exception_fp_ieee_div_zero 0
		.amdhsa_exception_fp_ieee_overflow 0
		.amdhsa_exception_fp_ieee_underflow 0
		.amdhsa_exception_fp_ieee_inexact 0
		.amdhsa_exception_int_div_zero 0
	.end_amdhsa_kernel
	.section	.text._ZN7rocprim17ROCPRIM_400000_NS6detail17trampoline_kernelINS0_14default_configENS1_25partition_config_selectorILNS1_17partition_subalgoE8EsNS0_10empty_typeEbEEZZNS1_14partition_implILS5_8ELb0ES3_jPKsPS6_PKS6_NS0_5tupleIJPsS6_EEENSE_IJSB_SB_EEENS0_18inequality_wrapperIN6hipcub16HIPCUB_304000_NS8EqualityEEEPlJS6_EEE10hipError_tPvRmT3_T4_T5_T6_T7_T9_mT8_P12ihipStream_tbDpT10_ENKUlT_T0_E_clISt17integral_constantIbLb0EES17_EEDaS12_S13_EUlS12_E_NS1_11comp_targetILNS1_3genE2ELNS1_11target_archE906ELNS1_3gpuE6ELNS1_3repE0EEENS1_30default_config_static_selectorELNS0_4arch9wavefront6targetE1EEEvT1_,"axG",@progbits,_ZN7rocprim17ROCPRIM_400000_NS6detail17trampoline_kernelINS0_14default_configENS1_25partition_config_selectorILNS1_17partition_subalgoE8EsNS0_10empty_typeEbEEZZNS1_14partition_implILS5_8ELb0ES3_jPKsPS6_PKS6_NS0_5tupleIJPsS6_EEENSE_IJSB_SB_EEENS0_18inequality_wrapperIN6hipcub16HIPCUB_304000_NS8EqualityEEEPlJS6_EEE10hipError_tPvRmT3_T4_T5_T6_T7_T9_mT8_P12ihipStream_tbDpT10_ENKUlT_T0_E_clISt17integral_constantIbLb0EES17_EEDaS12_S13_EUlS12_E_NS1_11comp_targetILNS1_3genE2ELNS1_11target_archE906ELNS1_3gpuE6ELNS1_3repE0EEENS1_30default_config_static_selectorELNS0_4arch9wavefront6targetE1EEEvT1_,comdat
.Lfunc_end552:
	.size	_ZN7rocprim17ROCPRIM_400000_NS6detail17trampoline_kernelINS0_14default_configENS1_25partition_config_selectorILNS1_17partition_subalgoE8EsNS0_10empty_typeEbEEZZNS1_14partition_implILS5_8ELb0ES3_jPKsPS6_PKS6_NS0_5tupleIJPsS6_EEENSE_IJSB_SB_EEENS0_18inequality_wrapperIN6hipcub16HIPCUB_304000_NS8EqualityEEEPlJS6_EEE10hipError_tPvRmT3_T4_T5_T6_T7_T9_mT8_P12ihipStream_tbDpT10_ENKUlT_T0_E_clISt17integral_constantIbLb0EES17_EEDaS12_S13_EUlS12_E_NS1_11comp_targetILNS1_3genE2ELNS1_11target_archE906ELNS1_3gpuE6ELNS1_3repE0EEENS1_30default_config_static_selectorELNS0_4arch9wavefront6targetE1EEEvT1_, .Lfunc_end552-_ZN7rocprim17ROCPRIM_400000_NS6detail17trampoline_kernelINS0_14default_configENS1_25partition_config_selectorILNS1_17partition_subalgoE8EsNS0_10empty_typeEbEEZZNS1_14partition_implILS5_8ELb0ES3_jPKsPS6_PKS6_NS0_5tupleIJPsS6_EEENSE_IJSB_SB_EEENS0_18inequality_wrapperIN6hipcub16HIPCUB_304000_NS8EqualityEEEPlJS6_EEE10hipError_tPvRmT3_T4_T5_T6_T7_T9_mT8_P12ihipStream_tbDpT10_ENKUlT_T0_E_clISt17integral_constantIbLb0EES17_EEDaS12_S13_EUlS12_E_NS1_11comp_targetILNS1_3genE2ELNS1_11target_archE906ELNS1_3gpuE6ELNS1_3repE0EEENS1_30default_config_static_selectorELNS0_4arch9wavefront6targetE1EEEvT1_
                                        ; -- End function
	.section	.AMDGPU.csdata,"",@progbits
; Kernel info:
; codeLenInByte = 0
; NumSgprs: 4
; NumVgprs: 0
; NumAgprs: 0
; TotalNumVgprs: 0
; ScratchSize: 0
; MemoryBound: 0
; FloatMode: 240
; IeeeMode: 1
; LDSByteSize: 0 bytes/workgroup (compile time only)
; SGPRBlocks: 0
; VGPRBlocks: 0
; NumSGPRsForWavesPerEU: 4
; NumVGPRsForWavesPerEU: 1
; AccumOffset: 4
; Occupancy: 8
; WaveLimiterHint : 0
; COMPUTE_PGM_RSRC2:SCRATCH_EN: 0
; COMPUTE_PGM_RSRC2:USER_SGPR: 6
; COMPUTE_PGM_RSRC2:TRAP_HANDLER: 0
; COMPUTE_PGM_RSRC2:TGID_X_EN: 1
; COMPUTE_PGM_RSRC2:TGID_Y_EN: 0
; COMPUTE_PGM_RSRC2:TGID_Z_EN: 0
; COMPUTE_PGM_RSRC2:TIDIG_COMP_CNT: 0
; COMPUTE_PGM_RSRC3_GFX90A:ACCUM_OFFSET: 0
; COMPUTE_PGM_RSRC3_GFX90A:TG_SPLIT: 0
	.section	.text._ZN7rocprim17ROCPRIM_400000_NS6detail17trampoline_kernelINS0_14default_configENS1_25partition_config_selectorILNS1_17partition_subalgoE8EsNS0_10empty_typeEbEEZZNS1_14partition_implILS5_8ELb0ES3_jPKsPS6_PKS6_NS0_5tupleIJPsS6_EEENSE_IJSB_SB_EEENS0_18inequality_wrapperIN6hipcub16HIPCUB_304000_NS8EqualityEEEPlJS6_EEE10hipError_tPvRmT3_T4_T5_T6_T7_T9_mT8_P12ihipStream_tbDpT10_ENKUlT_T0_E_clISt17integral_constantIbLb0EES17_EEDaS12_S13_EUlS12_E_NS1_11comp_targetILNS1_3genE10ELNS1_11target_archE1200ELNS1_3gpuE4ELNS1_3repE0EEENS1_30default_config_static_selectorELNS0_4arch9wavefront6targetE1EEEvT1_,"axG",@progbits,_ZN7rocprim17ROCPRIM_400000_NS6detail17trampoline_kernelINS0_14default_configENS1_25partition_config_selectorILNS1_17partition_subalgoE8EsNS0_10empty_typeEbEEZZNS1_14partition_implILS5_8ELb0ES3_jPKsPS6_PKS6_NS0_5tupleIJPsS6_EEENSE_IJSB_SB_EEENS0_18inequality_wrapperIN6hipcub16HIPCUB_304000_NS8EqualityEEEPlJS6_EEE10hipError_tPvRmT3_T4_T5_T6_T7_T9_mT8_P12ihipStream_tbDpT10_ENKUlT_T0_E_clISt17integral_constantIbLb0EES17_EEDaS12_S13_EUlS12_E_NS1_11comp_targetILNS1_3genE10ELNS1_11target_archE1200ELNS1_3gpuE4ELNS1_3repE0EEENS1_30default_config_static_selectorELNS0_4arch9wavefront6targetE1EEEvT1_,comdat
	.protected	_ZN7rocprim17ROCPRIM_400000_NS6detail17trampoline_kernelINS0_14default_configENS1_25partition_config_selectorILNS1_17partition_subalgoE8EsNS0_10empty_typeEbEEZZNS1_14partition_implILS5_8ELb0ES3_jPKsPS6_PKS6_NS0_5tupleIJPsS6_EEENSE_IJSB_SB_EEENS0_18inequality_wrapperIN6hipcub16HIPCUB_304000_NS8EqualityEEEPlJS6_EEE10hipError_tPvRmT3_T4_T5_T6_T7_T9_mT8_P12ihipStream_tbDpT10_ENKUlT_T0_E_clISt17integral_constantIbLb0EES17_EEDaS12_S13_EUlS12_E_NS1_11comp_targetILNS1_3genE10ELNS1_11target_archE1200ELNS1_3gpuE4ELNS1_3repE0EEENS1_30default_config_static_selectorELNS0_4arch9wavefront6targetE1EEEvT1_ ; -- Begin function _ZN7rocprim17ROCPRIM_400000_NS6detail17trampoline_kernelINS0_14default_configENS1_25partition_config_selectorILNS1_17partition_subalgoE8EsNS0_10empty_typeEbEEZZNS1_14partition_implILS5_8ELb0ES3_jPKsPS6_PKS6_NS0_5tupleIJPsS6_EEENSE_IJSB_SB_EEENS0_18inequality_wrapperIN6hipcub16HIPCUB_304000_NS8EqualityEEEPlJS6_EEE10hipError_tPvRmT3_T4_T5_T6_T7_T9_mT8_P12ihipStream_tbDpT10_ENKUlT_T0_E_clISt17integral_constantIbLb0EES17_EEDaS12_S13_EUlS12_E_NS1_11comp_targetILNS1_3genE10ELNS1_11target_archE1200ELNS1_3gpuE4ELNS1_3repE0EEENS1_30default_config_static_selectorELNS0_4arch9wavefront6targetE1EEEvT1_
	.globl	_ZN7rocprim17ROCPRIM_400000_NS6detail17trampoline_kernelINS0_14default_configENS1_25partition_config_selectorILNS1_17partition_subalgoE8EsNS0_10empty_typeEbEEZZNS1_14partition_implILS5_8ELb0ES3_jPKsPS6_PKS6_NS0_5tupleIJPsS6_EEENSE_IJSB_SB_EEENS0_18inequality_wrapperIN6hipcub16HIPCUB_304000_NS8EqualityEEEPlJS6_EEE10hipError_tPvRmT3_T4_T5_T6_T7_T9_mT8_P12ihipStream_tbDpT10_ENKUlT_T0_E_clISt17integral_constantIbLb0EES17_EEDaS12_S13_EUlS12_E_NS1_11comp_targetILNS1_3genE10ELNS1_11target_archE1200ELNS1_3gpuE4ELNS1_3repE0EEENS1_30default_config_static_selectorELNS0_4arch9wavefront6targetE1EEEvT1_
	.p2align	8
	.type	_ZN7rocprim17ROCPRIM_400000_NS6detail17trampoline_kernelINS0_14default_configENS1_25partition_config_selectorILNS1_17partition_subalgoE8EsNS0_10empty_typeEbEEZZNS1_14partition_implILS5_8ELb0ES3_jPKsPS6_PKS6_NS0_5tupleIJPsS6_EEENSE_IJSB_SB_EEENS0_18inequality_wrapperIN6hipcub16HIPCUB_304000_NS8EqualityEEEPlJS6_EEE10hipError_tPvRmT3_T4_T5_T6_T7_T9_mT8_P12ihipStream_tbDpT10_ENKUlT_T0_E_clISt17integral_constantIbLb0EES17_EEDaS12_S13_EUlS12_E_NS1_11comp_targetILNS1_3genE10ELNS1_11target_archE1200ELNS1_3gpuE4ELNS1_3repE0EEENS1_30default_config_static_selectorELNS0_4arch9wavefront6targetE1EEEvT1_,@function
_ZN7rocprim17ROCPRIM_400000_NS6detail17trampoline_kernelINS0_14default_configENS1_25partition_config_selectorILNS1_17partition_subalgoE8EsNS0_10empty_typeEbEEZZNS1_14partition_implILS5_8ELb0ES3_jPKsPS6_PKS6_NS0_5tupleIJPsS6_EEENSE_IJSB_SB_EEENS0_18inequality_wrapperIN6hipcub16HIPCUB_304000_NS8EqualityEEEPlJS6_EEE10hipError_tPvRmT3_T4_T5_T6_T7_T9_mT8_P12ihipStream_tbDpT10_ENKUlT_T0_E_clISt17integral_constantIbLb0EES17_EEDaS12_S13_EUlS12_E_NS1_11comp_targetILNS1_3genE10ELNS1_11target_archE1200ELNS1_3gpuE4ELNS1_3repE0EEENS1_30default_config_static_selectorELNS0_4arch9wavefront6targetE1EEEvT1_: ; @_ZN7rocprim17ROCPRIM_400000_NS6detail17trampoline_kernelINS0_14default_configENS1_25partition_config_selectorILNS1_17partition_subalgoE8EsNS0_10empty_typeEbEEZZNS1_14partition_implILS5_8ELb0ES3_jPKsPS6_PKS6_NS0_5tupleIJPsS6_EEENSE_IJSB_SB_EEENS0_18inequality_wrapperIN6hipcub16HIPCUB_304000_NS8EqualityEEEPlJS6_EEE10hipError_tPvRmT3_T4_T5_T6_T7_T9_mT8_P12ihipStream_tbDpT10_ENKUlT_T0_E_clISt17integral_constantIbLb0EES17_EEDaS12_S13_EUlS12_E_NS1_11comp_targetILNS1_3genE10ELNS1_11target_archE1200ELNS1_3gpuE4ELNS1_3repE0EEENS1_30default_config_static_selectorELNS0_4arch9wavefront6targetE1EEEvT1_
; %bb.0:
	.section	.rodata,"a",@progbits
	.p2align	6, 0x0
	.amdhsa_kernel _ZN7rocprim17ROCPRIM_400000_NS6detail17trampoline_kernelINS0_14default_configENS1_25partition_config_selectorILNS1_17partition_subalgoE8EsNS0_10empty_typeEbEEZZNS1_14partition_implILS5_8ELb0ES3_jPKsPS6_PKS6_NS0_5tupleIJPsS6_EEENSE_IJSB_SB_EEENS0_18inequality_wrapperIN6hipcub16HIPCUB_304000_NS8EqualityEEEPlJS6_EEE10hipError_tPvRmT3_T4_T5_T6_T7_T9_mT8_P12ihipStream_tbDpT10_ENKUlT_T0_E_clISt17integral_constantIbLb0EES17_EEDaS12_S13_EUlS12_E_NS1_11comp_targetILNS1_3genE10ELNS1_11target_archE1200ELNS1_3gpuE4ELNS1_3repE0EEENS1_30default_config_static_selectorELNS0_4arch9wavefront6targetE1EEEvT1_
		.amdhsa_group_segment_fixed_size 0
		.amdhsa_private_segment_fixed_size 0
		.amdhsa_kernarg_size 112
		.amdhsa_user_sgpr_count 6
		.amdhsa_user_sgpr_private_segment_buffer 1
		.amdhsa_user_sgpr_dispatch_ptr 0
		.amdhsa_user_sgpr_queue_ptr 0
		.amdhsa_user_sgpr_kernarg_segment_ptr 1
		.amdhsa_user_sgpr_dispatch_id 0
		.amdhsa_user_sgpr_flat_scratch_init 0
		.amdhsa_user_sgpr_kernarg_preload_length 0
		.amdhsa_user_sgpr_kernarg_preload_offset 0
		.amdhsa_user_sgpr_private_segment_size 0
		.amdhsa_uses_dynamic_stack 0
		.amdhsa_system_sgpr_private_segment_wavefront_offset 0
		.amdhsa_system_sgpr_workgroup_id_x 1
		.amdhsa_system_sgpr_workgroup_id_y 0
		.amdhsa_system_sgpr_workgroup_id_z 0
		.amdhsa_system_sgpr_workgroup_info 0
		.amdhsa_system_vgpr_workitem_id 0
		.amdhsa_next_free_vgpr 1
		.amdhsa_next_free_sgpr 0
		.amdhsa_accum_offset 4
		.amdhsa_reserve_vcc 0
		.amdhsa_reserve_flat_scratch 0
		.amdhsa_float_round_mode_32 0
		.amdhsa_float_round_mode_16_64 0
		.amdhsa_float_denorm_mode_32 3
		.amdhsa_float_denorm_mode_16_64 3
		.amdhsa_dx10_clamp 1
		.amdhsa_ieee_mode 1
		.amdhsa_fp16_overflow 0
		.amdhsa_tg_split 0
		.amdhsa_exception_fp_ieee_invalid_op 0
		.amdhsa_exception_fp_denorm_src 0
		.amdhsa_exception_fp_ieee_div_zero 0
		.amdhsa_exception_fp_ieee_overflow 0
		.amdhsa_exception_fp_ieee_underflow 0
		.amdhsa_exception_fp_ieee_inexact 0
		.amdhsa_exception_int_div_zero 0
	.end_amdhsa_kernel
	.section	.text._ZN7rocprim17ROCPRIM_400000_NS6detail17trampoline_kernelINS0_14default_configENS1_25partition_config_selectorILNS1_17partition_subalgoE8EsNS0_10empty_typeEbEEZZNS1_14partition_implILS5_8ELb0ES3_jPKsPS6_PKS6_NS0_5tupleIJPsS6_EEENSE_IJSB_SB_EEENS0_18inequality_wrapperIN6hipcub16HIPCUB_304000_NS8EqualityEEEPlJS6_EEE10hipError_tPvRmT3_T4_T5_T6_T7_T9_mT8_P12ihipStream_tbDpT10_ENKUlT_T0_E_clISt17integral_constantIbLb0EES17_EEDaS12_S13_EUlS12_E_NS1_11comp_targetILNS1_3genE10ELNS1_11target_archE1200ELNS1_3gpuE4ELNS1_3repE0EEENS1_30default_config_static_selectorELNS0_4arch9wavefront6targetE1EEEvT1_,"axG",@progbits,_ZN7rocprim17ROCPRIM_400000_NS6detail17trampoline_kernelINS0_14default_configENS1_25partition_config_selectorILNS1_17partition_subalgoE8EsNS0_10empty_typeEbEEZZNS1_14partition_implILS5_8ELb0ES3_jPKsPS6_PKS6_NS0_5tupleIJPsS6_EEENSE_IJSB_SB_EEENS0_18inequality_wrapperIN6hipcub16HIPCUB_304000_NS8EqualityEEEPlJS6_EEE10hipError_tPvRmT3_T4_T5_T6_T7_T9_mT8_P12ihipStream_tbDpT10_ENKUlT_T0_E_clISt17integral_constantIbLb0EES17_EEDaS12_S13_EUlS12_E_NS1_11comp_targetILNS1_3genE10ELNS1_11target_archE1200ELNS1_3gpuE4ELNS1_3repE0EEENS1_30default_config_static_selectorELNS0_4arch9wavefront6targetE1EEEvT1_,comdat
.Lfunc_end553:
	.size	_ZN7rocprim17ROCPRIM_400000_NS6detail17trampoline_kernelINS0_14default_configENS1_25partition_config_selectorILNS1_17partition_subalgoE8EsNS0_10empty_typeEbEEZZNS1_14partition_implILS5_8ELb0ES3_jPKsPS6_PKS6_NS0_5tupleIJPsS6_EEENSE_IJSB_SB_EEENS0_18inequality_wrapperIN6hipcub16HIPCUB_304000_NS8EqualityEEEPlJS6_EEE10hipError_tPvRmT3_T4_T5_T6_T7_T9_mT8_P12ihipStream_tbDpT10_ENKUlT_T0_E_clISt17integral_constantIbLb0EES17_EEDaS12_S13_EUlS12_E_NS1_11comp_targetILNS1_3genE10ELNS1_11target_archE1200ELNS1_3gpuE4ELNS1_3repE0EEENS1_30default_config_static_selectorELNS0_4arch9wavefront6targetE1EEEvT1_, .Lfunc_end553-_ZN7rocprim17ROCPRIM_400000_NS6detail17trampoline_kernelINS0_14default_configENS1_25partition_config_selectorILNS1_17partition_subalgoE8EsNS0_10empty_typeEbEEZZNS1_14partition_implILS5_8ELb0ES3_jPKsPS6_PKS6_NS0_5tupleIJPsS6_EEENSE_IJSB_SB_EEENS0_18inequality_wrapperIN6hipcub16HIPCUB_304000_NS8EqualityEEEPlJS6_EEE10hipError_tPvRmT3_T4_T5_T6_T7_T9_mT8_P12ihipStream_tbDpT10_ENKUlT_T0_E_clISt17integral_constantIbLb0EES17_EEDaS12_S13_EUlS12_E_NS1_11comp_targetILNS1_3genE10ELNS1_11target_archE1200ELNS1_3gpuE4ELNS1_3repE0EEENS1_30default_config_static_selectorELNS0_4arch9wavefront6targetE1EEEvT1_
                                        ; -- End function
	.section	.AMDGPU.csdata,"",@progbits
; Kernel info:
; codeLenInByte = 0
; NumSgprs: 4
; NumVgprs: 0
; NumAgprs: 0
; TotalNumVgprs: 0
; ScratchSize: 0
; MemoryBound: 0
; FloatMode: 240
; IeeeMode: 1
; LDSByteSize: 0 bytes/workgroup (compile time only)
; SGPRBlocks: 0
; VGPRBlocks: 0
; NumSGPRsForWavesPerEU: 4
; NumVGPRsForWavesPerEU: 1
; AccumOffset: 4
; Occupancy: 8
; WaveLimiterHint : 0
; COMPUTE_PGM_RSRC2:SCRATCH_EN: 0
; COMPUTE_PGM_RSRC2:USER_SGPR: 6
; COMPUTE_PGM_RSRC2:TRAP_HANDLER: 0
; COMPUTE_PGM_RSRC2:TGID_X_EN: 1
; COMPUTE_PGM_RSRC2:TGID_Y_EN: 0
; COMPUTE_PGM_RSRC2:TGID_Z_EN: 0
; COMPUTE_PGM_RSRC2:TIDIG_COMP_CNT: 0
; COMPUTE_PGM_RSRC3_GFX90A:ACCUM_OFFSET: 0
; COMPUTE_PGM_RSRC3_GFX90A:TG_SPLIT: 0
	.section	.text._ZN7rocprim17ROCPRIM_400000_NS6detail17trampoline_kernelINS0_14default_configENS1_25partition_config_selectorILNS1_17partition_subalgoE8EsNS0_10empty_typeEbEEZZNS1_14partition_implILS5_8ELb0ES3_jPKsPS6_PKS6_NS0_5tupleIJPsS6_EEENSE_IJSB_SB_EEENS0_18inequality_wrapperIN6hipcub16HIPCUB_304000_NS8EqualityEEEPlJS6_EEE10hipError_tPvRmT3_T4_T5_T6_T7_T9_mT8_P12ihipStream_tbDpT10_ENKUlT_T0_E_clISt17integral_constantIbLb0EES17_EEDaS12_S13_EUlS12_E_NS1_11comp_targetILNS1_3genE9ELNS1_11target_archE1100ELNS1_3gpuE3ELNS1_3repE0EEENS1_30default_config_static_selectorELNS0_4arch9wavefront6targetE1EEEvT1_,"axG",@progbits,_ZN7rocprim17ROCPRIM_400000_NS6detail17trampoline_kernelINS0_14default_configENS1_25partition_config_selectorILNS1_17partition_subalgoE8EsNS0_10empty_typeEbEEZZNS1_14partition_implILS5_8ELb0ES3_jPKsPS6_PKS6_NS0_5tupleIJPsS6_EEENSE_IJSB_SB_EEENS0_18inequality_wrapperIN6hipcub16HIPCUB_304000_NS8EqualityEEEPlJS6_EEE10hipError_tPvRmT3_T4_T5_T6_T7_T9_mT8_P12ihipStream_tbDpT10_ENKUlT_T0_E_clISt17integral_constantIbLb0EES17_EEDaS12_S13_EUlS12_E_NS1_11comp_targetILNS1_3genE9ELNS1_11target_archE1100ELNS1_3gpuE3ELNS1_3repE0EEENS1_30default_config_static_selectorELNS0_4arch9wavefront6targetE1EEEvT1_,comdat
	.protected	_ZN7rocprim17ROCPRIM_400000_NS6detail17trampoline_kernelINS0_14default_configENS1_25partition_config_selectorILNS1_17partition_subalgoE8EsNS0_10empty_typeEbEEZZNS1_14partition_implILS5_8ELb0ES3_jPKsPS6_PKS6_NS0_5tupleIJPsS6_EEENSE_IJSB_SB_EEENS0_18inequality_wrapperIN6hipcub16HIPCUB_304000_NS8EqualityEEEPlJS6_EEE10hipError_tPvRmT3_T4_T5_T6_T7_T9_mT8_P12ihipStream_tbDpT10_ENKUlT_T0_E_clISt17integral_constantIbLb0EES17_EEDaS12_S13_EUlS12_E_NS1_11comp_targetILNS1_3genE9ELNS1_11target_archE1100ELNS1_3gpuE3ELNS1_3repE0EEENS1_30default_config_static_selectorELNS0_4arch9wavefront6targetE1EEEvT1_ ; -- Begin function _ZN7rocprim17ROCPRIM_400000_NS6detail17trampoline_kernelINS0_14default_configENS1_25partition_config_selectorILNS1_17partition_subalgoE8EsNS0_10empty_typeEbEEZZNS1_14partition_implILS5_8ELb0ES3_jPKsPS6_PKS6_NS0_5tupleIJPsS6_EEENSE_IJSB_SB_EEENS0_18inequality_wrapperIN6hipcub16HIPCUB_304000_NS8EqualityEEEPlJS6_EEE10hipError_tPvRmT3_T4_T5_T6_T7_T9_mT8_P12ihipStream_tbDpT10_ENKUlT_T0_E_clISt17integral_constantIbLb0EES17_EEDaS12_S13_EUlS12_E_NS1_11comp_targetILNS1_3genE9ELNS1_11target_archE1100ELNS1_3gpuE3ELNS1_3repE0EEENS1_30default_config_static_selectorELNS0_4arch9wavefront6targetE1EEEvT1_
	.globl	_ZN7rocprim17ROCPRIM_400000_NS6detail17trampoline_kernelINS0_14default_configENS1_25partition_config_selectorILNS1_17partition_subalgoE8EsNS0_10empty_typeEbEEZZNS1_14partition_implILS5_8ELb0ES3_jPKsPS6_PKS6_NS0_5tupleIJPsS6_EEENSE_IJSB_SB_EEENS0_18inequality_wrapperIN6hipcub16HIPCUB_304000_NS8EqualityEEEPlJS6_EEE10hipError_tPvRmT3_T4_T5_T6_T7_T9_mT8_P12ihipStream_tbDpT10_ENKUlT_T0_E_clISt17integral_constantIbLb0EES17_EEDaS12_S13_EUlS12_E_NS1_11comp_targetILNS1_3genE9ELNS1_11target_archE1100ELNS1_3gpuE3ELNS1_3repE0EEENS1_30default_config_static_selectorELNS0_4arch9wavefront6targetE1EEEvT1_
	.p2align	8
	.type	_ZN7rocprim17ROCPRIM_400000_NS6detail17trampoline_kernelINS0_14default_configENS1_25partition_config_selectorILNS1_17partition_subalgoE8EsNS0_10empty_typeEbEEZZNS1_14partition_implILS5_8ELb0ES3_jPKsPS6_PKS6_NS0_5tupleIJPsS6_EEENSE_IJSB_SB_EEENS0_18inequality_wrapperIN6hipcub16HIPCUB_304000_NS8EqualityEEEPlJS6_EEE10hipError_tPvRmT3_T4_T5_T6_T7_T9_mT8_P12ihipStream_tbDpT10_ENKUlT_T0_E_clISt17integral_constantIbLb0EES17_EEDaS12_S13_EUlS12_E_NS1_11comp_targetILNS1_3genE9ELNS1_11target_archE1100ELNS1_3gpuE3ELNS1_3repE0EEENS1_30default_config_static_selectorELNS0_4arch9wavefront6targetE1EEEvT1_,@function
_ZN7rocprim17ROCPRIM_400000_NS6detail17trampoline_kernelINS0_14default_configENS1_25partition_config_selectorILNS1_17partition_subalgoE8EsNS0_10empty_typeEbEEZZNS1_14partition_implILS5_8ELb0ES3_jPKsPS6_PKS6_NS0_5tupleIJPsS6_EEENSE_IJSB_SB_EEENS0_18inequality_wrapperIN6hipcub16HIPCUB_304000_NS8EqualityEEEPlJS6_EEE10hipError_tPvRmT3_T4_T5_T6_T7_T9_mT8_P12ihipStream_tbDpT10_ENKUlT_T0_E_clISt17integral_constantIbLb0EES17_EEDaS12_S13_EUlS12_E_NS1_11comp_targetILNS1_3genE9ELNS1_11target_archE1100ELNS1_3gpuE3ELNS1_3repE0EEENS1_30default_config_static_selectorELNS0_4arch9wavefront6targetE1EEEvT1_: ; @_ZN7rocprim17ROCPRIM_400000_NS6detail17trampoline_kernelINS0_14default_configENS1_25partition_config_selectorILNS1_17partition_subalgoE8EsNS0_10empty_typeEbEEZZNS1_14partition_implILS5_8ELb0ES3_jPKsPS6_PKS6_NS0_5tupleIJPsS6_EEENSE_IJSB_SB_EEENS0_18inequality_wrapperIN6hipcub16HIPCUB_304000_NS8EqualityEEEPlJS6_EEE10hipError_tPvRmT3_T4_T5_T6_T7_T9_mT8_P12ihipStream_tbDpT10_ENKUlT_T0_E_clISt17integral_constantIbLb0EES17_EEDaS12_S13_EUlS12_E_NS1_11comp_targetILNS1_3genE9ELNS1_11target_archE1100ELNS1_3gpuE3ELNS1_3repE0EEENS1_30default_config_static_selectorELNS0_4arch9wavefront6targetE1EEEvT1_
; %bb.0:
	.section	.rodata,"a",@progbits
	.p2align	6, 0x0
	.amdhsa_kernel _ZN7rocprim17ROCPRIM_400000_NS6detail17trampoline_kernelINS0_14default_configENS1_25partition_config_selectorILNS1_17partition_subalgoE8EsNS0_10empty_typeEbEEZZNS1_14partition_implILS5_8ELb0ES3_jPKsPS6_PKS6_NS0_5tupleIJPsS6_EEENSE_IJSB_SB_EEENS0_18inequality_wrapperIN6hipcub16HIPCUB_304000_NS8EqualityEEEPlJS6_EEE10hipError_tPvRmT3_T4_T5_T6_T7_T9_mT8_P12ihipStream_tbDpT10_ENKUlT_T0_E_clISt17integral_constantIbLb0EES17_EEDaS12_S13_EUlS12_E_NS1_11comp_targetILNS1_3genE9ELNS1_11target_archE1100ELNS1_3gpuE3ELNS1_3repE0EEENS1_30default_config_static_selectorELNS0_4arch9wavefront6targetE1EEEvT1_
		.amdhsa_group_segment_fixed_size 0
		.amdhsa_private_segment_fixed_size 0
		.amdhsa_kernarg_size 112
		.amdhsa_user_sgpr_count 6
		.amdhsa_user_sgpr_private_segment_buffer 1
		.amdhsa_user_sgpr_dispatch_ptr 0
		.amdhsa_user_sgpr_queue_ptr 0
		.amdhsa_user_sgpr_kernarg_segment_ptr 1
		.amdhsa_user_sgpr_dispatch_id 0
		.amdhsa_user_sgpr_flat_scratch_init 0
		.amdhsa_user_sgpr_kernarg_preload_length 0
		.amdhsa_user_sgpr_kernarg_preload_offset 0
		.amdhsa_user_sgpr_private_segment_size 0
		.amdhsa_uses_dynamic_stack 0
		.amdhsa_system_sgpr_private_segment_wavefront_offset 0
		.amdhsa_system_sgpr_workgroup_id_x 1
		.amdhsa_system_sgpr_workgroup_id_y 0
		.amdhsa_system_sgpr_workgroup_id_z 0
		.amdhsa_system_sgpr_workgroup_info 0
		.amdhsa_system_vgpr_workitem_id 0
		.amdhsa_next_free_vgpr 1
		.amdhsa_next_free_sgpr 0
		.amdhsa_accum_offset 4
		.amdhsa_reserve_vcc 0
		.amdhsa_reserve_flat_scratch 0
		.amdhsa_float_round_mode_32 0
		.amdhsa_float_round_mode_16_64 0
		.amdhsa_float_denorm_mode_32 3
		.amdhsa_float_denorm_mode_16_64 3
		.amdhsa_dx10_clamp 1
		.amdhsa_ieee_mode 1
		.amdhsa_fp16_overflow 0
		.amdhsa_tg_split 0
		.amdhsa_exception_fp_ieee_invalid_op 0
		.amdhsa_exception_fp_denorm_src 0
		.amdhsa_exception_fp_ieee_div_zero 0
		.amdhsa_exception_fp_ieee_overflow 0
		.amdhsa_exception_fp_ieee_underflow 0
		.amdhsa_exception_fp_ieee_inexact 0
		.amdhsa_exception_int_div_zero 0
	.end_amdhsa_kernel
	.section	.text._ZN7rocprim17ROCPRIM_400000_NS6detail17trampoline_kernelINS0_14default_configENS1_25partition_config_selectorILNS1_17partition_subalgoE8EsNS0_10empty_typeEbEEZZNS1_14partition_implILS5_8ELb0ES3_jPKsPS6_PKS6_NS0_5tupleIJPsS6_EEENSE_IJSB_SB_EEENS0_18inequality_wrapperIN6hipcub16HIPCUB_304000_NS8EqualityEEEPlJS6_EEE10hipError_tPvRmT3_T4_T5_T6_T7_T9_mT8_P12ihipStream_tbDpT10_ENKUlT_T0_E_clISt17integral_constantIbLb0EES17_EEDaS12_S13_EUlS12_E_NS1_11comp_targetILNS1_3genE9ELNS1_11target_archE1100ELNS1_3gpuE3ELNS1_3repE0EEENS1_30default_config_static_selectorELNS0_4arch9wavefront6targetE1EEEvT1_,"axG",@progbits,_ZN7rocprim17ROCPRIM_400000_NS6detail17trampoline_kernelINS0_14default_configENS1_25partition_config_selectorILNS1_17partition_subalgoE8EsNS0_10empty_typeEbEEZZNS1_14partition_implILS5_8ELb0ES3_jPKsPS6_PKS6_NS0_5tupleIJPsS6_EEENSE_IJSB_SB_EEENS0_18inequality_wrapperIN6hipcub16HIPCUB_304000_NS8EqualityEEEPlJS6_EEE10hipError_tPvRmT3_T4_T5_T6_T7_T9_mT8_P12ihipStream_tbDpT10_ENKUlT_T0_E_clISt17integral_constantIbLb0EES17_EEDaS12_S13_EUlS12_E_NS1_11comp_targetILNS1_3genE9ELNS1_11target_archE1100ELNS1_3gpuE3ELNS1_3repE0EEENS1_30default_config_static_selectorELNS0_4arch9wavefront6targetE1EEEvT1_,comdat
.Lfunc_end554:
	.size	_ZN7rocprim17ROCPRIM_400000_NS6detail17trampoline_kernelINS0_14default_configENS1_25partition_config_selectorILNS1_17partition_subalgoE8EsNS0_10empty_typeEbEEZZNS1_14partition_implILS5_8ELb0ES3_jPKsPS6_PKS6_NS0_5tupleIJPsS6_EEENSE_IJSB_SB_EEENS0_18inequality_wrapperIN6hipcub16HIPCUB_304000_NS8EqualityEEEPlJS6_EEE10hipError_tPvRmT3_T4_T5_T6_T7_T9_mT8_P12ihipStream_tbDpT10_ENKUlT_T0_E_clISt17integral_constantIbLb0EES17_EEDaS12_S13_EUlS12_E_NS1_11comp_targetILNS1_3genE9ELNS1_11target_archE1100ELNS1_3gpuE3ELNS1_3repE0EEENS1_30default_config_static_selectorELNS0_4arch9wavefront6targetE1EEEvT1_, .Lfunc_end554-_ZN7rocprim17ROCPRIM_400000_NS6detail17trampoline_kernelINS0_14default_configENS1_25partition_config_selectorILNS1_17partition_subalgoE8EsNS0_10empty_typeEbEEZZNS1_14partition_implILS5_8ELb0ES3_jPKsPS6_PKS6_NS0_5tupleIJPsS6_EEENSE_IJSB_SB_EEENS0_18inequality_wrapperIN6hipcub16HIPCUB_304000_NS8EqualityEEEPlJS6_EEE10hipError_tPvRmT3_T4_T5_T6_T7_T9_mT8_P12ihipStream_tbDpT10_ENKUlT_T0_E_clISt17integral_constantIbLb0EES17_EEDaS12_S13_EUlS12_E_NS1_11comp_targetILNS1_3genE9ELNS1_11target_archE1100ELNS1_3gpuE3ELNS1_3repE0EEENS1_30default_config_static_selectorELNS0_4arch9wavefront6targetE1EEEvT1_
                                        ; -- End function
	.section	.AMDGPU.csdata,"",@progbits
; Kernel info:
; codeLenInByte = 0
; NumSgprs: 4
; NumVgprs: 0
; NumAgprs: 0
; TotalNumVgprs: 0
; ScratchSize: 0
; MemoryBound: 0
; FloatMode: 240
; IeeeMode: 1
; LDSByteSize: 0 bytes/workgroup (compile time only)
; SGPRBlocks: 0
; VGPRBlocks: 0
; NumSGPRsForWavesPerEU: 4
; NumVGPRsForWavesPerEU: 1
; AccumOffset: 4
; Occupancy: 8
; WaveLimiterHint : 0
; COMPUTE_PGM_RSRC2:SCRATCH_EN: 0
; COMPUTE_PGM_RSRC2:USER_SGPR: 6
; COMPUTE_PGM_RSRC2:TRAP_HANDLER: 0
; COMPUTE_PGM_RSRC2:TGID_X_EN: 1
; COMPUTE_PGM_RSRC2:TGID_Y_EN: 0
; COMPUTE_PGM_RSRC2:TGID_Z_EN: 0
; COMPUTE_PGM_RSRC2:TIDIG_COMP_CNT: 0
; COMPUTE_PGM_RSRC3_GFX90A:ACCUM_OFFSET: 0
; COMPUTE_PGM_RSRC3_GFX90A:TG_SPLIT: 0
	.section	.text._ZN7rocprim17ROCPRIM_400000_NS6detail17trampoline_kernelINS0_14default_configENS1_25partition_config_selectorILNS1_17partition_subalgoE8EsNS0_10empty_typeEbEEZZNS1_14partition_implILS5_8ELb0ES3_jPKsPS6_PKS6_NS0_5tupleIJPsS6_EEENSE_IJSB_SB_EEENS0_18inequality_wrapperIN6hipcub16HIPCUB_304000_NS8EqualityEEEPlJS6_EEE10hipError_tPvRmT3_T4_T5_T6_T7_T9_mT8_P12ihipStream_tbDpT10_ENKUlT_T0_E_clISt17integral_constantIbLb0EES17_EEDaS12_S13_EUlS12_E_NS1_11comp_targetILNS1_3genE8ELNS1_11target_archE1030ELNS1_3gpuE2ELNS1_3repE0EEENS1_30default_config_static_selectorELNS0_4arch9wavefront6targetE1EEEvT1_,"axG",@progbits,_ZN7rocprim17ROCPRIM_400000_NS6detail17trampoline_kernelINS0_14default_configENS1_25partition_config_selectorILNS1_17partition_subalgoE8EsNS0_10empty_typeEbEEZZNS1_14partition_implILS5_8ELb0ES3_jPKsPS6_PKS6_NS0_5tupleIJPsS6_EEENSE_IJSB_SB_EEENS0_18inequality_wrapperIN6hipcub16HIPCUB_304000_NS8EqualityEEEPlJS6_EEE10hipError_tPvRmT3_T4_T5_T6_T7_T9_mT8_P12ihipStream_tbDpT10_ENKUlT_T0_E_clISt17integral_constantIbLb0EES17_EEDaS12_S13_EUlS12_E_NS1_11comp_targetILNS1_3genE8ELNS1_11target_archE1030ELNS1_3gpuE2ELNS1_3repE0EEENS1_30default_config_static_selectorELNS0_4arch9wavefront6targetE1EEEvT1_,comdat
	.protected	_ZN7rocprim17ROCPRIM_400000_NS6detail17trampoline_kernelINS0_14default_configENS1_25partition_config_selectorILNS1_17partition_subalgoE8EsNS0_10empty_typeEbEEZZNS1_14partition_implILS5_8ELb0ES3_jPKsPS6_PKS6_NS0_5tupleIJPsS6_EEENSE_IJSB_SB_EEENS0_18inequality_wrapperIN6hipcub16HIPCUB_304000_NS8EqualityEEEPlJS6_EEE10hipError_tPvRmT3_T4_T5_T6_T7_T9_mT8_P12ihipStream_tbDpT10_ENKUlT_T0_E_clISt17integral_constantIbLb0EES17_EEDaS12_S13_EUlS12_E_NS1_11comp_targetILNS1_3genE8ELNS1_11target_archE1030ELNS1_3gpuE2ELNS1_3repE0EEENS1_30default_config_static_selectorELNS0_4arch9wavefront6targetE1EEEvT1_ ; -- Begin function _ZN7rocprim17ROCPRIM_400000_NS6detail17trampoline_kernelINS0_14default_configENS1_25partition_config_selectorILNS1_17partition_subalgoE8EsNS0_10empty_typeEbEEZZNS1_14partition_implILS5_8ELb0ES3_jPKsPS6_PKS6_NS0_5tupleIJPsS6_EEENSE_IJSB_SB_EEENS0_18inequality_wrapperIN6hipcub16HIPCUB_304000_NS8EqualityEEEPlJS6_EEE10hipError_tPvRmT3_T4_T5_T6_T7_T9_mT8_P12ihipStream_tbDpT10_ENKUlT_T0_E_clISt17integral_constantIbLb0EES17_EEDaS12_S13_EUlS12_E_NS1_11comp_targetILNS1_3genE8ELNS1_11target_archE1030ELNS1_3gpuE2ELNS1_3repE0EEENS1_30default_config_static_selectorELNS0_4arch9wavefront6targetE1EEEvT1_
	.globl	_ZN7rocprim17ROCPRIM_400000_NS6detail17trampoline_kernelINS0_14default_configENS1_25partition_config_selectorILNS1_17partition_subalgoE8EsNS0_10empty_typeEbEEZZNS1_14partition_implILS5_8ELb0ES3_jPKsPS6_PKS6_NS0_5tupleIJPsS6_EEENSE_IJSB_SB_EEENS0_18inequality_wrapperIN6hipcub16HIPCUB_304000_NS8EqualityEEEPlJS6_EEE10hipError_tPvRmT3_T4_T5_T6_T7_T9_mT8_P12ihipStream_tbDpT10_ENKUlT_T0_E_clISt17integral_constantIbLb0EES17_EEDaS12_S13_EUlS12_E_NS1_11comp_targetILNS1_3genE8ELNS1_11target_archE1030ELNS1_3gpuE2ELNS1_3repE0EEENS1_30default_config_static_selectorELNS0_4arch9wavefront6targetE1EEEvT1_
	.p2align	8
	.type	_ZN7rocprim17ROCPRIM_400000_NS6detail17trampoline_kernelINS0_14default_configENS1_25partition_config_selectorILNS1_17partition_subalgoE8EsNS0_10empty_typeEbEEZZNS1_14partition_implILS5_8ELb0ES3_jPKsPS6_PKS6_NS0_5tupleIJPsS6_EEENSE_IJSB_SB_EEENS0_18inequality_wrapperIN6hipcub16HIPCUB_304000_NS8EqualityEEEPlJS6_EEE10hipError_tPvRmT3_T4_T5_T6_T7_T9_mT8_P12ihipStream_tbDpT10_ENKUlT_T0_E_clISt17integral_constantIbLb0EES17_EEDaS12_S13_EUlS12_E_NS1_11comp_targetILNS1_3genE8ELNS1_11target_archE1030ELNS1_3gpuE2ELNS1_3repE0EEENS1_30default_config_static_selectorELNS0_4arch9wavefront6targetE1EEEvT1_,@function
_ZN7rocprim17ROCPRIM_400000_NS6detail17trampoline_kernelINS0_14default_configENS1_25partition_config_selectorILNS1_17partition_subalgoE8EsNS0_10empty_typeEbEEZZNS1_14partition_implILS5_8ELb0ES3_jPKsPS6_PKS6_NS0_5tupleIJPsS6_EEENSE_IJSB_SB_EEENS0_18inequality_wrapperIN6hipcub16HIPCUB_304000_NS8EqualityEEEPlJS6_EEE10hipError_tPvRmT3_T4_T5_T6_T7_T9_mT8_P12ihipStream_tbDpT10_ENKUlT_T0_E_clISt17integral_constantIbLb0EES17_EEDaS12_S13_EUlS12_E_NS1_11comp_targetILNS1_3genE8ELNS1_11target_archE1030ELNS1_3gpuE2ELNS1_3repE0EEENS1_30default_config_static_selectorELNS0_4arch9wavefront6targetE1EEEvT1_: ; @_ZN7rocprim17ROCPRIM_400000_NS6detail17trampoline_kernelINS0_14default_configENS1_25partition_config_selectorILNS1_17partition_subalgoE8EsNS0_10empty_typeEbEEZZNS1_14partition_implILS5_8ELb0ES3_jPKsPS6_PKS6_NS0_5tupleIJPsS6_EEENSE_IJSB_SB_EEENS0_18inequality_wrapperIN6hipcub16HIPCUB_304000_NS8EqualityEEEPlJS6_EEE10hipError_tPvRmT3_T4_T5_T6_T7_T9_mT8_P12ihipStream_tbDpT10_ENKUlT_T0_E_clISt17integral_constantIbLb0EES17_EEDaS12_S13_EUlS12_E_NS1_11comp_targetILNS1_3genE8ELNS1_11target_archE1030ELNS1_3gpuE2ELNS1_3repE0EEENS1_30default_config_static_selectorELNS0_4arch9wavefront6targetE1EEEvT1_
; %bb.0:
	.section	.rodata,"a",@progbits
	.p2align	6, 0x0
	.amdhsa_kernel _ZN7rocprim17ROCPRIM_400000_NS6detail17trampoline_kernelINS0_14default_configENS1_25partition_config_selectorILNS1_17partition_subalgoE8EsNS0_10empty_typeEbEEZZNS1_14partition_implILS5_8ELb0ES3_jPKsPS6_PKS6_NS0_5tupleIJPsS6_EEENSE_IJSB_SB_EEENS0_18inequality_wrapperIN6hipcub16HIPCUB_304000_NS8EqualityEEEPlJS6_EEE10hipError_tPvRmT3_T4_T5_T6_T7_T9_mT8_P12ihipStream_tbDpT10_ENKUlT_T0_E_clISt17integral_constantIbLb0EES17_EEDaS12_S13_EUlS12_E_NS1_11comp_targetILNS1_3genE8ELNS1_11target_archE1030ELNS1_3gpuE2ELNS1_3repE0EEENS1_30default_config_static_selectorELNS0_4arch9wavefront6targetE1EEEvT1_
		.amdhsa_group_segment_fixed_size 0
		.amdhsa_private_segment_fixed_size 0
		.amdhsa_kernarg_size 112
		.amdhsa_user_sgpr_count 6
		.amdhsa_user_sgpr_private_segment_buffer 1
		.amdhsa_user_sgpr_dispatch_ptr 0
		.amdhsa_user_sgpr_queue_ptr 0
		.amdhsa_user_sgpr_kernarg_segment_ptr 1
		.amdhsa_user_sgpr_dispatch_id 0
		.amdhsa_user_sgpr_flat_scratch_init 0
		.amdhsa_user_sgpr_kernarg_preload_length 0
		.amdhsa_user_sgpr_kernarg_preload_offset 0
		.amdhsa_user_sgpr_private_segment_size 0
		.amdhsa_uses_dynamic_stack 0
		.amdhsa_system_sgpr_private_segment_wavefront_offset 0
		.amdhsa_system_sgpr_workgroup_id_x 1
		.amdhsa_system_sgpr_workgroup_id_y 0
		.amdhsa_system_sgpr_workgroup_id_z 0
		.amdhsa_system_sgpr_workgroup_info 0
		.amdhsa_system_vgpr_workitem_id 0
		.amdhsa_next_free_vgpr 1
		.amdhsa_next_free_sgpr 0
		.amdhsa_accum_offset 4
		.amdhsa_reserve_vcc 0
		.amdhsa_reserve_flat_scratch 0
		.amdhsa_float_round_mode_32 0
		.amdhsa_float_round_mode_16_64 0
		.amdhsa_float_denorm_mode_32 3
		.amdhsa_float_denorm_mode_16_64 3
		.amdhsa_dx10_clamp 1
		.amdhsa_ieee_mode 1
		.amdhsa_fp16_overflow 0
		.amdhsa_tg_split 0
		.amdhsa_exception_fp_ieee_invalid_op 0
		.amdhsa_exception_fp_denorm_src 0
		.amdhsa_exception_fp_ieee_div_zero 0
		.amdhsa_exception_fp_ieee_overflow 0
		.amdhsa_exception_fp_ieee_underflow 0
		.amdhsa_exception_fp_ieee_inexact 0
		.amdhsa_exception_int_div_zero 0
	.end_amdhsa_kernel
	.section	.text._ZN7rocprim17ROCPRIM_400000_NS6detail17trampoline_kernelINS0_14default_configENS1_25partition_config_selectorILNS1_17partition_subalgoE8EsNS0_10empty_typeEbEEZZNS1_14partition_implILS5_8ELb0ES3_jPKsPS6_PKS6_NS0_5tupleIJPsS6_EEENSE_IJSB_SB_EEENS0_18inequality_wrapperIN6hipcub16HIPCUB_304000_NS8EqualityEEEPlJS6_EEE10hipError_tPvRmT3_T4_T5_T6_T7_T9_mT8_P12ihipStream_tbDpT10_ENKUlT_T0_E_clISt17integral_constantIbLb0EES17_EEDaS12_S13_EUlS12_E_NS1_11comp_targetILNS1_3genE8ELNS1_11target_archE1030ELNS1_3gpuE2ELNS1_3repE0EEENS1_30default_config_static_selectorELNS0_4arch9wavefront6targetE1EEEvT1_,"axG",@progbits,_ZN7rocprim17ROCPRIM_400000_NS6detail17trampoline_kernelINS0_14default_configENS1_25partition_config_selectorILNS1_17partition_subalgoE8EsNS0_10empty_typeEbEEZZNS1_14partition_implILS5_8ELb0ES3_jPKsPS6_PKS6_NS0_5tupleIJPsS6_EEENSE_IJSB_SB_EEENS0_18inequality_wrapperIN6hipcub16HIPCUB_304000_NS8EqualityEEEPlJS6_EEE10hipError_tPvRmT3_T4_T5_T6_T7_T9_mT8_P12ihipStream_tbDpT10_ENKUlT_T0_E_clISt17integral_constantIbLb0EES17_EEDaS12_S13_EUlS12_E_NS1_11comp_targetILNS1_3genE8ELNS1_11target_archE1030ELNS1_3gpuE2ELNS1_3repE0EEENS1_30default_config_static_selectorELNS0_4arch9wavefront6targetE1EEEvT1_,comdat
.Lfunc_end555:
	.size	_ZN7rocprim17ROCPRIM_400000_NS6detail17trampoline_kernelINS0_14default_configENS1_25partition_config_selectorILNS1_17partition_subalgoE8EsNS0_10empty_typeEbEEZZNS1_14partition_implILS5_8ELb0ES3_jPKsPS6_PKS6_NS0_5tupleIJPsS6_EEENSE_IJSB_SB_EEENS0_18inequality_wrapperIN6hipcub16HIPCUB_304000_NS8EqualityEEEPlJS6_EEE10hipError_tPvRmT3_T4_T5_T6_T7_T9_mT8_P12ihipStream_tbDpT10_ENKUlT_T0_E_clISt17integral_constantIbLb0EES17_EEDaS12_S13_EUlS12_E_NS1_11comp_targetILNS1_3genE8ELNS1_11target_archE1030ELNS1_3gpuE2ELNS1_3repE0EEENS1_30default_config_static_selectorELNS0_4arch9wavefront6targetE1EEEvT1_, .Lfunc_end555-_ZN7rocprim17ROCPRIM_400000_NS6detail17trampoline_kernelINS0_14default_configENS1_25partition_config_selectorILNS1_17partition_subalgoE8EsNS0_10empty_typeEbEEZZNS1_14partition_implILS5_8ELb0ES3_jPKsPS6_PKS6_NS0_5tupleIJPsS6_EEENSE_IJSB_SB_EEENS0_18inequality_wrapperIN6hipcub16HIPCUB_304000_NS8EqualityEEEPlJS6_EEE10hipError_tPvRmT3_T4_T5_T6_T7_T9_mT8_P12ihipStream_tbDpT10_ENKUlT_T0_E_clISt17integral_constantIbLb0EES17_EEDaS12_S13_EUlS12_E_NS1_11comp_targetILNS1_3genE8ELNS1_11target_archE1030ELNS1_3gpuE2ELNS1_3repE0EEENS1_30default_config_static_selectorELNS0_4arch9wavefront6targetE1EEEvT1_
                                        ; -- End function
	.section	.AMDGPU.csdata,"",@progbits
; Kernel info:
; codeLenInByte = 0
; NumSgprs: 4
; NumVgprs: 0
; NumAgprs: 0
; TotalNumVgprs: 0
; ScratchSize: 0
; MemoryBound: 0
; FloatMode: 240
; IeeeMode: 1
; LDSByteSize: 0 bytes/workgroup (compile time only)
; SGPRBlocks: 0
; VGPRBlocks: 0
; NumSGPRsForWavesPerEU: 4
; NumVGPRsForWavesPerEU: 1
; AccumOffset: 4
; Occupancy: 8
; WaveLimiterHint : 0
; COMPUTE_PGM_RSRC2:SCRATCH_EN: 0
; COMPUTE_PGM_RSRC2:USER_SGPR: 6
; COMPUTE_PGM_RSRC2:TRAP_HANDLER: 0
; COMPUTE_PGM_RSRC2:TGID_X_EN: 1
; COMPUTE_PGM_RSRC2:TGID_Y_EN: 0
; COMPUTE_PGM_RSRC2:TGID_Z_EN: 0
; COMPUTE_PGM_RSRC2:TIDIG_COMP_CNT: 0
; COMPUTE_PGM_RSRC3_GFX90A:ACCUM_OFFSET: 0
; COMPUTE_PGM_RSRC3_GFX90A:TG_SPLIT: 0
	.section	.text._ZN7rocprim17ROCPRIM_400000_NS6detail17trampoline_kernelINS0_14default_configENS1_25partition_config_selectorILNS1_17partition_subalgoE8EsNS0_10empty_typeEbEEZZNS1_14partition_implILS5_8ELb0ES3_jPKsPS6_PKS6_NS0_5tupleIJPsS6_EEENSE_IJSB_SB_EEENS0_18inequality_wrapperIN6hipcub16HIPCUB_304000_NS8EqualityEEEPlJS6_EEE10hipError_tPvRmT3_T4_T5_T6_T7_T9_mT8_P12ihipStream_tbDpT10_ENKUlT_T0_E_clISt17integral_constantIbLb1EES17_EEDaS12_S13_EUlS12_E_NS1_11comp_targetILNS1_3genE0ELNS1_11target_archE4294967295ELNS1_3gpuE0ELNS1_3repE0EEENS1_30default_config_static_selectorELNS0_4arch9wavefront6targetE1EEEvT1_,"axG",@progbits,_ZN7rocprim17ROCPRIM_400000_NS6detail17trampoline_kernelINS0_14default_configENS1_25partition_config_selectorILNS1_17partition_subalgoE8EsNS0_10empty_typeEbEEZZNS1_14partition_implILS5_8ELb0ES3_jPKsPS6_PKS6_NS0_5tupleIJPsS6_EEENSE_IJSB_SB_EEENS0_18inequality_wrapperIN6hipcub16HIPCUB_304000_NS8EqualityEEEPlJS6_EEE10hipError_tPvRmT3_T4_T5_T6_T7_T9_mT8_P12ihipStream_tbDpT10_ENKUlT_T0_E_clISt17integral_constantIbLb1EES17_EEDaS12_S13_EUlS12_E_NS1_11comp_targetILNS1_3genE0ELNS1_11target_archE4294967295ELNS1_3gpuE0ELNS1_3repE0EEENS1_30default_config_static_selectorELNS0_4arch9wavefront6targetE1EEEvT1_,comdat
	.protected	_ZN7rocprim17ROCPRIM_400000_NS6detail17trampoline_kernelINS0_14default_configENS1_25partition_config_selectorILNS1_17partition_subalgoE8EsNS0_10empty_typeEbEEZZNS1_14partition_implILS5_8ELb0ES3_jPKsPS6_PKS6_NS0_5tupleIJPsS6_EEENSE_IJSB_SB_EEENS0_18inequality_wrapperIN6hipcub16HIPCUB_304000_NS8EqualityEEEPlJS6_EEE10hipError_tPvRmT3_T4_T5_T6_T7_T9_mT8_P12ihipStream_tbDpT10_ENKUlT_T0_E_clISt17integral_constantIbLb1EES17_EEDaS12_S13_EUlS12_E_NS1_11comp_targetILNS1_3genE0ELNS1_11target_archE4294967295ELNS1_3gpuE0ELNS1_3repE0EEENS1_30default_config_static_selectorELNS0_4arch9wavefront6targetE1EEEvT1_ ; -- Begin function _ZN7rocprim17ROCPRIM_400000_NS6detail17trampoline_kernelINS0_14default_configENS1_25partition_config_selectorILNS1_17partition_subalgoE8EsNS0_10empty_typeEbEEZZNS1_14partition_implILS5_8ELb0ES3_jPKsPS6_PKS6_NS0_5tupleIJPsS6_EEENSE_IJSB_SB_EEENS0_18inequality_wrapperIN6hipcub16HIPCUB_304000_NS8EqualityEEEPlJS6_EEE10hipError_tPvRmT3_T4_T5_T6_T7_T9_mT8_P12ihipStream_tbDpT10_ENKUlT_T0_E_clISt17integral_constantIbLb1EES17_EEDaS12_S13_EUlS12_E_NS1_11comp_targetILNS1_3genE0ELNS1_11target_archE4294967295ELNS1_3gpuE0ELNS1_3repE0EEENS1_30default_config_static_selectorELNS0_4arch9wavefront6targetE1EEEvT1_
	.globl	_ZN7rocprim17ROCPRIM_400000_NS6detail17trampoline_kernelINS0_14default_configENS1_25partition_config_selectorILNS1_17partition_subalgoE8EsNS0_10empty_typeEbEEZZNS1_14partition_implILS5_8ELb0ES3_jPKsPS6_PKS6_NS0_5tupleIJPsS6_EEENSE_IJSB_SB_EEENS0_18inequality_wrapperIN6hipcub16HIPCUB_304000_NS8EqualityEEEPlJS6_EEE10hipError_tPvRmT3_T4_T5_T6_T7_T9_mT8_P12ihipStream_tbDpT10_ENKUlT_T0_E_clISt17integral_constantIbLb1EES17_EEDaS12_S13_EUlS12_E_NS1_11comp_targetILNS1_3genE0ELNS1_11target_archE4294967295ELNS1_3gpuE0ELNS1_3repE0EEENS1_30default_config_static_selectorELNS0_4arch9wavefront6targetE1EEEvT1_
	.p2align	8
	.type	_ZN7rocprim17ROCPRIM_400000_NS6detail17trampoline_kernelINS0_14default_configENS1_25partition_config_selectorILNS1_17partition_subalgoE8EsNS0_10empty_typeEbEEZZNS1_14partition_implILS5_8ELb0ES3_jPKsPS6_PKS6_NS0_5tupleIJPsS6_EEENSE_IJSB_SB_EEENS0_18inequality_wrapperIN6hipcub16HIPCUB_304000_NS8EqualityEEEPlJS6_EEE10hipError_tPvRmT3_T4_T5_T6_T7_T9_mT8_P12ihipStream_tbDpT10_ENKUlT_T0_E_clISt17integral_constantIbLb1EES17_EEDaS12_S13_EUlS12_E_NS1_11comp_targetILNS1_3genE0ELNS1_11target_archE4294967295ELNS1_3gpuE0ELNS1_3repE0EEENS1_30default_config_static_selectorELNS0_4arch9wavefront6targetE1EEEvT1_,@function
_ZN7rocprim17ROCPRIM_400000_NS6detail17trampoline_kernelINS0_14default_configENS1_25partition_config_selectorILNS1_17partition_subalgoE8EsNS0_10empty_typeEbEEZZNS1_14partition_implILS5_8ELb0ES3_jPKsPS6_PKS6_NS0_5tupleIJPsS6_EEENSE_IJSB_SB_EEENS0_18inequality_wrapperIN6hipcub16HIPCUB_304000_NS8EqualityEEEPlJS6_EEE10hipError_tPvRmT3_T4_T5_T6_T7_T9_mT8_P12ihipStream_tbDpT10_ENKUlT_T0_E_clISt17integral_constantIbLb1EES17_EEDaS12_S13_EUlS12_E_NS1_11comp_targetILNS1_3genE0ELNS1_11target_archE4294967295ELNS1_3gpuE0ELNS1_3repE0EEENS1_30default_config_static_selectorELNS0_4arch9wavefront6targetE1EEEvT1_: ; @_ZN7rocprim17ROCPRIM_400000_NS6detail17trampoline_kernelINS0_14default_configENS1_25partition_config_selectorILNS1_17partition_subalgoE8EsNS0_10empty_typeEbEEZZNS1_14partition_implILS5_8ELb0ES3_jPKsPS6_PKS6_NS0_5tupleIJPsS6_EEENSE_IJSB_SB_EEENS0_18inequality_wrapperIN6hipcub16HIPCUB_304000_NS8EqualityEEEPlJS6_EEE10hipError_tPvRmT3_T4_T5_T6_T7_T9_mT8_P12ihipStream_tbDpT10_ENKUlT_T0_E_clISt17integral_constantIbLb1EES17_EEDaS12_S13_EUlS12_E_NS1_11comp_targetILNS1_3genE0ELNS1_11target_archE4294967295ELNS1_3gpuE0ELNS1_3repE0EEENS1_30default_config_static_selectorELNS0_4arch9wavefront6targetE1EEEvT1_
; %bb.0:
	.section	.rodata,"a",@progbits
	.p2align	6, 0x0
	.amdhsa_kernel _ZN7rocprim17ROCPRIM_400000_NS6detail17trampoline_kernelINS0_14default_configENS1_25partition_config_selectorILNS1_17partition_subalgoE8EsNS0_10empty_typeEbEEZZNS1_14partition_implILS5_8ELb0ES3_jPKsPS6_PKS6_NS0_5tupleIJPsS6_EEENSE_IJSB_SB_EEENS0_18inequality_wrapperIN6hipcub16HIPCUB_304000_NS8EqualityEEEPlJS6_EEE10hipError_tPvRmT3_T4_T5_T6_T7_T9_mT8_P12ihipStream_tbDpT10_ENKUlT_T0_E_clISt17integral_constantIbLb1EES17_EEDaS12_S13_EUlS12_E_NS1_11comp_targetILNS1_3genE0ELNS1_11target_archE4294967295ELNS1_3gpuE0ELNS1_3repE0EEENS1_30default_config_static_selectorELNS0_4arch9wavefront6targetE1EEEvT1_
		.amdhsa_group_segment_fixed_size 0
		.amdhsa_private_segment_fixed_size 0
		.amdhsa_kernarg_size 128
		.amdhsa_user_sgpr_count 6
		.amdhsa_user_sgpr_private_segment_buffer 1
		.amdhsa_user_sgpr_dispatch_ptr 0
		.amdhsa_user_sgpr_queue_ptr 0
		.amdhsa_user_sgpr_kernarg_segment_ptr 1
		.amdhsa_user_sgpr_dispatch_id 0
		.amdhsa_user_sgpr_flat_scratch_init 0
		.amdhsa_user_sgpr_kernarg_preload_length 0
		.amdhsa_user_sgpr_kernarg_preload_offset 0
		.amdhsa_user_sgpr_private_segment_size 0
		.amdhsa_uses_dynamic_stack 0
		.amdhsa_system_sgpr_private_segment_wavefront_offset 0
		.amdhsa_system_sgpr_workgroup_id_x 1
		.amdhsa_system_sgpr_workgroup_id_y 0
		.amdhsa_system_sgpr_workgroup_id_z 0
		.amdhsa_system_sgpr_workgroup_info 0
		.amdhsa_system_vgpr_workitem_id 0
		.amdhsa_next_free_vgpr 1
		.amdhsa_next_free_sgpr 0
		.amdhsa_accum_offset 4
		.amdhsa_reserve_vcc 0
		.amdhsa_reserve_flat_scratch 0
		.amdhsa_float_round_mode_32 0
		.amdhsa_float_round_mode_16_64 0
		.amdhsa_float_denorm_mode_32 3
		.amdhsa_float_denorm_mode_16_64 3
		.amdhsa_dx10_clamp 1
		.amdhsa_ieee_mode 1
		.amdhsa_fp16_overflow 0
		.amdhsa_tg_split 0
		.amdhsa_exception_fp_ieee_invalid_op 0
		.amdhsa_exception_fp_denorm_src 0
		.amdhsa_exception_fp_ieee_div_zero 0
		.amdhsa_exception_fp_ieee_overflow 0
		.amdhsa_exception_fp_ieee_underflow 0
		.amdhsa_exception_fp_ieee_inexact 0
		.amdhsa_exception_int_div_zero 0
	.end_amdhsa_kernel
	.section	.text._ZN7rocprim17ROCPRIM_400000_NS6detail17trampoline_kernelINS0_14default_configENS1_25partition_config_selectorILNS1_17partition_subalgoE8EsNS0_10empty_typeEbEEZZNS1_14partition_implILS5_8ELb0ES3_jPKsPS6_PKS6_NS0_5tupleIJPsS6_EEENSE_IJSB_SB_EEENS0_18inequality_wrapperIN6hipcub16HIPCUB_304000_NS8EqualityEEEPlJS6_EEE10hipError_tPvRmT3_T4_T5_T6_T7_T9_mT8_P12ihipStream_tbDpT10_ENKUlT_T0_E_clISt17integral_constantIbLb1EES17_EEDaS12_S13_EUlS12_E_NS1_11comp_targetILNS1_3genE0ELNS1_11target_archE4294967295ELNS1_3gpuE0ELNS1_3repE0EEENS1_30default_config_static_selectorELNS0_4arch9wavefront6targetE1EEEvT1_,"axG",@progbits,_ZN7rocprim17ROCPRIM_400000_NS6detail17trampoline_kernelINS0_14default_configENS1_25partition_config_selectorILNS1_17partition_subalgoE8EsNS0_10empty_typeEbEEZZNS1_14partition_implILS5_8ELb0ES3_jPKsPS6_PKS6_NS0_5tupleIJPsS6_EEENSE_IJSB_SB_EEENS0_18inequality_wrapperIN6hipcub16HIPCUB_304000_NS8EqualityEEEPlJS6_EEE10hipError_tPvRmT3_T4_T5_T6_T7_T9_mT8_P12ihipStream_tbDpT10_ENKUlT_T0_E_clISt17integral_constantIbLb1EES17_EEDaS12_S13_EUlS12_E_NS1_11comp_targetILNS1_3genE0ELNS1_11target_archE4294967295ELNS1_3gpuE0ELNS1_3repE0EEENS1_30default_config_static_selectorELNS0_4arch9wavefront6targetE1EEEvT1_,comdat
.Lfunc_end556:
	.size	_ZN7rocprim17ROCPRIM_400000_NS6detail17trampoline_kernelINS0_14default_configENS1_25partition_config_selectorILNS1_17partition_subalgoE8EsNS0_10empty_typeEbEEZZNS1_14partition_implILS5_8ELb0ES3_jPKsPS6_PKS6_NS0_5tupleIJPsS6_EEENSE_IJSB_SB_EEENS0_18inequality_wrapperIN6hipcub16HIPCUB_304000_NS8EqualityEEEPlJS6_EEE10hipError_tPvRmT3_T4_T5_T6_T7_T9_mT8_P12ihipStream_tbDpT10_ENKUlT_T0_E_clISt17integral_constantIbLb1EES17_EEDaS12_S13_EUlS12_E_NS1_11comp_targetILNS1_3genE0ELNS1_11target_archE4294967295ELNS1_3gpuE0ELNS1_3repE0EEENS1_30default_config_static_selectorELNS0_4arch9wavefront6targetE1EEEvT1_, .Lfunc_end556-_ZN7rocprim17ROCPRIM_400000_NS6detail17trampoline_kernelINS0_14default_configENS1_25partition_config_selectorILNS1_17partition_subalgoE8EsNS0_10empty_typeEbEEZZNS1_14partition_implILS5_8ELb0ES3_jPKsPS6_PKS6_NS0_5tupleIJPsS6_EEENSE_IJSB_SB_EEENS0_18inequality_wrapperIN6hipcub16HIPCUB_304000_NS8EqualityEEEPlJS6_EEE10hipError_tPvRmT3_T4_T5_T6_T7_T9_mT8_P12ihipStream_tbDpT10_ENKUlT_T0_E_clISt17integral_constantIbLb1EES17_EEDaS12_S13_EUlS12_E_NS1_11comp_targetILNS1_3genE0ELNS1_11target_archE4294967295ELNS1_3gpuE0ELNS1_3repE0EEENS1_30default_config_static_selectorELNS0_4arch9wavefront6targetE1EEEvT1_
                                        ; -- End function
	.section	.AMDGPU.csdata,"",@progbits
; Kernel info:
; codeLenInByte = 0
; NumSgprs: 4
; NumVgprs: 0
; NumAgprs: 0
; TotalNumVgprs: 0
; ScratchSize: 0
; MemoryBound: 0
; FloatMode: 240
; IeeeMode: 1
; LDSByteSize: 0 bytes/workgroup (compile time only)
; SGPRBlocks: 0
; VGPRBlocks: 0
; NumSGPRsForWavesPerEU: 4
; NumVGPRsForWavesPerEU: 1
; AccumOffset: 4
; Occupancy: 8
; WaveLimiterHint : 0
; COMPUTE_PGM_RSRC2:SCRATCH_EN: 0
; COMPUTE_PGM_RSRC2:USER_SGPR: 6
; COMPUTE_PGM_RSRC2:TRAP_HANDLER: 0
; COMPUTE_PGM_RSRC2:TGID_X_EN: 1
; COMPUTE_PGM_RSRC2:TGID_Y_EN: 0
; COMPUTE_PGM_RSRC2:TGID_Z_EN: 0
; COMPUTE_PGM_RSRC2:TIDIG_COMP_CNT: 0
; COMPUTE_PGM_RSRC3_GFX90A:ACCUM_OFFSET: 0
; COMPUTE_PGM_RSRC3_GFX90A:TG_SPLIT: 0
	.section	.text._ZN7rocprim17ROCPRIM_400000_NS6detail17trampoline_kernelINS0_14default_configENS1_25partition_config_selectorILNS1_17partition_subalgoE8EsNS0_10empty_typeEbEEZZNS1_14partition_implILS5_8ELb0ES3_jPKsPS6_PKS6_NS0_5tupleIJPsS6_EEENSE_IJSB_SB_EEENS0_18inequality_wrapperIN6hipcub16HIPCUB_304000_NS8EqualityEEEPlJS6_EEE10hipError_tPvRmT3_T4_T5_T6_T7_T9_mT8_P12ihipStream_tbDpT10_ENKUlT_T0_E_clISt17integral_constantIbLb1EES17_EEDaS12_S13_EUlS12_E_NS1_11comp_targetILNS1_3genE5ELNS1_11target_archE942ELNS1_3gpuE9ELNS1_3repE0EEENS1_30default_config_static_selectorELNS0_4arch9wavefront6targetE1EEEvT1_,"axG",@progbits,_ZN7rocprim17ROCPRIM_400000_NS6detail17trampoline_kernelINS0_14default_configENS1_25partition_config_selectorILNS1_17partition_subalgoE8EsNS0_10empty_typeEbEEZZNS1_14partition_implILS5_8ELb0ES3_jPKsPS6_PKS6_NS0_5tupleIJPsS6_EEENSE_IJSB_SB_EEENS0_18inequality_wrapperIN6hipcub16HIPCUB_304000_NS8EqualityEEEPlJS6_EEE10hipError_tPvRmT3_T4_T5_T6_T7_T9_mT8_P12ihipStream_tbDpT10_ENKUlT_T0_E_clISt17integral_constantIbLb1EES17_EEDaS12_S13_EUlS12_E_NS1_11comp_targetILNS1_3genE5ELNS1_11target_archE942ELNS1_3gpuE9ELNS1_3repE0EEENS1_30default_config_static_selectorELNS0_4arch9wavefront6targetE1EEEvT1_,comdat
	.protected	_ZN7rocprim17ROCPRIM_400000_NS6detail17trampoline_kernelINS0_14default_configENS1_25partition_config_selectorILNS1_17partition_subalgoE8EsNS0_10empty_typeEbEEZZNS1_14partition_implILS5_8ELb0ES3_jPKsPS6_PKS6_NS0_5tupleIJPsS6_EEENSE_IJSB_SB_EEENS0_18inequality_wrapperIN6hipcub16HIPCUB_304000_NS8EqualityEEEPlJS6_EEE10hipError_tPvRmT3_T4_T5_T6_T7_T9_mT8_P12ihipStream_tbDpT10_ENKUlT_T0_E_clISt17integral_constantIbLb1EES17_EEDaS12_S13_EUlS12_E_NS1_11comp_targetILNS1_3genE5ELNS1_11target_archE942ELNS1_3gpuE9ELNS1_3repE0EEENS1_30default_config_static_selectorELNS0_4arch9wavefront6targetE1EEEvT1_ ; -- Begin function _ZN7rocprim17ROCPRIM_400000_NS6detail17trampoline_kernelINS0_14default_configENS1_25partition_config_selectorILNS1_17partition_subalgoE8EsNS0_10empty_typeEbEEZZNS1_14partition_implILS5_8ELb0ES3_jPKsPS6_PKS6_NS0_5tupleIJPsS6_EEENSE_IJSB_SB_EEENS0_18inequality_wrapperIN6hipcub16HIPCUB_304000_NS8EqualityEEEPlJS6_EEE10hipError_tPvRmT3_T4_T5_T6_T7_T9_mT8_P12ihipStream_tbDpT10_ENKUlT_T0_E_clISt17integral_constantIbLb1EES17_EEDaS12_S13_EUlS12_E_NS1_11comp_targetILNS1_3genE5ELNS1_11target_archE942ELNS1_3gpuE9ELNS1_3repE0EEENS1_30default_config_static_selectorELNS0_4arch9wavefront6targetE1EEEvT1_
	.globl	_ZN7rocprim17ROCPRIM_400000_NS6detail17trampoline_kernelINS0_14default_configENS1_25partition_config_selectorILNS1_17partition_subalgoE8EsNS0_10empty_typeEbEEZZNS1_14partition_implILS5_8ELb0ES3_jPKsPS6_PKS6_NS0_5tupleIJPsS6_EEENSE_IJSB_SB_EEENS0_18inequality_wrapperIN6hipcub16HIPCUB_304000_NS8EqualityEEEPlJS6_EEE10hipError_tPvRmT3_T4_T5_T6_T7_T9_mT8_P12ihipStream_tbDpT10_ENKUlT_T0_E_clISt17integral_constantIbLb1EES17_EEDaS12_S13_EUlS12_E_NS1_11comp_targetILNS1_3genE5ELNS1_11target_archE942ELNS1_3gpuE9ELNS1_3repE0EEENS1_30default_config_static_selectorELNS0_4arch9wavefront6targetE1EEEvT1_
	.p2align	8
	.type	_ZN7rocprim17ROCPRIM_400000_NS6detail17trampoline_kernelINS0_14default_configENS1_25partition_config_selectorILNS1_17partition_subalgoE8EsNS0_10empty_typeEbEEZZNS1_14partition_implILS5_8ELb0ES3_jPKsPS6_PKS6_NS0_5tupleIJPsS6_EEENSE_IJSB_SB_EEENS0_18inequality_wrapperIN6hipcub16HIPCUB_304000_NS8EqualityEEEPlJS6_EEE10hipError_tPvRmT3_T4_T5_T6_T7_T9_mT8_P12ihipStream_tbDpT10_ENKUlT_T0_E_clISt17integral_constantIbLb1EES17_EEDaS12_S13_EUlS12_E_NS1_11comp_targetILNS1_3genE5ELNS1_11target_archE942ELNS1_3gpuE9ELNS1_3repE0EEENS1_30default_config_static_selectorELNS0_4arch9wavefront6targetE1EEEvT1_,@function
_ZN7rocprim17ROCPRIM_400000_NS6detail17trampoline_kernelINS0_14default_configENS1_25partition_config_selectorILNS1_17partition_subalgoE8EsNS0_10empty_typeEbEEZZNS1_14partition_implILS5_8ELb0ES3_jPKsPS6_PKS6_NS0_5tupleIJPsS6_EEENSE_IJSB_SB_EEENS0_18inequality_wrapperIN6hipcub16HIPCUB_304000_NS8EqualityEEEPlJS6_EEE10hipError_tPvRmT3_T4_T5_T6_T7_T9_mT8_P12ihipStream_tbDpT10_ENKUlT_T0_E_clISt17integral_constantIbLb1EES17_EEDaS12_S13_EUlS12_E_NS1_11comp_targetILNS1_3genE5ELNS1_11target_archE942ELNS1_3gpuE9ELNS1_3repE0EEENS1_30default_config_static_selectorELNS0_4arch9wavefront6targetE1EEEvT1_: ; @_ZN7rocprim17ROCPRIM_400000_NS6detail17trampoline_kernelINS0_14default_configENS1_25partition_config_selectorILNS1_17partition_subalgoE8EsNS0_10empty_typeEbEEZZNS1_14partition_implILS5_8ELb0ES3_jPKsPS6_PKS6_NS0_5tupleIJPsS6_EEENSE_IJSB_SB_EEENS0_18inequality_wrapperIN6hipcub16HIPCUB_304000_NS8EqualityEEEPlJS6_EEE10hipError_tPvRmT3_T4_T5_T6_T7_T9_mT8_P12ihipStream_tbDpT10_ENKUlT_T0_E_clISt17integral_constantIbLb1EES17_EEDaS12_S13_EUlS12_E_NS1_11comp_targetILNS1_3genE5ELNS1_11target_archE942ELNS1_3gpuE9ELNS1_3repE0EEENS1_30default_config_static_selectorELNS0_4arch9wavefront6targetE1EEEvT1_
; %bb.0:
	.section	.rodata,"a",@progbits
	.p2align	6, 0x0
	.amdhsa_kernel _ZN7rocprim17ROCPRIM_400000_NS6detail17trampoline_kernelINS0_14default_configENS1_25partition_config_selectorILNS1_17partition_subalgoE8EsNS0_10empty_typeEbEEZZNS1_14partition_implILS5_8ELb0ES3_jPKsPS6_PKS6_NS0_5tupleIJPsS6_EEENSE_IJSB_SB_EEENS0_18inequality_wrapperIN6hipcub16HIPCUB_304000_NS8EqualityEEEPlJS6_EEE10hipError_tPvRmT3_T4_T5_T6_T7_T9_mT8_P12ihipStream_tbDpT10_ENKUlT_T0_E_clISt17integral_constantIbLb1EES17_EEDaS12_S13_EUlS12_E_NS1_11comp_targetILNS1_3genE5ELNS1_11target_archE942ELNS1_3gpuE9ELNS1_3repE0EEENS1_30default_config_static_selectorELNS0_4arch9wavefront6targetE1EEEvT1_
		.amdhsa_group_segment_fixed_size 0
		.amdhsa_private_segment_fixed_size 0
		.amdhsa_kernarg_size 128
		.amdhsa_user_sgpr_count 6
		.amdhsa_user_sgpr_private_segment_buffer 1
		.amdhsa_user_sgpr_dispatch_ptr 0
		.amdhsa_user_sgpr_queue_ptr 0
		.amdhsa_user_sgpr_kernarg_segment_ptr 1
		.amdhsa_user_sgpr_dispatch_id 0
		.amdhsa_user_sgpr_flat_scratch_init 0
		.amdhsa_user_sgpr_kernarg_preload_length 0
		.amdhsa_user_sgpr_kernarg_preload_offset 0
		.amdhsa_user_sgpr_private_segment_size 0
		.amdhsa_uses_dynamic_stack 0
		.amdhsa_system_sgpr_private_segment_wavefront_offset 0
		.amdhsa_system_sgpr_workgroup_id_x 1
		.amdhsa_system_sgpr_workgroup_id_y 0
		.amdhsa_system_sgpr_workgroup_id_z 0
		.amdhsa_system_sgpr_workgroup_info 0
		.amdhsa_system_vgpr_workitem_id 0
		.amdhsa_next_free_vgpr 1
		.amdhsa_next_free_sgpr 0
		.amdhsa_accum_offset 4
		.amdhsa_reserve_vcc 0
		.amdhsa_reserve_flat_scratch 0
		.amdhsa_float_round_mode_32 0
		.amdhsa_float_round_mode_16_64 0
		.amdhsa_float_denorm_mode_32 3
		.amdhsa_float_denorm_mode_16_64 3
		.amdhsa_dx10_clamp 1
		.amdhsa_ieee_mode 1
		.amdhsa_fp16_overflow 0
		.amdhsa_tg_split 0
		.amdhsa_exception_fp_ieee_invalid_op 0
		.amdhsa_exception_fp_denorm_src 0
		.amdhsa_exception_fp_ieee_div_zero 0
		.amdhsa_exception_fp_ieee_overflow 0
		.amdhsa_exception_fp_ieee_underflow 0
		.amdhsa_exception_fp_ieee_inexact 0
		.amdhsa_exception_int_div_zero 0
	.end_amdhsa_kernel
	.section	.text._ZN7rocprim17ROCPRIM_400000_NS6detail17trampoline_kernelINS0_14default_configENS1_25partition_config_selectorILNS1_17partition_subalgoE8EsNS0_10empty_typeEbEEZZNS1_14partition_implILS5_8ELb0ES3_jPKsPS6_PKS6_NS0_5tupleIJPsS6_EEENSE_IJSB_SB_EEENS0_18inequality_wrapperIN6hipcub16HIPCUB_304000_NS8EqualityEEEPlJS6_EEE10hipError_tPvRmT3_T4_T5_T6_T7_T9_mT8_P12ihipStream_tbDpT10_ENKUlT_T0_E_clISt17integral_constantIbLb1EES17_EEDaS12_S13_EUlS12_E_NS1_11comp_targetILNS1_3genE5ELNS1_11target_archE942ELNS1_3gpuE9ELNS1_3repE0EEENS1_30default_config_static_selectorELNS0_4arch9wavefront6targetE1EEEvT1_,"axG",@progbits,_ZN7rocprim17ROCPRIM_400000_NS6detail17trampoline_kernelINS0_14default_configENS1_25partition_config_selectorILNS1_17partition_subalgoE8EsNS0_10empty_typeEbEEZZNS1_14partition_implILS5_8ELb0ES3_jPKsPS6_PKS6_NS0_5tupleIJPsS6_EEENSE_IJSB_SB_EEENS0_18inequality_wrapperIN6hipcub16HIPCUB_304000_NS8EqualityEEEPlJS6_EEE10hipError_tPvRmT3_T4_T5_T6_T7_T9_mT8_P12ihipStream_tbDpT10_ENKUlT_T0_E_clISt17integral_constantIbLb1EES17_EEDaS12_S13_EUlS12_E_NS1_11comp_targetILNS1_3genE5ELNS1_11target_archE942ELNS1_3gpuE9ELNS1_3repE0EEENS1_30default_config_static_selectorELNS0_4arch9wavefront6targetE1EEEvT1_,comdat
.Lfunc_end557:
	.size	_ZN7rocprim17ROCPRIM_400000_NS6detail17trampoline_kernelINS0_14default_configENS1_25partition_config_selectorILNS1_17partition_subalgoE8EsNS0_10empty_typeEbEEZZNS1_14partition_implILS5_8ELb0ES3_jPKsPS6_PKS6_NS0_5tupleIJPsS6_EEENSE_IJSB_SB_EEENS0_18inequality_wrapperIN6hipcub16HIPCUB_304000_NS8EqualityEEEPlJS6_EEE10hipError_tPvRmT3_T4_T5_T6_T7_T9_mT8_P12ihipStream_tbDpT10_ENKUlT_T0_E_clISt17integral_constantIbLb1EES17_EEDaS12_S13_EUlS12_E_NS1_11comp_targetILNS1_3genE5ELNS1_11target_archE942ELNS1_3gpuE9ELNS1_3repE0EEENS1_30default_config_static_selectorELNS0_4arch9wavefront6targetE1EEEvT1_, .Lfunc_end557-_ZN7rocprim17ROCPRIM_400000_NS6detail17trampoline_kernelINS0_14default_configENS1_25partition_config_selectorILNS1_17partition_subalgoE8EsNS0_10empty_typeEbEEZZNS1_14partition_implILS5_8ELb0ES3_jPKsPS6_PKS6_NS0_5tupleIJPsS6_EEENSE_IJSB_SB_EEENS0_18inequality_wrapperIN6hipcub16HIPCUB_304000_NS8EqualityEEEPlJS6_EEE10hipError_tPvRmT3_T4_T5_T6_T7_T9_mT8_P12ihipStream_tbDpT10_ENKUlT_T0_E_clISt17integral_constantIbLb1EES17_EEDaS12_S13_EUlS12_E_NS1_11comp_targetILNS1_3genE5ELNS1_11target_archE942ELNS1_3gpuE9ELNS1_3repE0EEENS1_30default_config_static_selectorELNS0_4arch9wavefront6targetE1EEEvT1_
                                        ; -- End function
	.section	.AMDGPU.csdata,"",@progbits
; Kernel info:
; codeLenInByte = 0
; NumSgprs: 4
; NumVgprs: 0
; NumAgprs: 0
; TotalNumVgprs: 0
; ScratchSize: 0
; MemoryBound: 0
; FloatMode: 240
; IeeeMode: 1
; LDSByteSize: 0 bytes/workgroup (compile time only)
; SGPRBlocks: 0
; VGPRBlocks: 0
; NumSGPRsForWavesPerEU: 4
; NumVGPRsForWavesPerEU: 1
; AccumOffset: 4
; Occupancy: 8
; WaveLimiterHint : 0
; COMPUTE_PGM_RSRC2:SCRATCH_EN: 0
; COMPUTE_PGM_RSRC2:USER_SGPR: 6
; COMPUTE_PGM_RSRC2:TRAP_HANDLER: 0
; COMPUTE_PGM_RSRC2:TGID_X_EN: 1
; COMPUTE_PGM_RSRC2:TGID_Y_EN: 0
; COMPUTE_PGM_RSRC2:TGID_Z_EN: 0
; COMPUTE_PGM_RSRC2:TIDIG_COMP_CNT: 0
; COMPUTE_PGM_RSRC3_GFX90A:ACCUM_OFFSET: 0
; COMPUTE_PGM_RSRC3_GFX90A:TG_SPLIT: 0
	.section	.text._ZN7rocprim17ROCPRIM_400000_NS6detail17trampoline_kernelINS0_14default_configENS1_25partition_config_selectorILNS1_17partition_subalgoE8EsNS0_10empty_typeEbEEZZNS1_14partition_implILS5_8ELb0ES3_jPKsPS6_PKS6_NS0_5tupleIJPsS6_EEENSE_IJSB_SB_EEENS0_18inequality_wrapperIN6hipcub16HIPCUB_304000_NS8EqualityEEEPlJS6_EEE10hipError_tPvRmT3_T4_T5_T6_T7_T9_mT8_P12ihipStream_tbDpT10_ENKUlT_T0_E_clISt17integral_constantIbLb1EES17_EEDaS12_S13_EUlS12_E_NS1_11comp_targetILNS1_3genE4ELNS1_11target_archE910ELNS1_3gpuE8ELNS1_3repE0EEENS1_30default_config_static_selectorELNS0_4arch9wavefront6targetE1EEEvT1_,"axG",@progbits,_ZN7rocprim17ROCPRIM_400000_NS6detail17trampoline_kernelINS0_14default_configENS1_25partition_config_selectorILNS1_17partition_subalgoE8EsNS0_10empty_typeEbEEZZNS1_14partition_implILS5_8ELb0ES3_jPKsPS6_PKS6_NS0_5tupleIJPsS6_EEENSE_IJSB_SB_EEENS0_18inequality_wrapperIN6hipcub16HIPCUB_304000_NS8EqualityEEEPlJS6_EEE10hipError_tPvRmT3_T4_T5_T6_T7_T9_mT8_P12ihipStream_tbDpT10_ENKUlT_T0_E_clISt17integral_constantIbLb1EES17_EEDaS12_S13_EUlS12_E_NS1_11comp_targetILNS1_3genE4ELNS1_11target_archE910ELNS1_3gpuE8ELNS1_3repE0EEENS1_30default_config_static_selectorELNS0_4arch9wavefront6targetE1EEEvT1_,comdat
	.protected	_ZN7rocprim17ROCPRIM_400000_NS6detail17trampoline_kernelINS0_14default_configENS1_25partition_config_selectorILNS1_17partition_subalgoE8EsNS0_10empty_typeEbEEZZNS1_14partition_implILS5_8ELb0ES3_jPKsPS6_PKS6_NS0_5tupleIJPsS6_EEENSE_IJSB_SB_EEENS0_18inequality_wrapperIN6hipcub16HIPCUB_304000_NS8EqualityEEEPlJS6_EEE10hipError_tPvRmT3_T4_T5_T6_T7_T9_mT8_P12ihipStream_tbDpT10_ENKUlT_T0_E_clISt17integral_constantIbLb1EES17_EEDaS12_S13_EUlS12_E_NS1_11comp_targetILNS1_3genE4ELNS1_11target_archE910ELNS1_3gpuE8ELNS1_3repE0EEENS1_30default_config_static_selectorELNS0_4arch9wavefront6targetE1EEEvT1_ ; -- Begin function _ZN7rocprim17ROCPRIM_400000_NS6detail17trampoline_kernelINS0_14default_configENS1_25partition_config_selectorILNS1_17partition_subalgoE8EsNS0_10empty_typeEbEEZZNS1_14partition_implILS5_8ELb0ES3_jPKsPS6_PKS6_NS0_5tupleIJPsS6_EEENSE_IJSB_SB_EEENS0_18inequality_wrapperIN6hipcub16HIPCUB_304000_NS8EqualityEEEPlJS6_EEE10hipError_tPvRmT3_T4_T5_T6_T7_T9_mT8_P12ihipStream_tbDpT10_ENKUlT_T0_E_clISt17integral_constantIbLb1EES17_EEDaS12_S13_EUlS12_E_NS1_11comp_targetILNS1_3genE4ELNS1_11target_archE910ELNS1_3gpuE8ELNS1_3repE0EEENS1_30default_config_static_selectorELNS0_4arch9wavefront6targetE1EEEvT1_
	.globl	_ZN7rocprim17ROCPRIM_400000_NS6detail17trampoline_kernelINS0_14default_configENS1_25partition_config_selectorILNS1_17partition_subalgoE8EsNS0_10empty_typeEbEEZZNS1_14partition_implILS5_8ELb0ES3_jPKsPS6_PKS6_NS0_5tupleIJPsS6_EEENSE_IJSB_SB_EEENS0_18inequality_wrapperIN6hipcub16HIPCUB_304000_NS8EqualityEEEPlJS6_EEE10hipError_tPvRmT3_T4_T5_T6_T7_T9_mT8_P12ihipStream_tbDpT10_ENKUlT_T0_E_clISt17integral_constantIbLb1EES17_EEDaS12_S13_EUlS12_E_NS1_11comp_targetILNS1_3genE4ELNS1_11target_archE910ELNS1_3gpuE8ELNS1_3repE0EEENS1_30default_config_static_selectorELNS0_4arch9wavefront6targetE1EEEvT1_
	.p2align	8
	.type	_ZN7rocprim17ROCPRIM_400000_NS6detail17trampoline_kernelINS0_14default_configENS1_25partition_config_selectorILNS1_17partition_subalgoE8EsNS0_10empty_typeEbEEZZNS1_14partition_implILS5_8ELb0ES3_jPKsPS6_PKS6_NS0_5tupleIJPsS6_EEENSE_IJSB_SB_EEENS0_18inequality_wrapperIN6hipcub16HIPCUB_304000_NS8EqualityEEEPlJS6_EEE10hipError_tPvRmT3_T4_T5_T6_T7_T9_mT8_P12ihipStream_tbDpT10_ENKUlT_T0_E_clISt17integral_constantIbLb1EES17_EEDaS12_S13_EUlS12_E_NS1_11comp_targetILNS1_3genE4ELNS1_11target_archE910ELNS1_3gpuE8ELNS1_3repE0EEENS1_30default_config_static_selectorELNS0_4arch9wavefront6targetE1EEEvT1_,@function
_ZN7rocprim17ROCPRIM_400000_NS6detail17trampoline_kernelINS0_14default_configENS1_25partition_config_selectorILNS1_17partition_subalgoE8EsNS0_10empty_typeEbEEZZNS1_14partition_implILS5_8ELb0ES3_jPKsPS6_PKS6_NS0_5tupleIJPsS6_EEENSE_IJSB_SB_EEENS0_18inequality_wrapperIN6hipcub16HIPCUB_304000_NS8EqualityEEEPlJS6_EEE10hipError_tPvRmT3_T4_T5_T6_T7_T9_mT8_P12ihipStream_tbDpT10_ENKUlT_T0_E_clISt17integral_constantIbLb1EES17_EEDaS12_S13_EUlS12_E_NS1_11comp_targetILNS1_3genE4ELNS1_11target_archE910ELNS1_3gpuE8ELNS1_3repE0EEENS1_30default_config_static_selectorELNS0_4arch9wavefront6targetE1EEEvT1_: ; @_ZN7rocprim17ROCPRIM_400000_NS6detail17trampoline_kernelINS0_14default_configENS1_25partition_config_selectorILNS1_17partition_subalgoE8EsNS0_10empty_typeEbEEZZNS1_14partition_implILS5_8ELb0ES3_jPKsPS6_PKS6_NS0_5tupleIJPsS6_EEENSE_IJSB_SB_EEENS0_18inequality_wrapperIN6hipcub16HIPCUB_304000_NS8EqualityEEEPlJS6_EEE10hipError_tPvRmT3_T4_T5_T6_T7_T9_mT8_P12ihipStream_tbDpT10_ENKUlT_T0_E_clISt17integral_constantIbLb1EES17_EEDaS12_S13_EUlS12_E_NS1_11comp_targetILNS1_3genE4ELNS1_11target_archE910ELNS1_3gpuE8ELNS1_3repE0EEENS1_30default_config_static_selectorELNS0_4arch9wavefront6targetE1EEEvT1_
; %bb.0:
	s_load_dwordx2 s[52:53], s[4:5], 0x28
	s_load_dwordx4 s[48:51], s[4:5], 0x40
	s_load_dwordx2 s[6:7], s[4:5], 0x50
	s_load_dwordx2 s[56:57], s[4:5], 0x60
	v_cmp_ne_u32_e64 s[2:3], 0, v0
	v_cmp_eq_u32_e64 s[0:1], 0, v0
	s_and_saveexec_b64 s[8:9], s[0:1]
	s_cbranch_execz .LBB558_4
; %bb.1:
	s_mov_b64 s[12:13], exec
	v_mbcnt_lo_u32_b32 v1, s12, 0
	v_mbcnt_hi_u32_b32 v1, s13, v1
	v_cmp_eq_u32_e32 vcc, 0, v1
                                        ; implicit-def: $vgpr2
	s_and_saveexec_b64 s[10:11], vcc
	s_cbranch_execz .LBB558_3
; %bb.2:
	s_load_dwordx2 s[14:15], s[4:5], 0x70
	s_bcnt1_i32_b64 s12, s[12:13]
	v_mov_b32_e32 v2, 0
	v_mov_b32_e32 v3, s12
	s_waitcnt lgkmcnt(0)
	global_atomic_add v2, v2, v3, s[14:15] glc
.LBB558_3:
	s_or_b64 exec, exec, s[10:11]
	s_waitcnt vmcnt(0)
	v_readfirstlane_b32 s10, v2
	v_add_u32_e32 v1, s10, v1
	v_mov_b32_e32 v2, 0
	ds_write_b32 v2, v1
.LBB558_4:
	s_or_b64 exec, exec, s[8:9]
	v_mov_b32_e32 v3, 0
	s_load_dwordx4 s[8:11], s[4:5], 0x8
	s_load_dword s12, s[4:5], 0x68
	s_waitcnt lgkmcnt(0)
	s_barrier
	ds_read_b32 v1, v3
	s_waitcnt lgkmcnt(0)
	s_barrier
	global_load_dwordx2 v[8:9], v3, s[50:51]
	s_lshl_b64 s[4:5], s[10:11], 1
	v_mov_b32_e32 v5, s7
	s_add_u32 s7, s8, s4
	s_movk_i32 s4, 0x1600
	v_mul_lo_u32 v2, v1, s4
	s_mul_i32 s4, s12, 0x1600
	s_addc_u32 s8, s9, s5
	s_add_i32 s5, s4, s10
	s_add_i32 s9, s12, -1
	s_sub_i32 s64, s6, s5
	s_add_u32 s4, s10, s4
	v_readfirstlane_b32 s33, v1
	s_addc_u32 s5, s11, 0
	v_mov_b32_e32 v4, s6
	s_cmp_eq_u32 s33, s9
	v_cmp_ge_u64_e32 vcc, s[4:5], v[4:5]
	s_cselect_b64 s[50:51], -1, 0
	v_lshlrev_b64 v[2:3], 1, v[2:3]
	s_and_b64 s[58:59], vcc, s[50:51]
	v_mov_b32_e32 v1, s8
	v_add_co_u32_e32 v14, vcc, s7, v2
	s_xor_b64 s[54:55], s[58:59], -1
	v_addc_co_u32_e32 v15, vcc, v1, v3, vcc
	s_mov_b64 s[4:5], -1
	s_and_b64 vcc, exec, s[54:55]
	s_cbranch_vccz .LBB558_6
; %bb.5:
	v_lshlrev_b32_e32 v1, 1, v0
	v_add_co_u32_e32 v4, vcc, v14, v1
	v_addc_co_u32_e32 v5, vcc, 0, v15, vcc
	v_add_co_u32_e32 v2, vcc, 0x1000, v4
	v_readfirstlane_b32 s4, v14
	v_readfirstlane_b32 s5, v15
	v_addc_co_u32_e32 v3, vcc, 0, v5, vcc
	s_nop 3
	global_load_ushort v6, v1, s[4:5]
	global_load_ushort v7, v1, s[4:5] offset:512
	global_load_ushort v10, v1, s[4:5] offset:1024
	;; [unrolled: 1-line block ×7, first 2 shown]
	global_load_ushort v18, v[2:3], off
	global_load_ushort v19, v[2:3], off offset:512
	global_load_ushort v20, v[2:3], off offset:1024
	;; [unrolled: 1-line block ×7, first 2 shown]
	v_add_co_u32_e32 v2, vcc, 0x2000, v4
	v_addc_co_u32_e32 v3, vcc, 0, v5, vcc
	global_load_ushort v4, v[2:3], off
	global_load_ushort v5, v[2:3], off offset:512
	global_load_ushort v26, v[2:3], off offset:1024
	;; [unrolled: 1-line block ×5, first 2 shown]
	s_mov_b64 s[4:5], 0
	s_waitcnt vmcnt(21)
	ds_write_b16 v1, v6
	s_waitcnt vmcnt(20)
	ds_write_b16 v1, v7 offset:512
	s_waitcnt vmcnt(19)
	ds_write_b16 v1, v10 offset:1024
	;; [unrolled: 2-line block ×21, first 2 shown]
	s_waitcnt lgkmcnt(0)
	s_barrier
.LBB558_6:
	s_andn2_b64 vcc, exec, s[4:5]
	s_addk_i32 s64, 0x1600
	s_cbranch_vccnz .LBB558_52
; %bb.7:
	v_cmp_gt_u32_e32 vcc, s64, v0
                                        ; implicit-def: $vgpr1
	s_and_saveexec_b64 s[4:5], vcc
	s_cbranch_execz .LBB558_9
; %bb.8:
	v_lshlrev_b32_e32 v1, 1, v0
	v_readfirstlane_b32 s6, v14
	v_readfirstlane_b32 s7, v15
	s_nop 4
	global_load_ushort v1, v1, s[6:7]
.LBB558_9:
	s_or_b64 exec, exec, s[4:5]
	v_or_b32_e32 v2, 0x100, v0
	v_cmp_gt_u32_e32 vcc, s64, v2
                                        ; implicit-def: $vgpr2
	s_and_saveexec_b64 s[4:5], vcc
	s_cbranch_execz .LBB558_11
; %bb.10:
	v_lshlrev_b32_e32 v2, 1, v0
	v_readfirstlane_b32 s6, v14
	v_readfirstlane_b32 s7, v15
	s_nop 4
	global_load_ushort v2, v2, s[6:7] offset:512
.LBB558_11:
	s_or_b64 exec, exec, s[4:5]
	v_or_b32_e32 v3, 0x200, v0
	v_cmp_gt_u32_e32 vcc, s64, v3
                                        ; implicit-def: $vgpr3
	s_and_saveexec_b64 s[4:5], vcc
	s_cbranch_execz .LBB558_13
; %bb.12:
	v_lshlrev_b32_e32 v3, 1, v0
	v_readfirstlane_b32 s6, v14
	v_readfirstlane_b32 s7, v15
	s_nop 4
	global_load_ushort v3, v3, s[6:7] offset:1024
.LBB558_13:
	s_or_b64 exec, exec, s[4:5]
	v_or_b32_e32 v4, 0x300, v0
	v_cmp_gt_u32_e32 vcc, s64, v4
                                        ; implicit-def: $vgpr4
	s_and_saveexec_b64 s[4:5], vcc
	s_cbranch_execz .LBB558_15
; %bb.14:
	v_lshlrev_b32_e32 v4, 1, v0
	v_readfirstlane_b32 s6, v14
	v_readfirstlane_b32 s7, v15
	s_nop 4
	global_load_ushort v4, v4, s[6:7] offset:1536
.LBB558_15:
	s_or_b64 exec, exec, s[4:5]
	v_or_b32_e32 v5, 0x400, v0
	v_cmp_gt_u32_e32 vcc, s64, v5
                                        ; implicit-def: $vgpr5
	s_and_saveexec_b64 s[4:5], vcc
	s_cbranch_execz .LBB558_17
; %bb.16:
	v_lshlrev_b32_e32 v5, 1, v0
	v_readfirstlane_b32 s6, v14
	v_readfirstlane_b32 s7, v15
	s_nop 4
	global_load_ushort v5, v5, s[6:7] offset:2048
.LBB558_17:
	s_or_b64 exec, exec, s[4:5]
	v_or_b32_e32 v6, 0x500, v0
	v_cmp_gt_u32_e32 vcc, s64, v6
                                        ; implicit-def: $vgpr6
	s_and_saveexec_b64 s[4:5], vcc
	s_cbranch_execz .LBB558_19
; %bb.18:
	v_lshlrev_b32_e32 v6, 1, v0
	v_readfirstlane_b32 s6, v14
	v_readfirstlane_b32 s7, v15
	s_nop 4
	global_load_ushort v6, v6, s[6:7] offset:2560
.LBB558_19:
	s_or_b64 exec, exec, s[4:5]
	v_or_b32_e32 v7, 0x600, v0
	v_cmp_gt_u32_e32 vcc, s64, v7
                                        ; implicit-def: $vgpr7
	s_and_saveexec_b64 s[4:5], vcc
	s_cbranch_execz .LBB558_21
; %bb.20:
	v_lshlrev_b32_e32 v7, 1, v0
	v_readfirstlane_b32 s6, v14
	v_readfirstlane_b32 s7, v15
	s_nop 4
	global_load_ushort v7, v7, s[6:7] offset:3072
.LBB558_21:
	s_or_b64 exec, exec, s[4:5]
	v_or_b32_e32 v10, 0x700, v0
	v_cmp_gt_u32_e32 vcc, s64, v10
                                        ; implicit-def: $vgpr10
	s_and_saveexec_b64 s[4:5], vcc
	s_cbranch_execz .LBB558_23
; %bb.22:
	v_lshlrev_b32_e32 v10, 1, v0
	v_readfirstlane_b32 s6, v14
	v_readfirstlane_b32 s7, v15
	s_nop 4
	global_load_ushort v10, v10, s[6:7] offset:3584
.LBB558_23:
	s_or_b64 exec, exec, s[4:5]
	v_or_b32_e32 v12, 0x800, v0
	v_cmp_gt_u32_e32 vcc, s64, v12
                                        ; implicit-def: $vgpr11
	s_and_saveexec_b64 s[4:5], vcc
	s_cbranch_execz .LBB558_25
; %bb.24:
	v_lshlrev_b32_e32 v11, 1, v12
	v_readfirstlane_b32 s6, v14
	v_readfirstlane_b32 s7, v15
	s_nop 4
	global_load_ushort v11, v11, s[6:7]
.LBB558_25:
	s_or_b64 exec, exec, s[4:5]
	v_or_b32_e32 v13, 0x900, v0
	v_cmp_gt_u32_e32 vcc, s64, v13
                                        ; implicit-def: $vgpr12
	s_and_saveexec_b64 s[4:5], vcc
	s_cbranch_execz .LBB558_27
; %bb.26:
	v_lshlrev_b32_e32 v12, 1, v13
	v_readfirstlane_b32 s6, v14
	v_readfirstlane_b32 s7, v15
	s_nop 4
	global_load_ushort v12, v12, s[6:7]
.LBB558_27:
	s_or_b64 exec, exec, s[4:5]
	v_or_b32_e32 v16, 0xa00, v0
	v_cmp_gt_u32_e32 vcc, s64, v16
                                        ; implicit-def: $vgpr13
	s_and_saveexec_b64 s[4:5], vcc
	s_cbranch_execz .LBB558_29
; %bb.28:
	v_lshlrev_b32_e32 v13, 1, v16
	v_readfirstlane_b32 s6, v14
	v_readfirstlane_b32 s7, v15
	s_nop 4
	global_load_ushort v13, v13, s[6:7]
.LBB558_29:
	s_or_b64 exec, exec, s[4:5]
	v_or_b32_e32 v17, 0xb00, v0
	v_cmp_gt_u32_e32 vcc, s64, v17
                                        ; implicit-def: $vgpr16
	s_and_saveexec_b64 s[4:5], vcc
	s_cbranch_execz .LBB558_31
; %bb.30:
	v_lshlrev_b32_e32 v16, 1, v17
	v_readfirstlane_b32 s6, v14
	v_readfirstlane_b32 s7, v15
	s_nop 4
	global_load_ushort v16, v16, s[6:7]
.LBB558_31:
	s_or_b64 exec, exec, s[4:5]
	v_or_b32_e32 v18, 0xc00, v0
	v_cmp_gt_u32_e32 vcc, s64, v18
                                        ; implicit-def: $vgpr17
	s_and_saveexec_b64 s[4:5], vcc
	s_cbranch_execz .LBB558_33
; %bb.32:
	v_lshlrev_b32_e32 v17, 1, v18
	v_readfirstlane_b32 s6, v14
	v_readfirstlane_b32 s7, v15
	s_nop 4
	global_load_ushort v17, v17, s[6:7]
.LBB558_33:
	s_or_b64 exec, exec, s[4:5]
	v_or_b32_e32 v19, 0xd00, v0
	v_cmp_gt_u32_e32 vcc, s64, v19
                                        ; implicit-def: $vgpr18
	s_and_saveexec_b64 s[4:5], vcc
	s_cbranch_execz .LBB558_35
; %bb.34:
	v_lshlrev_b32_e32 v18, 1, v19
	v_readfirstlane_b32 s6, v14
	v_readfirstlane_b32 s7, v15
	s_nop 4
	global_load_ushort v18, v18, s[6:7]
.LBB558_35:
	s_or_b64 exec, exec, s[4:5]
	v_or_b32_e32 v20, 0xe00, v0
	v_cmp_gt_u32_e32 vcc, s64, v20
                                        ; implicit-def: $vgpr19
	s_and_saveexec_b64 s[4:5], vcc
	s_cbranch_execz .LBB558_37
; %bb.36:
	v_lshlrev_b32_e32 v19, 1, v20
	v_readfirstlane_b32 s6, v14
	v_readfirstlane_b32 s7, v15
	s_nop 4
	global_load_ushort v19, v19, s[6:7]
.LBB558_37:
	s_or_b64 exec, exec, s[4:5]
	v_or_b32_e32 v21, 0xf00, v0
	v_cmp_gt_u32_e32 vcc, s64, v21
                                        ; implicit-def: $vgpr20
	s_and_saveexec_b64 s[4:5], vcc
	s_cbranch_execz .LBB558_39
; %bb.38:
	v_lshlrev_b32_e32 v20, 1, v21
	v_readfirstlane_b32 s6, v14
	v_readfirstlane_b32 s7, v15
	s_nop 4
	global_load_ushort v20, v20, s[6:7]
.LBB558_39:
	s_or_b64 exec, exec, s[4:5]
	v_or_b32_e32 v22, 0x1000, v0
	v_cmp_gt_u32_e32 vcc, s64, v22
                                        ; implicit-def: $vgpr21
	s_and_saveexec_b64 s[4:5], vcc
	s_cbranch_execz .LBB558_41
; %bb.40:
	v_lshlrev_b32_e32 v21, 1, v22
	v_readfirstlane_b32 s6, v14
	v_readfirstlane_b32 s7, v15
	s_nop 4
	global_load_ushort v21, v21, s[6:7]
.LBB558_41:
	s_or_b64 exec, exec, s[4:5]
	v_or_b32_e32 v23, 0x1100, v0
	v_cmp_gt_u32_e32 vcc, s64, v23
                                        ; implicit-def: $vgpr22
	s_and_saveexec_b64 s[4:5], vcc
	s_cbranch_execz .LBB558_43
; %bb.42:
	v_lshlrev_b32_e32 v22, 1, v23
	v_readfirstlane_b32 s6, v14
	v_readfirstlane_b32 s7, v15
	s_nop 4
	global_load_ushort v22, v22, s[6:7]
.LBB558_43:
	s_or_b64 exec, exec, s[4:5]
	v_or_b32_e32 v24, 0x1200, v0
	v_cmp_gt_u32_e32 vcc, s64, v24
                                        ; implicit-def: $vgpr23
	s_and_saveexec_b64 s[4:5], vcc
	s_cbranch_execz .LBB558_45
; %bb.44:
	v_lshlrev_b32_e32 v23, 1, v24
	v_readfirstlane_b32 s6, v14
	v_readfirstlane_b32 s7, v15
	s_nop 4
	global_load_ushort v23, v23, s[6:7]
.LBB558_45:
	s_or_b64 exec, exec, s[4:5]
	v_or_b32_e32 v25, 0x1300, v0
	v_cmp_gt_u32_e32 vcc, s64, v25
                                        ; implicit-def: $vgpr24
	s_and_saveexec_b64 s[4:5], vcc
	s_cbranch_execz .LBB558_47
; %bb.46:
	v_lshlrev_b32_e32 v24, 1, v25
	v_readfirstlane_b32 s6, v14
	v_readfirstlane_b32 s7, v15
	s_nop 4
	global_load_ushort v24, v24, s[6:7]
.LBB558_47:
	s_or_b64 exec, exec, s[4:5]
	v_or_b32_e32 v26, 0x1400, v0
	v_cmp_gt_u32_e32 vcc, s64, v26
                                        ; implicit-def: $vgpr25
	s_and_saveexec_b64 s[4:5], vcc
	s_cbranch_execz .LBB558_49
; %bb.48:
	v_lshlrev_b32_e32 v25, 1, v26
	v_readfirstlane_b32 s6, v14
	v_readfirstlane_b32 s7, v15
	s_nop 4
	global_load_ushort v25, v25, s[6:7]
.LBB558_49:
	s_or_b64 exec, exec, s[4:5]
	v_or_b32_e32 v27, 0x1500, v0
	v_cmp_gt_u32_e32 vcc, s64, v27
                                        ; implicit-def: $vgpr26
	s_and_saveexec_b64 s[4:5], vcc
	s_cbranch_execz .LBB558_51
; %bb.50:
	v_lshlrev_b32_e32 v26, 1, v27
	v_readfirstlane_b32 s6, v14
	v_readfirstlane_b32 s7, v15
	s_nop 4
	global_load_ushort v26, v26, s[6:7]
.LBB558_51:
	s_or_b64 exec, exec, s[4:5]
	v_lshlrev_b32_e32 v27, 1, v0
	s_waitcnt vmcnt(0)
	ds_write_b16 v27, v1
	ds_write_b16 v27, v2 offset:512
	ds_write_b16 v27, v3 offset:1024
	;; [unrolled: 1-line block ×21, first 2 shown]
	s_waitcnt lgkmcnt(0)
	s_barrier
.LBB558_52:
	v_mul_u32_u24_e32 v23, 22, v0
	v_lshlrev_b32_e32 v38, 1, v23
	ds_read_b32 v62, v38 offset:40
	ds_read2_b32 v[2:3], v38 offset0:8 offset1:9
	ds_read2_b32 v[4:5], v38 offset0:6 offset1:7
	ds_read2_b32 v[12:13], v38 offset1:1
	ds_read2_b32 v[10:11], v38 offset0:2 offset1:3
	ds_read2_b32 v[6:7], v38 offset0:4 offset1:5
	s_cmp_lg_u32 s33, 0
	s_cselect_b64 s[60:61], -1, 0
	s_cmp_lg_u64 s[10:11], 0
	s_cselect_b64 s[4:5], -1, 0
	s_or_b64 s[4:5], s[4:5], s[60:61]
	v_mad_u32_u24 v16, v0, 22, 21
	v_mad_u32_u24 v17, v0, 22, 20
	s_waitcnt lgkmcnt(5)
	v_lshrrev_b32_e32 v1, 16, v62
	v_mad_u32_u24 v18, v0, 22, 19
	s_waitcnt lgkmcnt(4)
	v_lshrrev_b32_e32 v64, 16, v2
	v_lshrrev_b32_e32 v63, 16, v3
	v_mad_u32_u24 v19, v0, 22, 18
	v_mad_u32_u24 v20, v0, 22, 17
	;; [unrolled: 1-line block ×4, first 2 shown]
	s_waitcnt lgkmcnt(3)
	v_lshrrev_b32_e32 v66, 16, v4
	v_lshrrev_b32_e32 v65, 16, v5
	v_mad_u32_u24 v24, v0, 22, 14
	s_waitcnt lgkmcnt(2)
	v_lshrrev_b32_e32 v76, 16, v12
	v_lshrrev_b32_e32 v74, 16, v13
	v_or_b32_e32 v37, 1, v23
	v_mad_u32_u24 v36, v0, 22, 2
	v_mad_u32_u24 v34, v0, 22, 3
	;; [unrolled: 1-line block ×3, first 2 shown]
	s_waitcnt lgkmcnt(1)
	v_lshrrev_b32_e32 v72, 16, v10
	v_lshrrev_b32_e32 v69, 16, v11
	v_mad_u32_u24 v35, v0, 22, 5
	v_mad_u32_u24 v33, v0, 22, 6
	;; [unrolled: 1-line block ×4, first 2 shown]
	s_waitcnt lgkmcnt(0)
	v_lshrrev_b32_e32 v68, 16, v6
	v_lshrrev_b32_e32 v67, 16, v7
	v_mad_u32_u24 v31, v0, 22, 9
	v_mad_u32_u24 v29, v0, 22, 10
	;; [unrolled: 1-line block ×5, first 2 shown]
	s_mov_b64 s[62:63], 0
	s_and_b64 vcc, exec, s[4:5]
	s_barrier
	s_cbranch_vccz .LBB558_57
; %bb.53:
	global_load_ushort v14, v[14:15], off offset:-2
	v_lshlrev_b32_e32 v15, 1, v0
	s_and_b64 vcc, exec, s[54:55]
	ds_write_b16 v15, v1
	s_cbranch_vccz .LBB558_59
; %bb.54:
	s_waitcnt vmcnt(0)
	v_mov_b32_e32 v39, v14
	s_waitcnt lgkmcnt(0)
	s_barrier
	s_and_saveexec_b64 s[4:5], s[2:3]
	s_cbranch_execz .LBB558_56
; %bb.55:
	v_add_u32_e32 v39, -2, v15
	ds_read_u16 v39, v39
.LBB558_56:
	s_or_b64 exec, exec, s[4:5]
	v_cmp_ne_u16_e32 vcc, v62, v1
	v_cndmask_b32_e64 v70, 0, 1, vcc
	v_cmp_ne_u16_e32 vcc, v63, v62
	v_cndmask_b32_e64 v71, 0, 1, vcc
	;; [unrolled: 2-line block ×21, first 2 shown]
	s_waitcnt lgkmcnt(0)
	v_cmp_ne_u16_e64 s[4:5], v39, v12
	s_branch .LBB558_63
.LBB558_57:
                                        ; implicit-def: $sgpr4_sgpr5
                                        ; implicit-def: $vgpr93
                                        ; implicit-def: $vgpr92
                                        ; implicit-def: $vgpr91
                                        ; implicit-def: $vgpr90
                                        ; implicit-def: $vgpr89
                                        ; implicit-def: $vgpr88
                                        ; implicit-def: $vgpr87
                                        ; implicit-def: $vgpr86
                                        ; implicit-def: $vgpr85
                                        ; implicit-def: $vgpr84
                                        ; implicit-def: $vgpr83
                                        ; implicit-def: $vgpr82
                                        ; implicit-def: $vgpr81
                                        ; implicit-def: $vgpr80
                                        ; implicit-def: $vgpr79
                                        ; implicit-def: $vgpr78
                                        ; implicit-def: $vgpr77
                                        ; implicit-def: $vgpr75
                                        ; implicit-def: $vgpr73
                                        ; implicit-def: $vgpr71
                                        ; implicit-def: $vgpr70
	s_branch .LBB558_64
.LBB558_58:
                                        ; implicit-def: $sgpr8
	s_branch .LBB558_72
.LBB558_59:
                                        ; implicit-def: $sgpr4_sgpr5
                                        ; implicit-def: $vgpr93
                                        ; implicit-def: $vgpr92
                                        ; implicit-def: $vgpr91
                                        ; implicit-def: $vgpr90
                                        ; implicit-def: $vgpr89
                                        ; implicit-def: $vgpr88
                                        ; implicit-def: $vgpr87
                                        ; implicit-def: $vgpr86
                                        ; implicit-def: $vgpr85
                                        ; implicit-def: $vgpr84
                                        ; implicit-def: $vgpr83
                                        ; implicit-def: $vgpr82
                                        ; implicit-def: $vgpr81
                                        ; implicit-def: $vgpr80
                                        ; implicit-def: $vgpr79
                                        ; implicit-def: $vgpr78
                                        ; implicit-def: $vgpr77
                                        ; implicit-def: $vgpr75
                                        ; implicit-def: $vgpr73
                                        ; implicit-def: $vgpr71
                                        ; implicit-def: $vgpr70
	s_cbranch_execz .LBB558_63
; %bb.60:
	s_waitcnt lgkmcnt(0)
	s_barrier
	s_and_saveexec_b64 s[4:5], s[2:3]
	s_cbranch_execz .LBB558_62
; %bb.61:
	s_waitcnt vmcnt(0)
	v_add_u32_e32 v14, -2, v15
	ds_read_u16 v14, v14
.LBB558_62:
	s_or_b64 exec, exec, s[4:5]
	v_cmp_gt_u32_e32 vcc, s64, v16
	v_cmp_ne_u16_e64 s[4:5], v62, v1
	s_and_b64 s[4:5], vcc, s[4:5]
	v_cndmask_b32_e64 v70, 0, 1, s[4:5]
	v_cmp_gt_u32_e32 vcc, s64, v17
	v_cmp_ne_u16_e64 s[4:5], v63, v62
	s_and_b64 s[4:5], vcc, s[4:5]
	v_cndmask_b32_e64 v71, 0, 1, s[4:5]
	;; [unrolled: 4-line block ×21, first 2 shown]
	v_cmp_gt_u32_e32 vcc, s64, v23
	s_waitcnt vmcnt(0) lgkmcnt(0)
	v_cmp_ne_u16_e64 s[4:5], v14, v12
	s_and_b64 s[4:5], vcc, s[4:5]
.LBB558_63:
	s_mov_b64 s[62:63], -1
	s_cbranch_execnz .LBB558_58
.LBB558_64:
	s_movk_i32 s4, 0xffd6
	s_waitcnt vmcnt(0)
	v_mad_i32_i24 v14, v0, s4, v38
	s_and_b64 vcc, exec, s[54:55]
	v_cmp_ne_u16_e64 s[4:5], v62, v1
	v_cmp_ne_u16_e64 s[6:7], v63, v62
	;; [unrolled: 1-line block ×21, first 2 shown]
	ds_write_b16 v14, v1
	s_cbranch_vccz .LBB558_68
; %bb.65:
	v_cndmask_b32_e64 v70, 0, 1, s[4:5]
	v_cndmask_b32_e64 v71, 0, 1, s[6:7]
	;; [unrolled: 1-line block ×21, first 2 shown]
	s_waitcnt lgkmcnt(0)
	s_barrier
	s_waitcnt lgkmcnt(0)
                                        ; implicit-def: $sgpr4_sgpr5
	s_and_saveexec_b64 s[6:7], s[2:3]
	s_xor_b64 s[6:7], exec, s[6:7]
	s_cbranch_execz .LBB558_67
; %bb.66:
	v_add_u32_e32 v15, -2, v14
	ds_read_u16 v15, v15
	s_or_b64 s[62:63], s[62:63], exec
	s_waitcnt lgkmcnt(0)
	v_cmp_ne_u16_e32 vcc, v15, v12
	s_and_b64 s[4:5], vcc, exec
.LBB558_67:
	s_or_b64 exec, exec, s[6:7]
	s_mov_b32 s8, 1
	s_branch .LBB558_72
.LBB558_68:
                                        ; implicit-def: $sgpr4_sgpr5
                                        ; implicit-def: $vgpr93
                                        ; implicit-def: $vgpr92
                                        ; implicit-def: $vgpr91
                                        ; implicit-def: $vgpr90
                                        ; implicit-def: $vgpr89
                                        ; implicit-def: $vgpr88
                                        ; implicit-def: $vgpr87
                                        ; implicit-def: $vgpr86
                                        ; implicit-def: $vgpr85
                                        ; implicit-def: $vgpr84
                                        ; implicit-def: $vgpr83
                                        ; implicit-def: $vgpr82
                                        ; implicit-def: $vgpr81
                                        ; implicit-def: $vgpr80
                                        ; implicit-def: $vgpr79
                                        ; implicit-def: $vgpr78
                                        ; implicit-def: $vgpr77
                                        ; implicit-def: $vgpr75
                                        ; implicit-def: $vgpr73
                                        ; implicit-def: $vgpr71
                                        ; implicit-def: $vgpr70
                                        ; implicit-def: $sgpr8
	s_cbranch_execz .LBB558_72
; %bb.69:
	v_cmp_gt_u32_e32 vcc, s64, v16
	v_cmp_ne_u16_e64 s[4:5], v62, v1
	s_and_b64 s[4:5], vcc, s[4:5]
	v_cndmask_b32_e64 v70, 0, 1, s[4:5]
	v_cmp_gt_u32_e32 vcc, s64, v17
	v_cmp_ne_u16_e64 s[4:5], v63, v62
	s_and_b64 s[4:5], vcc, s[4:5]
	v_cndmask_b32_e64 v71, 0, 1, s[4:5]
	;; [unrolled: 4-line block ×21, first 2 shown]
	s_waitcnt lgkmcnt(0)
	s_barrier
	s_waitcnt lgkmcnt(0)
                                        ; implicit-def: $sgpr4_sgpr5
	s_and_saveexec_b64 s[6:7], s[2:3]
	s_cbranch_execz .LBB558_71
; %bb.70:
	v_add_u32_e32 v14, -2, v14
	ds_read_u16 v14, v14
	v_cmp_gt_u32_e32 vcc, s64, v23
	s_or_b64 s[62:63], s[62:63], exec
	s_waitcnt lgkmcnt(0)
	v_cmp_ne_u16_e64 s[2:3], v14, v12
	s_and_b64 s[2:3], vcc, s[2:3]
	s_and_b64 s[4:5], s[2:3], exec
.LBB558_71:
	s_or_b64 exec, exec, s[6:7]
	s_mov_b32 s8, 1
.LBB558_72:
	v_mov_b32_e32 v94, s8
	s_and_saveexec_b64 s[2:3], s[62:63]
; %bb.73:
	v_cndmask_b32_e64 v94, 0, 1, s[4:5]
; %bb.74:
	s_or_b64 exec, exec, s[2:3]
	s_andn2_b64 vcc, exec, s[58:59]
	s_cbranch_vccnz .LBB558_76
; %bb.75:
	v_cmp_gt_u32_e32 vcc, s64, v23
	v_cndmask_b32_e32 v94, 0, v94, vcc
	v_cmp_gt_u32_e32 vcc, s64, v37
	v_cndmask_b32_e32 v93, 0, v93, vcc
	;; [unrolled: 2-line block ×22, first 2 shown]
.LBB558_76:
	v_and_b32_e32 v49, 0xff, v75
	v_and_b32_e32 v51, 0xff, v73
	s_waitcnt vmcnt(0)
	v_add_u32_sdwa v14, v71, v70 dst_sel:DWORD dst_unused:UNUSED_PAD src0_sel:BYTE_0 src1_sel:BYTE_0
	v_and_b32_e32 v45, 0xff, v78
	v_and_b32_e32 v47, 0xff, v77
	v_add3_u32 v14, v14, v51, v49
	v_and_b32_e32 v41, 0xff, v80
	v_and_b32_e32 v43, 0xff, v79
	v_add3_u32 v14, v14, v47, v45
	;; [unrolled: 3-line block ×9, first 2 shown]
	v_add3_u32 v40, v14, v25, v24
	v_mbcnt_lo_u32_b32 v14, -1, 0
	v_mbcnt_hi_u32_b32 v36, -1, v14
	v_and_b32_e32 v14, 15, v36
	v_cmp_eq_u32_e64 s[14:15], 0, v14
	v_cmp_lt_u32_e64 s[12:13], 1, v14
	v_cmp_lt_u32_e64 s[10:11], 3, v14
	;; [unrolled: 1-line block ×3, first 2 shown]
	v_and_b32_e32 v14, 16, v36
	v_cmp_eq_u32_e64 s[6:7], 0, v14
	v_or_b32_e32 v14, 63, v0
	v_cmp_lt_u32_e64 s[2:3], 31, v36
	v_lshrrev_b32_e32 v38, 6, v0
	v_cmp_eq_u32_e64 s[4:5], v14, v0
	s_and_b64 vcc, exec, s[60:61]
	s_waitcnt lgkmcnt(0)
	s_barrier
	s_cbranch_vccz .LBB558_107
; %bb.77:
	v_mov_b32_dpp v14, v40 row_shr:1 row_mask:0xf bank_mask:0xf
	v_cndmask_b32_e64 v14, v14, 0, s[14:15]
	v_add_u32_e32 v14, v14, v40
	s_nop 1
	v_mov_b32_dpp v15, v14 row_shr:2 row_mask:0xf bank_mask:0xf
	v_cndmask_b32_e64 v15, 0, v15, s[12:13]
	v_add_u32_e32 v14, v14, v15
	s_nop 1
	;; [unrolled: 4-line block ×4, first 2 shown]
	v_mov_b32_dpp v15, v14 row_bcast:15 row_mask:0xf bank_mask:0xf
	v_cndmask_b32_e64 v15, v15, 0, s[6:7]
	v_add_u32_e32 v14, v14, v15
	s_nop 1
	v_mov_b32_dpp v15, v14 row_bcast:31 row_mask:0xf bank_mask:0xf
	v_cndmask_b32_e64 v15, 0, v15, s[2:3]
	v_add_u32_e32 v14, v14, v15
	s_and_saveexec_b64 s[16:17], s[4:5]
	s_cbranch_execz .LBB558_79
; %bb.78:
	v_lshlrev_b32_e32 v15, 2, v38
	ds_write_b32 v15, v14
.LBB558_79:
	s_or_b64 exec, exec, s[16:17]
	v_cmp_gt_u32_e32 vcc, 4, v0
	s_waitcnt lgkmcnt(0)
	s_barrier
	s_and_saveexec_b64 s[16:17], vcc
	s_cbranch_execz .LBB558_81
; %bb.80:
	v_lshlrev_b32_e32 v15, 2, v0
	ds_read_b32 v16, v15
	v_and_b32_e32 v17, 3, v36
	v_cmp_ne_u32_e32 vcc, 0, v17
	s_waitcnt lgkmcnt(0)
	v_mov_b32_dpp v18, v16 row_shr:1 row_mask:0xf bank_mask:0xf
	v_cndmask_b32_e32 v18, 0, v18, vcc
	v_add_u32_e32 v16, v18, v16
	v_cmp_lt_u32_e32 vcc, 1, v17
	s_nop 0
	v_mov_b32_dpp v18, v16 row_shr:2 row_mask:0xf bank_mask:0xf
	v_cndmask_b32_e32 v17, 0, v18, vcc
	v_add_u32_e32 v16, v16, v17
	ds_write_b32 v15, v16
.LBB558_81:
	s_or_b64 exec, exec, s[16:17]
	v_cmp_gt_u32_e32 vcc, 64, v0
	v_cmp_lt_u32_e64 s[16:17], 63, v0
	s_waitcnt lgkmcnt(0)
	s_barrier
	s_waitcnt lgkmcnt(0)
                                        ; implicit-def: $vgpr42
	s_and_saveexec_b64 s[18:19], s[16:17]
	s_cbranch_execz .LBB558_83
; %bb.82:
	v_lshl_add_u32 v15, v38, 2, -4
	ds_read_b32 v42, v15
	s_waitcnt lgkmcnt(0)
	v_add_u32_e32 v14, v42, v14
.LBB558_83:
	s_or_b64 exec, exec, s[18:19]
	v_add_u32_e32 v15, -1, v36
	v_and_b32_e32 v16, 64, v36
	v_cmp_lt_i32_e64 s[16:17], v15, v16
	v_cndmask_b32_e64 v15, v15, v36, s[16:17]
	v_lshlrev_b32_e32 v15, 2, v15
	ds_bpermute_b32 v44, v15, v14
	v_cmp_eq_u32_e64 s[16:17], 0, v36
	s_and_saveexec_b64 s[18:19], vcc
	s_cbranch_execz .LBB558_106
; %bb.84:
	v_mov_b32_e32 v23, 0
	ds_read_b32 v14, v23 offset:12
	s_and_saveexec_b64 s[20:21], s[16:17]
	s_cbranch_execz .LBB558_86
; %bb.85:
	s_add_i32 s22, s33, 64
	s_mov_b32 s23, 0
	s_lshl_b64 s[22:23], s[22:23], 3
	s_add_u32 s22, s56, s22
	v_mov_b32_e32 v15, 1
	s_addc_u32 s23, s57, s23
	s_waitcnt lgkmcnt(0)
	global_store_dwordx2 v23, v[14:15], s[22:23]
.LBB558_86:
	s_or_b64 exec, exec, s[20:21]
	v_xad_u32 v16, v36, -1, s33
	v_add_u32_e32 v22, 64, v16
	v_lshlrev_b64 v[18:19], 3, v[22:23]
	v_mov_b32_e32 v15, s57
	v_add_co_u32_e32 v18, vcc, s56, v18
	v_addc_co_u32_e32 v19, vcc, v15, v19, vcc
	global_load_dwordx2 v[20:21], v[18:19], off glc
	s_waitcnt vmcnt(0)
	v_cmp_eq_u16_sdwa s[22:23], v21, v23 src0_sel:BYTE_0 src1_sel:DWORD
	s_and_saveexec_b64 s[20:21], s[22:23]
	s_cbranch_execz .LBB558_92
; %bb.87:
	s_mov_b32 s24, 1
	s_mov_b64 s[22:23], 0
	v_mov_b32_e32 v15, 0
.LBB558_88:                             ; =>This Loop Header: Depth=1
                                        ;     Child Loop BB558_89 Depth 2
	s_max_u32 s25, s24, 1
.LBB558_89:                             ;   Parent Loop BB558_88 Depth=1
                                        ; =>  This Inner Loop Header: Depth=2
	s_add_i32 s25, s25, -1
	s_cmp_eq_u32 s25, 0
	s_sleep 1
	s_cbranch_scc0 .LBB558_89
; %bb.90:                               ;   in Loop: Header=BB558_88 Depth=1
	global_load_dwordx2 v[20:21], v[18:19], off glc
	s_cmp_lt_u32 s24, 32
	s_cselect_b64 s[26:27], -1, 0
	s_cmp_lg_u64 s[26:27], 0
	s_addc_u32 s24, s24, 0
	s_waitcnt vmcnt(0)
	v_cmp_ne_u16_sdwa s[26:27], v21, v15 src0_sel:BYTE_0 src1_sel:DWORD
	s_or_b64 s[22:23], s[26:27], s[22:23]
	s_andn2_b64 exec, exec, s[22:23]
	s_cbranch_execnz .LBB558_88
; %bb.91:
	s_or_b64 exec, exec, s[22:23]
.LBB558_92:
	s_or_b64 exec, exec, s[20:21]
	v_and_b32_e32 v48, 63, v36
	v_mov_b32_e32 v46, 2
	v_cmp_ne_u32_e32 vcc, 63, v48
	v_cmp_eq_u16_sdwa s[20:21], v21, v46 src0_sel:BYTE_0 src1_sel:DWORD
	v_lshlrev_b64 v[18:19], v36, -1
	v_addc_co_u32_e32 v22, vcc, 0, v36, vcc
	v_and_b32_e32 v15, s21, v19
	v_lshlrev_b32_e32 v50, 2, v22
	v_or_b32_e32 v15, 0x80000000, v15
	ds_bpermute_b32 v22, v50, v20
	v_and_b32_e32 v17, s20, v18
	v_ffbl_b32_e32 v15, v15
	v_add_u32_e32 v15, 32, v15
	v_ffbl_b32_e32 v17, v17
	v_min_u32_e32 v15, v17, v15
	v_cmp_lt_u32_e32 vcc, v48, v15
	s_waitcnt lgkmcnt(0)
	v_cndmask_b32_e32 v17, 0, v22, vcc
	v_cmp_gt_u32_e32 vcc, 62, v48
	v_add_u32_e32 v17, v17, v20
	v_cndmask_b32_e64 v20, 0, 1, vcc
	v_lshlrev_b32_e32 v20, 1, v20
	v_add_lshl_u32 v52, v20, v36, 2
	ds_bpermute_b32 v20, v52, v17
	v_add_u32_e32 v53, 2, v48
	v_cmp_le_u32_e32 vcc, v53, v15
	v_add_u32_e32 v55, 4, v48
	v_add_u32_e32 v57, 8, v48
	s_waitcnt lgkmcnt(0)
	v_cndmask_b32_e32 v20, 0, v20, vcc
	v_cmp_gt_u32_e32 vcc, 60, v48
	v_add_u32_e32 v17, v17, v20
	v_cndmask_b32_e64 v20, 0, 1, vcc
	v_lshlrev_b32_e32 v20, 2, v20
	v_add_lshl_u32 v54, v20, v36, 2
	ds_bpermute_b32 v20, v54, v17
	v_cmp_le_u32_e32 vcc, v55, v15
	v_add_u32_e32 v59, 16, v48
	v_add_u32_e32 v61, 32, v48
	s_waitcnt lgkmcnt(0)
	v_cndmask_b32_e32 v20, 0, v20, vcc
	v_cmp_gt_u32_e32 vcc, 56, v48
	v_add_u32_e32 v17, v17, v20
	v_cndmask_b32_e64 v20, 0, 1, vcc
	v_lshlrev_b32_e32 v20, 3, v20
	v_add_lshl_u32 v56, v20, v36, 2
	ds_bpermute_b32 v20, v56, v17
	v_cmp_le_u32_e32 vcc, v57, v15
	s_waitcnt lgkmcnt(0)
	v_cndmask_b32_e32 v20, 0, v20, vcc
	v_cmp_gt_u32_e32 vcc, 48, v48
	v_add_u32_e32 v17, v17, v20
	v_cndmask_b32_e64 v20, 0, 1, vcc
	v_lshlrev_b32_e32 v20, 4, v20
	v_add_lshl_u32 v58, v20, v36, 2
	ds_bpermute_b32 v20, v58, v17
	v_cmp_le_u32_e32 vcc, v59, v15
	;; [unrolled: 9-line block ×3, first 2 shown]
	s_waitcnt lgkmcnt(0)
	v_cndmask_b32_e32 v15, 0, v20, vcc
	v_add_u32_e32 v20, v17, v15
	v_mov_b32_e32 v17, 0
	s_branch .LBB558_94
.LBB558_93:                             ;   in Loop: Header=BB558_94 Depth=1
	s_or_b64 exec, exec, s[20:21]
	v_cmp_eq_u16_sdwa s[20:21], v21, v46 src0_sel:BYTE_0 src1_sel:DWORD
	v_and_b32_e32 v22, s21, v19
	v_or_b32_e32 v22, 0x80000000, v22
	ds_bpermute_b32 v95, v50, v20
	v_and_b32_e32 v23, s20, v18
	v_ffbl_b32_e32 v22, v22
	v_add_u32_e32 v22, 32, v22
	v_ffbl_b32_e32 v23, v23
	v_min_u32_e32 v22, v23, v22
	v_cmp_lt_u32_e32 vcc, v48, v22
	s_waitcnt lgkmcnt(0)
	v_cndmask_b32_e32 v23, 0, v95, vcc
	v_add_u32_e32 v20, v23, v20
	ds_bpermute_b32 v23, v52, v20
	v_cmp_le_u32_e32 vcc, v53, v22
	v_subrev_u32_e32 v16, 64, v16
	s_waitcnt lgkmcnt(0)
	v_cndmask_b32_e32 v23, 0, v23, vcc
	v_add_u32_e32 v20, v20, v23
	ds_bpermute_b32 v23, v54, v20
	v_cmp_le_u32_e32 vcc, v55, v22
	s_waitcnt lgkmcnt(0)
	v_cndmask_b32_e32 v23, 0, v23, vcc
	v_add_u32_e32 v20, v20, v23
	ds_bpermute_b32 v23, v56, v20
	v_cmp_le_u32_e32 vcc, v57, v22
	;; [unrolled: 5-line block ×4, first 2 shown]
	s_waitcnt lgkmcnt(0)
	v_cndmask_b32_e32 v22, 0, v23, vcc
	v_add3_u32 v20, v22, v15, v20
.LBB558_94:                             ; =>This Loop Header: Depth=1
                                        ;     Child Loop BB558_97 Depth 2
                                        ;       Child Loop BB558_98 Depth 3
	v_cmp_ne_u16_sdwa s[20:21], v21, v46 src0_sel:BYTE_0 src1_sel:DWORD
	v_cndmask_b32_e64 v15, 0, 1, s[20:21]
	;;#ASMSTART
	;;#ASMEND
	v_cmp_ne_u32_e32 vcc, 0, v15
	s_cmp_lg_u64 vcc, exec
	v_mov_b32_e32 v15, v20
	s_cbranch_scc1 .LBB558_101
; %bb.95:                               ;   in Loop: Header=BB558_94 Depth=1
	v_lshlrev_b64 v[20:21], 3, v[16:17]
	v_mov_b32_e32 v23, s57
	v_add_co_u32_e32 v22, vcc, s56, v20
	v_addc_co_u32_e32 v23, vcc, v23, v21, vcc
	global_load_dwordx2 v[20:21], v[22:23], off glc
	s_waitcnt vmcnt(0)
	v_cmp_eq_u16_sdwa s[22:23], v21, v17 src0_sel:BYTE_0 src1_sel:DWORD
	s_and_saveexec_b64 s[20:21], s[22:23]
	s_cbranch_execz .LBB558_93
; %bb.96:                               ;   in Loop: Header=BB558_94 Depth=1
	s_mov_b32 s24, 1
	s_mov_b64 s[22:23], 0
.LBB558_97:                             ;   Parent Loop BB558_94 Depth=1
                                        ; =>  This Loop Header: Depth=2
                                        ;       Child Loop BB558_98 Depth 3
	s_max_u32 s25, s24, 1
.LBB558_98:                             ;   Parent Loop BB558_94 Depth=1
                                        ;     Parent Loop BB558_97 Depth=2
                                        ; =>    This Inner Loop Header: Depth=3
	s_add_i32 s25, s25, -1
	s_cmp_eq_u32 s25, 0
	s_sleep 1
	s_cbranch_scc0 .LBB558_98
; %bb.99:                               ;   in Loop: Header=BB558_97 Depth=2
	global_load_dwordx2 v[20:21], v[22:23], off glc
	s_cmp_lt_u32 s24, 32
	s_cselect_b64 s[26:27], -1, 0
	s_cmp_lg_u64 s[26:27], 0
	s_addc_u32 s24, s24, 0
	s_waitcnt vmcnt(0)
	v_cmp_ne_u16_sdwa s[26:27], v21, v17 src0_sel:BYTE_0 src1_sel:DWORD
	s_or_b64 s[22:23], s[26:27], s[22:23]
	s_andn2_b64 exec, exec, s[22:23]
	s_cbranch_execnz .LBB558_97
; %bb.100:                              ;   in Loop: Header=BB558_94 Depth=1
	s_or_b64 exec, exec, s[22:23]
	s_branch .LBB558_93
.LBB558_101:                            ;   in Loop: Header=BB558_94 Depth=1
                                        ; implicit-def: $vgpr20
                                        ; implicit-def: $vgpr21
	s_cbranch_execz .LBB558_94
; %bb.102:
	s_and_saveexec_b64 s[20:21], s[16:17]
	s_cbranch_execz .LBB558_104
; %bb.103:
	s_add_i32 s22, s33, 64
	s_mov_b32 s23, 0
	s_lshl_b64 s[22:23], s[22:23], 3
	s_add_u32 s22, s56, s22
	v_add_u32_e32 v16, v15, v14
	v_mov_b32_e32 v17, 2
	s_addc_u32 s23, s57, s23
	v_mov_b32_e32 v18, 0
	global_store_dwordx2 v18, v[16:17], s[22:23]
	ds_write_b64 v18, v[14:15] offset:11264
.LBB558_104:
	s_or_b64 exec, exec, s[20:21]
	s_and_b64 exec, exec, s[0:1]
	s_cbranch_execz .LBB558_106
; %bb.105:
	v_mov_b32_e32 v14, 0
	ds_write_b32 v14, v15 offset:12
.LBB558_106:
	s_or_b64 exec, exec, s[18:19]
	v_mov_b32_e32 v14, 0
	s_waitcnt lgkmcnt(0)
	s_barrier
	ds_read_b32 v16, v14 offset:12
	s_waitcnt lgkmcnt(0)
	s_barrier
	ds_read_b64 v[14:15], v14 offset:11264
	v_cndmask_b32_e64 v17, v44, v42, s[16:17]
	v_cndmask_b32_e64 v17, v17, 0, s[0:1]
	v_add_u32_e32 v56, v16, v17
	s_waitcnt lgkmcnt(0)
	v_mov_b32_e32 v16, v15
	s_branch .LBB558_117
.LBB558_107:
                                        ; implicit-def: $vgpr16
                                        ; implicit-def: $vgpr14
                                        ; implicit-def: $vgpr56
	s_cbranch_execz .LBB558_117
; %bb.108:
	s_nop 0
	v_mov_b32_dpp v14, v40 row_shr:1 row_mask:0xf bank_mask:0xf
	v_cndmask_b32_e64 v14, v14, 0, s[14:15]
	v_add_u32_e32 v14, v14, v40
	s_nop 1
	v_mov_b32_dpp v15, v14 row_shr:2 row_mask:0xf bank_mask:0xf
	v_cndmask_b32_e64 v15, 0, v15, s[12:13]
	v_add_u32_e32 v14, v14, v15
	;; [unrolled: 4-line block ×4, first 2 shown]
	s_nop 1
	v_mov_b32_dpp v15, v14 row_bcast:15 row_mask:0xf bank_mask:0xf
	v_cndmask_b32_e64 v15, v15, 0, s[6:7]
	v_add_u32_e32 v14, v14, v15
	s_nop 1
	v_mov_b32_dpp v15, v14 row_bcast:31 row_mask:0xf bank_mask:0xf
	v_cndmask_b32_e64 v15, 0, v15, s[2:3]
	v_add_u32_e32 v14, v14, v15
	s_and_saveexec_b64 s[2:3], s[4:5]
	s_cbranch_execz .LBB558_110
; %bb.109:
	v_lshlrev_b32_e32 v15, 2, v38
	ds_write_b32 v15, v14
.LBB558_110:
	s_or_b64 exec, exec, s[2:3]
	v_cmp_gt_u32_e32 vcc, 4, v0
	s_waitcnt lgkmcnt(0)
	s_barrier
	s_and_saveexec_b64 s[2:3], vcc
	s_cbranch_execz .LBB558_112
; %bb.111:
	v_lshlrev_b32_e32 v15, 2, v0
	ds_read_b32 v16, v15
	v_and_b32_e32 v17, 3, v36
	v_cmp_ne_u32_e32 vcc, 0, v17
	s_waitcnt lgkmcnt(0)
	v_mov_b32_dpp v18, v16 row_shr:1 row_mask:0xf bank_mask:0xf
	v_cndmask_b32_e32 v18, 0, v18, vcc
	v_add_u32_e32 v16, v18, v16
	v_cmp_lt_u32_e32 vcc, 1, v17
	s_nop 0
	v_mov_b32_dpp v18, v16 row_shr:2 row_mask:0xf bank_mask:0xf
	v_cndmask_b32_e32 v17, 0, v18, vcc
	v_add_u32_e32 v16, v16, v17
	ds_write_b32 v15, v16
.LBB558_112:
	s_or_b64 exec, exec, s[2:3]
	v_cmp_lt_u32_e32 vcc, 63, v0
	v_mov_b32_e32 v15, 0
	v_mov_b32_e32 v16, 0
	s_waitcnt lgkmcnt(0)
	s_barrier
	s_and_saveexec_b64 s[2:3], vcc
	s_cbranch_execz .LBB558_114
; %bb.113:
	v_lshl_add_u32 v16, v38, 2, -4
	ds_read_b32 v16, v16
.LBB558_114:
	s_or_b64 exec, exec, s[2:3]
	v_add_u32_e32 v17, -1, v36
	v_and_b32_e32 v18, 64, v36
	v_cmp_lt_i32_e32 vcc, v17, v18
	v_cndmask_b32_e32 v17, v17, v36, vcc
	s_waitcnt lgkmcnt(0)
	v_add_u32_e32 v14, v16, v14
	v_lshlrev_b32_e32 v17, 2, v17
	ds_bpermute_b32 v17, v17, v14
	ds_read_b32 v14, v15 offset:12
	s_and_saveexec_b64 s[2:3], s[0:1]
	s_cbranch_execz .LBB558_116
; %bb.115:
	v_mov_b32_e32 v18, 0
	v_mov_b32_e32 v15, 2
	s_waitcnt lgkmcnt(0)
	global_store_dwordx2 v18, v[14:15], s[56:57] offset:512
.LBB558_116:
	s_or_b64 exec, exec, s[2:3]
	v_cmp_eq_u32_e32 vcc, 0, v36
	s_waitcnt lgkmcnt(1)
	v_cndmask_b32_e32 v15, v17, v16, vcc
	v_mov_b32_e32 v16, 0
	v_cndmask_b32_e64 v56, v15, 0, s[0:1]
	s_waitcnt lgkmcnt(0)
	s_barrier
.LBB558_117:
	v_add_u32_e32 v60, v56, v24
	v_add_u32_e32 v58, v60, v25
	v_add_u32_e32 v54, v58, v26
	v_add_u32_e32 v52, v54, v27
	v_add_u32_e32 v50, v52, v28
	v_add_u32_e32 v48, v50, v29
	v_add_u32_e32 v46, v48, v30
	v_add_u32_e32 v44, v46, v31
	v_add_u32_e32 v42, v44, v32
	v_add_u32_e32 v40, v42, v33
	v_add_u32_e32 v38, v40, v34
	v_add_u32_e32 v36, v38, v35
	v_add_u32_e32 v34, v36, v37
	v_add_u32_e32 v32, v34, v39
	v_add_u32_e32 v30, v32, v41
	v_add_u32_e32 v28, v30, v43
	v_add_u32_e32 v26, v28, v45
	v_add_u32_e32 v24, v26, v47
	v_add_u32_e32 v22, v24, v49
	s_movk_i32 s2, 0x101
	v_add_u32_e32 v20, v22, v51
	v_cmp_gt_u32_e32 vcc, s2, v14
	v_add_u32_sdwa v18, v20, v71 dst_sel:DWORD dst_unused:UNUSED_PAD src0_sel:DWORD src1_sel:BYTE_0
	s_mov_b64 s[2:3], -1
	s_cbranch_vccnz .LBB558_121
; %bb.118:
	s_and_b64 vcc, exec, s[2:3]
	s_cbranch_vccnz .LBB558_188
.LBB558_119:
	s_and_b64 s[0:1], s[0:1], s[50:51]
	s_and_saveexec_b64 s[2:3], s[0:1]
	s_cbranch_execnz .LBB558_248
.LBB558_120:
	s_endpgm
.LBB558_121:
	v_lshlrev_b64 v[96:97], 1, v[8:9]
	v_mov_b32_e32 v17, s53
	v_add_co_u32_e32 v15, vcc, s52, v96
	v_add_u32_e32 v19, v16, v14
	v_addc_co_u32_e32 v17, vcc, v17, v97, vcc
	v_cmp_lt_u32_e32 vcc, v56, v19
	s_or_b64 s[4:5], s[54:55], vcc
	s_and_saveexec_b64 s[2:3], s[4:5]
	s_cbranch_execz .LBB558_124
; %bb.122:
	v_and_b32_e32 v21, 1, v94
	v_cmp_eq_u32_e32 vcc, 1, v21
	s_and_b64 exec, exec, vcc
	s_cbranch_execz .LBB558_124
; %bb.123:
	v_mov_b32_e32 v57, 0
	v_lshlrev_b64 v[96:97], 1, v[56:57]
	v_add_co_u32_e32 v96, vcc, v15, v96
	v_addc_co_u32_e32 v97, vcc, v17, v97, vcc
	global_store_short v[96:97], v12, off
.LBB558_124:
	s_or_b64 exec, exec, s[2:3]
	v_cmp_lt_u32_e32 vcc, v60, v19
	s_or_b64 s[4:5], s[54:55], vcc
	s_and_saveexec_b64 s[2:3], s[4:5]
	s_cbranch_execz .LBB558_127
; %bb.125:
	v_and_b32_e32 v21, 1, v93
	v_cmp_eq_u32_e32 vcc, 1, v21
	s_and_b64 exec, exec, vcc
	s_cbranch_execz .LBB558_127
; %bb.126:
	v_mov_b32_e32 v61, 0
	v_lshlrev_b64 v[96:97], 1, v[60:61]
	v_add_co_u32_e32 v96, vcc, v15, v96
	v_addc_co_u32_e32 v97, vcc, v17, v97, vcc
	global_store_short v[96:97], v76, off
.LBB558_127:
	s_or_b64 exec, exec, s[2:3]
	;; [unrolled: 17-line block ×22, first 2 shown]
	s_branch .LBB558_119
.LBB558_188:
	v_and_b32_e32 v15, 1, v94
	v_cmp_eq_u32_e32 vcc, 1, v15
	s_and_saveexec_b64 s[2:3], vcc
	s_cbranch_execz .LBB558_190
; %bb.189:
	v_sub_u32_e32 v15, v56, v16
	v_lshlrev_b32_e32 v15, 1, v15
	ds_write_b16 v15, v12
.LBB558_190:
	s_or_b64 exec, exec, s[2:3]
	v_and_b32_e32 v12, 1, v93
	v_cmp_eq_u32_e32 vcc, 1, v12
	s_and_saveexec_b64 s[2:3], vcc
	s_cbranch_execz .LBB558_192
; %bb.191:
	v_sub_u32_e32 v12, v60, v16
	v_lshlrev_b32_e32 v12, 1, v12
	ds_write_b16 v12, v76
.LBB558_192:
	s_or_b64 exec, exec, s[2:3]
	;; [unrolled: 10-line block ×22, first 2 shown]
	v_cmp_lt_u32_e32 vcc, v0, v14
	s_waitcnt lgkmcnt(0)
	s_barrier
	s_and_saveexec_b64 s[6:7], vcc
	s_cbranch_execz .LBB558_247
; %bb.233:
	v_lshlrev_b64 v[2:3], 1, v[8:9]
	v_mov_b32_e32 v17, 0
	v_mov_b32_e32 v1, s53
	v_add_co_u32_e32 v4, vcc, s52, v2
	v_addc_co_u32_e32 v1, vcc, v1, v3, vcc
	v_lshlrev_b64 v[2:3], 1, v[16:17]
	v_add_co_u32_e32 v12, vcc, v4, v2
	v_addc_co_u32_e32 v13, vcc, v1, v3, vcc
	v_xad_u32 v1, v0, -1, v14
	s_movk_i32 s2, 0x1700
	v_cmp_gt_u32_e32 vcc, s2, v1
	s_movk_i32 s2, 0x16ff
	v_cmp_lt_u32_e64 s[2:3], s2, v1
	s_and_saveexec_b64 s[8:9], s[2:3]
	s_cbranch_execz .LBB558_244
; %bb.234:
	v_sub_u32_e32 v2, v0, v14
	v_or_b32_e32 v2, 0xff, v2
	v_cmp_ge_u32_e64 s[2:3], v2, v0
	s_mov_b64 s[4:5], -1
	s_and_saveexec_b64 s[10:11], s[2:3]
	s_cbranch_execz .LBB558_243
; %bb.235:
	v_lshrrev_b32_e32 v15, 8, v1
	v_add_u32_e32 v4, -3, v15
	v_or_b32_e32 v3, 0x300, v0
	v_or_b32_e32 v2, 0x200, v0
	v_lshrrev_b32_e32 v5, 2, v4
	v_or_b32_e32 v1, 0x100, v0
	v_add_u32_e32 v18, 1, v5
	v_cmp_lt_u32_e64 s[2:3], 11, v4
	v_pk_mov_b32 v[6:7], v[2:3], v[2:3] op_sel:[0,1]
	v_mov_b32_e32 v21, 0
	v_lshlrev_b32_e32 v17, 1, v0
	v_pk_mov_b32 v[4:5], v[0:1], v[0:1] op_sel:[0,1]
	s_and_saveexec_b64 s[12:13], s[2:3]
	s_cbranch_execz .LBB558_239
; %bb.236:
	v_pk_mov_b32 v[6:7], v[2:3], v[2:3] op_sel:[0,1]
	v_and_b32_e32 v19, 0x7ffffffc, v18
	s_mov_b32 s16, 0
	s_mov_b64 s[14:15], 0
	v_mov_b32_e32 v11, 0
	v_mov_b32_e32 v20, v17
	v_pk_mov_b32 v[4:5], v[0:1], v[0:1] op_sel:[0,1]
.LBB558_237:                            ; =>This Inner Loop Header: Depth=1
	v_mov_b32_e32 v10, v4
	v_lshlrev_b64 v[38:39], 1, v[10:11]
	v_add_u32_e32 v24, 0x400, v5
	v_mov_b32_e32 v25, v11
	v_add_co_u32_e64 v38, s[4:5], v12, v38
	v_lshlrev_b64 v[24:25], 1, v[24:25]
	v_addc_co_u32_e64 v39, s[4:5], v13, v39, s[4:5]
	v_add_u32_e32 v22, 0x400, v6
	v_mov_b32_e32 v23, v11
	v_add_co_u32_e64 v24, s[4:5], v12, v24
	v_lshlrev_b64 v[22:23], 1, v[22:23]
	v_addc_co_u32_e64 v25, s[4:5], v13, v25, s[4:5]
	v_add_u32_e32 v2, 0x400, v7
	v_mov_b32_e32 v3, v11
	v_add_co_u32_e64 v22, s[4:5], v12, v22
	v_add_u32_e32 v19, -4, v19
	v_mov_b32_e32 v10, v5
	v_lshlrev_b64 v[2:3], 1, v[2:3]
	v_addc_co_u32_e64 v23, s[4:5], v13, v23, s[4:5]
	v_add_u32_e32 v30, 0x800, v5
	v_mov_b32_e32 v31, v11
	s_add_i32 s16, s16, 16
	v_cmp_eq_u32_e64 s[2:3], 0, v19
	v_lshlrev_b64 v[40:41], 1, v[10:11]
	v_add_co_u32_e64 v2, s[4:5], v12, v2
	v_lshlrev_b64 v[30:31], 1, v[30:31]
	v_mov_b32_e32 v10, v6
	v_addc_co_u32_e64 v3, s[4:5], v13, v3, s[4:5]
	s_or_b64 s[14:15], s[2:3], s[14:15]
	v_add_co_u32_e64 v40, s[2:3], v12, v40
	v_add_u32_e32 v28, 0x800, v6
	v_mov_b32_e32 v29, v11
	v_add_co_u32_e64 v30, s[4:5], v12, v30
	v_addc_co_u32_e64 v41, s[2:3], v13, v41, s[2:3]
	v_lshlrev_b64 v[42:43], 1, v[10:11]
	v_lshlrev_b64 v[28:29], 1, v[28:29]
	v_addc_co_u32_e64 v31, s[4:5], v13, v31, s[4:5]
	v_mov_b32_e32 v10, v7
	v_add_co_u32_e64 v42, s[2:3], v12, v42
	ds_read_u16 v1, v20
	ds_read_u16 v46, v20 offset:512
	ds_read_u16 v47, v20 offset:1024
	;; [unrolled: 1-line block ×7, first 2 shown]
	v_add_u32_e32 v26, 0x800, v7
	v_mov_b32_e32 v27, v11
	v_add_co_u32_e64 v28, s[4:5], v12, v28
	v_addc_co_u32_e64 v43, s[2:3], v13, v43, s[2:3]
	v_lshlrev_b64 v[44:45], 1, v[10:11]
	v_lshlrev_b64 v[26:27], 1, v[26:27]
	v_addc_co_u32_e64 v29, s[4:5], v13, v29, s[4:5]
	v_add_u32_e32 v10, 0x400, v4
	v_add_co_u32_e64 v44, s[2:3], v12, v44
	v_add_u32_e32 v36, 0xc00, v5
	ds_read_u16 v53, v20 offset:4096
	ds_read_u16 v54, v20 offset:4608
	;; [unrolled: 1-line block ×8, first 2 shown]
	v_mov_b32_e32 v37, v11
	v_add_co_u32_e64 v26, s[4:5], v12, v26
	v_addc_co_u32_e64 v45, s[2:3], v13, v45, s[2:3]
	s_waitcnt lgkmcnt(14)
	global_store_short v[38:39], v1, off
	global_store_short v[40:41], v46, off
	s_waitcnt lgkmcnt(13)
	global_store_short v[42:43], v47, off
	v_lshlrev_b64 v[38:39], 1, v[10:11]
	v_lshlrev_b64 v[36:37], 1, v[36:37]
	v_addc_co_u32_e64 v27, s[4:5], v13, v27, s[4:5]
	v_add_u32_e32 v10, 0x800, v4
	v_add_co_u32_e64 v38, s[2:3], v12, v38
	v_add_u32_e32 v34, 0xc00, v6
	v_mov_b32_e32 v35, v11
	v_add_co_u32_e64 v36, s[4:5], v12, v36
	v_addc_co_u32_e64 v39, s[2:3], v13, v39, s[2:3]
	v_lshlrev_b64 v[40:41], 1, v[10:11]
	v_lshlrev_b64 v[34:35], 1, v[34:35]
	v_addc_co_u32_e64 v37, s[4:5], v13, v37, s[4:5]
	s_waitcnt lgkmcnt(12)
	global_store_short v[44:45], v48, off
	v_add_u32_e32 v10, 0xc00, v4
	s_waitcnt lgkmcnt(11)
	global_store_short v[38:39], v49, off
	s_waitcnt lgkmcnt(10)
	global_store_short v[24:25], v50, off
	s_waitcnt lgkmcnt(9)
	global_store_short v[22:23], v51, off
	s_waitcnt lgkmcnt(8)
	global_store_short v[2:3], v52, off
	v_add_co_u32_e64 v2, s[2:3], v12, v40
	v_add_u32_e32 v32, 0xc00, v7
	v_mov_b32_e32 v33, v11
	v_add_co_u32_e64 v34, s[4:5], v12, v34
	v_addc_co_u32_e64 v3, s[2:3], v13, v41, s[2:3]
	v_lshlrev_b64 v[22:23], 1, v[10:11]
	v_lshlrev_b64 v[32:33], 1, v[32:33]
	v_addc_co_u32_e64 v35, s[4:5], v13, v35, s[4:5]
	s_waitcnt lgkmcnt(7)
	global_store_short v[2:3], v53, off
	s_waitcnt lgkmcnt(6)
	global_store_short v[30:31], v54, off
	;; [unrolled: 2-line block ×4, first 2 shown]
	v_add_co_u32_e64 v2, s[2:3], v12, v22
	v_add_u32_e32 v20, 0x2000, v20
	v_add_u32_e32 v5, 0x1000, v5
	v_mov_b32_e32 v21, s16
	v_add_co_u32_e64 v32, s[4:5], v12, v32
	v_add_u32_e32 v6, 0x1000, v6
	v_add_u32_e32 v7, 0x1000, v7
	;; [unrolled: 1-line block ×3, first 2 shown]
	v_addc_co_u32_e64 v3, s[2:3], v13, v23, s[2:3]
	v_addc_co_u32_e64 v33, s[4:5], v13, v33, s[4:5]
	s_waitcnt lgkmcnt(3)
	global_store_short v[2:3], v57, off
	s_waitcnt lgkmcnt(2)
	global_store_short v[36:37], v58, off
	;; [unrolled: 2-line block ×4, first 2 shown]
	s_andn2_b64 exec, exec, s[14:15]
	s_cbranch_execnz .LBB558_237
; %bb.238:
	s_or_b64 exec, exec, s[14:15]
.LBB558_239:
	s_or_b64 exec, exec, s[12:13]
	v_and_b32_e32 v1, 3, v18
	v_cmp_ne_u32_e64 s[2:3], 0, v1
	s_and_saveexec_b64 s[12:13], s[2:3]
	s_cbranch_execz .LBB558_242
; %bb.240:
	v_lshl_or_b32 v10, v21, 9, v17
	s_mov_b64 s[14:15], 0
	v_mov_b32_e32 v3, 0
.LBB558_241:                            ; =>This Inner Loop Header: Depth=1
	v_mov_b32_e32 v2, v4
	v_add_u32_e32 v1, -1, v1
	v_lshlrev_b64 v[18:19], 1, v[2:3]
	v_mov_b32_e32 v2, v5
	v_cmp_eq_u32_e64 s[2:3], 0, v1
	v_lshlrev_b64 v[20:21], 1, v[2:3]
	ds_read_u16 v11, v10
	ds_read_u16 v17, v10 offset:512
	ds_read_u16 v26, v10 offset:1024
	ds_read_u16 v27, v10 offset:1536
	v_mov_b32_e32 v2, v6
	s_or_b64 s[14:15], s[2:3], s[14:15]
	v_add_co_u32_e64 v20, s[2:3], v12, v20
	v_addc_co_u32_e64 v21, s[2:3], v13, v21, s[2:3]
	v_lshlrev_b64 v[22:23], 1, v[2:3]
	v_mov_b32_e32 v2, v7
	v_add_co_u32_e64 v22, s[2:3], v12, v22
	v_add_co_u32_e64 v18, s[4:5], v12, v18
	v_addc_co_u32_e64 v23, s[2:3], v13, v23, s[2:3]
	v_lshlrev_b64 v[24:25], 1, v[2:3]
	v_add_u32_e32 v4, 0x400, v4
	v_add_u32_e32 v10, 0x800, v10
	;; [unrolled: 1-line block ×3, first 2 shown]
	v_addc_co_u32_e64 v19, s[4:5], v13, v19, s[4:5]
	v_add_u32_e32 v6, 0x400, v6
	v_add_u32_e32 v7, 0x400, v7
	v_add_co_u32_e64 v24, s[2:3], v12, v24
	v_addc_co_u32_e64 v25, s[2:3], v13, v25, s[2:3]
	s_waitcnt lgkmcnt(3)
	global_store_short v[18:19], v11, off
	s_waitcnt lgkmcnt(2)
	global_store_short v[20:21], v17, off
	;; [unrolled: 2-line block ×4, first 2 shown]
	s_andn2_b64 exec, exec, s[14:15]
	s_cbranch_execnz .LBB558_241
.LBB558_242:
	s_or_b64 exec, exec, s[12:13]
	v_add_u32_e32 v1, 1, v15
	v_and_b32_e32 v2, 0x1fffffc, v1
	v_cmp_ne_u32_e64 s[2:3], v1, v2
	v_lshl_or_b32 v0, v2, 8, v0
	s_orn2_b64 s[4:5], s[2:3], exec
.LBB558_243:
	s_or_b64 exec, exec, s[10:11]
	s_andn2_b64 s[2:3], vcc, exec
	s_and_b64 s[4:5], s[4:5], exec
	s_or_b64 vcc, s[2:3], s[4:5]
.LBB558_244:
	s_or_b64 exec, exec, s[8:9]
	s_and_b64 exec, exec, vcc
	s_cbranch_execz .LBB558_247
; %bb.245:
	v_lshlrev_b32_e32 v2, 1, v0
	s_mov_b64 s[2:3], 0
	v_mov_b32_e32 v1, 0
.LBB558_246:                            ; =>This Inner Loop Header: Depth=1
	ds_read_u16 v3, v2
	v_lshlrev_b64 v[4:5], 1, v[0:1]
	v_add_co_u32_e32 v4, vcc, v12, v4
	v_add_u32_e32 v0, 0x100, v0
	v_addc_co_u32_e32 v5, vcc, v13, v5, vcc
	v_cmp_ge_u32_e32 vcc, v0, v14
	v_add_u32_e32 v2, 0x200, v2
	s_or_b64 s[2:3], vcc, s[2:3]
	s_waitcnt lgkmcnt(0)
	global_store_short v[4:5], v3, off
	s_andn2_b64 exec, exec, s[2:3]
	s_cbranch_execnz .LBB558_246
.LBB558_247:
	s_or_b64 exec, exec, s[6:7]
	s_and_b64 s[0:1], s[0:1], s[50:51]
	s_and_saveexec_b64 s[2:3], s[0:1]
	s_cbranch_execz .LBB558_120
.LBB558_248:
	v_add_co_u32_e32 v0, vcc, v8, v14
	v_addc_co_u32_e32 v1, vcc, 0, v9, vcc
	v_add_co_u32_e32 v0, vcc, v0, v16
	v_mov_b32_e32 v2, 0
	v_addc_co_u32_e32 v1, vcc, 0, v1, vcc
	global_store_dwordx2 v2, v[0:1], s[48:49]
	s_endpgm
	.section	.rodata,"a",@progbits
	.p2align	6, 0x0
	.amdhsa_kernel _ZN7rocprim17ROCPRIM_400000_NS6detail17trampoline_kernelINS0_14default_configENS1_25partition_config_selectorILNS1_17partition_subalgoE8EsNS0_10empty_typeEbEEZZNS1_14partition_implILS5_8ELb0ES3_jPKsPS6_PKS6_NS0_5tupleIJPsS6_EEENSE_IJSB_SB_EEENS0_18inequality_wrapperIN6hipcub16HIPCUB_304000_NS8EqualityEEEPlJS6_EEE10hipError_tPvRmT3_T4_T5_T6_T7_T9_mT8_P12ihipStream_tbDpT10_ENKUlT_T0_E_clISt17integral_constantIbLb1EES17_EEDaS12_S13_EUlS12_E_NS1_11comp_targetILNS1_3genE4ELNS1_11target_archE910ELNS1_3gpuE8ELNS1_3repE0EEENS1_30default_config_static_selectorELNS0_4arch9wavefront6targetE1EEEvT1_
		.amdhsa_group_segment_fixed_size 11272
		.amdhsa_private_segment_fixed_size 0
		.amdhsa_kernarg_size 128
		.amdhsa_user_sgpr_count 6
		.amdhsa_user_sgpr_private_segment_buffer 1
		.amdhsa_user_sgpr_dispatch_ptr 0
		.amdhsa_user_sgpr_queue_ptr 0
		.amdhsa_user_sgpr_kernarg_segment_ptr 1
		.amdhsa_user_sgpr_dispatch_id 0
		.amdhsa_user_sgpr_flat_scratch_init 0
		.amdhsa_user_sgpr_kernarg_preload_length 0
		.amdhsa_user_sgpr_kernarg_preload_offset 0
		.amdhsa_user_sgpr_private_segment_size 0
		.amdhsa_uses_dynamic_stack 0
		.amdhsa_system_sgpr_private_segment_wavefront_offset 0
		.amdhsa_system_sgpr_workgroup_id_x 1
		.amdhsa_system_sgpr_workgroup_id_y 0
		.amdhsa_system_sgpr_workgroup_id_z 0
		.amdhsa_system_sgpr_workgroup_info 0
		.amdhsa_system_vgpr_workitem_id 0
		.amdhsa_next_free_vgpr 98
		.amdhsa_next_free_sgpr 65
		.amdhsa_accum_offset 100
		.amdhsa_reserve_vcc 1
		.amdhsa_reserve_flat_scratch 0
		.amdhsa_float_round_mode_32 0
		.amdhsa_float_round_mode_16_64 0
		.amdhsa_float_denorm_mode_32 3
		.amdhsa_float_denorm_mode_16_64 3
		.amdhsa_dx10_clamp 1
		.amdhsa_ieee_mode 1
		.amdhsa_fp16_overflow 0
		.amdhsa_tg_split 0
		.amdhsa_exception_fp_ieee_invalid_op 0
		.amdhsa_exception_fp_denorm_src 0
		.amdhsa_exception_fp_ieee_div_zero 0
		.amdhsa_exception_fp_ieee_overflow 0
		.amdhsa_exception_fp_ieee_underflow 0
		.amdhsa_exception_fp_ieee_inexact 0
		.amdhsa_exception_int_div_zero 0
	.end_amdhsa_kernel
	.section	.text._ZN7rocprim17ROCPRIM_400000_NS6detail17trampoline_kernelINS0_14default_configENS1_25partition_config_selectorILNS1_17partition_subalgoE8EsNS0_10empty_typeEbEEZZNS1_14partition_implILS5_8ELb0ES3_jPKsPS6_PKS6_NS0_5tupleIJPsS6_EEENSE_IJSB_SB_EEENS0_18inequality_wrapperIN6hipcub16HIPCUB_304000_NS8EqualityEEEPlJS6_EEE10hipError_tPvRmT3_T4_T5_T6_T7_T9_mT8_P12ihipStream_tbDpT10_ENKUlT_T0_E_clISt17integral_constantIbLb1EES17_EEDaS12_S13_EUlS12_E_NS1_11comp_targetILNS1_3genE4ELNS1_11target_archE910ELNS1_3gpuE8ELNS1_3repE0EEENS1_30default_config_static_selectorELNS0_4arch9wavefront6targetE1EEEvT1_,"axG",@progbits,_ZN7rocprim17ROCPRIM_400000_NS6detail17trampoline_kernelINS0_14default_configENS1_25partition_config_selectorILNS1_17partition_subalgoE8EsNS0_10empty_typeEbEEZZNS1_14partition_implILS5_8ELb0ES3_jPKsPS6_PKS6_NS0_5tupleIJPsS6_EEENSE_IJSB_SB_EEENS0_18inequality_wrapperIN6hipcub16HIPCUB_304000_NS8EqualityEEEPlJS6_EEE10hipError_tPvRmT3_T4_T5_T6_T7_T9_mT8_P12ihipStream_tbDpT10_ENKUlT_T0_E_clISt17integral_constantIbLb1EES17_EEDaS12_S13_EUlS12_E_NS1_11comp_targetILNS1_3genE4ELNS1_11target_archE910ELNS1_3gpuE8ELNS1_3repE0EEENS1_30default_config_static_selectorELNS0_4arch9wavefront6targetE1EEEvT1_,comdat
.Lfunc_end558:
	.size	_ZN7rocprim17ROCPRIM_400000_NS6detail17trampoline_kernelINS0_14default_configENS1_25partition_config_selectorILNS1_17partition_subalgoE8EsNS0_10empty_typeEbEEZZNS1_14partition_implILS5_8ELb0ES3_jPKsPS6_PKS6_NS0_5tupleIJPsS6_EEENSE_IJSB_SB_EEENS0_18inequality_wrapperIN6hipcub16HIPCUB_304000_NS8EqualityEEEPlJS6_EEE10hipError_tPvRmT3_T4_T5_T6_T7_T9_mT8_P12ihipStream_tbDpT10_ENKUlT_T0_E_clISt17integral_constantIbLb1EES17_EEDaS12_S13_EUlS12_E_NS1_11comp_targetILNS1_3genE4ELNS1_11target_archE910ELNS1_3gpuE8ELNS1_3repE0EEENS1_30default_config_static_selectorELNS0_4arch9wavefront6targetE1EEEvT1_, .Lfunc_end558-_ZN7rocprim17ROCPRIM_400000_NS6detail17trampoline_kernelINS0_14default_configENS1_25partition_config_selectorILNS1_17partition_subalgoE8EsNS0_10empty_typeEbEEZZNS1_14partition_implILS5_8ELb0ES3_jPKsPS6_PKS6_NS0_5tupleIJPsS6_EEENSE_IJSB_SB_EEENS0_18inequality_wrapperIN6hipcub16HIPCUB_304000_NS8EqualityEEEPlJS6_EEE10hipError_tPvRmT3_T4_T5_T6_T7_T9_mT8_P12ihipStream_tbDpT10_ENKUlT_T0_E_clISt17integral_constantIbLb1EES17_EEDaS12_S13_EUlS12_E_NS1_11comp_targetILNS1_3genE4ELNS1_11target_archE910ELNS1_3gpuE8ELNS1_3repE0EEENS1_30default_config_static_selectorELNS0_4arch9wavefront6targetE1EEEvT1_
                                        ; -- End function
	.section	.AMDGPU.csdata,"",@progbits
; Kernel info:
; codeLenInByte = 10776
; NumSgprs: 69
; NumVgprs: 98
; NumAgprs: 0
; TotalNumVgprs: 98
; ScratchSize: 0
; MemoryBound: 0
; FloatMode: 240
; IeeeMode: 1
; LDSByteSize: 11272 bytes/workgroup (compile time only)
; SGPRBlocks: 8
; VGPRBlocks: 12
; NumSGPRsForWavesPerEU: 69
; NumVGPRsForWavesPerEU: 98
; AccumOffset: 100
; Occupancy: 4
; WaveLimiterHint : 1
; COMPUTE_PGM_RSRC2:SCRATCH_EN: 0
; COMPUTE_PGM_RSRC2:USER_SGPR: 6
; COMPUTE_PGM_RSRC2:TRAP_HANDLER: 0
; COMPUTE_PGM_RSRC2:TGID_X_EN: 1
; COMPUTE_PGM_RSRC2:TGID_Y_EN: 0
; COMPUTE_PGM_RSRC2:TGID_Z_EN: 0
; COMPUTE_PGM_RSRC2:TIDIG_COMP_CNT: 0
; COMPUTE_PGM_RSRC3_GFX90A:ACCUM_OFFSET: 24
; COMPUTE_PGM_RSRC3_GFX90A:TG_SPLIT: 0
	.section	.text._ZN7rocprim17ROCPRIM_400000_NS6detail17trampoline_kernelINS0_14default_configENS1_25partition_config_selectorILNS1_17partition_subalgoE8EsNS0_10empty_typeEbEEZZNS1_14partition_implILS5_8ELb0ES3_jPKsPS6_PKS6_NS0_5tupleIJPsS6_EEENSE_IJSB_SB_EEENS0_18inequality_wrapperIN6hipcub16HIPCUB_304000_NS8EqualityEEEPlJS6_EEE10hipError_tPvRmT3_T4_T5_T6_T7_T9_mT8_P12ihipStream_tbDpT10_ENKUlT_T0_E_clISt17integral_constantIbLb1EES17_EEDaS12_S13_EUlS12_E_NS1_11comp_targetILNS1_3genE3ELNS1_11target_archE908ELNS1_3gpuE7ELNS1_3repE0EEENS1_30default_config_static_selectorELNS0_4arch9wavefront6targetE1EEEvT1_,"axG",@progbits,_ZN7rocprim17ROCPRIM_400000_NS6detail17trampoline_kernelINS0_14default_configENS1_25partition_config_selectorILNS1_17partition_subalgoE8EsNS0_10empty_typeEbEEZZNS1_14partition_implILS5_8ELb0ES3_jPKsPS6_PKS6_NS0_5tupleIJPsS6_EEENSE_IJSB_SB_EEENS0_18inequality_wrapperIN6hipcub16HIPCUB_304000_NS8EqualityEEEPlJS6_EEE10hipError_tPvRmT3_T4_T5_T6_T7_T9_mT8_P12ihipStream_tbDpT10_ENKUlT_T0_E_clISt17integral_constantIbLb1EES17_EEDaS12_S13_EUlS12_E_NS1_11comp_targetILNS1_3genE3ELNS1_11target_archE908ELNS1_3gpuE7ELNS1_3repE0EEENS1_30default_config_static_selectorELNS0_4arch9wavefront6targetE1EEEvT1_,comdat
	.protected	_ZN7rocprim17ROCPRIM_400000_NS6detail17trampoline_kernelINS0_14default_configENS1_25partition_config_selectorILNS1_17partition_subalgoE8EsNS0_10empty_typeEbEEZZNS1_14partition_implILS5_8ELb0ES3_jPKsPS6_PKS6_NS0_5tupleIJPsS6_EEENSE_IJSB_SB_EEENS0_18inequality_wrapperIN6hipcub16HIPCUB_304000_NS8EqualityEEEPlJS6_EEE10hipError_tPvRmT3_T4_T5_T6_T7_T9_mT8_P12ihipStream_tbDpT10_ENKUlT_T0_E_clISt17integral_constantIbLb1EES17_EEDaS12_S13_EUlS12_E_NS1_11comp_targetILNS1_3genE3ELNS1_11target_archE908ELNS1_3gpuE7ELNS1_3repE0EEENS1_30default_config_static_selectorELNS0_4arch9wavefront6targetE1EEEvT1_ ; -- Begin function _ZN7rocprim17ROCPRIM_400000_NS6detail17trampoline_kernelINS0_14default_configENS1_25partition_config_selectorILNS1_17partition_subalgoE8EsNS0_10empty_typeEbEEZZNS1_14partition_implILS5_8ELb0ES3_jPKsPS6_PKS6_NS0_5tupleIJPsS6_EEENSE_IJSB_SB_EEENS0_18inequality_wrapperIN6hipcub16HIPCUB_304000_NS8EqualityEEEPlJS6_EEE10hipError_tPvRmT3_T4_T5_T6_T7_T9_mT8_P12ihipStream_tbDpT10_ENKUlT_T0_E_clISt17integral_constantIbLb1EES17_EEDaS12_S13_EUlS12_E_NS1_11comp_targetILNS1_3genE3ELNS1_11target_archE908ELNS1_3gpuE7ELNS1_3repE0EEENS1_30default_config_static_selectorELNS0_4arch9wavefront6targetE1EEEvT1_
	.globl	_ZN7rocprim17ROCPRIM_400000_NS6detail17trampoline_kernelINS0_14default_configENS1_25partition_config_selectorILNS1_17partition_subalgoE8EsNS0_10empty_typeEbEEZZNS1_14partition_implILS5_8ELb0ES3_jPKsPS6_PKS6_NS0_5tupleIJPsS6_EEENSE_IJSB_SB_EEENS0_18inequality_wrapperIN6hipcub16HIPCUB_304000_NS8EqualityEEEPlJS6_EEE10hipError_tPvRmT3_T4_T5_T6_T7_T9_mT8_P12ihipStream_tbDpT10_ENKUlT_T0_E_clISt17integral_constantIbLb1EES17_EEDaS12_S13_EUlS12_E_NS1_11comp_targetILNS1_3genE3ELNS1_11target_archE908ELNS1_3gpuE7ELNS1_3repE0EEENS1_30default_config_static_selectorELNS0_4arch9wavefront6targetE1EEEvT1_
	.p2align	8
	.type	_ZN7rocprim17ROCPRIM_400000_NS6detail17trampoline_kernelINS0_14default_configENS1_25partition_config_selectorILNS1_17partition_subalgoE8EsNS0_10empty_typeEbEEZZNS1_14partition_implILS5_8ELb0ES3_jPKsPS6_PKS6_NS0_5tupleIJPsS6_EEENSE_IJSB_SB_EEENS0_18inequality_wrapperIN6hipcub16HIPCUB_304000_NS8EqualityEEEPlJS6_EEE10hipError_tPvRmT3_T4_T5_T6_T7_T9_mT8_P12ihipStream_tbDpT10_ENKUlT_T0_E_clISt17integral_constantIbLb1EES17_EEDaS12_S13_EUlS12_E_NS1_11comp_targetILNS1_3genE3ELNS1_11target_archE908ELNS1_3gpuE7ELNS1_3repE0EEENS1_30default_config_static_selectorELNS0_4arch9wavefront6targetE1EEEvT1_,@function
_ZN7rocprim17ROCPRIM_400000_NS6detail17trampoline_kernelINS0_14default_configENS1_25partition_config_selectorILNS1_17partition_subalgoE8EsNS0_10empty_typeEbEEZZNS1_14partition_implILS5_8ELb0ES3_jPKsPS6_PKS6_NS0_5tupleIJPsS6_EEENSE_IJSB_SB_EEENS0_18inequality_wrapperIN6hipcub16HIPCUB_304000_NS8EqualityEEEPlJS6_EEE10hipError_tPvRmT3_T4_T5_T6_T7_T9_mT8_P12ihipStream_tbDpT10_ENKUlT_T0_E_clISt17integral_constantIbLb1EES17_EEDaS12_S13_EUlS12_E_NS1_11comp_targetILNS1_3genE3ELNS1_11target_archE908ELNS1_3gpuE7ELNS1_3repE0EEENS1_30default_config_static_selectorELNS0_4arch9wavefront6targetE1EEEvT1_: ; @_ZN7rocprim17ROCPRIM_400000_NS6detail17trampoline_kernelINS0_14default_configENS1_25partition_config_selectorILNS1_17partition_subalgoE8EsNS0_10empty_typeEbEEZZNS1_14partition_implILS5_8ELb0ES3_jPKsPS6_PKS6_NS0_5tupleIJPsS6_EEENSE_IJSB_SB_EEENS0_18inequality_wrapperIN6hipcub16HIPCUB_304000_NS8EqualityEEEPlJS6_EEE10hipError_tPvRmT3_T4_T5_T6_T7_T9_mT8_P12ihipStream_tbDpT10_ENKUlT_T0_E_clISt17integral_constantIbLb1EES17_EEDaS12_S13_EUlS12_E_NS1_11comp_targetILNS1_3genE3ELNS1_11target_archE908ELNS1_3gpuE7ELNS1_3repE0EEENS1_30default_config_static_selectorELNS0_4arch9wavefront6targetE1EEEvT1_
; %bb.0:
	.section	.rodata,"a",@progbits
	.p2align	6, 0x0
	.amdhsa_kernel _ZN7rocprim17ROCPRIM_400000_NS6detail17trampoline_kernelINS0_14default_configENS1_25partition_config_selectorILNS1_17partition_subalgoE8EsNS0_10empty_typeEbEEZZNS1_14partition_implILS5_8ELb0ES3_jPKsPS6_PKS6_NS0_5tupleIJPsS6_EEENSE_IJSB_SB_EEENS0_18inequality_wrapperIN6hipcub16HIPCUB_304000_NS8EqualityEEEPlJS6_EEE10hipError_tPvRmT3_T4_T5_T6_T7_T9_mT8_P12ihipStream_tbDpT10_ENKUlT_T0_E_clISt17integral_constantIbLb1EES17_EEDaS12_S13_EUlS12_E_NS1_11comp_targetILNS1_3genE3ELNS1_11target_archE908ELNS1_3gpuE7ELNS1_3repE0EEENS1_30default_config_static_selectorELNS0_4arch9wavefront6targetE1EEEvT1_
		.amdhsa_group_segment_fixed_size 0
		.amdhsa_private_segment_fixed_size 0
		.amdhsa_kernarg_size 128
		.amdhsa_user_sgpr_count 6
		.amdhsa_user_sgpr_private_segment_buffer 1
		.amdhsa_user_sgpr_dispatch_ptr 0
		.amdhsa_user_sgpr_queue_ptr 0
		.amdhsa_user_sgpr_kernarg_segment_ptr 1
		.amdhsa_user_sgpr_dispatch_id 0
		.amdhsa_user_sgpr_flat_scratch_init 0
		.amdhsa_user_sgpr_kernarg_preload_length 0
		.amdhsa_user_sgpr_kernarg_preload_offset 0
		.amdhsa_user_sgpr_private_segment_size 0
		.amdhsa_uses_dynamic_stack 0
		.amdhsa_system_sgpr_private_segment_wavefront_offset 0
		.amdhsa_system_sgpr_workgroup_id_x 1
		.amdhsa_system_sgpr_workgroup_id_y 0
		.amdhsa_system_sgpr_workgroup_id_z 0
		.amdhsa_system_sgpr_workgroup_info 0
		.amdhsa_system_vgpr_workitem_id 0
		.amdhsa_next_free_vgpr 1
		.amdhsa_next_free_sgpr 0
		.amdhsa_accum_offset 4
		.amdhsa_reserve_vcc 0
		.amdhsa_reserve_flat_scratch 0
		.amdhsa_float_round_mode_32 0
		.amdhsa_float_round_mode_16_64 0
		.amdhsa_float_denorm_mode_32 3
		.amdhsa_float_denorm_mode_16_64 3
		.amdhsa_dx10_clamp 1
		.amdhsa_ieee_mode 1
		.amdhsa_fp16_overflow 0
		.amdhsa_tg_split 0
		.amdhsa_exception_fp_ieee_invalid_op 0
		.amdhsa_exception_fp_denorm_src 0
		.amdhsa_exception_fp_ieee_div_zero 0
		.amdhsa_exception_fp_ieee_overflow 0
		.amdhsa_exception_fp_ieee_underflow 0
		.amdhsa_exception_fp_ieee_inexact 0
		.amdhsa_exception_int_div_zero 0
	.end_amdhsa_kernel
	.section	.text._ZN7rocprim17ROCPRIM_400000_NS6detail17trampoline_kernelINS0_14default_configENS1_25partition_config_selectorILNS1_17partition_subalgoE8EsNS0_10empty_typeEbEEZZNS1_14partition_implILS5_8ELb0ES3_jPKsPS6_PKS6_NS0_5tupleIJPsS6_EEENSE_IJSB_SB_EEENS0_18inequality_wrapperIN6hipcub16HIPCUB_304000_NS8EqualityEEEPlJS6_EEE10hipError_tPvRmT3_T4_T5_T6_T7_T9_mT8_P12ihipStream_tbDpT10_ENKUlT_T0_E_clISt17integral_constantIbLb1EES17_EEDaS12_S13_EUlS12_E_NS1_11comp_targetILNS1_3genE3ELNS1_11target_archE908ELNS1_3gpuE7ELNS1_3repE0EEENS1_30default_config_static_selectorELNS0_4arch9wavefront6targetE1EEEvT1_,"axG",@progbits,_ZN7rocprim17ROCPRIM_400000_NS6detail17trampoline_kernelINS0_14default_configENS1_25partition_config_selectorILNS1_17partition_subalgoE8EsNS0_10empty_typeEbEEZZNS1_14partition_implILS5_8ELb0ES3_jPKsPS6_PKS6_NS0_5tupleIJPsS6_EEENSE_IJSB_SB_EEENS0_18inequality_wrapperIN6hipcub16HIPCUB_304000_NS8EqualityEEEPlJS6_EEE10hipError_tPvRmT3_T4_T5_T6_T7_T9_mT8_P12ihipStream_tbDpT10_ENKUlT_T0_E_clISt17integral_constantIbLb1EES17_EEDaS12_S13_EUlS12_E_NS1_11comp_targetILNS1_3genE3ELNS1_11target_archE908ELNS1_3gpuE7ELNS1_3repE0EEENS1_30default_config_static_selectorELNS0_4arch9wavefront6targetE1EEEvT1_,comdat
.Lfunc_end559:
	.size	_ZN7rocprim17ROCPRIM_400000_NS6detail17trampoline_kernelINS0_14default_configENS1_25partition_config_selectorILNS1_17partition_subalgoE8EsNS0_10empty_typeEbEEZZNS1_14partition_implILS5_8ELb0ES3_jPKsPS6_PKS6_NS0_5tupleIJPsS6_EEENSE_IJSB_SB_EEENS0_18inequality_wrapperIN6hipcub16HIPCUB_304000_NS8EqualityEEEPlJS6_EEE10hipError_tPvRmT3_T4_T5_T6_T7_T9_mT8_P12ihipStream_tbDpT10_ENKUlT_T0_E_clISt17integral_constantIbLb1EES17_EEDaS12_S13_EUlS12_E_NS1_11comp_targetILNS1_3genE3ELNS1_11target_archE908ELNS1_3gpuE7ELNS1_3repE0EEENS1_30default_config_static_selectorELNS0_4arch9wavefront6targetE1EEEvT1_, .Lfunc_end559-_ZN7rocprim17ROCPRIM_400000_NS6detail17trampoline_kernelINS0_14default_configENS1_25partition_config_selectorILNS1_17partition_subalgoE8EsNS0_10empty_typeEbEEZZNS1_14partition_implILS5_8ELb0ES3_jPKsPS6_PKS6_NS0_5tupleIJPsS6_EEENSE_IJSB_SB_EEENS0_18inequality_wrapperIN6hipcub16HIPCUB_304000_NS8EqualityEEEPlJS6_EEE10hipError_tPvRmT3_T4_T5_T6_T7_T9_mT8_P12ihipStream_tbDpT10_ENKUlT_T0_E_clISt17integral_constantIbLb1EES17_EEDaS12_S13_EUlS12_E_NS1_11comp_targetILNS1_3genE3ELNS1_11target_archE908ELNS1_3gpuE7ELNS1_3repE0EEENS1_30default_config_static_selectorELNS0_4arch9wavefront6targetE1EEEvT1_
                                        ; -- End function
	.section	.AMDGPU.csdata,"",@progbits
; Kernel info:
; codeLenInByte = 0
; NumSgprs: 4
; NumVgprs: 0
; NumAgprs: 0
; TotalNumVgprs: 0
; ScratchSize: 0
; MemoryBound: 0
; FloatMode: 240
; IeeeMode: 1
; LDSByteSize: 0 bytes/workgroup (compile time only)
; SGPRBlocks: 0
; VGPRBlocks: 0
; NumSGPRsForWavesPerEU: 4
; NumVGPRsForWavesPerEU: 1
; AccumOffset: 4
; Occupancy: 8
; WaveLimiterHint : 0
; COMPUTE_PGM_RSRC2:SCRATCH_EN: 0
; COMPUTE_PGM_RSRC2:USER_SGPR: 6
; COMPUTE_PGM_RSRC2:TRAP_HANDLER: 0
; COMPUTE_PGM_RSRC2:TGID_X_EN: 1
; COMPUTE_PGM_RSRC2:TGID_Y_EN: 0
; COMPUTE_PGM_RSRC2:TGID_Z_EN: 0
; COMPUTE_PGM_RSRC2:TIDIG_COMP_CNT: 0
; COMPUTE_PGM_RSRC3_GFX90A:ACCUM_OFFSET: 0
; COMPUTE_PGM_RSRC3_GFX90A:TG_SPLIT: 0
	.section	.text._ZN7rocprim17ROCPRIM_400000_NS6detail17trampoline_kernelINS0_14default_configENS1_25partition_config_selectorILNS1_17partition_subalgoE8EsNS0_10empty_typeEbEEZZNS1_14partition_implILS5_8ELb0ES3_jPKsPS6_PKS6_NS0_5tupleIJPsS6_EEENSE_IJSB_SB_EEENS0_18inequality_wrapperIN6hipcub16HIPCUB_304000_NS8EqualityEEEPlJS6_EEE10hipError_tPvRmT3_T4_T5_T6_T7_T9_mT8_P12ihipStream_tbDpT10_ENKUlT_T0_E_clISt17integral_constantIbLb1EES17_EEDaS12_S13_EUlS12_E_NS1_11comp_targetILNS1_3genE2ELNS1_11target_archE906ELNS1_3gpuE6ELNS1_3repE0EEENS1_30default_config_static_selectorELNS0_4arch9wavefront6targetE1EEEvT1_,"axG",@progbits,_ZN7rocprim17ROCPRIM_400000_NS6detail17trampoline_kernelINS0_14default_configENS1_25partition_config_selectorILNS1_17partition_subalgoE8EsNS0_10empty_typeEbEEZZNS1_14partition_implILS5_8ELb0ES3_jPKsPS6_PKS6_NS0_5tupleIJPsS6_EEENSE_IJSB_SB_EEENS0_18inequality_wrapperIN6hipcub16HIPCUB_304000_NS8EqualityEEEPlJS6_EEE10hipError_tPvRmT3_T4_T5_T6_T7_T9_mT8_P12ihipStream_tbDpT10_ENKUlT_T0_E_clISt17integral_constantIbLb1EES17_EEDaS12_S13_EUlS12_E_NS1_11comp_targetILNS1_3genE2ELNS1_11target_archE906ELNS1_3gpuE6ELNS1_3repE0EEENS1_30default_config_static_selectorELNS0_4arch9wavefront6targetE1EEEvT1_,comdat
	.protected	_ZN7rocprim17ROCPRIM_400000_NS6detail17trampoline_kernelINS0_14default_configENS1_25partition_config_selectorILNS1_17partition_subalgoE8EsNS0_10empty_typeEbEEZZNS1_14partition_implILS5_8ELb0ES3_jPKsPS6_PKS6_NS0_5tupleIJPsS6_EEENSE_IJSB_SB_EEENS0_18inequality_wrapperIN6hipcub16HIPCUB_304000_NS8EqualityEEEPlJS6_EEE10hipError_tPvRmT3_T4_T5_T6_T7_T9_mT8_P12ihipStream_tbDpT10_ENKUlT_T0_E_clISt17integral_constantIbLb1EES17_EEDaS12_S13_EUlS12_E_NS1_11comp_targetILNS1_3genE2ELNS1_11target_archE906ELNS1_3gpuE6ELNS1_3repE0EEENS1_30default_config_static_selectorELNS0_4arch9wavefront6targetE1EEEvT1_ ; -- Begin function _ZN7rocprim17ROCPRIM_400000_NS6detail17trampoline_kernelINS0_14default_configENS1_25partition_config_selectorILNS1_17partition_subalgoE8EsNS0_10empty_typeEbEEZZNS1_14partition_implILS5_8ELb0ES3_jPKsPS6_PKS6_NS0_5tupleIJPsS6_EEENSE_IJSB_SB_EEENS0_18inequality_wrapperIN6hipcub16HIPCUB_304000_NS8EqualityEEEPlJS6_EEE10hipError_tPvRmT3_T4_T5_T6_T7_T9_mT8_P12ihipStream_tbDpT10_ENKUlT_T0_E_clISt17integral_constantIbLb1EES17_EEDaS12_S13_EUlS12_E_NS1_11comp_targetILNS1_3genE2ELNS1_11target_archE906ELNS1_3gpuE6ELNS1_3repE0EEENS1_30default_config_static_selectorELNS0_4arch9wavefront6targetE1EEEvT1_
	.globl	_ZN7rocprim17ROCPRIM_400000_NS6detail17trampoline_kernelINS0_14default_configENS1_25partition_config_selectorILNS1_17partition_subalgoE8EsNS0_10empty_typeEbEEZZNS1_14partition_implILS5_8ELb0ES3_jPKsPS6_PKS6_NS0_5tupleIJPsS6_EEENSE_IJSB_SB_EEENS0_18inequality_wrapperIN6hipcub16HIPCUB_304000_NS8EqualityEEEPlJS6_EEE10hipError_tPvRmT3_T4_T5_T6_T7_T9_mT8_P12ihipStream_tbDpT10_ENKUlT_T0_E_clISt17integral_constantIbLb1EES17_EEDaS12_S13_EUlS12_E_NS1_11comp_targetILNS1_3genE2ELNS1_11target_archE906ELNS1_3gpuE6ELNS1_3repE0EEENS1_30default_config_static_selectorELNS0_4arch9wavefront6targetE1EEEvT1_
	.p2align	8
	.type	_ZN7rocprim17ROCPRIM_400000_NS6detail17trampoline_kernelINS0_14default_configENS1_25partition_config_selectorILNS1_17partition_subalgoE8EsNS0_10empty_typeEbEEZZNS1_14partition_implILS5_8ELb0ES3_jPKsPS6_PKS6_NS0_5tupleIJPsS6_EEENSE_IJSB_SB_EEENS0_18inequality_wrapperIN6hipcub16HIPCUB_304000_NS8EqualityEEEPlJS6_EEE10hipError_tPvRmT3_T4_T5_T6_T7_T9_mT8_P12ihipStream_tbDpT10_ENKUlT_T0_E_clISt17integral_constantIbLb1EES17_EEDaS12_S13_EUlS12_E_NS1_11comp_targetILNS1_3genE2ELNS1_11target_archE906ELNS1_3gpuE6ELNS1_3repE0EEENS1_30default_config_static_selectorELNS0_4arch9wavefront6targetE1EEEvT1_,@function
_ZN7rocprim17ROCPRIM_400000_NS6detail17trampoline_kernelINS0_14default_configENS1_25partition_config_selectorILNS1_17partition_subalgoE8EsNS0_10empty_typeEbEEZZNS1_14partition_implILS5_8ELb0ES3_jPKsPS6_PKS6_NS0_5tupleIJPsS6_EEENSE_IJSB_SB_EEENS0_18inequality_wrapperIN6hipcub16HIPCUB_304000_NS8EqualityEEEPlJS6_EEE10hipError_tPvRmT3_T4_T5_T6_T7_T9_mT8_P12ihipStream_tbDpT10_ENKUlT_T0_E_clISt17integral_constantIbLb1EES17_EEDaS12_S13_EUlS12_E_NS1_11comp_targetILNS1_3genE2ELNS1_11target_archE906ELNS1_3gpuE6ELNS1_3repE0EEENS1_30default_config_static_selectorELNS0_4arch9wavefront6targetE1EEEvT1_: ; @_ZN7rocprim17ROCPRIM_400000_NS6detail17trampoline_kernelINS0_14default_configENS1_25partition_config_selectorILNS1_17partition_subalgoE8EsNS0_10empty_typeEbEEZZNS1_14partition_implILS5_8ELb0ES3_jPKsPS6_PKS6_NS0_5tupleIJPsS6_EEENSE_IJSB_SB_EEENS0_18inequality_wrapperIN6hipcub16HIPCUB_304000_NS8EqualityEEEPlJS6_EEE10hipError_tPvRmT3_T4_T5_T6_T7_T9_mT8_P12ihipStream_tbDpT10_ENKUlT_T0_E_clISt17integral_constantIbLb1EES17_EEDaS12_S13_EUlS12_E_NS1_11comp_targetILNS1_3genE2ELNS1_11target_archE906ELNS1_3gpuE6ELNS1_3repE0EEENS1_30default_config_static_selectorELNS0_4arch9wavefront6targetE1EEEvT1_
; %bb.0:
	.section	.rodata,"a",@progbits
	.p2align	6, 0x0
	.amdhsa_kernel _ZN7rocprim17ROCPRIM_400000_NS6detail17trampoline_kernelINS0_14default_configENS1_25partition_config_selectorILNS1_17partition_subalgoE8EsNS0_10empty_typeEbEEZZNS1_14partition_implILS5_8ELb0ES3_jPKsPS6_PKS6_NS0_5tupleIJPsS6_EEENSE_IJSB_SB_EEENS0_18inequality_wrapperIN6hipcub16HIPCUB_304000_NS8EqualityEEEPlJS6_EEE10hipError_tPvRmT3_T4_T5_T6_T7_T9_mT8_P12ihipStream_tbDpT10_ENKUlT_T0_E_clISt17integral_constantIbLb1EES17_EEDaS12_S13_EUlS12_E_NS1_11comp_targetILNS1_3genE2ELNS1_11target_archE906ELNS1_3gpuE6ELNS1_3repE0EEENS1_30default_config_static_selectorELNS0_4arch9wavefront6targetE1EEEvT1_
		.amdhsa_group_segment_fixed_size 0
		.amdhsa_private_segment_fixed_size 0
		.amdhsa_kernarg_size 128
		.amdhsa_user_sgpr_count 6
		.amdhsa_user_sgpr_private_segment_buffer 1
		.amdhsa_user_sgpr_dispatch_ptr 0
		.amdhsa_user_sgpr_queue_ptr 0
		.amdhsa_user_sgpr_kernarg_segment_ptr 1
		.amdhsa_user_sgpr_dispatch_id 0
		.amdhsa_user_sgpr_flat_scratch_init 0
		.amdhsa_user_sgpr_kernarg_preload_length 0
		.amdhsa_user_sgpr_kernarg_preload_offset 0
		.amdhsa_user_sgpr_private_segment_size 0
		.amdhsa_uses_dynamic_stack 0
		.amdhsa_system_sgpr_private_segment_wavefront_offset 0
		.amdhsa_system_sgpr_workgroup_id_x 1
		.amdhsa_system_sgpr_workgroup_id_y 0
		.amdhsa_system_sgpr_workgroup_id_z 0
		.amdhsa_system_sgpr_workgroup_info 0
		.amdhsa_system_vgpr_workitem_id 0
		.amdhsa_next_free_vgpr 1
		.amdhsa_next_free_sgpr 0
		.amdhsa_accum_offset 4
		.amdhsa_reserve_vcc 0
		.amdhsa_reserve_flat_scratch 0
		.amdhsa_float_round_mode_32 0
		.amdhsa_float_round_mode_16_64 0
		.amdhsa_float_denorm_mode_32 3
		.amdhsa_float_denorm_mode_16_64 3
		.amdhsa_dx10_clamp 1
		.amdhsa_ieee_mode 1
		.amdhsa_fp16_overflow 0
		.amdhsa_tg_split 0
		.amdhsa_exception_fp_ieee_invalid_op 0
		.amdhsa_exception_fp_denorm_src 0
		.amdhsa_exception_fp_ieee_div_zero 0
		.amdhsa_exception_fp_ieee_overflow 0
		.amdhsa_exception_fp_ieee_underflow 0
		.amdhsa_exception_fp_ieee_inexact 0
		.amdhsa_exception_int_div_zero 0
	.end_amdhsa_kernel
	.section	.text._ZN7rocprim17ROCPRIM_400000_NS6detail17trampoline_kernelINS0_14default_configENS1_25partition_config_selectorILNS1_17partition_subalgoE8EsNS0_10empty_typeEbEEZZNS1_14partition_implILS5_8ELb0ES3_jPKsPS6_PKS6_NS0_5tupleIJPsS6_EEENSE_IJSB_SB_EEENS0_18inequality_wrapperIN6hipcub16HIPCUB_304000_NS8EqualityEEEPlJS6_EEE10hipError_tPvRmT3_T4_T5_T6_T7_T9_mT8_P12ihipStream_tbDpT10_ENKUlT_T0_E_clISt17integral_constantIbLb1EES17_EEDaS12_S13_EUlS12_E_NS1_11comp_targetILNS1_3genE2ELNS1_11target_archE906ELNS1_3gpuE6ELNS1_3repE0EEENS1_30default_config_static_selectorELNS0_4arch9wavefront6targetE1EEEvT1_,"axG",@progbits,_ZN7rocprim17ROCPRIM_400000_NS6detail17trampoline_kernelINS0_14default_configENS1_25partition_config_selectorILNS1_17partition_subalgoE8EsNS0_10empty_typeEbEEZZNS1_14partition_implILS5_8ELb0ES3_jPKsPS6_PKS6_NS0_5tupleIJPsS6_EEENSE_IJSB_SB_EEENS0_18inequality_wrapperIN6hipcub16HIPCUB_304000_NS8EqualityEEEPlJS6_EEE10hipError_tPvRmT3_T4_T5_T6_T7_T9_mT8_P12ihipStream_tbDpT10_ENKUlT_T0_E_clISt17integral_constantIbLb1EES17_EEDaS12_S13_EUlS12_E_NS1_11comp_targetILNS1_3genE2ELNS1_11target_archE906ELNS1_3gpuE6ELNS1_3repE0EEENS1_30default_config_static_selectorELNS0_4arch9wavefront6targetE1EEEvT1_,comdat
.Lfunc_end560:
	.size	_ZN7rocprim17ROCPRIM_400000_NS6detail17trampoline_kernelINS0_14default_configENS1_25partition_config_selectorILNS1_17partition_subalgoE8EsNS0_10empty_typeEbEEZZNS1_14partition_implILS5_8ELb0ES3_jPKsPS6_PKS6_NS0_5tupleIJPsS6_EEENSE_IJSB_SB_EEENS0_18inequality_wrapperIN6hipcub16HIPCUB_304000_NS8EqualityEEEPlJS6_EEE10hipError_tPvRmT3_T4_T5_T6_T7_T9_mT8_P12ihipStream_tbDpT10_ENKUlT_T0_E_clISt17integral_constantIbLb1EES17_EEDaS12_S13_EUlS12_E_NS1_11comp_targetILNS1_3genE2ELNS1_11target_archE906ELNS1_3gpuE6ELNS1_3repE0EEENS1_30default_config_static_selectorELNS0_4arch9wavefront6targetE1EEEvT1_, .Lfunc_end560-_ZN7rocprim17ROCPRIM_400000_NS6detail17trampoline_kernelINS0_14default_configENS1_25partition_config_selectorILNS1_17partition_subalgoE8EsNS0_10empty_typeEbEEZZNS1_14partition_implILS5_8ELb0ES3_jPKsPS6_PKS6_NS0_5tupleIJPsS6_EEENSE_IJSB_SB_EEENS0_18inequality_wrapperIN6hipcub16HIPCUB_304000_NS8EqualityEEEPlJS6_EEE10hipError_tPvRmT3_T4_T5_T6_T7_T9_mT8_P12ihipStream_tbDpT10_ENKUlT_T0_E_clISt17integral_constantIbLb1EES17_EEDaS12_S13_EUlS12_E_NS1_11comp_targetILNS1_3genE2ELNS1_11target_archE906ELNS1_3gpuE6ELNS1_3repE0EEENS1_30default_config_static_selectorELNS0_4arch9wavefront6targetE1EEEvT1_
                                        ; -- End function
	.section	.AMDGPU.csdata,"",@progbits
; Kernel info:
; codeLenInByte = 0
; NumSgprs: 4
; NumVgprs: 0
; NumAgprs: 0
; TotalNumVgprs: 0
; ScratchSize: 0
; MemoryBound: 0
; FloatMode: 240
; IeeeMode: 1
; LDSByteSize: 0 bytes/workgroup (compile time only)
; SGPRBlocks: 0
; VGPRBlocks: 0
; NumSGPRsForWavesPerEU: 4
; NumVGPRsForWavesPerEU: 1
; AccumOffset: 4
; Occupancy: 8
; WaveLimiterHint : 0
; COMPUTE_PGM_RSRC2:SCRATCH_EN: 0
; COMPUTE_PGM_RSRC2:USER_SGPR: 6
; COMPUTE_PGM_RSRC2:TRAP_HANDLER: 0
; COMPUTE_PGM_RSRC2:TGID_X_EN: 1
; COMPUTE_PGM_RSRC2:TGID_Y_EN: 0
; COMPUTE_PGM_RSRC2:TGID_Z_EN: 0
; COMPUTE_PGM_RSRC2:TIDIG_COMP_CNT: 0
; COMPUTE_PGM_RSRC3_GFX90A:ACCUM_OFFSET: 0
; COMPUTE_PGM_RSRC3_GFX90A:TG_SPLIT: 0
	.section	.text._ZN7rocprim17ROCPRIM_400000_NS6detail17trampoline_kernelINS0_14default_configENS1_25partition_config_selectorILNS1_17partition_subalgoE8EsNS0_10empty_typeEbEEZZNS1_14partition_implILS5_8ELb0ES3_jPKsPS6_PKS6_NS0_5tupleIJPsS6_EEENSE_IJSB_SB_EEENS0_18inequality_wrapperIN6hipcub16HIPCUB_304000_NS8EqualityEEEPlJS6_EEE10hipError_tPvRmT3_T4_T5_T6_T7_T9_mT8_P12ihipStream_tbDpT10_ENKUlT_T0_E_clISt17integral_constantIbLb1EES17_EEDaS12_S13_EUlS12_E_NS1_11comp_targetILNS1_3genE10ELNS1_11target_archE1200ELNS1_3gpuE4ELNS1_3repE0EEENS1_30default_config_static_selectorELNS0_4arch9wavefront6targetE1EEEvT1_,"axG",@progbits,_ZN7rocprim17ROCPRIM_400000_NS6detail17trampoline_kernelINS0_14default_configENS1_25partition_config_selectorILNS1_17partition_subalgoE8EsNS0_10empty_typeEbEEZZNS1_14partition_implILS5_8ELb0ES3_jPKsPS6_PKS6_NS0_5tupleIJPsS6_EEENSE_IJSB_SB_EEENS0_18inequality_wrapperIN6hipcub16HIPCUB_304000_NS8EqualityEEEPlJS6_EEE10hipError_tPvRmT3_T4_T5_T6_T7_T9_mT8_P12ihipStream_tbDpT10_ENKUlT_T0_E_clISt17integral_constantIbLb1EES17_EEDaS12_S13_EUlS12_E_NS1_11comp_targetILNS1_3genE10ELNS1_11target_archE1200ELNS1_3gpuE4ELNS1_3repE0EEENS1_30default_config_static_selectorELNS0_4arch9wavefront6targetE1EEEvT1_,comdat
	.protected	_ZN7rocprim17ROCPRIM_400000_NS6detail17trampoline_kernelINS0_14default_configENS1_25partition_config_selectorILNS1_17partition_subalgoE8EsNS0_10empty_typeEbEEZZNS1_14partition_implILS5_8ELb0ES3_jPKsPS6_PKS6_NS0_5tupleIJPsS6_EEENSE_IJSB_SB_EEENS0_18inequality_wrapperIN6hipcub16HIPCUB_304000_NS8EqualityEEEPlJS6_EEE10hipError_tPvRmT3_T4_T5_T6_T7_T9_mT8_P12ihipStream_tbDpT10_ENKUlT_T0_E_clISt17integral_constantIbLb1EES17_EEDaS12_S13_EUlS12_E_NS1_11comp_targetILNS1_3genE10ELNS1_11target_archE1200ELNS1_3gpuE4ELNS1_3repE0EEENS1_30default_config_static_selectorELNS0_4arch9wavefront6targetE1EEEvT1_ ; -- Begin function _ZN7rocprim17ROCPRIM_400000_NS6detail17trampoline_kernelINS0_14default_configENS1_25partition_config_selectorILNS1_17partition_subalgoE8EsNS0_10empty_typeEbEEZZNS1_14partition_implILS5_8ELb0ES3_jPKsPS6_PKS6_NS0_5tupleIJPsS6_EEENSE_IJSB_SB_EEENS0_18inequality_wrapperIN6hipcub16HIPCUB_304000_NS8EqualityEEEPlJS6_EEE10hipError_tPvRmT3_T4_T5_T6_T7_T9_mT8_P12ihipStream_tbDpT10_ENKUlT_T0_E_clISt17integral_constantIbLb1EES17_EEDaS12_S13_EUlS12_E_NS1_11comp_targetILNS1_3genE10ELNS1_11target_archE1200ELNS1_3gpuE4ELNS1_3repE0EEENS1_30default_config_static_selectorELNS0_4arch9wavefront6targetE1EEEvT1_
	.globl	_ZN7rocprim17ROCPRIM_400000_NS6detail17trampoline_kernelINS0_14default_configENS1_25partition_config_selectorILNS1_17partition_subalgoE8EsNS0_10empty_typeEbEEZZNS1_14partition_implILS5_8ELb0ES3_jPKsPS6_PKS6_NS0_5tupleIJPsS6_EEENSE_IJSB_SB_EEENS0_18inequality_wrapperIN6hipcub16HIPCUB_304000_NS8EqualityEEEPlJS6_EEE10hipError_tPvRmT3_T4_T5_T6_T7_T9_mT8_P12ihipStream_tbDpT10_ENKUlT_T0_E_clISt17integral_constantIbLb1EES17_EEDaS12_S13_EUlS12_E_NS1_11comp_targetILNS1_3genE10ELNS1_11target_archE1200ELNS1_3gpuE4ELNS1_3repE0EEENS1_30default_config_static_selectorELNS0_4arch9wavefront6targetE1EEEvT1_
	.p2align	8
	.type	_ZN7rocprim17ROCPRIM_400000_NS6detail17trampoline_kernelINS0_14default_configENS1_25partition_config_selectorILNS1_17partition_subalgoE8EsNS0_10empty_typeEbEEZZNS1_14partition_implILS5_8ELb0ES3_jPKsPS6_PKS6_NS0_5tupleIJPsS6_EEENSE_IJSB_SB_EEENS0_18inequality_wrapperIN6hipcub16HIPCUB_304000_NS8EqualityEEEPlJS6_EEE10hipError_tPvRmT3_T4_T5_T6_T7_T9_mT8_P12ihipStream_tbDpT10_ENKUlT_T0_E_clISt17integral_constantIbLb1EES17_EEDaS12_S13_EUlS12_E_NS1_11comp_targetILNS1_3genE10ELNS1_11target_archE1200ELNS1_3gpuE4ELNS1_3repE0EEENS1_30default_config_static_selectorELNS0_4arch9wavefront6targetE1EEEvT1_,@function
_ZN7rocprim17ROCPRIM_400000_NS6detail17trampoline_kernelINS0_14default_configENS1_25partition_config_selectorILNS1_17partition_subalgoE8EsNS0_10empty_typeEbEEZZNS1_14partition_implILS5_8ELb0ES3_jPKsPS6_PKS6_NS0_5tupleIJPsS6_EEENSE_IJSB_SB_EEENS0_18inequality_wrapperIN6hipcub16HIPCUB_304000_NS8EqualityEEEPlJS6_EEE10hipError_tPvRmT3_T4_T5_T6_T7_T9_mT8_P12ihipStream_tbDpT10_ENKUlT_T0_E_clISt17integral_constantIbLb1EES17_EEDaS12_S13_EUlS12_E_NS1_11comp_targetILNS1_3genE10ELNS1_11target_archE1200ELNS1_3gpuE4ELNS1_3repE0EEENS1_30default_config_static_selectorELNS0_4arch9wavefront6targetE1EEEvT1_: ; @_ZN7rocprim17ROCPRIM_400000_NS6detail17trampoline_kernelINS0_14default_configENS1_25partition_config_selectorILNS1_17partition_subalgoE8EsNS0_10empty_typeEbEEZZNS1_14partition_implILS5_8ELb0ES3_jPKsPS6_PKS6_NS0_5tupleIJPsS6_EEENSE_IJSB_SB_EEENS0_18inequality_wrapperIN6hipcub16HIPCUB_304000_NS8EqualityEEEPlJS6_EEE10hipError_tPvRmT3_T4_T5_T6_T7_T9_mT8_P12ihipStream_tbDpT10_ENKUlT_T0_E_clISt17integral_constantIbLb1EES17_EEDaS12_S13_EUlS12_E_NS1_11comp_targetILNS1_3genE10ELNS1_11target_archE1200ELNS1_3gpuE4ELNS1_3repE0EEENS1_30default_config_static_selectorELNS0_4arch9wavefront6targetE1EEEvT1_
; %bb.0:
	.section	.rodata,"a",@progbits
	.p2align	6, 0x0
	.amdhsa_kernel _ZN7rocprim17ROCPRIM_400000_NS6detail17trampoline_kernelINS0_14default_configENS1_25partition_config_selectorILNS1_17partition_subalgoE8EsNS0_10empty_typeEbEEZZNS1_14partition_implILS5_8ELb0ES3_jPKsPS6_PKS6_NS0_5tupleIJPsS6_EEENSE_IJSB_SB_EEENS0_18inequality_wrapperIN6hipcub16HIPCUB_304000_NS8EqualityEEEPlJS6_EEE10hipError_tPvRmT3_T4_T5_T6_T7_T9_mT8_P12ihipStream_tbDpT10_ENKUlT_T0_E_clISt17integral_constantIbLb1EES17_EEDaS12_S13_EUlS12_E_NS1_11comp_targetILNS1_3genE10ELNS1_11target_archE1200ELNS1_3gpuE4ELNS1_3repE0EEENS1_30default_config_static_selectorELNS0_4arch9wavefront6targetE1EEEvT1_
		.amdhsa_group_segment_fixed_size 0
		.amdhsa_private_segment_fixed_size 0
		.amdhsa_kernarg_size 128
		.amdhsa_user_sgpr_count 6
		.amdhsa_user_sgpr_private_segment_buffer 1
		.amdhsa_user_sgpr_dispatch_ptr 0
		.amdhsa_user_sgpr_queue_ptr 0
		.amdhsa_user_sgpr_kernarg_segment_ptr 1
		.amdhsa_user_sgpr_dispatch_id 0
		.amdhsa_user_sgpr_flat_scratch_init 0
		.amdhsa_user_sgpr_kernarg_preload_length 0
		.amdhsa_user_sgpr_kernarg_preload_offset 0
		.amdhsa_user_sgpr_private_segment_size 0
		.amdhsa_uses_dynamic_stack 0
		.amdhsa_system_sgpr_private_segment_wavefront_offset 0
		.amdhsa_system_sgpr_workgroup_id_x 1
		.amdhsa_system_sgpr_workgroup_id_y 0
		.amdhsa_system_sgpr_workgroup_id_z 0
		.amdhsa_system_sgpr_workgroup_info 0
		.amdhsa_system_vgpr_workitem_id 0
		.amdhsa_next_free_vgpr 1
		.amdhsa_next_free_sgpr 0
		.amdhsa_accum_offset 4
		.amdhsa_reserve_vcc 0
		.amdhsa_reserve_flat_scratch 0
		.amdhsa_float_round_mode_32 0
		.amdhsa_float_round_mode_16_64 0
		.amdhsa_float_denorm_mode_32 3
		.amdhsa_float_denorm_mode_16_64 3
		.amdhsa_dx10_clamp 1
		.amdhsa_ieee_mode 1
		.amdhsa_fp16_overflow 0
		.amdhsa_tg_split 0
		.amdhsa_exception_fp_ieee_invalid_op 0
		.amdhsa_exception_fp_denorm_src 0
		.amdhsa_exception_fp_ieee_div_zero 0
		.amdhsa_exception_fp_ieee_overflow 0
		.amdhsa_exception_fp_ieee_underflow 0
		.amdhsa_exception_fp_ieee_inexact 0
		.amdhsa_exception_int_div_zero 0
	.end_amdhsa_kernel
	.section	.text._ZN7rocprim17ROCPRIM_400000_NS6detail17trampoline_kernelINS0_14default_configENS1_25partition_config_selectorILNS1_17partition_subalgoE8EsNS0_10empty_typeEbEEZZNS1_14partition_implILS5_8ELb0ES3_jPKsPS6_PKS6_NS0_5tupleIJPsS6_EEENSE_IJSB_SB_EEENS0_18inequality_wrapperIN6hipcub16HIPCUB_304000_NS8EqualityEEEPlJS6_EEE10hipError_tPvRmT3_T4_T5_T6_T7_T9_mT8_P12ihipStream_tbDpT10_ENKUlT_T0_E_clISt17integral_constantIbLb1EES17_EEDaS12_S13_EUlS12_E_NS1_11comp_targetILNS1_3genE10ELNS1_11target_archE1200ELNS1_3gpuE4ELNS1_3repE0EEENS1_30default_config_static_selectorELNS0_4arch9wavefront6targetE1EEEvT1_,"axG",@progbits,_ZN7rocprim17ROCPRIM_400000_NS6detail17trampoline_kernelINS0_14default_configENS1_25partition_config_selectorILNS1_17partition_subalgoE8EsNS0_10empty_typeEbEEZZNS1_14partition_implILS5_8ELb0ES3_jPKsPS6_PKS6_NS0_5tupleIJPsS6_EEENSE_IJSB_SB_EEENS0_18inequality_wrapperIN6hipcub16HIPCUB_304000_NS8EqualityEEEPlJS6_EEE10hipError_tPvRmT3_T4_T5_T6_T7_T9_mT8_P12ihipStream_tbDpT10_ENKUlT_T0_E_clISt17integral_constantIbLb1EES17_EEDaS12_S13_EUlS12_E_NS1_11comp_targetILNS1_3genE10ELNS1_11target_archE1200ELNS1_3gpuE4ELNS1_3repE0EEENS1_30default_config_static_selectorELNS0_4arch9wavefront6targetE1EEEvT1_,comdat
.Lfunc_end561:
	.size	_ZN7rocprim17ROCPRIM_400000_NS6detail17trampoline_kernelINS0_14default_configENS1_25partition_config_selectorILNS1_17partition_subalgoE8EsNS0_10empty_typeEbEEZZNS1_14partition_implILS5_8ELb0ES3_jPKsPS6_PKS6_NS0_5tupleIJPsS6_EEENSE_IJSB_SB_EEENS0_18inequality_wrapperIN6hipcub16HIPCUB_304000_NS8EqualityEEEPlJS6_EEE10hipError_tPvRmT3_T4_T5_T6_T7_T9_mT8_P12ihipStream_tbDpT10_ENKUlT_T0_E_clISt17integral_constantIbLb1EES17_EEDaS12_S13_EUlS12_E_NS1_11comp_targetILNS1_3genE10ELNS1_11target_archE1200ELNS1_3gpuE4ELNS1_3repE0EEENS1_30default_config_static_selectorELNS0_4arch9wavefront6targetE1EEEvT1_, .Lfunc_end561-_ZN7rocprim17ROCPRIM_400000_NS6detail17trampoline_kernelINS0_14default_configENS1_25partition_config_selectorILNS1_17partition_subalgoE8EsNS0_10empty_typeEbEEZZNS1_14partition_implILS5_8ELb0ES3_jPKsPS6_PKS6_NS0_5tupleIJPsS6_EEENSE_IJSB_SB_EEENS0_18inequality_wrapperIN6hipcub16HIPCUB_304000_NS8EqualityEEEPlJS6_EEE10hipError_tPvRmT3_T4_T5_T6_T7_T9_mT8_P12ihipStream_tbDpT10_ENKUlT_T0_E_clISt17integral_constantIbLb1EES17_EEDaS12_S13_EUlS12_E_NS1_11comp_targetILNS1_3genE10ELNS1_11target_archE1200ELNS1_3gpuE4ELNS1_3repE0EEENS1_30default_config_static_selectorELNS0_4arch9wavefront6targetE1EEEvT1_
                                        ; -- End function
	.section	.AMDGPU.csdata,"",@progbits
; Kernel info:
; codeLenInByte = 0
; NumSgprs: 4
; NumVgprs: 0
; NumAgprs: 0
; TotalNumVgprs: 0
; ScratchSize: 0
; MemoryBound: 0
; FloatMode: 240
; IeeeMode: 1
; LDSByteSize: 0 bytes/workgroup (compile time only)
; SGPRBlocks: 0
; VGPRBlocks: 0
; NumSGPRsForWavesPerEU: 4
; NumVGPRsForWavesPerEU: 1
; AccumOffset: 4
; Occupancy: 8
; WaveLimiterHint : 0
; COMPUTE_PGM_RSRC2:SCRATCH_EN: 0
; COMPUTE_PGM_RSRC2:USER_SGPR: 6
; COMPUTE_PGM_RSRC2:TRAP_HANDLER: 0
; COMPUTE_PGM_RSRC2:TGID_X_EN: 1
; COMPUTE_PGM_RSRC2:TGID_Y_EN: 0
; COMPUTE_PGM_RSRC2:TGID_Z_EN: 0
; COMPUTE_PGM_RSRC2:TIDIG_COMP_CNT: 0
; COMPUTE_PGM_RSRC3_GFX90A:ACCUM_OFFSET: 0
; COMPUTE_PGM_RSRC3_GFX90A:TG_SPLIT: 0
	.section	.text._ZN7rocprim17ROCPRIM_400000_NS6detail17trampoline_kernelINS0_14default_configENS1_25partition_config_selectorILNS1_17partition_subalgoE8EsNS0_10empty_typeEbEEZZNS1_14partition_implILS5_8ELb0ES3_jPKsPS6_PKS6_NS0_5tupleIJPsS6_EEENSE_IJSB_SB_EEENS0_18inequality_wrapperIN6hipcub16HIPCUB_304000_NS8EqualityEEEPlJS6_EEE10hipError_tPvRmT3_T4_T5_T6_T7_T9_mT8_P12ihipStream_tbDpT10_ENKUlT_T0_E_clISt17integral_constantIbLb1EES17_EEDaS12_S13_EUlS12_E_NS1_11comp_targetILNS1_3genE9ELNS1_11target_archE1100ELNS1_3gpuE3ELNS1_3repE0EEENS1_30default_config_static_selectorELNS0_4arch9wavefront6targetE1EEEvT1_,"axG",@progbits,_ZN7rocprim17ROCPRIM_400000_NS6detail17trampoline_kernelINS0_14default_configENS1_25partition_config_selectorILNS1_17partition_subalgoE8EsNS0_10empty_typeEbEEZZNS1_14partition_implILS5_8ELb0ES3_jPKsPS6_PKS6_NS0_5tupleIJPsS6_EEENSE_IJSB_SB_EEENS0_18inequality_wrapperIN6hipcub16HIPCUB_304000_NS8EqualityEEEPlJS6_EEE10hipError_tPvRmT3_T4_T5_T6_T7_T9_mT8_P12ihipStream_tbDpT10_ENKUlT_T0_E_clISt17integral_constantIbLb1EES17_EEDaS12_S13_EUlS12_E_NS1_11comp_targetILNS1_3genE9ELNS1_11target_archE1100ELNS1_3gpuE3ELNS1_3repE0EEENS1_30default_config_static_selectorELNS0_4arch9wavefront6targetE1EEEvT1_,comdat
	.protected	_ZN7rocprim17ROCPRIM_400000_NS6detail17trampoline_kernelINS0_14default_configENS1_25partition_config_selectorILNS1_17partition_subalgoE8EsNS0_10empty_typeEbEEZZNS1_14partition_implILS5_8ELb0ES3_jPKsPS6_PKS6_NS0_5tupleIJPsS6_EEENSE_IJSB_SB_EEENS0_18inequality_wrapperIN6hipcub16HIPCUB_304000_NS8EqualityEEEPlJS6_EEE10hipError_tPvRmT3_T4_T5_T6_T7_T9_mT8_P12ihipStream_tbDpT10_ENKUlT_T0_E_clISt17integral_constantIbLb1EES17_EEDaS12_S13_EUlS12_E_NS1_11comp_targetILNS1_3genE9ELNS1_11target_archE1100ELNS1_3gpuE3ELNS1_3repE0EEENS1_30default_config_static_selectorELNS0_4arch9wavefront6targetE1EEEvT1_ ; -- Begin function _ZN7rocprim17ROCPRIM_400000_NS6detail17trampoline_kernelINS0_14default_configENS1_25partition_config_selectorILNS1_17partition_subalgoE8EsNS0_10empty_typeEbEEZZNS1_14partition_implILS5_8ELb0ES3_jPKsPS6_PKS6_NS0_5tupleIJPsS6_EEENSE_IJSB_SB_EEENS0_18inequality_wrapperIN6hipcub16HIPCUB_304000_NS8EqualityEEEPlJS6_EEE10hipError_tPvRmT3_T4_T5_T6_T7_T9_mT8_P12ihipStream_tbDpT10_ENKUlT_T0_E_clISt17integral_constantIbLb1EES17_EEDaS12_S13_EUlS12_E_NS1_11comp_targetILNS1_3genE9ELNS1_11target_archE1100ELNS1_3gpuE3ELNS1_3repE0EEENS1_30default_config_static_selectorELNS0_4arch9wavefront6targetE1EEEvT1_
	.globl	_ZN7rocprim17ROCPRIM_400000_NS6detail17trampoline_kernelINS0_14default_configENS1_25partition_config_selectorILNS1_17partition_subalgoE8EsNS0_10empty_typeEbEEZZNS1_14partition_implILS5_8ELb0ES3_jPKsPS6_PKS6_NS0_5tupleIJPsS6_EEENSE_IJSB_SB_EEENS0_18inequality_wrapperIN6hipcub16HIPCUB_304000_NS8EqualityEEEPlJS6_EEE10hipError_tPvRmT3_T4_T5_T6_T7_T9_mT8_P12ihipStream_tbDpT10_ENKUlT_T0_E_clISt17integral_constantIbLb1EES17_EEDaS12_S13_EUlS12_E_NS1_11comp_targetILNS1_3genE9ELNS1_11target_archE1100ELNS1_3gpuE3ELNS1_3repE0EEENS1_30default_config_static_selectorELNS0_4arch9wavefront6targetE1EEEvT1_
	.p2align	8
	.type	_ZN7rocprim17ROCPRIM_400000_NS6detail17trampoline_kernelINS0_14default_configENS1_25partition_config_selectorILNS1_17partition_subalgoE8EsNS0_10empty_typeEbEEZZNS1_14partition_implILS5_8ELb0ES3_jPKsPS6_PKS6_NS0_5tupleIJPsS6_EEENSE_IJSB_SB_EEENS0_18inequality_wrapperIN6hipcub16HIPCUB_304000_NS8EqualityEEEPlJS6_EEE10hipError_tPvRmT3_T4_T5_T6_T7_T9_mT8_P12ihipStream_tbDpT10_ENKUlT_T0_E_clISt17integral_constantIbLb1EES17_EEDaS12_S13_EUlS12_E_NS1_11comp_targetILNS1_3genE9ELNS1_11target_archE1100ELNS1_3gpuE3ELNS1_3repE0EEENS1_30default_config_static_selectorELNS0_4arch9wavefront6targetE1EEEvT1_,@function
_ZN7rocprim17ROCPRIM_400000_NS6detail17trampoline_kernelINS0_14default_configENS1_25partition_config_selectorILNS1_17partition_subalgoE8EsNS0_10empty_typeEbEEZZNS1_14partition_implILS5_8ELb0ES3_jPKsPS6_PKS6_NS0_5tupleIJPsS6_EEENSE_IJSB_SB_EEENS0_18inequality_wrapperIN6hipcub16HIPCUB_304000_NS8EqualityEEEPlJS6_EEE10hipError_tPvRmT3_T4_T5_T6_T7_T9_mT8_P12ihipStream_tbDpT10_ENKUlT_T0_E_clISt17integral_constantIbLb1EES17_EEDaS12_S13_EUlS12_E_NS1_11comp_targetILNS1_3genE9ELNS1_11target_archE1100ELNS1_3gpuE3ELNS1_3repE0EEENS1_30default_config_static_selectorELNS0_4arch9wavefront6targetE1EEEvT1_: ; @_ZN7rocprim17ROCPRIM_400000_NS6detail17trampoline_kernelINS0_14default_configENS1_25partition_config_selectorILNS1_17partition_subalgoE8EsNS0_10empty_typeEbEEZZNS1_14partition_implILS5_8ELb0ES3_jPKsPS6_PKS6_NS0_5tupleIJPsS6_EEENSE_IJSB_SB_EEENS0_18inequality_wrapperIN6hipcub16HIPCUB_304000_NS8EqualityEEEPlJS6_EEE10hipError_tPvRmT3_T4_T5_T6_T7_T9_mT8_P12ihipStream_tbDpT10_ENKUlT_T0_E_clISt17integral_constantIbLb1EES17_EEDaS12_S13_EUlS12_E_NS1_11comp_targetILNS1_3genE9ELNS1_11target_archE1100ELNS1_3gpuE3ELNS1_3repE0EEENS1_30default_config_static_selectorELNS0_4arch9wavefront6targetE1EEEvT1_
; %bb.0:
	.section	.rodata,"a",@progbits
	.p2align	6, 0x0
	.amdhsa_kernel _ZN7rocprim17ROCPRIM_400000_NS6detail17trampoline_kernelINS0_14default_configENS1_25partition_config_selectorILNS1_17partition_subalgoE8EsNS0_10empty_typeEbEEZZNS1_14partition_implILS5_8ELb0ES3_jPKsPS6_PKS6_NS0_5tupleIJPsS6_EEENSE_IJSB_SB_EEENS0_18inequality_wrapperIN6hipcub16HIPCUB_304000_NS8EqualityEEEPlJS6_EEE10hipError_tPvRmT3_T4_T5_T6_T7_T9_mT8_P12ihipStream_tbDpT10_ENKUlT_T0_E_clISt17integral_constantIbLb1EES17_EEDaS12_S13_EUlS12_E_NS1_11comp_targetILNS1_3genE9ELNS1_11target_archE1100ELNS1_3gpuE3ELNS1_3repE0EEENS1_30default_config_static_selectorELNS0_4arch9wavefront6targetE1EEEvT1_
		.amdhsa_group_segment_fixed_size 0
		.amdhsa_private_segment_fixed_size 0
		.amdhsa_kernarg_size 128
		.amdhsa_user_sgpr_count 6
		.amdhsa_user_sgpr_private_segment_buffer 1
		.amdhsa_user_sgpr_dispatch_ptr 0
		.amdhsa_user_sgpr_queue_ptr 0
		.amdhsa_user_sgpr_kernarg_segment_ptr 1
		.amdhsa_user_sgpr_dispatch_id 0
		.amdhsa_user_sgpr_flat_scratch_init 0
		.amdhsa_user_sgpr_kernarg_preload_length 0
		.amdhsa_user_sgpr_kernarg_preload_offset 0
		.amdhsa_user_sgpr_private_segment_size 0
		.amdhsa_uses_dynamic_stack 0
		.amdhsa_system_sgpr_private_segment_wavefront_offset 0
		.amdhsa_system_sgpr_workgroup_id_x 1
		.amdhsa_system_sgpr_workgroup_id_y 0
		.amdhsa_system_sgpr_workgroup_id_z 0
		.amdhsa_system_sgpr_workgroup_info 0
		.amdhsa_system_vgpr_workitem_id 0
		.amdhsa_next_free_vgpr 1
		.amdhsa_next_free_sgpr 0
		.amdhsa_accum_offset 4
		.amdhsa_reserve_vcc 0
		.amdhsa_reserve_flat_scratch 0
		.amdhsa_float_round_mode_32 0
		.amdhsa_float_round_mode_16_64 0
		.amdhsa_float_denorm_mode_32 3
		.amdhsa_float_denorm_mode_16_64 3
		.amdhsa_dx10_clamp 1
		.amdhsa_ieee_mode 1
		.amdhsa_fp16_overflow 0
		.amdhsa_tg_split 0
		.amdhsa_exception_fp_ieee_invalid_op 0
		.amdhsa_exception_fp_denorm_src 0
		.amdhsa_exception_fp_ieee_div_zero 0
		.amdhsa_exception_fp_ieee_overflow 0
		.amdhsa_exception_fp_ieee_underflow 0
		.amdhsa_exception_fp_ieee_inexact 0
		.amdhsa_exception_int_div_zero 0
	.end_amdhsa_kernel
	.section	.text._ZN7rocprim17ROCPRIM_400000_NS6detail17trampoline_kernelINS0_14default_configENS1_25partition_config_selectorILNS1_17partition_subalgoE8EsNS0_10empty_typeEbEEZZNS1_14partition_implILS5_8ELb0ES3_jPKsPS6_PKS6_NS0_5tupleIJPsS6_EEENSE_IJSB_SB_EEENS0_18inequality_wrapperIN6hipcub16HIPCUB_304000_NS8EqualityEEEPlJS6_EEE10hipError_tPvRmT3_T4_T5_T6_T7_T9_mT8_P12ihipStream_tbDpT10_ENKUlT_T0_E_clISt17integral_constantIbLb1EES17_EEDaS12_S13_EUlS12_E_NS1_11comp_targetILNS1_3genE9ELNS1_11target_archE1100ELNS1_3gpuE3ELNS1_3repE0EEENS1_30default_config_static_selectorELNS0_4arch9wavefront6targetE1EEEvT1_,"axG",@progbits,_ZN7rocprim17ROCPRIM_400000_NS6detail17trampoline_kernelINS0_14default_configENS1_25partition_config_selectorILNS1_17partition_subalgoE8EsNS0_10empty_typeEbEEZZNS1_14partition_implILS5_8ELb0ES3_jPKsPS6_PKS6_NS0_5tupleIJPsS6_EEENSE_IJSB_SB_EEENS0_18inequality_wrapperIN6hipcub16HIPCUB_304000_NS8EqualityEEEPlJS6_EEE10hipError_tPvRmT3_T4_T5_T6_T7_T9_mT8_P12ihipStream_tbDpT10_ENKUlT_T0_E_clISt17integral_constantIbLb1EES17_EEDaS12_S13_EUlS12_E_NS1_11comp_targetILNS1_3genE9ELNS1_11target_archE1100ELNS1_3gpuE3ELNS1_3repE0EEENS1_30default_config_static_selectorELNS0_4arch9wavefront6targetE1EEEvT1_,comdat
.Lfunc_end562:
	.size	_ZN7rocprim17ROCPRIM_400000_NS6detail17trampoline_kernelINS0_14default_configENS1_25partition_config_selectorILNS1_17partition_subalgoE8EsNS0_10empty_typeEbEEZZNS1_14partition_implILS5_8ELb0ES3_jPKsPS6_PKS6_NS0_5tupleIJPsS6_EEENSE_IJSB_SB_EEENS0_18inequality_wrapperIN6hipcub16HIPCUB_304000_NS8EqualityEEEPlJS6_EEE10hipError_tPvRmT3_T4_T5_T6_T7_T9_mT8_P12ihipStream_tbDpT10_ENKUlT_T0_E_clISt17integral_constantIbLb1EES17_EEDaS12_S13_EUlS12_E_NS1_11comp_targetILNS1_3genE9ELNS1_11target_archE1100ELNS1_3gpuE3ELNS1_3repE0EEENS1_30default_config_static_selectorELNS0_4arch9wavefront6targetE1EEEvT1_, .Lfunc_end562-_ZN7rocprim17ROCPRIM_400000_NS6detail17trampoline_kernelINS0_14default_configENS1_25partition_config_selectorILNS1_17partition_subalgoE8EsNS0_10empty_typeEbEEZZNS1_14partition_implILS5_8ELb0ES3_jPKsPS6_PKS6_NS0_5tupleIJPsS6_EEENSE_IJSB_SB_EEENS0_18inequality_wrapperIN6hipcub16HIPCUB_304000_NS8EqualityEEEPlJS6_EEE10hipError_tPvRmT3_T4_T5_T6_T7_T9_mT8_P12ihipStream_tbDpT10_ENKUlT_T0_E_clISt17integral_constantIbLb1EES17_EEDaS12_S13_EUlS12_E_NS1_11comp_targetILNS1_3genE9ELNS1_11target_archE1100ELNS1_3gpuE3ELNS1_3repE0EEENS1_30default_config_static_selectorELNS0_4arch9wavefront6targetE1EEEvT1_
                                        ; -- End function
	.section	.AMDGPU.csdata,"",@progbits
; Kernel info:
; codeLenInByte = 0
; NumSgprs: 4
; NumVgprs: 0
; NumAgprs: 0
; TotalNumVgprs: 0
; ScratchSize: 0
; MemoryBound: 0
; FloatMode: 240
; IeeeMode: 1
; LDSByteSize: 0 bytes/workgroup (compile time only)
; SGPRBlocks: 0
; VGPRBlocks: 0
; NumSGPRsForWavesPerEU: 4
; NumVGPRsForWavesPerEU: 1
; AccumOffset: 4
; Occupancy: 8
; WaveLimiterHint : 0
; COMPUTE_PGM_RSRC2:SCRATCH_EN: 0
; COMPUTE_PGM_RSRC2:USER_SGPR: 6
; COMPUTE_PGM_RSRC2:TRAP_HANDLER: 0
; COMPUTE_PGM_RSRC2:TGID_X_EN: 1
; COMPUTE_PGM_RSRC2:TGID_Y_EN: 0
; COMPUTE_PGM_RSRC2:TGID_Z_EN: 0
; COMPUTE_PGM_RSRC2:TIDIG_COMP_CNT: 0
; COMPUTE_PGM_RSRC3_GFX90A:ACCUM_OFFSET: 0
; COMPUTE_PGM_RSRC3_GFX90A:TG_SPLIT: 0
	.section	.text._ZN7rocprim17ROCPRIM_400000_NS6detail17trampoline_kernelINS0_14default_configENS1_25partition_config_selectorILNS1_17partition_subalgoE8EsNS0_10empty_typeEbEEZZNS1_14partition_implILS5_8ELb0ES3_jPKsPS6_PKS6_NS0_5tupleIJPsS6_EEENSE_IJSB_SB_EEENS0_18inequality_wrapperIN6hipcub16HIPCUB_304000_NS8EqualityEEEPlJS6_EEE10hipError_tPvRmT3_T4_T5_T6_T7_T9_mT8_P12ihipStream_tbDpT10_ENKUlT_T0_E_clISt17integral_constantIbLb1EES17_EEDaS12_S13_EUlS12_E_NS1_11comp_targetILNS1_3genE8ELNS1_11target_archE1030ELNS1_3gpuE2ELNS1_3repE0EEENS1_30default_config_static_selectorELNS0_4arch9wavefront6targetE1EEEvT1_,"axG",@progbits,_ZN7rocprim17ROCPRIM_400000_NS6detail17trampoline_kernelINS0_14default_configENS1_25partition_config_selectorILNS1_17partition_subalgoE8EsNS0_10empty_typeEbEEZZNS1_14partition_implILS5_8ELb0ES3_jPKsPS6_PKS6_NS0_5tupleIJPsS6_EEENSE_IJSB_SB_EEENS0_18inequality_wrapperIN6hipcub16HIPCUB_304000_NS8EqualityEEEPlJS6_EEE10hipError_tPvRmT3_T4_T5_T6_T7_T9_mT8_P12ihipStream_tbDpT10_ENKUlT_T0_E_clISt17integral_constantIbLb1EES17_EEDaS12_S13_EUlS12_E_NS1_11comp_targetILNS1_3genE8ELNS1_11target_archE1030ELNS1_3gpuE2ELNS1_3repE0EEENS1_30default_config_static_selectorELNS0_4arch9wavefront6targetE1EEEvT1_,comdat
	.protected	_ZN7rocprim17ROCPRIM_400000_NS6detail17trampoline_kernelINS0_14default_configENS1_25partition_config_selectorILNS1_17partition_subalgoE8EsNS0_10empty_typeEbEEZZNS1_14partition_implILS5_8ELb0ES3_jPKsPS6_PKS6_NS0_5tupleIJPsS6_EEENSE_IJSB_SB_EEENS0_18inequality_wrapperIN6hipcub16HIPCUB_304000_NS8EqualityEEEPlJS6_EEE10hipError_tPvRmT3_T4_T5_T6_T7_T9_mT8_P12ihipStream_tbDpT10_ENKUlT_T0_E_clISt17integral_constantIbLb1EES17_EEDaS12_S13_EUlS12_E_NS1_11comp_targetILNS1_3genE8ELNS1_11target_archE1030ELNS1_3gpuE2ELNS1_3repE0EEENS1_30default_config_static_selectorELNS0_4arch9wavefront6targetE1EEEvT1_ ; -- Begin function _ZN7rocprim17ROCPRIM_400000_NS6detail17trampoline_kernelINS0_14default_configENS1_25partition_config_selectorILNS1_17partition_subalgoE8EsNS0_10empty_typeEbEEZZNS1_14partition_implILS5_8ELb0ES3_jPKsPS6_PKS6_NS0_5tupleIJPsS6_EEENSE_IJSB_SB_EEENS0_18inequality_wrapperIN6hipcub16HIPCUB_304000_NS8EqualityEEEPlJS6_EEE10hipError_tPvRmT3_T4_T5_T6_T7_T9_mT8_P12ihipStream_tbDpT10_ENKUlT_T0_E_clISt17integral_constantIbLb1EES17_EEDaS12_S13_EUlS12_E_NS1_11comp_targetILNS1_3genE8ELNS1_11target_archE1030ELNS1_3gpuE2ELNS1_3repE0EEENS1_30default_config_static_selectorELNS0_4arch9wavefront6targetE1EEEvT1_
	.globl	_ZN7rocprim17ROCPRIM_400000_NS6detail17trampoline_kernelINS0_14default_configENS1_25partition_config_selectorILNS1_17partition_subalgoE8EsNS0_10empty_typeEbEEZZNS1_14partition_implILS5_8ELb0ES3_jPKsPS6_PKS6_NS0_5tupleIJPsS6_EEENSE_IJSB_SB_EEENS0_18inequality_wrapperIN6hipcub16HIPCUB_304000_NS8EqualityEEEPlJS6_EEE10hipError_tPvRmT3_T4_T5_T6_T7_T9_mT8_P12ihipStream_tbDpT10_ENKUlT_T0_E_clISt17integral_constantIbLb1EES17_EEDaS12_S13_EUlS12_E_NS1_11comp_targetILNS1_3genE8ELNS1_11target_archE1030ELNS1_3gpuE2ELNS1_3repE0EEENS1_30default_config_static_selectorELNS0_4arch9wavefront6targetE1EEEvT1_
	.p2align	8
	.type	_ZN7rocprim17ROCPRIM_400000_NS6detail17trampoline_kernelINS0_14default_configENS1_25partition_config_selectorILNS1_17partition_subalgoE8EsNS0_10empty_typeEbEEZZNS1_14partition_implILS5_8ELb0ES3_jPKsPS6_PKS6_NS0_5tupleIJPsS6_EEENSE_IJSB_SB_EEENS0_18inequality_wrapperIN6hipcub16HIPCUB_304000_NS8EqualityEEEPlJS6_EEE10hipError_tPvRmT3_T4_T5_T6_T7_T9_mT8_P12ihipStream_tbDpT10_ENKUlT_T0_E_clISt17integral_constantIbLb1EES17_EEDaS12_S13_EUlS12_E_NS1_11comp_targetILNS1_3genE8ELNS1_11target_archE1030ELNS1_3gpuE2ELNS1_3repE0EEENS1_30default_config_static_selectorELNS0_4arch9wavefront6targetE1EEEvT1_,@function
_ZN7rocprim17ROCPRIM_400000_NS6detail17trampoline_kernelINS0_14default_configENS1_25partition_config_selectorILNS1_17partition_subalgoE8EsNS0_10empty_typeEbEEZZNS1_14partition_implILS5_8ELb0ES3_jPKsPS6_PKS6_NS0_5tupleIJPsS6_EEENSE_IJSB_SB_EEENS0_18inequality_wrapperIN6hipcub16HIPCUB_304000_NS8EqualityEEEPlJS6_EEE10hipError_tPvRmT3_T4_T5_T6_T7_T9_mT8_P12ihipStream_tbDpT10_ENKUlT_T0_E_clISt17integral_constantIbLb1EES17_EEDaS12_S13_EUlS12_E_NS1_11comp_targetILNS1_3genE8ELNS1_11target_archE1030ELNS1_3gpuE2ELNS1_3repE0EEENS1_30default_config_static_selectorELNS0_4arch9wavefront6targetE1EEEvT1_: ; @_ZN7rocprim17ROCPRIM_400000_NS6detail17trampoline_kernelINS0_14default_configENS1_25partition_config_selectorILNS1_17partition_subalgoE8EsNS0_10empty_typeEbEEZZNS1_14partition_implILS5_8ELb0ES3_jPKsPS6_PKS6_NS0_5tupleIJPsS6_EEENSE_IJSB_SB_EEENS0_18inequality_wrapperIN6hipcub16HIPCUB_304000_NS8EqualityEEEPlJS6_EEE10hipError_tPvRmT3_T4_T5_T6_T7_T9_mT8_P12ihipStream_tbDpT10_ENKUlT_T0_E_clISt17integral_constantIbLb1EES17_EEDaS12_S13_EUlS12_E_NS1_11comp_targetILNS1_3genE8ELNS1_11target_archE1030ELNS1_3gpuE2ELNS1_3repE0EEENS1_30default_config_static_selectorELNS0_4arch9wavefront6targetE1EEEvT1_
; %bb.0:
	.section	.rodata,"a",@progbits
	.p2align	6, 0x0
	.amdhsa_kernel _ZN7rocprim17ROCPRIM_400000_NS6detail17trampoline_kernelINS0_14default_configENS1_25partition_config_selectorILNS1_17partition_subalgoE8EsNS0_10empty_typeEbEEZZNS1_14partition_implILS5_8ELb0ES3_jPKsPS6_PKS6_NS0_5tupleIJPsS6_EEENSE_IJSB_SB_EEENS0_18inequality_wrapperIN6hipcub16HIPCUB_304000_NS8EqualityEEEPlJS6_EEE10hipError_tPvRmT3_T4_T5_T6_T7_T9_mT8_P12ihipStream_tbDpT10_ENKUlT_T0_E_clISt17integral_constantIbLb1EES17_EEDaS12_S13_EUlS12_E_NS1_11comp_targetILNS1_3genE8ELNS1_11target_archE1030ELNS1_3gpuE2ELNS1_3repE0EEENS1_30default_config_static_selectorELNS0_4arch9wavefront6targetE1EEEvT1_
		.amdhsa_group_segment_fixed_size 0
		.amdhsa_private_segment_fixed_size 0
		.amdhsa_kernarg_size 128
		.amdhsa_user_sgpr_count 6
		.amdhsa_user_sgpr_private_segment_buffer 1
		.amdhsa_user_sgpr_dispatch_ptr 0
		.amdhsa_user_sgpr_queue_ptr 0
		.amdhsa_user_sgpr_kernarg_segment_ptr 1
		.amdhsa_user_sgpr_dispatch_id 0
		.amdhsa_user_sgpr_flat_scratch_init 0
		.amdhsa_user_sgpr_kernarg_preload_length 0
		.amdhsa_user_sgpr_kernarg_preload_offset 0
		.amdhsa_user_sgpr_private_segment_size 0
		.amdhsa_uses_dynamic_stack 0
		.amdhsa_system_sgpr_private_segment_wavefront_offset 0
		.amdhsa_system_sgpr_workgroup_id_x 1
		.amdhsa_system_sgpr_workgroup_id_y 0
		.amdhsa_system_sgpr_workgroup_id_z 0
		.amdhsa_system_sgpr_workgroup_info 0
		.amdhsa_system_vgpr_workitem_id 0
		.amdhsa_next_free_vgpr 1
		.amdhsa_next_free_sgpr 0
		.amdhsa_accum_offset 4
		.amdhsa_reserve_vcc 0
		.amdhsa_reserve_flat_scratch 0
		.amdhsa_float_round_mode_32 0
		.amdhsa_float_round_mode_16_64 0
		.amdhsa_float_denorm_mode_32 3
		.amdhsa_float_denorm_mode_16_64 3
		.amdhsa_dx10_clamp 1
		.amdhsa_ieee_mode 1
		.amdhsa_fp16_overflow 0
		.amdhsa_tg_split 0
		.amdhsa_exception_fp_ieee_invalid_op 0
		.amdhsa_exception_fp_denorm_src 0
		.amdhsa_exception_fp_ieee_div_zero 0
		.amdhsa_exception_fp_ieee_overflow 0
		.amdhsa_exception_fp_ieee_underflow 0
		.amdhsa_exception_fp_ieee_inexact 0
		.amdhsa_exception_int_div_zero 0
	.end_amdhsa_kernel
	.section	.text._ZN7rocprim17ROCPRIM_400000_NS6detail17trampoline_kernelINS0_14default_configENS1_25partition_config_selectorILNS1_17partition_subalgoE8EsNS0_10empty_typeEbEEZZNS1_14partition_implILS5_8ELb0ES3_jPKsPS6_PKS6_NS0_5tupleIJPsS6_EEENSE_IJSB_SB_EEENS0_18inequality_wrapperIN6hipcub16HIPCUB_304000_NS8EqualityEEEPlJS6_EEE10hipError_tPvRmT3_T4_T5_T6_T7_T9_mT8_P12ihipStream_tbDpT10_ENKUlT_T0_E_clISt17integral_constantIbLb1EES17_EEDaS12_S13_EUlS12_E_NS1_11comp_targetILNS1_3genE8ELNS1_11target_archE1030ELNS1_3gpuE2ELNS1_3repE0EEENS1_30default_config_static_selectorELNS0_4arch9wavefront6targetE1EEEvT1_,"axG",@progbits,_ZN7rocprim17ROCPRIM_400000_NS6detail17trampoline_kernelINS0_14default_configENS1_25partition_config_selectorILNS1_17partition_subalgoE8EsNS0_10empty_typeEbEEZZNS1_14partition_implILS5_8ELb0ES3_jPKsPS6_PKS6_NS0_5tupleIJPsS6_EEENSE_IJSB_SB_EEENS0_18inequality_wrapperIN6hipcub16HIPCUB_304000_NS8EqualityEEEPlJS6_EEE10hipError_tPvRmT3_T4_T5_T6_T7_T9_mT8_P12ihipStream_tbDpT10_ENKUlT_T0_E_clISt17integral_constantIbLb1EES17_EEDaS12_S13_EUlS12_E_NS1_11comp_targetILNS1_3genE8ELNS1_11target_archE1030ELNS1_3gpuE2ELNS1_3repE0EEENS1_30default_config_static_selectorELNS0_4arch9wavefront6targetE1EEEvT1_,comdat
.Lfunc_end563:
	.size	_ZN7rocprim17ROCPRIM_400000_NS6detail17trampoline_kernelINS0_14default_configENS1_25partition_config_selectorILNS1_17partition_subalgoE8EsNS0_10empty_typeEbEEZZNS1_14partition_implILS5_8ELb0ES3_jPKsPS6_PKS6_NS0_5tupleIJPsS6_EEENSE_IJSB_SB_EEENS0_18inequality_wrapperIN6hipcub16HIPCUB_304000_NS8EqualityEEEPlJS6_EEE10hipError_tPvRmT3_T4_T5_T6_T7_T9_mT8_P12ihipStream_tbDpT10_ENKUlT_T0_E_clISt17integral_constantIbLb1EES17_EEDaS12_S13_EUlS12_E_NS1_11comp_targetILNS1_3genE8ELNS1_11target_archE1030ELNS1_3gpuE2ELNS1_3repE0EEENS1_30default_config_static_selectorELNS0_4arch9wavefront6targetE1EEEvT1_, .Lfunc_end563-_ZN7rocprim17ROCPRIM_400000_NS6detail17trampoline_kernelINS0_14default_configENS1_25partition_config_selectorILNS1_17partition_subalgoE8EsNS0_10empty_typeEbEEZZNS1_14partition_implILS5_8ELb0ES3_jPKsPS6_PKS6_NS0_5tupleIJPsS6_EEENSE_IJSB_SB_EEENS0_18inequality_wrapperIN6hipcub16HIPCUB_304000_NS8EqualityEEEPlJS6_EEE10hipError_tPvRmT3_T4_T5_T6_T7_T9_mT8_P12ihipStream_tbDpT10_ENKUlT_T0_E_clISt17integral_constantIbLb1EES17_EEDaS12_S13_EUlS12_E_NS1_11comp_targetILNS1_3genE8ELNS1_11target_archE1030ELNS1_3gpuE2ELNS1_3repE0EEENS1_30default_config_static_selectorELNS0_4arch9wavefront6targetE1EEEvT1_
                                        ; -- End function
	.section	.AMDGPU.csdata,"",@progbits
; Kernel info:
; codeLenInByte = 0
; NumSgprs: 4
; NumVgprs: 0
; NumAgprs: 0
; TotalNumVgprs: 0
; ScratchSize: 0
; MemoryBound: 0
; FloatMode: 240
; IeeeMode: 1
; LDSByteSize: 0 bytes/workgroup (compile time only)
; SGPRBlocks: 0
; VGPRBlocks: 0
; NumSGPRsForWavesPerEU: 4
; NumVGPRsForWavesPerEU: 1
; AccumOffset: 4
; Occupancy: 8
; WaveLimiterHint : 0
; COMPUTE_PGM_RSRC2:SCRATCH_EN: 0
; COMPUTE_PGM_RSRC2:USER_SGPR: 6
; COMPUTE_PGM_RSRC2:TRAP_HANDLER: 0
; COMPUTE_PGM_RSRC2:TGID_X_EN: 1
; COMPUTE_PGM_RSRC2:TGID_Y_EN: 0
; COMPUTE_PGM_RSRC2:TGID_Z_EN: 0
; COMPUTE_PGM_RSRC2:TIDIG_COMP_CNT: 0
; COMPUTE_PGM_RSRC3_GFX90A:ACCUM_OFFSET: 0
; COMPUTE_PGM_RSRC3_GFX90A:TG_SPLIT: 0
	.section	.text._ZN7rocprim17ROCPRIM_400000_NS6detail17trampoline_kernelINS0_14default_configENS1_25partition_config_selectorILNS1_17partition_subalgoE8EsNS0_10empty_typeEbEEZZNS1_14partition_implILS5_8ELb0ES3_jPKsPS6_PKS6_NS0_5tupleIJPsS6_EEENSE_IJSB_SB_EEENS0_18inequality_wrapperIN6hipcub16HIPCUB_304000_NS8EqualityEEEPlJS6_EEE10hipError_tPvRmT3_T4_T5_T6_T7_T9_mT8_P12ihipStream_tbDpT10_ENKUlT_T0_E_clISt17integral_constantIbLb1EES16_IbLb0EEEEDaS12_S13_EUlS12_E_NS1_11comp_targetILNS1_3genE0ELNS1_11target_archE4294967295ELNS1_3gpuE0ELNS1_3repE0EEENS1_30default_config_static_selectorELNS0_4arch9wavefront6targetE1EEEvT1_,"axG",@progbits,_ZN7rocprim17ROCPRIM_400000_NS6detail17trampoline_kernelINS0_14default_configENS1_25partition_config_selectorILNS1_17partition_subalgoE8EsNS0_10empty_typeEbEEZZNS1_14partition_implILS5_8ELb0ES3_jPKsPS6_PKS6_NS0_5tupleIJPsS6_EEENSE_IJSB_SB_EEENS0_18inequality_wrapperIN6hipcub16HIPCUB_304000_NS8EqualityEEEPlJS6_EEE10hipError_tPvRmT3_T4_T5_T6_T7_T9_mT8_P12ihipStream_tbDpT10_ENKUlT_T0_E_clISt17integral_constantIbLb1EES16_IbLb0EEEEDaS12_S13_EUlS12_E_NS1_11comp_targetILNS1_3genE0ELNS1_11target_archE4294967295ELNS1_3gpuE0ELNS1_3repE0EEENS1_30default_config_static_selectorELNS0_4arch9wavefront6targetE1EEEvT1_,comdat
	.protected	_ZN7rocprim17ROCPRIM_400000_NS6detail17trampoline_kernelINS0_14default_configENS1_25partition_config_selectorILNS1_17partition_subalgoE8EsNS0_10empty_typeEbEEZZNS1_14partition_implILS5_8ELb0ES3_jPKsPS6_PKS6_NS0_5tupleIJPsS6_EEENSE_IJSB_SB_EEENS0_18inequality_wrapperIN6hipcub16HIPCUB_304000_NS8EqualityEEEPlJS6_EEE10hipError_tPvRmT3_T4_T5_T6_T7_T9_mT8_P12ihipStream_tbDpT10_ENKUlT_T0_E_clISt17integral_constantIbLb1EES16_IbLb0EEEEDaS12_S13_EUlS12_E_NS1_11comp_targetILNS1_3genE0ELNS1_11target_archE4294967295ELNS1_3gpuE0ELNS1_3repE0EEENS1_30default_config_static_selectorELNS0_4arch9wavefront6targetE1EEEvT1_ ; -- Begin function _ZN7rocprim17ROCPRIM_400000_NS6detail17trampoline_kernelINS0_14default_configENS1_25partition_config_selectorILNS1_17partition_subalgoE8EsNS0_10empty_typeEbEEZZNS1_14partition_implILS5_8ELb0ES3_jPKsPS6_PKS6_NS0_5tupleIJPsS6_EEENSE_IJSB_SB_EEENS0_18inequality_wrapperIN6hipcub16HIPCUB_304000_NS8EqualityEEEPlJS6_EEE10hipError_tPvRmT3_T4_T5_T6_T7_T9_mT8_P12ihipStream_tbDpT10_ENKUlT_T0_E_clISt17integral_constantIbLb1EES16_IbLb0EEEEDaS12_S13_EUlS12_E_NS1_11comp_targetILNS1_3genE0ELNS1_11target_archE4294967295ELNS1_3gpuE0ELNS1_3repE0EEENS1_30default_config_static_selectorELNS0_4arch9wavefront6targetE1EEEvT1_
	.globl	_ZN7rocprim17ROCPRIM_400000_NS6detail17trampoline_kernelINS0_14default_configENS1_25partition_config_selectorILNS1_17partition_subalgoE8EsNS0_10empty_typeEbEEZZNS1_14partition_implILS5_8ELb0ES3_jPKsPS6_PKS6_NS0_5tupleIJPsS6_EEENSE_IJSB_SB_EEENS0_18inequality_wrapperIN6hipcub16HIPCUB_304000_NS8EqualityEEEPlJS6_EEE10hipError_tPvRmT3_T4_T5_T6_T7_T9_mT8_P12ihipStream_tbDpT10_ENKUlT_T0_E_clISt17integral_constantIbLb1EES16_IbLb0EEEEDaS12_S13_EUlS12_E_NS1_11comp_targetILNS1_3genE0ELNS1_11target_archE4294967295ELNS1_3gpuE0ELNS1_3repE0EEENS1_30default_config_static_selectorELNS0_4arch9wavefront6targetE1EEEvT1_
	.p2align	8
	.type	_ZN7rocprim17ROCPRIM_400000_NS6detail17trampoline_kernelINS0_14default_configENS1_25partition_config_selectorILNS1_17partition_subalgoE8EsNS0_10empty_typeEbEEZZNS1_14partition_implILS5_8ELb0ES3_jPKsPS6_PKS6_NS0_5tupleIJPsS6_EEENSE_IJSB_SB_EEENS0_18inequality_wrapperIN6hipcub16HIPCUB_304000_NS8EqualityEEEPlJS6_EEE10hipError_tPvRmT3_T4_T5_T6_T7_T9_mT8_P12ihipStream_tbDpT10_ENKUlT_T0_E_clISt17integral_constantIbLb1EES16_IbLb0EEEEDaS12_S13_EUlS12_E_NS1_11comp_targetILNS1_3genE0ELNS1_11target_archE4294967295ELNS1_3gpuE0ELNS1_3repE0EEENS1_30default_config_static_selectorELNS0_4arch9wavefront6targetE1EEEvT1_,@function
_ZN7rocprim17ROCPRIM_400000_NS6detail17trampoline_kernelINS0_14default_configENS1_25partition_config_selectorILNS1_17partition_subalgoE8EsNS0_10empty_typeEbEEZZNS1_14partition_implILS5_8ELb0ES3_jPKsPS6_PKS6_NS0_5tupleIJPsS6_EEENSE_IJSB_SB_EEENS0_18inequality_wrapperIN6hipcub16HIPCUB_304000_NS8EqualityEEEPlJS6_EEE10hipError_tPvRmT3_T4_T5_T6_T7_T9_mT8_P12ihipStream_tbDpT10_ENKUlT_T0_E_clISt17integral_constantIbLb1EES16_IbLb0EEEEDaS12_S13_EUlS12_E_NS1_11comp_targetILNS1_3genE0ELNS1_11target_archE4294967295ELNS1_3gpuE0ELNS1_3repE0EEENS1_30default_config_static_selectorELNS0_4arch9wavefront6targetE1EEEvT1_: ; @_ZN7rocprim17ROCPRIM_400000_NS6detail17trampoline_kernelINS0_14default_configENS1_25partition_config_selectorILNS1_17partition_subalgoE8EsNS0_10empty_typeEbEEZZNS1_14partition_implILS5_8ELb0ES3_jPKsPS6_PKS6_NS0_5tupleIJPsS6_EEENSE_IJSB_SB_EEENS0_18inequality_wrapperIN6hipcub16HIPCUB_304000_NS8EqualityEEEPlJS6_EEE10hipError_tPvRmT3_T4_T5_T6_T7_T9_mT8_P12ihipStream_tbDpT10_ENKUlT_T0_E_clISt17integral_constantIbLb1EES16_IbLb0EEEEDaS12_S13_EUlS12_E_NS1_11comp_targetILNS1_3genE0ELNS1_11target_archE4294967295ELNS1_3gpuE0ELNS1_3repE0EEENS1_30default_config_static_selectorELNS0_4arch9wavefront6targetE1EEEvT1_
; %bb.0:
	.section	.rodata,"a",@progbits
	.p2align	6, 0x0
	.amdhsa_kernel _ZN7rocprim17ROCPRIM_400000_NS6detail17trampoline_kernelINS0_14default_configENS1_25partition_config_selectorILNS1_17partition_subalgoE8EsNS0_10empty_typeEbEEZZNS1_14partition_implILS5_8ELb0ES3_jPKsPS6_PKS6_NS0_5tupleIJPsS6_EEENSE_IJSB_SB_EEENS0_18inequality_wrapperIN6hipcub16HIPCUB_304000_NS8EqualityEEEPlJS6_EEE10hipError_tPvRmT3_T4_T5_T6_T7_T9_mT8_P12ihipStream_tbDpT10_ENKUlT_T0_E_clISt17integral_constantIbLb1EES16_IbLb0EEEEDaS12_S13_EUlS12_E_NS1_11comp_targetILNS1_3genE0ELNS1_11target_archE4294967295ELNS1_3gpuE0ELNS1_3repE0EEENS1_30default_config_static_selectorELNS0_4arch9wavefront6targetE1EEEvT1_
		.amdhsa_group_segment_fixed_size 0
		.amdhsa_private_segment_fixed_size 0
		.amdhsa_kernarg_size 112
		.amdhsa_user_sgpr_count 6
		.amdhsa_user_sgpr_private_segment_buffer 1
		.amdhsa_user_sgpr_dispatch_ptr 0
		.amdhsa_user_sgpr_queue_ptr 0
		.amdhsa_user_sgpr_kernarg_segment_ptr 1
		.amdhsa_user_sgpr_dispatch_id 0
		.amdhsa_user_sgpr_flat_scratch_init 0
		.amdhsa_user_sgpr_kernarg_preload_length 0
		.amdhsa_user_sgpr_kernarg_preload_offset 0
		.amdhsa_user_sgpr_private_segment_size 0
		.amdhsa_uses_dynamic_stack 0
		.amdhsa_system_sgpr_private_segment_wavefront_offset 0
		.amdhsa_system_sgpr_workgroup_id_x 1
		.amdhsa_system_sgpr_workgroup_id_y 0
		.amdhsa_system_sgpr_workgroup_id_z 0
		.amdhsa_system_sgpr_workgroup_info 0
		.amdhsa_system_vgpr_workitem_id 0
		.amdhsa_next_free_vgpr 1
		.amdhsa_next_free_sgpr 0
		.amdhsa_accum_offset 4
		.amdhsa_reserve_vcc 0
		.amdhsa_reserve_flat_scratch 0
		.amdhsa_float_round_mode_32 0
		.amdhsa_float_round_mode_16_64 0
		.amdhsa_float_denorm_mode_32 3
		.amdhsa_float_denorm_mode_16_64 3
		.amdhsa_dx10_clamp 1
		.amdhsa_ieee_mode 1
		.amdhsa_fp16_overflow 0
		.amdhsa_tg_split 0
		.amdhsa_exception_fp_ieee_invalid_op 0
		.amdhsa_exception_fp_denorm_src 0
		.amdhsa_exception_fp_ieee_div_zero 0
		.amdhsa_exception_fp_ieee_overflow 0
		.amdhsa_exception_fp_ieee_underflow 0
		.amdhsa_exception_fp_ieee_inexact 0
		.amdhsa_exception_int_div_zero 0
	.end_amdhsa_kernel
	.section	.text._ZN7rocprim17ROCPRIM_400000_NS6detail17trampoline_kernelINS0_14default_configENS1_25partition_config_selectorILNS1_17partition_subalgoE8EsNS0_10empty_typeEbEEZZNS1_14partition_implILS5_8ELb0ES3_jPKsPS6_PKS6_NS0_5tupleIJPsS6_EEENSE_IJSB_SB_EEENS0_18inequality_wrapperIN6hipcub16HIPCUB_304000_NS8EqualityEEEPlJS6_EEE10hipError_tPvRmT3_T4_T5_T6_T7_T9_mT8_P12ihipStream_tbDpT10_ENKUlT_T0_E_clISt17integral_constantIbLb1EES16_IbLb0EEEEDaS12_S13_EUlS12_E_NS1_11comp_targetILNS1_3genE0ELNS1_11target_archE4294967295ELNS1_3gpuE0ELNS1_3repE0EEENS1_30default_config_static_selectorELNS0_4arch9wavefront6targetE1EEEvT1_,"axG",@progbits,_ZN7rocprim17ROCPRIM_400000_NS6detail17trampoline_kernelINS0_14default_configENS1_25partition_config_selectorILNS1_17partition_subalgoE8EsNS0_10empty_typeEbEEZZNS1_14partition_implILS5_8ELb0ES3_jPKsPS6_PKS6_NS0_5tupleIJPsS6_EEENSE_IJSB_SB_EEENS0_18inequality_wrapperIN6hipcub16HIPCUB_304000_NS8EqualityEEEPlJS6_EEE10hipError_tPvRmT3_T4_T5_T6_T7_T9_mT8_P12ihipStream_tbDpT10_ENKUlT_T0_E_clISt17integral_constantIbLb1EES16_IbLb0EEEEDaS12_S13_EUlS12_E_NS1_11comp_targetILNS1_3genE0ELNS1_11target_archE4294967295ELNS1_3gpuE0ELNS1_3repE0EEENS1_30default_config_static_selectorELNS0_4arch9wavefront6targetE1EEEvT1_,comdat
.Lfunc_end564:
	.size	_ZN7rocprim17ROCPRIM_400000_NS6detail17trampoline_kernelINS0_14default_configENS1_25partition_config_selectorILNS1_17partition_subalgoE8EsNS0_10empty_typeEbEEZZNS1_14partition_implILS5_8ELb0ES3_jPKsPS6_PKS6_NS0_5tupleIJPsS6_EEENSE_IJSB_SB_EEENS0_18inequality_wrapperIN6hipcub16HIPCUB_304000_NS8EqualityEEEPlJS6_EEE10hipError_tPvRmT3_T4_T5_T6_T7_T9_mT8_P12ihipStream_tbDpT10_ENKUlT_T0_E_clISt17integral_constantIbLb1EES16_IbLb0EEEEDaS12_S13_EUlS12_E_NS1_11comp_targetILNS1_3genE0ELNS1_11target_archE4294967295ELNS1_3gpuE0ELNS1_3repE0EEENS1_30default_config_static_selectorELNS0_4arch9wavefront6targetE1EEEvT1_, .Lfunc_end564-_ZN7rocprim17ROCPRIM_400000_NS6detail17trampoline_kernelINS0_14default_configENS1_25partition_config_selectorILNS1_17partition_subalgoE8EsNS0_10empty_typeEbEEZZNS1_14partition_implILS5_8ELb0ES3_jPKsPS6_PKS6_NS0_5tupleIJPsS6_EEENSE_IJSB_SB_EEENS0_18inequality_wrapperIN6hipcub16HIPCUB_304000_NS8EqualityEEEPlJS6_EEE10hipError_tPvRmT3_T4_T5_T6_T7_T9_mT8_P12ihipStream_tbDpT10_ENKUlT_T0_E_clISt17integral_constantIbLb1EES16_IbLb0EEEEDaS12_S13_EUlS12_E_NS1_11comp_targetILNS1_3genE0ELNS1_11target_archE4294967295ELNS1_3gpuE0ELNS1_3repE0EEENS1_30default_config_static_selectorELNS0_4arch9wavefront6targetE1EEEvT1_
                                        ; -- End function
	.section	.AMDGPU.csdata,"",@progbits
; Kernel info:
; codeLenInByte = 0
; NumSgprs: 4
; NumVgprs: 0
; NumAgprs: 0
; TotalNumVgprs: 0
; ScratchSize: 0
; MemoryBound: 0
; FloatMode: 240
; IeeeMode: 1
; LDSByteSize: 0 bytes/workgroup (compile time only)
; SGPRBlocks: 0
; VGPRBlocks: 0
; NumSGPRsForWavesPerEU: 4
; NumVGPRsForWavesPerEU: 1
; AccumOffset: 4
; Occupancy: 8
; WaveLimiterHint : 0
; COMPUTE_PGM_RSRC2:SCRATCH_EN: 0
; COMPUTE_PGM_RSRC2:USER_SGPR: 6
; COMPUTE_PGM_RSRC2:TRAP_HANDLER: 0
; COMPUTE_PGM_RSRC2:TGID_X_EN: 1
; COMPUTE_PGM_RSRC2:TGID_Y_EN: 0
; COMPUTE_PGM_RSRC2:TGID_Z_EN: 0
; COMPUTE_PGM_RSRC2:TIDIG_COMP_CNT: 0
; COMPUTE_PGM_RSRC3_GFX90A:ACCUM_OFFSET: 0
; COMPUTE_PGM_RSRC3_GFX90A:TG_SPLIT: 0
	.section	.text._ZN7rocprim17ROCPRIM_400000_NS6detail17trampoline_kernelINS0_14default_configENS1_25partition_config_selectorILNS1_17partition_subalgoE8EsNS0_10empty_typeEbEEZZNS1_14partition_implILS5_8ELb0ES3_jPKsPS6_PKS6_NS0_5tupleIJPsS6_EEENSE_IJSB_SB_EEENS0_18inequality_wrapperIN6hipcub16HIPCUB_304000_NS8EqualityEEEPlJS6_EEE10hipError_tPvRmT3_T4_T5_T6_T7_T9_mT8_P12ihipStream_tbDpT10_ENKUlT_T0_E_clISt17integral_constantIbLb1EES16_IbLb0EEEEDaS12_S13_EUlS12_E_NS1_11comp_targetILNS1_3genE5ELNS1_11target_archE942ELNS1_3gpuE9ELNS1_3repE0EEENS1_30default_config_static_selectorELNS0_4arch9wavefront6targetE1EEEvT1_,"axG",@progbits,_ZN7rocprim17ROCPRIM_400000_NS6detail17trampoline_kernelINS0_14default_configENS1_25partition_config_selectorILNS1_17partition_subalgoE8EsNS0_10empty_typeEbEEZZNS1_14partition_implILS5_8ELb0ES3_jPKsPS6_PKS6_NS0_5tupleIJPsS6_EEENSE_IJSB_SB_EEENS0_18inequality_wrapperIN6hipcub16HIPCUB_304000_NS8EqualityEEEPlJS6_EEE10hipError_tPvRmT3_T4_T5_T6_T7_T9_mT8_P12ihipStream_tbDpT10_ENKUlT_T0_E_clISt17integral_constantIbLb1EES16_IbLb0EEEEDaS12_S13_EUlS12_E_NS1_11comp_targetILNS1_3genE5ELNS1_11target_archE942ELNS1_3gpuE9ELNS1_3repE0EEENS1_30default_config_static_selectorELNS0_4arch9wavefront6targetE1EEEvT1_,comdat
	.protected	_ZN7rocprim17ROCPRIM_400000_NS6detail17trampoline_kernelINS0_14default_configENS1_25partition_config_selectorILNS1_17partition_subalgoE8EsNS0_10empty_typeEbEEZZNS1_14partition_implILS5_8ELb0ES3_jPKsPS6_PKS6_NS0_5tupleIJPsS6_EEENSE_IJSB_SB_EEENS0_18inequality_wrapperIN6hipcub16HIPCUB_304000_NS8EqualityEEEPlJS6_EEE10hipError_tPvRmT3_T4_T5_T6_T7_T9_mT8_P12ihipStream_tbDpT10_ENKUlT_T0_E_clISt17integral_constantIbLb1EES16_IbLb0EEEEDaS12_S13_EUlS12_E_NS1_11comp_targetILNS1_3genE5ELNS1_11target_archE942ELNS1_3gpuE9ELNS1_3repE0EEENS1_30default_config_static_selectorELNS0_4arch9wavefront6targetE1EEEvT1_ ; -- Begin function _ZN7rocprim17ROCPRIM_400000_NS6detail17trampoline_kernelINS0_14default_configENS1_25partition_config_selectorILNS1_17partition_subalgoE8EsNS0_10empty_typeEbEEZZNS1_14partition_implILS5_8ELb0ES3_jPKsPS6_PKS6_NS0_5tupleIJPsS6_EEENSE_IJSB_SB_EEENS0_18inequality_wrapperIN6hipcub16HIPCUB_304000_NS8EqualityEEEPlJS6_EEE10hipError_tPvRmT3_T4_T5_T6_T7_T9_mT8_P12ihipStream_tbDpT10_ENKUlT_T0_E_clISt17integral_constantIbLb1EES16_IbLb0EEEEDaS12_S13_EUlS12_E_NS1_11comp_targetILNS1_3genE5ELNS1_11target_archE942ELNS1_3gpuE9ELNS1_3repE0EEENS1_30default_config_static_selectorELNS0_4arch9wavefront6targetE1EEEvT1_
	.globl	_ZN7rocprim17ROCPRIM_400000_NS6detail17trampoline_kernelINS0_14default_configENS1_25partition_config_selectorILNS1_17partition_subalgoE8EsNS0_10empty_typeEbEEZZNS1_14partition_implILS5_8ELb0ES3_jPKsPS6_PKS6_NS0_5tupleIJPsS6_EEENSE_IJSB_SB_EEENS0_18inequality_wrapperIN6hipcub16HIPCUB_304000_NS8EqualityEEEPlJS6_EEE10hipError_tPvRmT3_T4_T5_T6_T7_T9_mT8_P12ihipStream_tbDpT10_ENKUlT_T0_E_clISt17integral_constantIbLb1EES16_IbLb0EEEEDaS12_S13_EUlS12_E_NS1_11comp_targetILNS1_3genE5ELNS1_11target_archE942ELNS1_3gpuE9ELNS1_3repE0EEENS1_30default_config_static_selectorELNS0_4arch9wavefront6targetE1EEEvT1_
	.p2align	8
	.type	_ZN7rocprim17ROCPRIM_400000_NS6detail17trampoline_kernelINS0_14default_configENS1_25partition_config_selectorILNS1_17partition_subalgoE8EsNS0_10empty_typeEbEEZZNS1_14partition_implILS5_8ELb0ES3_jPKsPS6_PKS6_NS0_5tupleIJPsS6_EEENSE_IJSB_SB_EEENS0_18inequality_wrapperIN6hipcub16HIPCUB_304000_NS8EqualityEEEPlJS6_EEE10hipError_tPvRmT3_T4_T5_T6_T7_T9_mT8_P12ihipStream_tbDpT10_ENKUlT_T0_E_clISt17integral_constantIbLb1EES16_IbLb0EEEEDaS12_S13_EUlS12_E_NS1_11comp_targetILNS1_3genE5ELNS1_11target_archE942ELNS1_3gpuE9ELNS1_3repE0EEENS1_30default_config_static_selectorELNS0_4arch9wavefront6targetE1EEEvT1_,@function
_ZN7rocprim17ROCPRIM_400000_NS6detail17trampoline_kernelINS0_14default_configENS1_25partition_config_selectorILNS1_17partition_subalgoE8EsNS0_10empty_typeEbEEZZNS1_14partition_implILS5_8ELb0ES3_jPKsPS6_PKS6_NS0_5tupleIJPsS6_EEENSE_IJSB_SB_EEENS0_18inequality_wrapperIN6hipcub16HIPCUB_304000_NS8EqualityEEEPlJS6_EEE10hipError_tPvRmT3_T4_T5_T6_T7_T9_mT8_P12ihipStream_tbDpT10_ENKUlT_T0_E_clISt17integral_constantIbLb1EES16_IbLb0EEEEDaS12_S13_EUlS12_E_NS1_11comp_targetILNS1_3genE5ELNS1_11target_archE942ELNS1_3gpuE9ELNS1_3repE0EEENS1_30default_config_static_selectorELNS0_4arch9wavefront6targetE1EEEvT1_: ; @_ZN7rocprim17ROCPRIM_400000_NS6detail17trampoline_kernelINS0_14default_configENS1_25partition_config_selectorILNS1_17partition_subalgoE8EsNS0_10empty_typeEbEEZZNS1_14partition_implILS5_8ELb0ES3_jPKsPS6_PKS6_NS0_5tupleIJPsS6_EEENSE_IJSB_SB_EEENS0_18inequality_wrapperIN6hipcub16HIPCUB_304000_NS8EqualityEEEPlJS6_EEE10hipError_tPvRmT3_T4_T5_T6_T7_T9_mT8_P12ihipStream_tbDpT10_ENKUlT_T0_E_clISt17integral_constantIbLb1EES16_IbLb0EEEEDaS12_S13_EUlS12_E_NS1_11comp_targetILNS1_3genE5ELNS1_11target_archE942ELNS1_3gpuE9ELNS1_3repE0EEENS1_30default_config_static_selectorELNS0_4arch9wavefront6targetE1EEEvT1_
; %bb.0:
	.section	.rodata,"a",@progbits
	.p2align	6, 0x0
	.amdhsa_kernel _ZN7rocprim17ROCPRIM_400000_NS6detail17trampoline_kernelINS0_14default_configENS1_25partition_config_selectorILNS1_17partition_subalgoE8EsNS0_10empty_typeEbEEZZNS1_14partition_implILS5_8ELb0ES3_jPKsPS6_PKS6_NS0_5tupleIJPsS6_EEENSE_IJSB_SB_EEENS0_18inequality_wrapperIN6hipcub16HIPCUB_304000_NS8EqualityEEEPlJS6_EEE10hipError_tPvRmT3_T4_T5_T6_T7_T9_mT8_P12ihipStream_tbDpT10_ENKUlT_T0_E_clISt17integral_constantIbLb1EES16_IbLb0EEEEDaS12_S13_EUlS12_E_NS1_11comp_targetILNS1_3genE5ELNS1_11target_archE942ELNS1_3gpuE9ELNS1_3repE0EEENS1_30default_config_static_selectorELNS0_4arch9wavefront6targetE1EEEvT1_
		.amdhsa_group_segment_fixed_size 0
		.amdhsa_private_segment_fixed_size 0
		.amdhsa_kernarg_size 112
		.amdhsa_user_sgpr_count 6
		.amdhsa_user_sgpr_private_segment_buffer 1
		.amdhsa_user_sgpr_dispatch_ptr 0
		.amdhsa_user_sgpr_queue_ptr 0
		.amdhsa_user_sgpr_kernarg_segment_ptr 1
		.amdhsa_user_sgpr_dispatch_id 0
		.amdhsa_user_sgpr_flat_scratch_init 0
		.amdhsa_user_sgpr_kernarg_preload_length 0
		.amdhsa_user_sgpr_kernarg_preload_offset 0
		.amdhsa_user_sgpr_private_segment_size 0
		.amdhsa_uses_dynamic_stack 0
		.amdhsa_system_sgpr_private_segment_wavefront_offset 0
		.amdhsa_system_sgpr_workgroup_id_x 1
		.amdhsa_system_sgpr_workgroup_id_y 0
		.amdhsa_system_sgpr_workgroup_id_z 0
		.amdhsa_system_sgpr_workgroup_info 0
		.amdhsa_system_vgpr_workitem_id 0
		.amdhsa_next_free_vgpr 1
		.amdhsa_next_free_sgpr 0
		.amdhsa_accum_offset 4
		.amdhsa_reserve_vcc 0
		.amdhsa_reserve_flat_scratch 0
		.amdhsa_float_round_mode_32 0
		.amdhsa_float_round_mode_16_64 0
		.amdhsa_float_denorm_mode_32 3
		.amdhsa_float_denorm_mode_16_64 3
		.amdhsa_dx10_clamp 1
		.amdhsa_ieee_mode 1
		.amdhsa_fp16_overflow 0
		.amdhsa_tg_split 0
		.amdhsa_exception_fp_ieee_invalid_op 0
		.amdhsa_exception_fp_denorm_src 0
		.amdhsa_exception_fp_ieee_div_zero 0
		.amdhsa_exception_fp_ieee_overflow 0
		.amdhsa_exception_fp_ieee_underflow 0
		.amdhsa_exception_fp_ieee_inexact 0
		.amdhsa_exception_int_div_zero 0
	.end_amdhsa_kernel
	.section	.text._ZN7rocprim17ROCPRIM_400000_NS6detail17trampoline_kernelINS0_14default_configENS1_25partition_config_selectorILNS1_17partition_subalgoE8EsNS0_10empty_typeEbEEZZNS1_14partition_implILS5_8ELb0ES3_jPKsPS6_PKS6_NS0_5tupleIJPsS6_EEENSE_IJSB_SB_EEENS0_18inequality_wrapperIN6hipcub16HIPCUB_304000_NS8EqualityEEEPlJS6_EEE10hipError_tPvRmT3_T4_T5_T6_T7_T9_mT8_P12ihipStream_tbDpT10_ENKUlT_T0_E_clISt17integral_constantIbLb1EES16_IbLb0EEEEDaS12_S13_EUlS12_E_NS1_11comp_targetILNS1_3genE5ELNS1_11target_archE942ELNS1_3gpuE9ELNS1_3repE0EEENS1_30default_config_static_selectorELNS0_4arch9wavefront6targetE1EEEvT1_,"axG",@progbits,_ZN7rocprim17ROCPRIM_400000_NS6detail17trampoline_kernelINS0_14default_configENS1_25partition_config_selectorILNS1_17partition_subalgoE8EsNS0_10empty_typeEbEEZZNS1_14partition_implILS5_8ELb0ES3_jPKsPS6_PKS6_NS0_5tupleIJPsS6_EEENSE_IJSB_SB_EEENS0_18inequality_wrapperIN6hipcub16HIPCUB_304000_NS8EqualityEEEPlJS6_EEE10hipError_tPvRmT3_T4_T5_T6_T7_T9_mT8_P12ihipStream_tbDpT10_ENKUlT_T0_E_clISt17integral_constantIbLb1EES16_IbLb0EEEEDaS12_S13_EUlS12_E_NS1_11comp_targetILNS1_3genE5ELNS1_11target_archE942ELNS1_3gpuE9ELNS1_3repE0EEENS1_30default_config_static_selectorELNS0_4arch9wavefront6targetE1EEEvT1_,comdat
.Lfunc_end565:
	.size	_ZN7rocprim17ROCPRIM_400000_NS6detail17trampoline_kernelINS0_14default_configENS1_25partition_config_selectorILNS1_17partition_subalgoE8EsNS0_10empty_typeEbEEZZNS1_14partition_implILS5_8ELb0ES3_jPKsPS6_PKS6_NS0_5tupleIJPsS6_EEENSE_IJSB_SB_EEENS0_18inequality_wrapperIN6hipcub16HIPCUB_304000_NS8EqualityEEEPlJS6_EEE10hipError_tPvRmT3_T4_T5_T6_T7_T9_mT8_P12ihipStream_tbDpT10_ENKUlT_T0_E_clISt17integral_constantIbLb1EES16_IbLb0EEEEDaS12_S13_EUlS12_E_NS1_11comp_targetILNS1_3genE5ELNS1_11target_archE942ELNS1_3gpuE9ELNS1_3repE0EEENS1_30default_config_static_selectorELNS0_4arch9wavefront6targetE1EEEvT1_, .Lfunc_end565-_ZN7rocprim17ROCPRIM_400000_NS6detail17trampoline_kernelINS0_14default_configENS1_25partition_config_selectorILNS1_17partition_subalgoE8EsNS0_10empty_typeEbEEZZNS1_14partition_implILS5_8ELb0ES3_jPKsPS6_PKS6_NS0_5tupleIJPsS6_EEENSE_IJSB_SB_EEENS0_18inequality_wrapperIN6hipcub16HIPCUB_304000_NS8EqualityEEEPlJS6_EEE10hipError_tPvRmT3_T4_T5_T6_T7_T9_mT8_P12ihipStream_tbDpT10_ENKUlT_T0_E_clISt17integral_constantIbLb1EES16_IbLb0EEEEDaS12_S13_EUlS12_E_NS1_11comp_targetILNS1_3genE5ELNS1_11target_archE942ELNS1_3gpuE9ELNS1_3repE0EEENS1_30default_config_static_selectorELNS0_4arch9wavefront6targetE1EEEvT1_
                                        ; -- End function
	.section	.AMDGPU.csdata,"",@progbits
; Kernel info:
; codeLenInByte = 0
; NumSgprs: 4
; NumVgprs: 0
; NumAgprs: 0
; TotalNumVgprs: 0
; ScratchSize: 0
; MemoryBound: 0
; FloatMode: 240
; IeeeMode: 1
; LDSByteSize: 0 bytes/workgroup (compile time only)
; SGPRBlocks: 0
; VGPRBlocks: 0
; NumSGPRsForWavesPerEU: 4
; NumVGPRsForWavesPerEU: 1
; AccumOffset: 4
; Occupancy: 8
; WaveLimiterHint : 0
; COMPUTE_PGM_RSRC2:SCRATCH_EN: 0
; COMPUTE_PGM_RSRC2:USER_SGPR: 6
; COMPUTE_PGM_RSRC2:TRAP_HANDLER: 0
; COMPUTE_PGM_RSRC2:TGID_X_EN: 1
; COMPUTE_PGM_RSRC2:TGID_Y_EN: 0
; COMPUTE_PGM_RSRC2:TGID_Z_EN: 0
; COMPUTE_PGM_RSRC2:TIDIG_COMP_CNT: 0
; COMPUTE_PGM_RSRC3_GFX90A:ACCUM_OFFSET: 0
; COMPUTE_PGM_RSRC3_GFX90A:TG_SPLIT: 0
	.section	.text._ZN7rocprim17ROCPRIM_400000_NS6detail17trampoline_kernelINS0_14default_configENS1_25partition_config_selectorILNS1_17partition_subalgoE8EsNS0_10empty_typeEbEEZZNS1_14partition_implILS5_8ELb0ES3_jPKsPS6_PKS6_NS0_5tupleIJPsS6_EEENSE_IJSB_SB_EEENS0_18inequality_wrapperIN6hipcub16HIPCUB_304000_NS8EqualityEEEPlJS6_EEE10hipError_tPvRmT3_T4_T5_T6_T7_T9_mT8_P12ihipStream_tbDpT10_ENKUlT_T0_E_clISt17integral_constantIbLb1EES16_IbLb0EEEEDaS12_S13_EUlS12_E_NS1_11comp_targetILNS1_3genE4ELNS1_11target_archE910ELNS1_3gpuE8ELNS1_3repE0EEENS1_30default_config_static_selectorELNS0_4arch9wavefront6targetE1EEEvT1_,"axG",@progbits,_ZN7rocprim17ROCPRIM_400000_NS6detail17trampoline_kernelINS0_14default_configENS1_25partition_config_selectorILNS1_17partition_subalgoE8EsNS0_10empty_typeEbEEZZNS1_14partition_implILS5_8ELb0ES3_jPKsPS6_PKS6_NS0_5tupleIJPsS6_EEENSE_IJSB_SB_EEENS0_18inequality_wrapperIN6hipcub16HIPCUB_304000_NS8EqualityEEEPlJS6_EEE10hipError_tPvRmT3_T4_T5_T6_T7_T9_mT8_P12ihipStream_tbDpT10_ENKUlT_T0_E_clISt17integral_constantIbLb1EES16_IbLb0EEEEDaS12_S13_EUlS12_E_NS1_11comp_targetILNS1_3genE4ELNS1_11target_archE910ELNS1_3gpuE8ELNS1_3repE0EEENS1_30default_config_static_selectorELNS0_4arch9wavefront6targetE1EEEvT1_,comdat
	.protected	_ZN7rocprim17ROCPRIM_400000_NS6detail17trampoline_kernelINS0_14default_configENS1_25partition_config_selectorILNS1_17partition_subalgoE8EsNS0_10empty_typeEbEEZZNS1_14partition_implILS5_8ELb0ES3_jPKsPS6_PKS6_NS0_5tupleIJPsS6_EEENSE_IJSB_SB_EEENS0_18inequality_wrapperIN6hipcub16HIPCUB_304000_NS8EqualityEEEPlJS6_EEE10hipError_tPvRmT3_T4_T5_T6_T7_T9_mT8_P12ihipStream_tbDpT10_ENKUlT_T0_E_clISt17integral_constantIbLb1EES16_IbLb0EEEEDaS12_S13_EUlS12_E_NS1_11comp_targetILNS1_3genE4ELNS1_11target_archE910ELNS1_3gpuE8ELNS1_3repE0EEENS1_30default_config_static_selectorELNS0_4arch9wavefront6targetE1EEEvT1_ ; -- Begin function _ZN7rocprim17ROCPRIM_400000_NS6detail17trampoline_kernelINS0_14default_configENS1_25partition_config_selectorILNS1_17partition_subalgoE8EsNS0_10empty_typeEbEEZZNS1_14partition_implILS5_8ELb0ES3_jPKsPS6_PKS6_NS0_5tupleIJPsS6_EEENSE_IJSB_SB_EEENS0_18inequality_wrapperIN6hipcub16HIPCUB_304000_NS8EqualityEEEPlJS6_EEE10hipError_tPvRmT3_T4_T5_T6_T7_T9_mT8_P12ihipStream_tbDpT10_ENKUlT_T0_E_clISt17integral_constantIbLb1EES16_IbLb0EEEEDaS12_S13_EUlS12_E_NS1_11comp_targetILNS1_3genE4ELNS1_11target_archE910ELNS1_3gpuE8ELNS1_3repE0EEENS1_30default_config_static_selectorELNS0_4arch9wavefront6targetE1EEEvT1_
	.globl	_ZN7rocprim17ROCPRIM_400000_NS6detail17trampoline_kernelINS0_14default_configENS1_25partition_config_selectorILNS1_17partition_subalgoE8EsNS0_10empty_typeEbEEZZNS1_14partition_implILS5_8ELb0ES3_jPKsPS6_PKS6_NS0_5tupleIJPsS6_EEENSE_IJSB_SB_EEENS0_18inequality_wrapperIN6hipcub16HIPCUB_304000_NS8EqualityEEEPlJS6_EEE10hipError_tPvRmT3_T4_T5_T6_T7_T9_mT8_P12ihipStream_tbDpT10_ENKUlT_T0_E_clISt17integral_constantIbLb1EES16_IbLb0EEEEDaS12_S13_EUlS12_E_NS1_11comp_targetILNS1_3genE4ELNS1_11target_archE910ELNS1_3gpuE8ELNS1_3repE0EEENS1_30default_config_static_selectorELNS0_4arch9wavefront6targetE1EEEvT1_
	.p2align	8
	.type	_ZN7rocprim17ROCPRIM_400000_NS6detail17trampoline_kernelINS0_14default_configENS1_25partition_config_selectorILNS1_17partition_subalgoE8EsNS0_10empty_typeEbEEZZNS1_14partition_implILS5_8ELb0ES3_jPKsPS6_PKS6_NS0_5tupleIJPsS6_EEENSE_IJSB_SB_EEENS0_18inequality_wrapperIN6hipcub16HIPCUB_304000_NS8EqualityEEEPlJS6_EEE10hipError_tPvRmT3_T4_T5_T6_T7_T9_mT8_P12ihipStream_tbDpT10_ENKUlT_T0_E_clISt17integral_constantIbLb1EES16_IbLb0EEEEDaS12_S13_EUlS12_E_NS1_11comp_targetILNS1_3genE4ELNS1_11target_archE910ELNS1_3gpuE8ELNS1_3repE0EEENS1_30default_config_static_selectorELNS0_4arch9wavefront6targetE1EEEvT1_,@function
_ZN7rocprim17ROCPRIM_400000_NS6detail17trampoline_kernelINS0_14default_configENS1_25partition_config_selectorILNS1_17partition_subalgoE8EsNS0_10empty_typeEbEEZZNS1_14partition_implILS5_8ELb0ES3_jPKsPS6_PKS6_NS0_5tupleIJPsS6_EEENSE_IJSB_SB_EEENS0_18inequality_wrapperIN6hipcub16HIPCUB_304000_NS8EqualityEEEPlJS6_EEE10hipError_tPvRmT3_T4_T5_T6_T7_T9_mT8_P12ihipStream_tbDpT10_ENKUlT_T0_E_clISt17integral_constantIbLb1EES16_IbLb0EEEEDaS12_S13_EUlS12_E_NS1_11comp_targetILNS1_3genE4ELNS1_11target_archE910ELNS1_3gpuE8ELNS1_3repE0EEENS1_30default_config_static_selectorELNS0_4arch9wavefront6targetE1EEEvT1_: ; @_ZN7rocprim17ROCPRIM_400000_NS6detail17trampoline_kernelINS0_14default_configENS1_25partition_config_selectorILNS1_17partition_subalgoE8EsNS0_10empty_typeEbEEZZNS1_14partition_implILS5_8ELb0ES3_jPKsPS6_PKS6_NS0_5tupleIJPsS6_EEENSE_IJSB_SB_EEENS0_18inequality_wrapperIN6hipcub16HIPCUB_304000_NS8EqualityEEEPlJS6_EEE10hipError_tPvRmT3_T4_T5_T6_T7_T9_mT8_P12ihipStream_tbDpT10_ENKUlT_T0_E_clISt17integral_constantIbLb1EES16_IbLb0EEEEDaS12_S13_EUlS12_E_NS1_11comp_targetILNS1_3genE4ELNS1_11target_archE910ELNS1_3gpuE8ELNS1_3repE0EEENS1_30default_config_static_selectorELNS0_4arch9wavefront6targetE1EEEvT1_
; %bb.0:
	s_load_dwordx2 s[8:9], s[4:5], 0x50
	s_load_dwordx4 s[0:3], s[4:5], 0x8
	s_load_dwordx4 s[48:51], s[4:5], 0x40
	s_load_dword s7, s[4:5], 0x68
	s_waitcnt lgkmcnt(0)
	v_mov_b32_e32 v3, s9
	s_lshl_b64 s[10:11], s[2:3], 1
	s_add_u32 s10, s0, s10
	s_mul_i32 s9, s7, 0x1600
	s_addc_u32 s11, s1, s11
	s_add_i32 s1, s9, s2
	s_add_i32 s12, s7, -1
	s_sub_i32 s7, s8, s1
	v_mov_b32_e32 v2, s8
	s_add_u32 s8, s2, s9
	s_addc_u32 s9, s3, 0
	s_cmp_eq_u32 s6, s12
	s_load_dwordx2 s[50:51], s[50:51], 0x0
	v_cmp_ge_u64_e32 vcc, s[8:9], v[2:3]
	s_cselect_b64 s[52:53], -1, 0
	s_mul_i32 s0, s6, 0x1600
	s_mov_b32 s1, 0
	s_and_b64 s[56:57], s[52:53], vcc
	s_xor_b64 s[54:55], s[56:57], -1
	s_lshl_b64 s[0:1], s[0:1], 1
	s_add_u32 s0, s10, s0
	s_mov_b64 s[8:9], -1
	s_addc_u32 s1, s11, s1
	s_and_b64 vcc, exec, s[54:55]
	s_cbranch_vccz .LBB566_2
; %bb.1:
	v_lshlrev_b32_e32 v1, 1, v0
	v_mov_b32_e32 v2, s1
	v_add_co_u32_e32 v4, vcc, s0, v1
	v_addc_co_u32_e32 v5, vcc, 0, v2, vcc
	v_add_co_u32_e32 v2, vcc, 0x1000, v4
	v_addc_co_u32_e32 v3, vcc, 0, v5, vcc
	global_load_ushort v6, v1, s[0:1]
	global_load_ushort v7, v1, s[0:1] offset:512
	global_load_ushort v8, v1, s[0:1] offset:1024
	;; [unrolled: 1-line block ×7, first 2 shown]
	global_load_ushort v14, v[2:3], off
	global_load_ushort v15, v[2:3], off offset:512
	global_load_ushort v16, v[2:3], off offset:1024
	;; [unrolled: 1-line block ×7, first 2 shown]
	v_add_co_u32_e32 v2, vcc, 0x2000, v4
	v_addc_co_u32_e32 v3, vcc, 0, v5, vcc
	global_load_ushort v4, v[2:3], off
	global_load_ushort v5, v[2:3], off offset:512
	global_load_ushort v22, v[2:3], off offset:1024
	;; [unrolled: 1-line block ×5, first 2 shown]
	s_mov_b64 s[8:9], 0
	s_waitcnt vmcnt(21)
	ds_write_b16 v1, v6
	s_waitcnt vmcnt(20)
	ds_write_b16 v1, v7 offset:512
	s_waitcnt vmcnt(19)
	ds_write_b16 v1, v8 offset:1024
	;; [unrolled: 2-line block ×21, first 2 shown]
	s_waitcnt lgkmcnt(0)
	s_barrier
.LBB566_2:
	s_andn2_b64 vcc, exec, s[8:9]
	s_addk_i32 s7, 0x1600
	s_cbranch_vccnz .LBB566_48
; %bb.3:
	v_cmp_gt_u32_e32 vcc, s7, v0
                                        ; implicit-def: $vgpr1
	s_and_saveexec_b64 s[8:9], vcc
	s_cbranch_execz .LBB566_5
; %bb.4:
	v_lshlrev_b32_e32 v1, 1, v0
	global_load_ushort v1, v1, s[0:1]
.LBB566_5:
	s_or_b64 exec, exec, s[8:9]
	v_or_b32_e32 v2, 0x100, v0
	v_cmp_gt_u32_e32 vcc, s7, v2
                                        ; implicit-def: $vgpr2
	s_and_saveexec_b64 s[8:9], vcc
	s_cbranch_execz .LBB566_7
; %bb.6:
	v_lshlrev_b32_e32 v2, 1, v0
	global_load_ushort v2, v2, s[0:1] offset:512
.LBB566_7:
	s_or_b64 exec, exec, s[8:9]
	v_or_b32_e32 v3, 0x200, v0
	v_cmp_gt_u32_e32 vcc, s7, v3
                                        ; implicit-def: $vgpr3
	s_and_saveexec_b64 s[8:9], vcc
	s_cbranch_execz .LBB566_9
; %bb.8:
	v_lshlrev_b32_e32 v3, 1, v0
	global_load_ushort v3, v3, s[0:1] offset:1024
.LBB566_9:
	s_or_b64 exec, exec, s[8:9]
	v_or_b32_e32 v4, 0x300, v0
	v_cmp_gt_u32_e32 vcc, s7, v4
                                        ; implicit-def: $vgpr4
	s_and_saveexec_b64 s[8:9], vcc
	s_cbranch_execz .LBB566_11
; %bb.10:
	v_lshlrev_b32_e32 v4, 1, v0
	global_load_ushort v4, v4, s[0:1] offset:1536
.LBB566_11:
	s_or_b64 exec, exec, s[8:9]
	v_or_b32_e32 v5, 0x400, v0
	v_cmp_gt_u32_e32 vcc, s7, v5
                                        ; implicit-def: $vgpr5
	s_and_saveexec_b64 s[8:9], vcc
	s_cbranch_execz .LBB566_13
; %bb.12:
	v_lshlrev_b32_e32 v5, 1, v0
	global_load_ushort v5, v5, s[0:1] offset:2048
.LBB566_13:
	s_or_b64 exec, exec, s[8:9]
	v_or_b32_e32 v6, 0x500, v0
	v_cmp_gt_u32_e32 vcc, s7, v6
                                        ; implicit-def: $vgpr6
	s_and_saveexec_b64 s[8:9], vcc
	s_cbranch_execz .LBB566_15
; %bb.14:
	v_lshlrev_b32_e32 v6, 1, v0
	global_load_ushort v6, v6, s[0:1] offset:2560
.LBB566_15:
	s_or_b64 exec, exec, s[8:9]
	v_or_b32_e32 v7, 0x600, v0
	v_cmp_gt_u32_e32 vcc, s7, v7
                                        ; implicit-def: $vgpr7
	s_and_saveexec_b64 s[8:9], vcc
	s_cbranch_execz .LBB566_17
; %bb.16:
	v_lshlrev_b32_e32 v7, 1, v0
	global_load_ushort v7, v7, s[0:1] offset:3072
.LBB566_17:
	s_or_b64 exec, exec, s[8:9]
	v_or_b32_e32 v8, 0x700, v0
	v_cmp_gt_u32_e32 vcc, s7, v8
                                        ; implicit-def: $vgpr8
	s_and_saveexec_b64 s[8:9], vcc
	s_cbranch_execz .LBB566_19
; %bb.18:
	v_lshlrev_b32_e32 v8, 1, v0
	global_load_ushort v8, v8, s[0:1] offset:3584
.LBB566_19:
	s_or_b64 exec, exec, s[8:9]
	v_or_b32_e32 v10, 0x800, v0
	v_cmp_gt_u32_e32 vcc, s7, v10
                                        ; implicit-def: $vgpr9
	s_and_saveexec_b64 s[8:9], vcc
	s_cbranch_execz .LBB566_21
; %bb.20:
	v_lshlrev_b32_e32 v9, 1, v10
	global_load_ushort v9, v9, s[0:1]
.LBB566_21:
	s_or_b64 exec, exec, s[8:9]
	v_or_b32_e32 v11, 0x900, v0
	v_cmp_gt_u32_e32 vcc, s7, v11
                                        ; implicit-def: $vgpr10
	s_and_saveexec_b64 s[8:9], vcc
	s_cbranch_execz .LBB566_23
; %bb.22:
	v_lshlrev_b32_e32 v10, 1, v11
	global_load_ushort v10, v10, s[0:1]
.LBB566_23:
	s_or_b64 exec, exec, s[8:9]
	v_or_b32_e32 v12, 0xa00, v0
	v_cmp_gt_u32_e32 vcc, s7, v12
                                        ; implicit-def: $vgpr11
	s_and_saveexec_b64 s[8:9], vcc
	s_cbranch_execz .LBB566_25
; %bb.24:
	v_lshlrev_b32_e32 v11, 1, v12
	global_load_ushort v11, v11, s[0:1]
.LBB566_25:
	s_or_b64 exec, exec, s[8:9]
	v_or_b32_e32 v13, 0xb00, v0
	v_cmp_gt_u32_e32 vcc, s7, v13
                                        ; implicit-def: $vgpr12
	s_and_saveexec_b64 s[8:9], vcc
	s_cbranch_execz .LBB566_27
; %bb.26:
	v_lshlrev_b32_e32 v12, 1, v13
	global_load_ushort v12, v12, s[0:1]
.LBB566_27:
	s_or_b64 exec, exec, s[8:9]
	v_or_b32_e32 v14, 0xc00, v0
	v_cmp_gt_u32_e32 vcc, s7, v14
                                        ; implicit-def: $vgpr13
	s_and_saveexec_b64 s[8:9], vcc
	s_cbranch_execz .LBB566_29
; %bb.28:
	v_lshlrev_b32_e32 v13, 1, v14
	global_load_ushort v13, v13, s[0:1]
.LBB566_29:
	s_or_b64 exec, exec, s[8:9]
	v_or_b32_e32 v15, 0xd00, v0
	v_cmp_gt_u32_e32 vcc, s7, v15
                                        ; implicit-def: $vgpr14
	s_and_saveexec_b64 s[8:9], vcc
	s_cbranch_execz .LBB566_31
; %bb.30:
	v_lshlrev_b32_e32 v14, 1, v15
	global_load_ushort v14, v14, s[0:1]
.LBB566_31:
	s_or_b64 exec, exec, s[8:9]
	v_or_b32_e32 v16, 0xe00, v0
	v_cmp_gt_u32_e32 vcc, s7, v16
                                        ; implicit-def: $vgpr15
	s_and_saveexec_b64 s[8:9], vcc
	s_cbranch_execz .LBB566_33
; %bb.32:
	v_lshlrev_b32_e32 v15, 1, v16
	global_load_ushort v15, v15, s[0:1]
.LBB566_33:
	s_or_b64 exec, exec, s[8:9]
	v_or_b32_e32 v17, 0xf00, v0
	v_cmp_gt_u32_e32 vcc, s7, v17
                                        ; implicit-def: $vgpr16
	s_and_saveexec_b64 s[8:9], vcc
	s_cbranch_execz .LBB566_35
; %bb.34:
	v_lshlrev_b32_e32 v16, 1, v17
	global_load_ushort v16, v16, s[0:1]
.LBB566_35:
	s_or_b64 exec, exec, s[8:9]
	v_or_b32_e32 v18, 0x1000, v0
	v_cmp_gt_u32_e32 vcc, s7, v18
                                        ; implicit-def: $vgpr17
	s_and_saveexec_b64 s[8:9], vcc
	s_cbranch_execz .LBB566_37
; %bb.36:
	v_lshlrev_b32_e32 v17, 1, v18
	global_load_ushort v17, v17, s[0:1]
.LBB566_37:
	s_or_b64 exec, exec, s[8:9]
	v_or_b32_e32 v19, 0x1100, v0
	v_cmp_gt_u32_e32 vcc, s7, v19
                                        ; implicit-def: $vgpr18
	s_and_saveexec_b64 s[8:9], vcc
	s_cbranch_execz .LBB566_39
; %bb.38:
	v_lshlrev_b32_e32 v18, 1, v19
	global_load_ushort v18, v18, s[0:1]
.LBB566_39:
	s_or_b64 exec, exec, s[8:9]
	v_or_b32_e32 v20, 0x1200, v0
	v_cmp_gt_u32_e32 vcc, s7, v20
                                        ; implicit-def: $vgpr19
	s_and_saveexec_b64 s[8:9], vcc
	s_cbranch_execz .LBB566_41
; %bb.40:
	v_lshlrev_b32_e32 v19, 1, v20
	global_load_ushort v19, v19, s[0:1]
.LBB566_41:
	s_or_b64 exec, exec, s[8:9]
	v_or_b32_e32 v21, 0x1300, v0
	v_cmp_gt_u32_e32 vcc, s7, v21
                                        ; implicit-def: $vgpr20
	s_and_saveexec_b64 s[8:9], vcc
	s_cbranch_execz .LBB566_43
; %bb.42:
	v_lshlrev_b32_e32 v20, 1, v21
	global_load_ushort v20, v20, s[0:1]
.LBB566_43:
	s_or_b64 exec, exec, s[8:9]
	v_or_b32_e32 v22, 0x1400, v0
	v_cmp_gt_u32_e32 vcc, s7, v22
                                        ; implicit-def: $vgpr21
	s_and_saveexec_b64 s[8:9], vcc
	s_cbranch_execz .LBB566_45
; %bb.44:
	v_lshlrev_b32_e32 v21, 1, v22
	global_load_ushort v21, v21, s[0:1]
.LBB566_45:
	s_or_b64 exec, exec, s[8:9]
	v_or_b32_e32 v23, 0x1500, v0
	v_cmp_gt_u32_e32 vcc, s7, v23
                                        ; implicit-def: $vgpr22
	s_and_saveexec_b64 s[8:9], vcc
	s_cbranch_execz .LBB566_47
; %bb.46:
	v_lshlrev_b32_e32 v22, 1, v23
	global_load_ushort v22, v22, s[0:1]
.LBB566_47:
	s_or_b64 exec, exec, s[8:9]
	v_lshlrev_b32_e32 v23, 1, v0
	s_waitcnt vmcnt(0)
	ds_write_b16 v23, v1
	ds_write_b16 v23, v2 offset:512
	ds_write_b16 v23, v3 offset:1024
	;; [unrolled: 1-line block ×21, first 2 shown]
	s_waitcnt lgkmcnt(0)
	s_barrier
.LBB566_48:
	v_mul_u32_u24_e32 v19, 22, v0
	v_lshlrev_b32_e32 v34, 1, v19
	s_waitcnt lgkmcnt(0)
	ds_read_b32 v60, v34 offset:40
	ds_read2_b32 v[2:3], v34 offset0:8 offset1:9
	ds_read2_b32 v[4:5], v34 offset0:6 offset1:7
	ds_read2_b32 v[10:11], v34 offset1:1
	ds_read2_b32 v[8:9], v34 offset0:2 offset1:3
	ds_read2_b32 v[6:7], v34 offset0:4 offset1:5
	s_cmp_lg_u32 s6, 0
	s_cselect_b64 s[58:59], -1, 0
	s_cmp_lg_u64 s[2:3], 0
	s_cselect_b64 s[2:3], -1, 0
	s_or_b64 s[2:3], s[58:59], s[2:3]
	v_mad_u32_u24 v12, v0, 22, 21
	v_mad_u32_u24 v13, v0, 22, 20
	s_waitcnt lgkmcnt(5)
	v_lshrrev_b32_e32 v1, 16, v60
	v_mad_u32_u24 v14, v0, 22, 19
	s_waitcnt lgkmcnt(4)
	v_lshrrev_b32_e32 v62, 16, v2
	v_lshrrev_b32_e32 v61, 16, v3
	v_mad_u32_u24 v15, v0, 22, 18
	v_mad_u32_u24 v16, v0, 22, 17
	;; [unrolled: 1-line block ×4, first 2 shown]
	s_waitcnt lgkmcnt(3)
	v_lshrrev_b32_e32 v64, 16, v4
	v_lshrrev_b32_e32 v63, 16, v5
	v_mad_u32_u24 v20, v0, 22, 14
	s_waitcnt lgkmcnt(2)
	v_lshrrev_b32_e32 v74, 16, v10
	v_lshrrev_b32_e32 v71, 16, v11
	v_or_b32_e32 v33, 1, v19
	v_mad_u32_u24 v32, v0, 22, 2
	v_mad_u32_u24 v30, v0, 22, 3
	;; [unrolled: 1-line block ×3, first 2 shown]
	s_waitcnt lgkmcnt(1)
	v_lshrrev_b32_e32 v69, 16, v8
	v_lshrrev_b32_e32 v67, 16, v9
	v_mad_u32_u24 v31, v0, 22, 5
	v_mad_u32_u24 v29, v0, 22, 6
	v_mad_u32_u24 v26, v0, 22, 7
	v_mad_u32_u24 v24, v0, 22, 8
	s_waitcnt lgkmcnt(0)
	v_lshrrev_b32_e32 v66, 16, v6
	v_lshrrev_b32_e32 v65, 16, v7
	v_mad_u32_u24 v27, v0, 22, 9
	v_mad_u32_u24 v25, v0, 22, 10
	;; [unrolled: 1-line block ×5, first 2 shown]
	s_mov_b64 s[60:61], 0
	s_and_b64 vcc, exec, s[2:3]
	s_barrier
	s_cbranch_vccz .LBB566_53
; %bb.49:
	v_mov_b32_e32 v35, 0
	global_load_ushort v35, v35, s[0:1] offset:-2
	v_lshlrev_b32_e32 v36, 1, v0
	s_and_b64 vcc, exec, s[54:55]
	ds_write_b16 v36, v1
	s_cbranch_vccz .LBB566_55
; %bb.50:
	v_cmp_ne_u32_e32 vcc, 0, v0
	s_waitcnt vmcnt(0)
	v_mov_b32_e32 v37, v35
	s_waitcnt lgkmcnt(0)
	s_barrier
	s_and_saveexec_b64 s[0:1], vcc
	s_cbranch_execz .LBB566_52
; %bb.51:
	v_add_u32_e32 v37, -2, v36
	ds_read_u16 v37, v37
.LBB566_52:
	s_or_b64 exec, exec, s[0:1]
	v_cmp_ne_u16_e32 vcc, v60, v1
	v_cndmask_b32_e64 v68, 0, 1, vcc
	v_cmp_ne_u16_e32 vcc, v61, v60
	v_cndmask_b32_e64 v70, 0, 1, vcc
	;; [unrolled: 2-line block ×21, first 2 shown]
	s_waitcnt lgkmcnt(0)
	v_cmp_ne_u16_e64 s[0:1], v37, v10
	s_branch .LBB566_59
.LBB566_53:
                                        ; implicit-def: $sgpr0_sgpr1
                                        ; implicit-def: $vgpr91
                                        ; implicit-def: $vgpr90
                                        ; implicit-def: $vgpr89
                                        ; implicit-def: $vgpr88
                                        ; implicit-def: $vgpr87
                                        ; implicit-def: $vgpr86
                                        ; implicit-def: $vgpr85
                                        ; implicit-def: $vgpr84
                                        ; implicit-def: $vgpr83
                                        ; implicit-def: $vgpr82
                                        ; implicit-def: $vgpr81
                                        ; implicit-def: $vgpr80
                                        ; implicit-def: $vgpr79
                                        ; implicit-def: $vgpr78
                                        ; implicit-def: $vgpr77
                                        ; implicit-def: $vgpr76
                                        ; implicit-def: $vgpr75
                                        ; implicit-def: $vgpr73
                                        ; implicit-def: $vgpr72
                                        ; implicit-def: $vgpr70
                                        ; implicit-def: $vgpr68
	s_branch .LBB566_60
.LBB566_54:
                                        ; implicit-def: $sgpr8
	s_branch .LBB566_68
.LBB566_55:
                                        ; implicit-def: $sgpr0_sgpr1
                                        ; implicit-def: $vgpr91
                                        ; implicit-def: $vgpr90
                                        ; implicit-def: $vgpr89
                                        ; implicit-def: $vgpr88
                                        ; implicit-def: $vgpr87
                                        ; implicit-def: $vgpr86
                                        ; implicit-def: $vgpr85
                                        ; implicit-def: $vgpr84
                                        ; implicit-def: $vgpr83
                                        ; implicit-def: $vgpr82
                                        ; implicit-def: $vgpr81
                                        ; implicit-def: $vgpr80
                                        ; implicit-def: $vgpr79
                                        ; implicit-def: $vgpr78
                                        ; implicit-def: $vgpr77
                                        ; implicit-def: $vgpr76
                                        ; implicit-def: $vgpr75
                                        ; implicit-def: $vgpr73
                                        ; implicit-def: $vgpr72
                                        ; implicit-def: $vgpr70
                                        ; implicit-def: $vgpr68
	s_cbranch_execz .LBB566_59
; %bb.56:
	v_cmp_ne_u32_e32 vcc, 0, v0
	s_waitcnt lgkmcnt(0)
	s_barrier
	s_and_saveexec_b64 s[0:1], vcc
	s_cbranch_execz .LBB566_58
; %bb.57:
	s_waitcnt vmcnt(0)
	v_add_u32_e32 v35, -2, v36
	ds_read_u16 v35, v35
.LBB566_58:
	s_or_b64 exec, exec, s[0:1]
	v_cmp_gt_u32_e32 vcc, s7, v12
	v_cmp_ne_u16_e64 s[0:1], v60, v1
	s_and_b64 s[0:1], vcc, s[0:1]
	v_cndmask_b32_e64 v68, 0, 1, s[0:1]
	v_cmp_gt_u32_e32 vcc, s7, v13
	v_cmp_ne_u16_e64 s[0:1], v61, v60
	s_and_b64 s[0:1], vcc, s[0:1]
	v_cndmask_b32_e64 v70, 0, 1, s[0:1]
	;; [unrolled: 4-line block ×21, first 2 shown]
	v_cmp_gt_u32_e32 vcc, s7, v19
	s_waitcnt vmcnt(0) lgkmcnt(0)
	v_cmp_ne_u16_e64 s[0:1], v35, v10
	s_and_b64 s[0:1], vcc, s[0:1]
.LBB566_59:
	s_mov_b64 s[60:61], -1
	s_cbranch_execnz .LBB566_54
.LBB566_60:
	s_movk_i32 s0, 0xffd6
	v_mad_i32_i24 v34, v0, s0, v34
	s_and_b64 vcc, exec, s[54:55]
	v_cmp_ne_u16_e64 s[0:1], v60, v1
	v_cmp_ne_u16_e64 s[2:3], v61, v60
	;; [unrolled: 1-line block ×21, first 2 shown]
	ds_write_b16 v34, v1
	s_cbranch_vccz .LBB566_64
; %bb.61:
	v_cndmask_b32_e64 v68, 0, 1, s[0:1]
	v_cndmask_b32_e64 v70, 0, 1, s[2:3]
	;; [unrolled: 1-line block ×21, first 2 shown]
	v_cmp_ne_u32_e32 vcc, 0, v0
	s_waitcnt lgkmcnt(0)
	s_barrier
	s_waitcnt lgkmcnt(0)
                                        ; implicit-def: $sgpr0_sgpr1
	s_and_saveexec_b64 s[2:3], vcc
	s_xor_b64 s[2:3], exec, s[2:3]
	s_cbranch_execz .LBB566_63
; %bb.62:
	s_waitcnt vmcnt(0)
	v_add_u32_e32 v35, -2, v34
	ds_read_u16 v35, v35
	s_or_b64 s[60:61], s[60:61], exec
	s_waitcnt lgkmcnt(0)
	v_cmp_ne_u16_e32 vcc, v35, v10
	s_and_b64 s[0:1], vcc, exec
.LBB566_63:
	s_or_b64 exec, exec, s[2:3]
	s_mov_b32 s8, 1
	s_branch .LBB566_68
.LBB566_64:
                                        ; implicit-def: $sgpr0_sgpr1
                                        ; implicit-def: $vgpr91
                                        ; implicit-def: $vgpr90
                                        ; implicit-def: $vgpr89
                                        ; implicit-def: $vgpr88
                                        ; implicit-def: $vgpr87
                                        ; implicit-def: $vgpr86
                                        ; implicit-def: $vgpr85
                                        ; implicit-def: $vgpr84
                                        ; implicit-def: $vgpr83
                                        ; implicit-def: $vgpr82
                                        ; implicit-def: $vgpr81
                                        ; implicit-def: $vgpr80
                                        ; implicit-def: $vgpr79
                                        ; implicit-def: $vgpr78
                                        ; implicit-def: $vgpr77
                                        ; implicit-def: $vgpr76
                                        ; implicit-def: $vgpr75
                                        ; implicit-def: $vgpr73
                                        ; implicit-def: $vgpr72
                                        ; implicit-def: $vgpr70
                                        ; implicit-def: $vgpr68
                                        ; implicit-def: $sgpr8
	s_cbranch_execz .LBB566_68
; %bb.65:
	v_cmp_gt_u32_e32 vcc, s7, v12
	v_cmp_ne_u16_e64 s[0:1], v60, v1
	s_and_b64 s[0:1], vcc, s[0:1]
	v_cndmask_b32_e64 v68, 0, 1, s[0:1]
	v_cmp_gt_u32_e32 vcc, s7, v13
	v_cmp_ne_u16_e64 s[0:1], v61, v60
	s_and_b64 s[0:1], vcc, s[0:1]
	v_cndmask_b32_e64 v70, 0, 1, s[0:1]
	v_cmp_gt_u32_e32 vcc, s7, v14
	v_cmp_ne_u16_e64 s[0:1], v3, v61
	s_and_b64 s[0:1], vcc, s[0:1]
	v_cndmask_b32_e64 v72, 0, 1, s[0:1]
	v_cmp_gt_u32_e32 vcc, s7, v15
	v_cmp_ne_u16_e64 s[0:1], v62, v3
	s_and_b64 s[0:1], vcc, s[0:1]
	v_cndmask_b32_e64 v73, 0, 1, s[0:1]
	v_cmp_gt_u32_e32 vcc, s7, v16
	v_cmp_ne_u16_e64 s[0:1], v2, v62
	s_and_b64 s[0:1], vcc, s[0:1]
	v_cndmask_b32_e64 v75, 0, 1, s[0:1]
	v_cmp_gt_u32_e32 vcc, s7, v17
	v_cmp_ne_u16_e64 s[0:1], v63, v2
	s_and_b64 s[0:1], vcc, s[0:1]
	v_cndmask_b32_e64 v76, 0, 1, s[0:1]
	v_cmp_gt_u32_e32 vcc, s7, v18
	v_cmp_ne_u16_e64 s[0:1], v5, v63
	s_and_b64 s[0:1], vcc, s[0:1]
	v_cndmask_b32_e64 v77, 0, 1, s[0:1]
	v_cmp_gt_u32_e32 vcc, s7, v20
	v_cmp_ne_u16_e64 s[0:1], v64, v5
	s_and_b64 s[0:1], vcc, s[0:1]
	v_cndmask_b32_e64 v78, 0, 1, s[0:1]
	v_cmp_gt_u32_e32 vcc, s7, v21
	v_cmp_ne_u16_e64 s[0:1], v4, v64
	s_and_b64 s[0:1], vcc, s[0:1]
	v_cndmask_b32_e64 v79, 0, 1, s[0:1]
	v_cmp_gt_u32_e32 vcc, s7, v22
	v_cmp_ne_u16_e64 s[0:1], v65, v4
	s_and_b64 s[0:1], vcc, s[0:1]
	v_cndmask_b32_e64 v80, 0, 1, s[0:1]
	v_cmp_gt_u32_e32 vcc, s7, v23
	v_cmp_ne_u16_e64 s[0:1], v7, v65
	s_and_b64 s[0:1], vcc, s[0:1]
	v_cndmask_b32_e64 v81, 0, 1, s[0:1]
	v_cmp_gt_u32_e32 vcc, s7, v25
	v_cmp_ne_u16_e64 s[0:1], v66, v7
	s_and_b64 s[0:1], vcc, s[0:1]
	v_cndmask_b32_e64 v82, 0, 1, s[0:1]
	v_cmp_gt_u32_e32 vcc, s7, v27
	v_cmp_ne_u16_e64 s[0:1], v6, v66
	s_and_b64 s[0:1], vcc, s[0:1]
	v_cndmask_b32_e64 v83, 0, 1, s[0:1]
	v_cmp_gt_u32_e32 vcc, s7, v24
	v_cmp_ne_u16_e64 s[0:1], v67, v6
	s_and_b64 s[0:1], vcc, s[0:1]
	v_cndmask_b32_e64 v84, 0, 1, s[0:1]
	v_cmp_gt_u32_e32 vcc, s7, v26
	v_cmp_ne_u16_e64 s[0:1], v9, v67
	s_and_b64 s[0:1], vcc, s[0:1]
	v_cndmask_b32_e64 v85, 0, 1, s[0:1]
	v_cmp_gt_u32_e32 vcc, s7, v29
	v_cmp_ne_u16_e64 s[0:1], v69, v9
	s_and_b64 s[0:1], vcc, s[0:1]
	v_cndmask_b32_e64 v86, 0, 1, s[0:1]
	v_cmp_gt_u32_e32 vcc, s7, v31
	v_cmp_ne_u16_e64 s[0:1], v8, v69
	s_and_b64 s[0:1], vcc, s[0:1]
	v_cndmask_b32_e64 v87, 0, 1, s[0:1]
	v_cmp_gt_u32_e32 vcc, s7, v28
	v_cmp_ne_u16_e64 s[0:1], v71, v8
	s_and_b64 s[0:1], vcc, s[0:1]
	v_cndmask_b32_e64 v88, 0, 1, s[0:1]
	v_cmp_gt_u32_e32 vcc, s7, v30
	v_cmp_ne_u16_e64 s[0:1], v11, v71
	s_and_b64 s[0:1], vcc, s[0:1]
	v_cndmask_b32_e64 v89, 0, 1, s[0:1]
	v_cmp_gt_u32_e32 vcc, s7, v32
	v_cmp_ne_u16_e64 s[0:1], v74, v11
	s_and_b64 s[0:1], vcc, s[0:1]
	v_cndmask_b32_e64 v90, 0, 1, s[0:1]
	v_cmp_gt_u32_e32 vcc, s7, v33
	v_cmp_ne_u16_e64 s[0:1], v10, v74
	s_and_b64 s[0:1], vcc, s[0:1]
	v_cndmask_b32_e64 v91, 0, 1, s[0:1]
	v_cmp_ne_u32_e32 vcc, 0, v0
	s_waitcnt lgkmcnt(0)
	s_barrier
	s_waitcnt lgkmcnt(0)
                                        ; implicit-def: $sgpr0_sgpr1
	s_and_saveexec_b64 s[2:3], vcc
	s_cbranch_execz .LBB566_67
; %bb.66:
	v_add_u32_e32 v34, -2, v34
	ds_read_u16 v34, v34
	v_cmp_gt_u32_e32 vcc, s7, v19
	s_or_b64 s[60:61], s[60:61], exec
	s_waitcnt lgkmcnt(0)
	v_cmp_ne_u16_e64 s[0:1], v34, v10
	s_and_b64 s[0:1], vcc, s[0:1]
	s_and_b64 s[0:1], s[0:1], exec
.LBB566_67:
	s_or_b64 exec, exec, s[2:3]
	s_mov_b32 s8, 1
.LBB566_68:
	v_mov_b32_e32 v92, s8
	s_and_saveexec_b64 s[2:3], s[60:61]
; %bb.69:
	v_cndmask_b32_e64 v92, 0, 1, s[0:1]
; %bb.70:
	s_or_b64 exec, exec, s[2:3]
	s_load_dwordx2 s[20:21], s[4:5], 0x60
	s_andn2_b64 vcc, exec, s[56:57]
	s_cbranch_vccnz .LBB566_72
; %bb.71:
	v_cmp_gt_u32_e32 vcc, s7, v19
	v_cndmask_b32_e32 v92, 0, v92, vcc
	v_cmp_gt_u32_e32 vcc, s7, v33
	v_cndmask_b32_e32 v91, 0, v91, vcc
	;; [unrolled: 2-line block ×22, first 2 shown]
.LBB566_72:
	v_and_b32_e32 v47, 0xff, v73
	v_and_b32_e32 v49, 0xff, v72
	v_add_u32_sdwa v12, v70, v68 dst_sel:DWORD dst_unused:UNUSED_PAD src0_sel:BYTE_0 src1_sel:BYTE_0
	v_and_b32_e32 v43, 0xff, v76
	v_and_b32_e32 v45, 0xff, v75
	v_add3_u32 v12, v12, v49, v47
	v_and_b32_e32 v39, 0xff, v78
	v_and_b32_e32 v41, 0xff, v77
	v_add3_u32 v12, v12, v45, v43
	s_waitcnt vmcnt(0)
	v_and_b32_e32 v35, 0xff, v80
	v_and_b32_e32 v37, 0xff, v79
	v_add3_u32 v12, v12, v41, v39
	v_and_b32_e32 v32, 0xff, v82
	v_and_b32_e32 v33, 0xff, v81
	v_add3_u32 v12, v12, v37, v35
	;; [unrolled: 3-line block ×7, first 2 shown]
	v_add3_u32 v38, v12, v23, v22
	v_mbcnt_lo_u32_b32 v12, -1, 0
	v_mbcnt_hi_u32_b32 v34, -1, v12
	v_and_b32_e32 v12, 15, v34
	v_cmp_eq_u32_e64 s[14:15], 0, v12
	v_cmp_lt_u32_e64 s[12:13], 1, v12
	v_cmp_lt_u32_e64 s[10:11], 3, v12
	;; [unrolled: 1-line block ×3, first 2 shown]
	v_and_b32_e32 v12, 16, v34
	v_cmp_eq_u32_e64 s[18:19], 0, v12
	v_or_b32_e32 v12, 63, v0
	v_cmp_lt_u32_e64 s[0:1], 31, v34
	v_lshrrev_b32_e32 v36, 6, v0
	v_cmp_eq_u32_e64 s[2:3], v12, v0
	s_and_b64 vcc, exec, s[58:59]
	s_waitcnt lgkmcnt(0)
	s_barrier
	s_cbranch_vccz .LBB566_103
; %bb.73:
	v_mov_b32_dpp v12, v38 row_shr:1 row_mask:0xf bank_mask:0xf
	v_cndmask_b32_e64 v12, v12, 0, s[14:15]
	v_add_u32_e32 v12, v12, v38
	s_nop 1
	v_mov_b32_dpp v13, v12 row_shr:2 row_mask:0xf bank_mask:0xf
	v_cndmask_b32_e64 v13, 0, v13, s[12:13]
	v_add_u32_e32 v12, v12, v13
	s_nop 1
	;; [unrolled: 4-line block ×4, first 2 shown]
	v_mov_b32_dpp v13, v12 row_bcast:15 row_mask:0xf bank_mask:0xf
	v_cndmask_b32_e64 v13, v13, 0, s[18:19]
	v_add_u32_e32 v12, v12, v13
	s_nop 1
	v_mov_b32_dpp v13, v12 row_bcast:31 row_mask:0xf bank_mask:0xf
	v_cndmask_b32_e64 v13, 0, v13, s[0:1]
	v_add_u32_e32 v12, v12, v13
	s_and_saveexec_b64 s[16:17], s[2:3]
	s_cbranch_execz .LBB566_75
; %bb.74:
	v_lshlrev_b32_e32 v13, 2, v36
	ds_write_b32 v13, v12
.LBB566_75:
	s_or_b64 exec, exec, s[16:17]
	v_cmp_gt_u32_e32 vcc, 4, v0
	s_waitcnt lgkmcnt(0)
	s_barrier
	s_and_saveexec_b64 s[16:17], vcc
	s_cbranch_execz .LBB566_77
; %bb.76:
	v_lshlrev_b32_e32 v13, 2, v0
	ds_read_b32 v14, v13
	v_and_b32_e32 v15, 3, v34
	v_cmp_ne_u32_e32 vcc, 0, v15
	s_waitcnt lgkmcnt(0)
	v_mov_b32_dpp v16, v14 row_shr:1 row_mask:0xf bank_mask:0xf
	v_cndmask_b32_e32 v16, 0, v16, vcc
	v_add_u32_e32 v14, v16, v14
	v_cmp_lt_u32_e32 vcc, 1, v15
	s_nop 0
	v_mov_b32_dpp v16, v14 row_shr:2 row_mask:0xf bank_mask:0xf
	v_cndmask_b32_e32 v15, 0, v16, vcc
	v_add_u32_e32 v14, v14, v15
	ds_write_b32 v13, v14
.LBB566_77:
	s_or_b64 exec, exec, s[16:17]
	v_cmp_gt_u32_e32 vcc, 64, v0
	v_cmp_lt_u32_e64 s[16:17], 63, v0
	s_waitcnt lgkmcnt(0)
	s_barrier
	s_waitcnt lgkmcnt(0)
                                        ; implicit-def: $vgpr40
	s_and_saveexec_b64 s[22:23], s[16:17]
	s_cbranch_execz .LBB566_79
; %bb.78:
	v_lshl_add_u32 v13, v36, 2, -4
	ds_read_b32 v40, v13
	s_waitcnt lgkmcnt(0)
	v_add_u32_e32 v12, v40, v12
.LBB566_79:
	s_or_b64 exec, exec, s[22:23]
	v_add_u32_e32 v13, -1, v34
	v_and_b32_e32 v14, 64, v34
	v_cmp_lt_i32_e64 s[16:17], v13, v14
	v_cndmask_b32_e64 v13, v13, v34, s[16:17]
	v_lshlrev_b32_e32 v13, 2, v13
	ds_bpermute_b32 v42, v13, v12
	v_cmp_eq_u32_e64 s[16:17], 0, v34
	s_and_saveexec_b64 s[22:23], vcc
	s_cbranch_execz .LBB566_102
; %bb.80:
	v_mov_b32_e32 v21, 0
	ds_read_b32 v12, v21 offset:12
	s_and_saveexec_b64 s[24:25], s[16:17]
	s_cbranch_execz .LBB566_82
; %bb.81:
	s_add_i32 s26, s6, 64
	s_mov_b32 s27, 0
	s_lshl_b64 s[26:27], s[26:27], 3
	s_add_u32 s26, s20, s26
	v_mov_b32_e32 v13, 1
	s_addc_u32 s27, s21, s27
	s_waitcnt lgkmcnt(0)
	global_store_dwordx2 v21, v[12:13], s[26:27]
.LBB566_82:
	s_or_b64 exec, exec, s[24:25]
	v_xad_u32 v14, v34, -1, s6
	v_add_u32_e32 v20, 64, v14
	v_lshlrev_b64 v[16:17], 3, v[20:21]
	v_mov_b32_e32 v13, s21
	v_add_co_u32_e32 v16, vcc, s20, v16
	v_addc_co_u32_e32 v17, vcc, v13, v17, vcc
	global_load_dwordx2 v[18:19], v[16:17], off glc
	s_waitcnt vmcnt(0)
	v_cmp_eq_u16_sdwa s[26:27], v19, v21 src0_sel:BYTE_0 src1_sel:DWORD
	s_and_saveexec_b64 s[24:25], s[26:27]
	s_cbranch_execz .LBB566_88
; %bb.83:
	s_mov_b32 s7, 1
	s_mov_b64 s[26:27], 0
	v_mov_b32_e32 v13, 0
.LBB566_84:                             ; =>This Loop Header: Depth=1
                                        ;     Child Loop BB566_85 Depth 2
	s_max_u32 s28, s7, 1
.LBB566_85:                             ;   Parent Loop BB566_84 Depth=1
                                        ; =>  This Inner Loop Header: Depth=2
	s_add_i32 s28, s28, -1
	s_cmp_eq_u32 s28, 0
	s_sleep 1
	s_cbranch_scc0 .LBB566_85
; %bb.86:                               ;   in Loop: Header=BB566_84 Depth=1
	global_load_dwordx2 v[18:19], v[16:17], off glc
	s_cmp_lt_u32 s7, 32
	s_cselect_b64 s[28:29], -1, 0
	s_cmp_lg_u64 s[28:29], 0
	s_addc_u32 s7, s7, 0
	s_waitcnt vmcnt(0)
	v_cmp_ne_u16_sdwa s[28:29], v19, v13 src0_sel:BYTE_0 src1_sel:DWORD
	s_or_b64 s[26:27], s[28:29], s[26:27]
	s_andn2_b64 exec, exec, s[26:27]
	s_cbranch_execnz .LBB566_84
; %bb.87:
	s_or_b64 exec, exec, s[26:27]
.LBB566_88:
	s_or_b64 exec, exec, s[24:25]
	v_and_b32_e32 v46, 63, v34
	v_mov_b32_e32 v44, 2
	v_cmp_ne_u32_e32 vcc, 63, v46
	v_cmp_eq_u16_sdwa s[24:25], v19, v44 src0_sel:BYTE_0 src1_sel:DWORD
	v_lshlrev_b64 v[16:17], v34, -1
	v_addc_co_u32_e32 v20, vcc, 0, v34, vcc
	v_and_b32_e32 v13, s25, v17
	v_lshlrev_b32_e32 v48, 2, v20
	v_or_b32_e32 v13, 0x80000000, v13
	ds_bpermute_b32 v20, v48, v18
	v_and_b32_e32 v15, s24, v16
	v_ffbl_b32_e32 v13, v13
	v_add_u32_e32 v13, 32, v13
	v_ffbl_b32_e32 v15, v15
	v_min_u32_e32 v13, v15, v13
	v_cmp_lt_u32_e32 vcc, v46, v13
	s_waitcnt lgkmcnt(0)
	v_cndmask_b32_e32 v15, 0, v20, vcc
	v_cmp_gt_u32_e32 vcc, 62, v46
	v_add_u32_e32 v15, v15, v18
	v_cndmask_b32_e64 v18, 0, 1, vcc
	v_lshlrev_b32_e32 v18, 1, v18
	v_add_lshl_u32 v50, v18, v34, 2
	ds_bpermute_b32 v18, v50, v15
	v_add_u32_e32 v51, 2, v46
	v_cmp_le_u32_e32 vcc, v51, v13
	v_add_u32_e32 v53, 4, v46
	v_add_u32_e32 v55, 8, v46
	s_waitcnt lgkmcnt(0)
	v_cndmask_b32_e32 v18, 0, v18, vcc
	v_cmp_gt_u32_e32 vcc, 60, v46
	v_add_u32_e32 v15, v15, v18
	v_cndmask_b32_e64 v18, 0, 1, vcc
	v_lshlrev_b32_e32 v18, 2, v18
	v_add_lshl_u32 v52, v18, v34, 2
	ds_bpermute_b32 v18, v52, v15
	v_cmp_le_u32_e32 vcc, v53, v13
	v_add_u32_e32 v57, 16, v46
	v_add_u32_e32 v59, 32, v46
	s_waitcnt lgkmcnt(0)
	v_cndmask_b32_e32 v18, 0, v18, vcc
	v_cmp_gt_u32_e32 vcc, 56, v46
	v_add_u32_e32 v15, v15, v18
	v_cndmask_b32_e64 v18, 0, 1, vcc
	v_lshlrev_b32_e32 v18, 3, v18
	v_add_lshl_u32 v54, v18, v34, 2
	ds_bpermute_b32 v18, v54, v15
	v_cmp_le_u32_e32 vcc, v55, v13
	s_waitcnt lgkmcnt(0)
	v_cndmask_b32_e32 v18, 0, v18, vcc
	v_cmp_gt_u32_e32 vcc, 48, v46
	v_add_u32_e32 v15, v15, v18
	v_cndmask_b32_e64 v18, 0, 1, vcc
	v_lshlrev_b32_e32 v18, 4, v18
	v_add_lshl_u32 v56, v18, v34, 2
	ds_bpermute_b32 v18, v56, v15
	v_cmp_le_u32_e32 vcc, v57, v13
	;; [unrolled: 9-line block ×3, first 2 shown]
	s_waitcnt lgkmcnt(0)
	v_cndmask_b32_e32 v13, 0, v18, vcc
	v_add_u32_e32 v18, v15, v13
	v_mov_b32_e32 v15, 0
	s_branch .LBB566_90
.LBB566_89:                             ;   in Loop: Header=BB566_90 Depth=1
	s_or_b64 exec, exec, s[24:25]
	v_cmp_eq_u16_sdwa s[24:25], v19, v44 src0_sel:BYTE_0 src1_sel:DWORD
	v_and_b32_e32 v20, s25, v17
	v_or_b32_e32 v20, 0x80000000, v20
	ds_bpermute_b32 v93, v48, v18
	v_and_b32_e32 v21, s24, v16
	v_ffbl_b32_e32 v20, v20
	v_add_u32_e32 v20, 32, v20
	v_ffbl_b32_e32 v21, v21
	v_min_u32_e32 v20, v21, v20
	v_cmp_lt_u32_e32 vcc, v46, v20
	s_waitcnt lgkmcnt(0)
	v_cndmask_b32_e32 v21, 0, v93, vcc
	v_add_u32_e32 v18, v21, v18
	ds_bpermute_b32 v21, v50, v18
	v_cmp_le_u32_e32 vcc, v51, v20
	v_subrev_u32_e32 v14, 64, v14
	s_waitcnt lgkmcnt(0)
	v_cndmask_b32_e32 v21, 0, v21, vcc
	v_add_u32_e32 v18, v18, v21
	ds_bpermute_b32 v21, v52, v18
	v_cmp_le_u32_e32 vcc, v53, v20
	s_waitcnt lgkmcnt(0)
	v_cndmask_b32_e32 v21, 0, v21, vcc
	v_add_u32_e32 v18, v18, v21
	ds_bpermute_b32 v21, v54, v18
	v_cmp_le_u32_e32 vcc, v55, v20
	;; [unrolled: 5-line block ×4, first 2 shown]
	s_waitcnt lgkmcnt(0)
	v_cndmask_b32_e32 v20, 0, v21, vcc
	v_add3_u32 v18, v20, v13, v18
.LBB566_90:                             ; =>This Loop Header: Depth=1
                                        ;     Child Loop BB566_93 Depth 2
                                        ;       Child Loop BB566_94 Depth 3
	v_cmp_ne_u16_sdwa s[24:25], v19, v44 src0_sel:BYTE_0 src1_sel:DWORD
	v_cndmask_b32_e64 v13, 0, 1, s[24:25]
	;;#ASMSTART
	;;#ASMEND
	v_cmp_ne_u32_e32 vcc, 0, v13
	s_cmp_lg_u64 vcc, exec
	v_mov_b32_e32 v13, v18
	s_cbranch_scc1 .LBB566_97
; %bb.91:                               ;   in Loop: Header=BB566_90 Depth=1
	v_lshlrev_b64 v[18:19], 3, v[14:15]
	v_mov_b32_e32 v21, s21
	v_add_co_u32_e32 v20, vcc, s20, v18
	v_addc_co_u32_e32 v21, vcc, v21, v19, vcc
	global_load_dwordx2 v[18:19], v[20:21], off glc
	s_waitcnt vmcnt(0)
	v_cmp_eq_u16_sdwa s[26:27], v19, v15 src0_sel:BYTE_0 src1_sel:DWORD
	s_and_saveexec_b64 s[24:25], s[26:27]
	s_cbranch_execz .LBB566_89
; %bb.92:                               ;   in Loop: Header=BB566_90 Depth=1
	s_mov_b32 s7, 1
	s_mov_b64 s[26:27], 0
.LBB566_93:                             ;   Parent Loop BB566_90 Depth=1
                                        ; =>  This Loop Header: Depth=2
                                        ;       Child Loop BB566_94 Depth 3
	s_max_u32 s28, s7, 1
.LBB566_94:                             ;   Parent Loop BB566_90 Depth=1
                                        ;     Parent Loop BB566_93 Depth=2
                                        ; =>    This Inner Loop Header: Depth=3
	s_add_i32 s28, s28, -1
	s_cmp_eq_u32 s28, 0
	s_sleep 1
	s_cbranch_scc0 .LBB566_94
; %bb.95:                               ;   in Loop: Header=BB566_93 Depth=2
	global_load_dwordx2 v[18:19], v[20:21], off glc
	s_cmp_lt_u32 s7, 32
	s_cselect_b64 s[28:29], -1, 0
	s_cmp_lg_u64 s[28:29], 0
	s_addc_u32 s7, s7, 0
	s_waitcnt vmcnt(0)
	v_cmp_ne_u16_sdwa s[28:29], v19, v15 src0_sel:BYTE_0 src1_sel:DWORD
	s_or_b64 s[26:27], s[28:29], s[26:27]
	s_andn2_b64 exec, exec, s[26:27]
	s_cbranch_execnz .LBB566_93
; %bb.96:                               ;   in Loop: Header=BB566_90 Depth=1
	s_or_b64 exec, exec, s[26:27]
	s_branch .LBB566_89
.LBB566_97:                             ;   in Loop: Header=BB566_90 Depth=1
                                        ; implicit-def: $vgpr18
                                        ; implicit-def: $vgpr19
	s_cbranch_execz .LBB566_90
; %bb.98:
	s_and_saveexec_b64 s[24:25], s[16:17]
	s_cbranch_execz .LBB566_100
; %bb.99:
	s_add_i32 s6, s6, 64
	s_mov_b32 s7, 0
	s_lshl_b64 s[6:7], s[6:7], 3
	s_add_u32 s6, s20, s6
	v_add_u32_e32 v14, v13, v12
	v_mov_b32_e32 v15, 2
	s_addc_u32 s7, s21, s7
	v_mov_b32_e32 v16, 0
	global_store_dwordx2 v16, v[14:15], s[6:7]
	ds_write_b64 v16, v[12:13] offset:11264
.LBB566_100:
	s_or_b64 exec, exec, s[24:25]
	v_cmp_eq_u32_e32 vcc, 0, v0
	s_and_b64 exec, exec, vcc
	s_cbranch_execz .LBB566_102
; %bb.101:
	v_mov_b32_e32 v12, 0
	ds_write_b32 v12, v13 offset:12
.LBB566_102:
	s_or_b64 exec, exec, s[22:23]
	v_mov_b32_e32 v12, 0
	s_waitcnt lgkmcnt(0)
	s_barrier
	ds_read_b32 v15, v12 offset:12
	s_waitcnt lgkmcnt(0)
	s_barrier
	ds_read_b64 v[12:13], v12 offset:11264
	v_cndmask_b32_e64 v14, v42, v40, s[16:17]
	v_cmp_ne_u32_e32 vcc, 0, v0
	v_cndmask_b32_e32 v14, 0, v14, vcc
	v_add_u32_e32 v52, v15, v14
	s_waitcnt lgkmcnt(0)
	v_mov_b32_e32 v14, v13
	s_load_dwordx2 s[4:5], s[4:5], 0x28
	s_branch .LBB566_113
.LBB566_103:
                                        ; implicit-def: $vgpr14
                                        ; implicit-def: $vgpr12
                                        ; implicit-def: $vgpr52
	s_load_dwordx2 s[4:5], s[4:5], 0x28
	s_cbranch_execz .LBB566_113
; %bb.104:
	v_mov_b32_dpp v12, v38 row_shr:1 row_mask:0xf bank_mask:0xf
	v_cndmask_b32_e64 v12, v12, 0, s[14:15]
	v_add_u32_e32 v12, v12, v38
	s_nop 1
	v_mov_b32_dpp v13, v12 row_shr:2 row_mask:0xf bank_mask:0xf
	v_cndmask_b32_e64 v13, 0, v13, s[12:13]
	v_add_u32_e32 v12, v12, v13
	s_nop 1
	v_mov_b32_dpp v13, v12 row_shr:4 row_mask:0xf bank_mask:0xf
	v_cndmask_b32_e64 v13, 0, v13, s[10:11]
	v_add_u32_e32 v12, v12, v13
	s_nop 1
	v_mov_b32_dpp v13, v12 row_shr:8 row_mask:0xf bank_mask:0xf
	v_cndmask_b32_e64 v13, 0, v13, s[8:9]
	v_add_u32_e32 v12, v12, v13
	s_nop 1
	v_mov_b32_dpp v13, v12 row_bcast:15 row_mask:0xf bank_mask:0xf
	v_cndmask_b32_e64 v13, v13, 0, s[18:19]
	v_add_u32_e32 v12, v12, v13
	s_nop 1
	v_mov_b32_dpp v13, v12 row_bcast:31 row_mask:0xf bank_mask:0xf
	v_cndmask_b32_e64 v13, 0, v13, s[0:1]
	v_add_u32_e32 v12, v12, v13
	s_and_saveexec_b64 s[0:1], s[2:3]
	s_cbranch_execz .LBB566_106
; %bb.105:
	v_lshlrev_b32_e32 v13, 2, v36
	ds_write_b32 v13, v12
.LBB566_106:
	s_or_b64 exec, exec, s[0:1]
	v_cmp_gt_u32_e32 vcc, 4, v0
	s_waitcnt lgkmcnt(0)
	s_barrier
	s_and_saveexec_b64 s[0:1], vcc
	s_cbranch_execz .LBB566_108
; %bb.107:
	v_lshlrev_b32_e32 v13, 2, v0
	ds_read_b32 v14, v13
	v_and_b32_e32 v15, 3, v34
	v_cmp_ne_u32_e32 vcc, 0, v15
	s_waitcnt lgkmcnt(0)
	v_mov_b32_dpp v16, v14 row_shr:1 row_mask:0xf bank_mask:0xf
	v_cndmask_b32_e32 v16, 0, v16, vcc
	v_add_u32_e32 v14, v16, v14
	v_cmp_lt_u32_e32 vcc, 1, v15
	s_nop 0
	v_mov_b32_dpp v16, v14 row_shr:2 row_mask:0xf bank_mask:0xf
	v_cndmask_b32_e32 v15, 0, v16, vcc
	v_add_u32_e32 v14, v14, v15
	ds_write_b32 v13, v14
.LBB566_108:
	s_or_b64 exec, exec, s[0:1]
	v_cmp_lt_u32_e32 vcc, 63, v0
	v_mov_b32_e32 v13, 0
	v_mov_b32_e32 v14, 0
	s_waitcnt lgkmcnt(0)
	s_barrier
	s_and_saveexec_b64 s[0:1], vcc
	s_cbranch_execz .LBB566_110
; %bb.109:
	v_lshl_add_u32 v14, v36, 2, -4
	ds_read_b32 v14, v14
.LBB566_110:
	s_or_b64 exec, exec, s[0:1]
	v_add_u32_e32 v15, -1, v34
	v_and_b32_e32 v16, 64, v34
	v_cmp_lt_i32_e32 vcc, v15, v16
	v_cndmask_b32_e32 v15, v15, v34, vcc
	s_waitcnt lgkmcnt(0)
	v_add_u32_e32 v12, v14, v12
	v_lshlrev_b32_e32 v15, 2, v15
	ds_bpermute_b32 v15, v15, v12
	ds_read_b32 v12, v13 offset:12
	v_cmp_eq_u32_e32 vcc, 0, v0
	s_and_saveexec_b64 s[0:1], vcc
	s_cbranch_execz .LBB566_112
; %bb.111:
	v_mov_b32_e32 v16, 0
	v_mov_b32_e32 v13, 2
	s_waitcnt lgkmcnt(0)
	global_store_dwordx2 v16, v[12:13], s[20:21] offset:512
.LBB566_112:
	s_or_b64 exec, exec, s[0:1]
	v_cmp_eq_u32_e64 s[0:1], 0, v34
	s_waitcnt lgkmcnt(1)
	v_cndmask_b32_e64 v13, v15, v14, s[0:1]
	v_mov_b32_e32 v14, 0
	v_cndmask_b32_e64 v52, v13, 0, vcc
	s_waitcnt lgkmcnt(0)
	s_barrier
.LBB566_113:
	v_add_u32_e32 v58, v52, v22
	v_add_u32_e32 v56, v58, v23
	;; [unrolled: 1-line block ×19, first 2 shown]
	s_movk_i32 s0, 0x101
	v_add_u32_e32 v18, v20, v49
	v_cmp_gt_u32_e32 vcc, s0, v12
	v_add_u32_sdwa v16, v18, v70 dst_sel:DWORD dst_unused:UNUSED_PAD src0_sel:DWORD src1_sel:BYTE_0
	s_mov_b64 s[0:1], -1
	s_cbranch_vccnz .LBB566_117
; %bb.114:
	s_and_b64 vcc, exec, s[0:1]
	s_cbranch_vccnz .LBB566_184
.LBB566_115:
	v_cmp_eq_u32_e32 vcc, 0, v0
	s_and_b64 s[0:1], vcc, s[52:53]
	s_and_saveexec_b64 s[2:3], s[0:1]
	s_cbranch_execnz .LBB566_244
.LBB566_116:
	s_endpgm
.LBB566_117:
	v_add_u32_e32 v13, v14, v12
	s_lshl_b64 s[0:1], s[50:51], 1
	s_waitcnt lgkmcnt(0)
	s_add_u32 s2, s4, s0
	v_cmp_lt_u32_e32 vcc, v52, v13
	s_addc_u32 s3, s5, s1
	s_or_b64 s[6:7], s[54:55], vcc
	s_and_saveexec_b64 s[0:1], s[6:7]
	s_cbranch_execz .LBB566_120
; %bb.118:
	v_and_b32_e32 v15, 1, v92
	v_cmp_eq_u32_e32 vcc, 1, v15
	s_and_b64 exec, exec, vcc
	s_cbranch_execz .LBB566_120
; %bb.119:
	v_mov_b32_e32 v53, 0
	v_lshlrev_b64 v[94:95], 1, v[52:53]
	v_mov_b32_e32 v15, s3
	v_add_co_u32_e32 v94, vcc, s2, v94
	v_addc_co_u32_e32 v95, vcc, v15, v95, vcc
	global_store_short v[94:95], v10, off
.LBB566_120:
	s_or_b64 exec, exec, s[0:1]
	v_cmp_lt_u32_e32 vcc, v58, v13
	s_or_b64 s[6:7], s[54:55], vcc
	s_and_saveexec_b64 s[0:1], s[6:7]
	s_cbranch_execz .LBB566_123
; %bb.121:
	v_and_b32_e32 v15, 1, v91
	v_cmp_eq_u32_e32 vcc, 1, v15
	s_and_b64 exec, exec, vcc
	s_cbranch_execz .LBB566_123
; %bb.122:
	v_mov_b32_e32 v59, 0
	v_lshlrev_b64 v[94:95], 1, v[58:59]
	v_mov_b32_e32 v15, s3
	v_add_co_u32_e32 v94, vcc, s2, v94
	v_addc_co_u32_e32 v95, vcc, v15, v95, vcc
	global_store_short v[94:95], v74, off
.LBB566_123:
	s_or_b64 exec, exec, s[0:1]
	v_cmp_lt_u32_e32 vcc, v56, v13
	;; [unrolled: 18-line block ×21, first 2 shown]
	s_or_b64 s[6:7], s[54:55], vcc
	s_and_saveexec_b64 s[0:1], s[6:7]
	s_cbranch_execz .LBB566_183
; %bb.181:
	v_and_b32_e32 v13, 1, v68
	v_cmp_eq_u32_e32 vcc, 1, v13
	s_and_b64 exec, exec, vcc
	s_cbranch_execz .LBB566_183
; %bb.182:
	v_mov_b32_e32 v17, 0
	v_lshlrev_b64 v[94:95], 1, v[16:17]
	v_mov_b32_e32 v13, s3
	v_add_co_u32_e32 v94, vcc, s2, v94
	v_addc_co_u32_e32 v95, vcc, v13, v95, vcc
	global_store_short v[94:95], v1, off
.LBB566_183:
	s_or_b64 exec, exec, s[0:1]
	s_branch .LBB566_115
.LBB566_184:
	v_and_b32_e32 v13, 1, v92
	v_cmp_eq_u32_e32 vcc, 1, v13
	s_and_saveexec_b64 s[0:1], vcc
	s_cbranch_execz .LBB566_186
; %bb.185:
	v_sub_u32_e32 v13, v52, v14
	v_lshlrev_b32_e32 v13, 1, v13
	ds_write_b16 v13, v10
.LBB566_186:
	s_or_b64 exec, exec, s[0:1]
	v_and_b32_e32 v10, 1, v91
	v_cmp_eq_u32_e32 vcc, 1, v10
	s_and_saveexec_b64 s[0:1], vcc
	s_cbranch_execz .LBB566_188
; %bb.187:
	v_sub_u32_e32 v10, v58, v14
	v_lshlrev_b32_e32 v10, 1, v10
	ds_write_b16 v10, v74
.LBB566_188:
	s_or_b64 exec, exec, s[0:1]
	;; [unrolled: 10-line block ×22, first 2 shown]
	v_cmp_lt_u32_e32 vcc, v0, v12
	s_waitcnt lgkmcnt(0)
	s_barrier
	s_and_saveexec_b64 s[6:7], vcc
	s_cbranch_execz .LBB566_243
; %bb.229:
	s_lshl_b64 s[0:1], s[50:51], 1
	v_mov_b32_e32 v15, 0
	s_add_u32 s0, s4, s0
	s_addc_u32 s1, s5, s1
	v_lshlrev_b64 v[2:3], 1, v[14:15]
	v_mov_b32_e32 v1, s1
	v_add_co_u32_e32 v10, vcc, s0, v2
	v_addc_co_u32_e32 v11, vcc, v1, v3, vcc
	v_xad_u32 v1, v0, -1, v12
	s_movk_i32 s0, 0x1700
	v_cmp_gt_u32_e32 vcc, s0, v1
	s_movk_i32 s0, 0x16ff
	v_cmp_lt_u32_e64 s[0:1], s0, v1
	v_mov_b32_e32 v2, v0
	s_and_saveexec_b64 s[4:5], s[0:1]
	s_cbranch_execz .LBB566_240
; %bb.230:
	v_sub_u32_e32 v2, v0, v12
	v_or_b32_e32 v2, 0xff, v2
	v_cmp_ge_u32_e64 s[0:1], v2, v0
	s_mov_b64 s[2:3], -1
	v_mov_b32_e32 v2, v0
	s_and_saveexec_b64 s[8:9], s[0:1]
	s_cbranch_execz .LBB566_239
; %bb.231:
	v_lshrrev_b32_e32 v13, 8, v1
	v_add_u32_e32 v4, -3, v13
	v_or_b32_e32 v3, 0x300, v0
	v_or_b32_e32 v2, 0x200, v0
	v_lshrrev_b32_e32 v5, 2, v4
	v_or_b32_e32 v1, 0x100, v0
	v_add_u32_e32 v16, 1, v5
	v_cmp_lt_u32_e64 s[0:1], 11, v4
	v_pk_mov_b32 v[6:7], v[2:3], v[2:3] op_sel:[0,1]
	v_mov_b32_e32 v19, 0
	v_lshlrev_b32_e32 v15, 1, v0
	v_pk_mov_b32 v[4:5], v[0:1], v[0:1] op_sel:[0,1]
	s_and_saveexec_b64 s[10:11], s[0:1]
	s_cbranch_execz .LBB566_235
; %bb.232:
	v_pk_mov_b32 v[6:7], v[2:3], v[2:3] op_sel:[0,1]
	v_and_b32_e32 v17, 0x7ffffffc, v16
	s_mov_b32 s14, 0
	s_mov_b64 s[12:13], 0
	v_mov_b32_e32 v9, 0
	v_mov_b32_e32 v18, v15
	v_pk_mov_b32 v[4:5], v[0:1], v[0:1] op_sel:[0,1]
.LBB566_233:                            ; =>This Inner Loop Header: Depth=1
	v_mov_b32_e32 v8, v4
	v_lshlrev_b64 v[36:37], 1, v[8:9]
	v_add_u32_e32 v22, 0x400, v5
	v_mov_b32_e32 v23, v9
	v_add_co_u32_e64 v36, s[2:3], v10, v36
	v_lshlrev_b64 v[22:23], 1, v[22:23]
	v_addc_co_u32_e64 v37, s[2:3], v11, v37, s[2:3]
	v_add_u32_e32 v20, 0x400, v6
	v_mov_b32_e32 v21, v9
	v_add_co_u32_e64 v22, s[2:3], v10, v22
	v_lshlrev_b64 v[20:21], 1, v[20:21]
	v_addc_co_u32_e64 v23, s[2:3], v11, v23, s[2:3]
	v_add_u32_e32 v2, 0x400, v7
	v_mov_b32_e32 v3, v9
	v_add_co_u32_e64 v20, s[2:3], v10, v20
	v_add_u32_e32 v17, -4, v17
	v_mov_b32_e32 v8, v5
	v_lshlrev_b64 v[2:3], 1, v[2:3]
	v_addc_co_u32_e64 v21, s[2:3], v11, v21, s[2:3]
	v_add_u32_e32 v28, 0x800, v5
	v_mov_b32_e32 v29, v9
	s_add_i32 s14, s14, 16
	v_cmp_eq_u32_e64 s[0:1], 0, v17
	v_lshlrev_b64 v[38:39], 1, v[8:9]
	v_add_co_u32_e64 v2, s[2:3], v10, v2
	v_lshlrev_b64 v[28:29], 1, v[28:29]
	v_mov_b32_e32 v8, v6
	v_addc_co_u32_e64 v3, s[2:3], v11, v3, s[2:3]
	s_or_b64 s[12:13], s[0:1], s[12:13]
	v_add_co_u32_e64 v38, s[0:1], v10, v38
	v_add_u32_e32 v26, 0x800, v6
	v_mov_b32_e32 v27, v9
	v_add_co_u32_e64 v28, s[2:3], v10, v28
	v_addc_co_u32_e64 v39, s[0:1], v11, v39, s[0:1]
	v_lshlrev_b64 v[40:41], 1, v[8:9]
	v_lshlrev_b64 v[26:27], 1, v[26:27]
	v_addc_co_u32_e64 v29, s[2:3], v11, v29, s[2:3]
	v_mov_b32_e32 v8, v7
	v_add_co_u32_e64 v40, s[0:1], v10, v40
	ds_read_u16 v1, v18
	ds_read_u16 v44, v18 offset:512
	ds_read_u16 v45, v18 offset:1024
	;; [unrolled: 1-line block ×7, first 2 shown]
	v_add_u32_e32 v24, 0x800, v7
	v_mov_b32_e32 v25, v9
	v_add_co_u32_e64 v26, s[2:3], v10, v26
	v_addc_co_u32_e64 v41, s[0:1], v11, v41, s[0:1]
	v_lshlrev_b64 v[42:43], 1, v[8:9]
	v_lshlrev_b64 v[24:25], 1, v[24:25]
	v_addc_co_u32_e64 v27, s[2:3], v11, v27, s[2:3]
	v_add_u32_e32 v8, 0x400, v4
	v_add_co_u32_e64 v42, s[0:1], v10, v42
	v_add_u32_e32 v34, 0xc00, v5
	ds_read_u16 v51, v18 offset:4096
	ds_read_u16 v52, v18 offset:4608
	;; [unrolled: 1-line block ×8, first 2 shown]
	v_mov_b32_e32 v35, v9
	v_add_co_u32_e64 v24, s[2:3], v10, v24
	v_addc_co_u32_e64 v43, s[0:1], v11, v43, s[0:1]
	s_waitcnt lgkmcnt(14)
	global_store_short v[36:37], v1, off
	global_store_short v[38:39], v44, off
	s_waitcnt lgkmcnt(13)
	global_store_short v[40:41], v45, off
	v_lshlrev_b64 v[36:37], 1, v[8:9]
	v_lshlrev_b64 v[34:35], 1, v[34:35]
	v_addc_co_u32_e64 v25, s[2:3], v11, v25, s[2:3]
	v_add_u32_e32 v8, 0x800, v4
	v_add_co_u32_e64 v36, s[0:1], v10, v36
	v_add_u32_e32 v32, 0xc00, v6
	v_mov_b32_e32 v33, v9
	v_add_co_u32_e64 v34, s[2:3], v10, v34
	v_addc_co_u32_e64 v37, s[0:1], v11, v37, s[0:1]
	v_lshlrev_b64 v[38:39], 1, v[8:9]
	v_lshlrev_b64 v[32:33], 1, v[32:33]
	v_addc_co_u32_e64 v35, s[2:3], v11, v35, s[2:3]
	s_waitcnt lgkmcnt(12)
	global_store_short v[42:43], v46, off
	v_add_u32_e32 v8, 0xc00, v4
	s_waitcnt lgkmcnt(11)
	global_store_short v[36:37], v47, off
	s_waitcnt lgkmcnt(10)
	global_store_short v[22:23], v48, off
	;; [unrolled: 2-line block ×4, first 2 shown]
	v_add_co_u32_e64 v2, s[0:1], v10, v38
	v_add_u32_e32 v30, 0xc00, v7
	v_mov_b32_e32 v31, v9
	v_add_co_u32_e64 v32, s[2:3], v10, v32
	v_addc_co_u32_e64 v3, s[0:1], v11, v39, s[0:1]
	v_lshlrev_b64 v[20:21], 1, v[8:9]
	v_lshlrev_b64 v[30:31], 1, v[30:31]
	v_addc_co_u32_e64 v33, s[2:3], v11, v33, s[2:3]
	s_waitcnt lgkmcnt(7)
	global_store_short v[2:3], v51, off
	s_waitcnt lgkmcnt(6)
	global_store_short v[28:29], v52, off
	;; [unrolled: 2-line block ×4, first 2 shown]
	v_add_co_u32_e64 v2, s[0:1], v10, v20
	v_add_u32_e32 v18, 0x2000, v18
	v_add_u32_e32 v5, 0x1000, v5
	v_mov_b32_e32 v19, s14
	v_add_co_u32_e64 v30, s[2:3], v10, v30
	v_add_u32_e32 v6, 0x1000, v6
	v_add_u32_e32 v7, 0x1000, v7
	;; [unrolled: 1-line block ×3, first 2 shown]
	v_addc_co_u32_e64 v3, s[0:1], v11, v21, s[0:1]
	v_addc_co_u32_e64 v31, s[2:3], v11, v31, s[2:3]
	s_waitcnt lgkmcnt(3)
	global_store_short v[2:3], v55, off
	s_waitcnt lgkmcnt(2)
	global_store_short v[34:35], v56, off
	;; [unrolled: 2-line block ×4, first 2 shown]
	s_andn2_b64 exec, exec, s[12:13]
	s_cbranch_execnz .LBB566_233
; %bb.234:
	s_or_b64 exec, exec, s[12:13]
.LBB566_235:
	s_or_b64 exec, exec, s[10:11]
	v_and_b32_e32 v1, 3, v16
	v_cmp_ne_u32_e64 s[0:1], 0, v1
	s_and_saveexec_b64 s[10:11], s[0:1]
	s_cbranch_execz .LBB566_238
; %bb.236:
	v_lshl_or_b32 v8, v19, 9, v15
	s_mov_b64 s[12:13], 0
	v_mov_b32_e32 v3, 0
.LBB566_237:                            ; =>This Inner Loop Header: Depth=1
	v_mov_b32_e32 v2, v4
	v_add_u32_e32 v1, -1, v1
	v_lshlrev_b64 v[16:17], 1, v[2:3]
	v_mov_b32_e32 v2, v5
	v_cmp_eq_u32_e64 s[0:1], 0, v1
	v_lshlrev_b64 v[18:19], 1, v[2:3]
	ds_read_u16 v9, v8
	ds_read_u16 v15, v8 offset:512
	ds_read_u16 v24, v8 offset:1024
	ds_read_u16 v25, v8 offset:1536
	v_mov_b32_e32 v2, v6
	s_or_b64 s[12:13], s[0:1], s[12:13]
	v_add_co_u32_e64 v18, s[0:1], v10, v18
	v_addc_co_u32_e64 v19, s[0:1], v11, v19, s[0:1]
	v_lshlrev_b64 v[20:21], 1, v[2:3]
	v_mov_b32_e32 v2, v7
	v_add_co_u32_e64 v20, s[0:1], v10, v20
	v_add_co_u32_e64 v16, s[2:3], v10, v16
	v_addc_co_u32_e64 v21, s[0:1], v11, v21, s[0:1]
	v_lshlrev_b64 v[22:23], 1, v[2:3]
	v_add_u32_e32 v4, 0x400, v4
	v_add_u32_e32 v8, 0x800, v8
	v_add_u32_e32 v5, 0x400, v5
	v_addc_co_u32_e64 v17, s[2:3], v11, v17, s[2:3]
	v_add_u32_e32 v6, 0x400, v6
	v_add_u32_e32 v7, 0x400, v7
	v_add_co_u32_e64 v22, s[0:1], v10, v22
	v_addc_co_u32_e64 v23, s[0:1], v11, v23, s[0:1]
	s_waitcnt lgkmcnt(3)
	global_store_short v[16:17], v9, off
	s_waitcnt lgkmcnt(2)
	global_store_short v[18:19], v15, off
	;; [unrolled: 2-line block ×4, first 2 shown]
	s_andn2_b64 exec, exec, s[12:13]
	s_cbranch_execnz .LBB566_237
.LBB566_238:
	s_or_b64 exec, exec, s[10:11]
	v_add_u32_e32 v1, 1, v13
	v_and_b32_e32 v3, 0x1fffffc, v1
	v_cmp_ne_u32_e64 s[0:1], v1, v3
	v_lshl_or_b32 v2, v3, 8, v0
	s_orn2_b64 s[2:3], s[0:1], exec
.LBB566_239:
	s_or_b64 exec, exec, s[8:9]
	s_andn2_b64 s[0:1], vcc, exec
	s_and_b64 s[2:3], s[2:3], exec
	s_or_b64 vcc, s[0:1], s[2:3]
.LBB566_240:
	s_or_b64 exec, exec, s[4:5]
	s_and_b64 exec, exec, vcc
	s_cbranch_execz .LBB566_243
; %bb.241:
	v_lshlrev_b32_e32 v1, 1, v2
	s_mov_b64 s[0:1], 0
	v_mov_b32_e32 v3, 0
.LBB566_242:                            ; =>This Inner Loop Header: Depth=1
	ds_read_u16 v6, v1
	v_lshlrev_b64 v[4:5], 1, v[2:3]
	v_add_co_u32_e32 v4, vcc, v10, v4
	v_add_u32_e32 v2, 0x100, v2
	v_addc_co_u32_e32 v5, vcc, v11, v5, vcc
	v_cmp_ge_u32_e32 vcc, v2, v12
	v_add_u32_e32 v1, 0x200, v1
	s_or_b64 s[0:1], vcc, s[0:1]
	s_waitcnt lgkmcnt(0)
	global_store_short v[4:5], v6, off
	s_andn2_b64 exec, exec, s[0:1]
	s_cbranch_execnz .LBB566_242
.LBB566_243:
	s_or_b64 exec, exec, s[6:7]
	v_cmp_eq_u32_e32 vcc, 0, v0
	s_and_b64 s[0:1], vcc, s[52:53]
	s_and_saveexec_b64 s[2:3], s[0:1]
	s_cbranch_execz .LBB566_116
.LBB566_244:
	v_mov_b32_e32 v0, s51
	v_add_co_u32_e32 v1, vcc, s50, v12
	v_addc_co_u32_e32 v3, vcc, 0, v0, vcc
	v_add_co_u32_e32 v0, vcc, v1, v14
	v_mov_b32_e32 v2, 0
	v_addc_co_u32_e32 v1, vcc, 0, v3, vcc
	global_store_dwordx2 v2, v[0:1], s[48:49]
	s_endpgm
	.section	.rodata,"a",@progbits
	.p2align	6, 0x0
	.amdhsa_kernel _ZN7rocprim17ROCPRIM_400000_NS6detail17trampoline_kernelINS0_14default_configENS1_25partition_config_selectorILNS1_17partition_subalgoE8EsNS0_10empty_typeEbEEZZNS1_14partition_implILS5_8ELb0ES3_jPKsPS6_PKS6_NS0_5tupleIJPsS6_EEENSE_IJSB_SB_EEENS0_18inequality_wrapperIN6hipcub16HIPCUB_304000_NS8EqualityEEEPlJS6_EEE10hipError_tPvRmT3_T4_T5_T6_T7_T9_mT8_P12ihipStream_tbDpT10_ENKUlT_T0_E_clISt17integral_constantIbLb1EES16_IbLb0EEEEDaS12_S13_EUlS12_E_NS1_11comp_targetILNS1_3genE4ELNS1_11target_archE910ELNS1_3gpuE8ELNS1_3repE0EEENS1_30default_config_static_selectorELNS0_4arch9wavefront6targetE1EEEvT1_
		.amdhsa_group_segment_fixed_size 11272
		.amdhsa_private_segment_fixed_size 0
		.amdhsa_kernarg_size 112
		.amdhsa_user_sgpr_count 6
		.amdhsa_user_sgpr_private_segment_buffer 1
		.amdhsa_user_sgpr_dispatch_ptr 0
		.amdhsa_user_sgpr_queue_ptr 0
		.amdhsa_user_sgpr_kernarg_segment_ptr 1
		.amdhsa_user_sgpr_dispatch_id 0
		.amdhsa_user_sgpr_flat_scratch_init 0
		.amdhsa_user_sgpr_kernarg_preload_length 0
		.amdhsa_user_sgpr_kernarg_preload_offset 0
		.amdhsa_user_sgpr_private_segment_size 0
		.amdhsa_uses_dynamic_stack 0
		.amdhsa_system_sgpr_private_segment_wavefront_offset 0
		.amdhsa_system_sgpr_workgroup_id_x 1
		.amdhsa_system_sgpr_workgroup_id_y 0
		.amdhsa_system_sgpr_workgroup_id_z 0
		.amdhsa_system_sgpr_workgroup_info 0
		.amdhsa_system_vgpr_workitem_id 0
		.amdhsa_next_free_vgpr 96
		.amdhsa_next_free_sgpr 62
		.amdhsa_accum_offset 96
		.amdhsa_reserve_vcc 1
		.amdhsa_reserve_flat_scratch 0
		.amdhsa_float_round_mode_32 0
		.amdhsa_float_round_mode_16_64 0
		.amdhsa_float_denorm_mode_32 3
		.amdhsa_float_denorm_mode_16_64 3
		.amdhsa_dx10_clamp 1
		.amdhsa_ieee_mode 1
		.amdhsa_fp16_overflow 0
		.amdhsa_tg_split 0
		.amdhsa_exception_fp_ieee_invalid_op 0
		.amdhsa_exception_fp_denorm_src 0
		.amdhsa_exception_fp_ieee_div_zero 0
		.amdhsa_exception_fp_ieee_overflow 0
		.amdhsa_exception_fp_ieee_underflow 0
		.amdhsa_exception_fp_ieee_inexact 0
		.amdhsa_exception_int_div_zero 0
	.end_amdhsa_kernel
	.section	.text._ZN7rocprim17ROCPRIM_400000_NS6detail17trampoline_kernelINS0_14default_configENS1_25partition_config_selectorILNS1_17partition_subalgoE8EsNS0_10empty_typeEbEEZZNS1_14partition_implILS5_8ELb0ES3_jPKsPS6_PKS6_NS0_5tupleIJPsS6_EEENSE_IJSB_SB_EEENS0_18inequality_wrapperIN6hipcub16HIPCUB_304000_NS8EqualityEEEPlJS6_EEE10hipError_tPvRmT3_T4_T5_T6_T7_T9_mT8_P12ihipStream_tbDpT10_ENKUlT_T0_E_clISt17integral_constantIbLb1EES16_IbLb0EEEEDaS12_S13_EUlS12_E_NS1_11comp_targetILNS1_3genE4ELNS1_11target_archE910ELNS1_3gpuE8ELNS1_3repE0EEENS1_30default_config_static_selectorELNS0_4arch9wavefront6targetE1EEEvT1_,"axG",@progbits,_ZN7rocprim17ROCPRIM_400000_NS6detail17trampoline_kernelINS0_14default_configENS1_25partition_config_selectorILNS1_17partition_subalgoE8EsNS0_10empty_typeEbEEZZNS1_14partition_implILS5_8ELb0ES3_jPKsPS6_PKS6_NS0_5tupleIJPsS6_EEENSE_IJSB_SB_EEENS0_18inequality_wrapperIN6hipcub16HIPCUB_304000_NS8EqualityEEEPlJS6_EEE10hipError_tPvRmT3_T4_T5_T6_T7_T9_mT8_P12ihipStream_tbDpT10_ENKUlT_T0_E_clISt17integral_constantIbLb1EES16_IbLb0EEEEDaS12_S13_EUlS12_E_NS1_11comp_targetILNS1_3genE4ELNS1_11target_archE910ELNS1_3gpuE8ELNS1_3repE0EEENS1_30default_config_static_selectorELNS0_4arch9wavefront6targetE1EEEvT1_,comdat
.Lfunc_end566:
	.size	_ZN7rocprim17ROCPRIM_400000_NS6detail17trampoline_kernelINS0_14default_configENS1_25partition_config_selectorILNS1_17partition_subalgoE8EsNS0_10empty_typeEbEEZZNS1_14partition_implILS5_8ELb0ES3_jPKsPS6_PKS6_NS0_5tupleIJPsS6_EEENSE_IJSB_SB_EEENS0_18inequality_wrapperIN6hipcub16HIPCUB_304000_NS8EqualityEEEPlJS6_EEE10hipError_tPvRmT3_T4_T5_T6_T7_T9_mT8_P12ihipStream_tbDpT10_ENKUlT_T0_E_clISt17integral_constantIbLb1EES16_IbLb0EEEEDaS12_S13_EUlS12_E_NS1_11comp_targetILNS1_3genE4ELNS1_11target_archE910ELNS1_3gpuE8ELNS1_3repE0EEENS1_30default_config_static_selectorELNS0_4arch9wavefront6targetE1EEEvT1_, .Lfunc_end566-_ZN7rocprim17ROCPRIM_400000_NS6detail17trampoline_kernelINS0_14default_configENS1_25partition_config_selectorILNS1_17partition_subalgoE8EsNS0_10empty_typeEbEEZZNS1_14partition_implILS5_8ELb0ES3_jPKsPS6_PKS6_NS0_5tupleIJPsS6_EEENSE_IJSB_SB_EEENS0_18inequality_wrapperIN6hipcub16HIPCUB_304000_NS8EqualityEEEPlJS6_EEE10hipError_tPvRmT3_T4_T5_T6_T7_T9_mT8_P12ihipStream_tbDpT10_ENKUlT_T0_E_clISt17integral_constantIbLb1EES16_IbLb0EEEEDaS12_S13_EUlS12_E_NS1_11comp_targetILNS1_3genE4ELNS1_11target_archE910ELNS1_3gpuE8ELNS1_3repE0EEENS1_30default_config_static_selectorELNS0_4arch9wavefront6targetE1EEEvT1_
                                        ; -- End function
	.section	.AMDGPU.csdata,"",@progbits
; Kernel info:
; codeLenInByte = 10492
; NumSgprs: 66
; NumVgprs: 96
; NumAgprs: 0
; TotalNumVgprs: 96
; ScratchSize: 0
; MemoryBound: 0
; FloatMode: 240
; IeeeMode: 1
; LDSByteSize: 11272 bytes/workgroup (compile time only)
; SGPRBlocks: 8
; VGPRBlocks: 11
; NumSGPRsForWavesPerEU: 66
; NumVGPRsForWavesPerEU: 96
; AccumOffset: 96
; Occupancy: 5
; WaveLimiterHint : 1
; COMPUTE_PGM_RSRC2:SCRATCH_EN: 0
; COMPUTE_PGM_RSRC2:USER_SGPR: 6
; COMPUTE_PGM_RSRC2:TRAP_HANDLER: 0
; COMPUTE_PGM_RSRC2:TGID_X_EN: 1
; COMPUTE_PGM_RSRC2:TGID_Y_EN: 0
; COMPUTE_PGM_RSRC2:TGID_Z_EN: 0
; COMPUTE_PGM_RSRC2:TIDIG_COMP_CNT: 0
; COMPUTE_PGM_RSRC3_GFX90A:ACCUM_OFFSET: 23
; COMPUTE_PGM_RSRC3_GFX90A:TG_SPLIT: 0
	.section	.text._ZN7rocprim17ROCPRIM_400000_NS6detail17trampoline_kernelINS0_14default_configENS1_25partition_config_selectorILNS1_17partition_subalgoE8EsNS0_10empty_typeEbEEZZNS1_14partition_implILS5_8ELb0ES3_jPKsPS6_PKS6_NS0_5tupleIJPsS6_EEENSE_IJSB_SB_EEENS0_18inequality_wrapperIN6hipcub16HIPCUB_304000_NS8EqualityEEEPlJS6_EEE10hipError_tPvRmT3_T4_T5_T6_T7_T9_mT8_P12ihipStream_tbDpT10_ENKUlT_T0_E_clISt17integral_constantIbLb1EES16_IbLb0EEEEDaS12_S13_EUlS12_E_NS1_11comp_targetILNS1_3genE3ELNS1_11target_archE908ELNS1_3gpuE7ELNS1_3repE0EEENS1_30default_config_static_selectorELNS0_4arch9wavefront6targetE1EEEvT1_,"axG",@progbits,_ZN7rocprim17ROCPRIM_400000_NS6detail17trampoline_kernelINS0_14default_configENS1_25partition_config_selectorILNS1_17partition_subalgoE8EsNS0_10empty_typeEbEEZZNS1_14partition_implILS5_8ELb0ES3_jPKsPS6_PKS6_NS0_5tupleIJPsS6_EEENSE_IJSB_SB_EEENS0_18inequality_wrapperIN6hipcub16HIPCUB_304000_NS8EqualityEEEPlJS6_EEE10hipError_tPvRmT3_T4_T5_T6_T7_T9_mT8_P12ihipStream_tbDpT10_ENKUlT_T0_E_clISt17integral_constantIbLb1EES16_IbLb0EEEEDaS12_S13_EUlS12_E_NS1_11comp_targetILNS1_3genE3ELNS1_11target_archE908ELNS1_3gpuE7ELNS1_3repE0EEENS1_30default_config_static_selectorELNS0_4arch9wavefront6targetE1EEEvT1_,comdat
	.protected	_ZN7rocprim17ROCPRIM_400000_NS6detail17trampoline_kernelINS0_14default_configENS1_25partition_config_selectorILNS1_17partition_subalgoE8EsNS0_10empty_typeEbEEZZNS1_14partition_implILS5_8ELb0ES3_jPKsPS6_PKS6_NS0_5tupleIJPsS6_EEENSE_IJSB_SB_EEENS0_18inequality_wrapperIN6hipcub16HIPCUB_304000_NS8EqualityEEEPlJS6_EEE10hipError_tPvRmT3_T4_T5_T6_T7_T9_mT8_P12ihipStream_tbDpT10_ENKUlT_T0_E_clISt17integral_constantIbLb1EES16_IbLb0EEEEDaS12_S13_EUlS12_E_NS1_11comp_targetILNS1_3genE3ELNS1_11target_archE908ELNS1_3gpuE7ELNS1_3repE0EEENS1_30default_config_static_selectorELNS0_4arch9wavefront6targetE1EEEvT1_ ; -- Begin function _ZN7rocprim17ROCPRIM_400000_NS6detail17trampoline_kernelINS0_14default_configENS1_25partition_config_selectorILNS1_17partition_subalgoE8EsNS0_10empty_typeEbEEZZNS1_14partition_implILS5_8ELb0ES3_jPKsPS6_PKS6_NS0_5tupleIJPsS6_EEENSE_IJSB_SB_EEENS0_18inequality_wrapperIN6hipcub16HIPCUB_304000_NS8EqualityEEEPlJS6_EEE10hipError_tPvRmT3_T4_T5_T6_T7_T9_mT8_P12ihipStream_tbDpT10_ENKUlT_T0_E_clISt17integral_constantIbLb1EES16_IbLb0EEEEDaS12_S13_EUlS12_E_NS1_11comp_targetILNS1_3genE3ELNS1_11target_archE908ELNS1_3gpuE7ELNS1_3repE0EEENS1_30default_config_static_selectorELNS0_4arch9wavefront6targetE1EEEvT1_
	.globl	_ZN7rocprim17ROCPRIM_400000_NS6detail17trampoline_kernelINS0_14default_configENS1_25partition_config_selectorILNS1_17partition_subalgoE8EsNS0_10empty_typeEbEEZZNS1_14partition_implILS5_8ELb0ES3_jPKsPS6_PKS6_NS0_5tupleIJPsS6_EEENSE_IJSB_SB_EEENS0_18inequality_wrapperIN6hipcub16HIPCUB_304000_NS8EqualityEEEPlJS6_EEE10hipError_tPvRmT3_T4_T5_T6_T7_T9_mT8_P12ihipStream_tbDpT10_ENKUlT_T0_E_clISt17integral_constantIbLb1EES16_IbLb0EEEEDaS12_S13_EUlS12_E_NS1_11comp_targetILNS1_3genE3ELNS1_11target_archE908ELNS1_3gpuE7ELNS1_3repE0EEENS1_30default_config_static_selectorELNS0_4arch9wavefront6targetE1EEEvT1_
	.p2align	8
	.type	_ZN7rocprim17ROCPRIM_400000_NS6detail17trampoline_kernelINS0_14default_configENS1_25partition_config_selectorILNS1_17partition_subalgoE8EsNS0_10empty_typeEbEEZZNS1_14partition_implILS5_8ELb0ES3_jPKsPS6_PKS6_NS0_5tupleIJPsS6_EEENSE_IJSB_SB_EEENS0_18inequality_wrapperIN6hipcub16HIPCUB_304000_NS8EqualityEEEPlJS6_EEE10hipError_tPvRmT3_T4_T5_T6_T7_T9_mT8_P12ihipStream_tbDpT10_ENKUlT_T0_E_clISt17integral_constantIbLb1EES16_IbLb0EEEEDaS12_S13_EUlS12_E_NS1_11comp_targetILNS1_3genE3ELNS1_11target_archE908ELNS1_3gpuE7ELNS1_3repE0EEENS1_30default_config_static_selectorELNS0_4arch9wavefront6targetE1EEEvT1_,@function
_ZN7rocprim17ROCPRIM_400000_NS6detail17trampoline_kernelINS0_14default_configENS1_25partition_config_selectorILNS1_17partition_subalgoE8EsNS0_10empty_typeEbEEZZNS1_14partition_implILS5_8ELb0ES3_jPKsPS6_PKS6_NS0_5tupleIJPsS6_EEENSE_IJSB_SB_EEENS0_18inequality_wrapperIN6hipcub16HIPCUB_304000_NS8EqualityEEEPlJS6_EEE10hipError_tPvRmT3_T4_T5_T6_T7_T9_mT8_P12ihipStream_tbDpT10_ENKUlT_T0_E_clISt17integral_constantIbLb1EES16_IbLb0EEEEDaS12_S13_EUlS12_E_NS1_11comp_targetILNS1_3genE3ELNS1_11target_archE908ELNS1_3gpuE7ELNS1_3repE0EEENS1_30default_config_static_selectorELNS0_4arch9wavefront6targetE1EEEvT1_: ; @_ZN7rocprim17ROCPRIM_400000_NS6detail17trampoline_kernelINS0_14default_configENS1_25partition_config_selectorILNS1_17partition_subalgoE8EsNS0_10empty_typeEbEEZZNS1_14partition_implILS5_8ELb0ES3_jPKsPS6_PKS6_NS0_5tupleIJPsS6_EEENSE_IJSB_SB_EEENS0_18inequality_wrapperIN6hipcub16HIPCUB_304000_NS8EqualityEEEPlJS6_EEE10hipError_tPvRmT3_T4_T5_T6_T7_T9_mT8_P12ihipStream_tbDpT10_ENKUlT_T0_E_clISt17integral_constantIbLb1EES16_IbLb0EEEEDaS12_S13_EUlS12_E_NS1_11comp_targetILNS1_3genE3ELNS1_11target_archE908ELNS1_3gpuE7ELNS1_3repE0EEENS1_30default_config_static_selectorELNS0_4arch9wavefront6targetE1EEEvT1_
; %bb.0:
	.section	.rodata,"a",@progbits
	.p2align	6, 0x0
	.amdhsa_kernel _ZN7rocprim17ROCPRIM_400000_NS6detail17trampoline_kernelINS0_14default_configENS1_25partition_config_selectorILNS1_17partition_subalgoE8EsNS0_10empty_typeEbEEZZNS1_14partition_implILS5_8ELb0ES3_jPKsPS6_PKS6_NS0_5tupleIJPsS6_EEENSE_IJSB_SB_EEENS0_18inequality_wrapperIN6hipcub16HIPCUB_304000_NS8EqualityEEEPlJS6_EEE10hipError_tPvRmT3_T4_T5_T6_T7_T9_mT8_P12ihipStream_tbDpT10_ENKUlT_T0_E_clISt17integral_constantIbLb1EES16_IbLb0EEEEDaS12_S13_EUlS12_E_NS1_11comp_targetILNS1_3genE3ELNS1_11target_archE908ELNS1_3gpuE7ELNS1_3repE0EEENS1_30default_config_static_selectorELNS0_4arch9wavefront6targetE1EEEvT1_
		.amdhsa_group_segment_fixed_size 0
		.amdhsa_private_segment_fixed_size 0
		.amdhsa_kernarg_size 112
		.amdhsa_user_sgpr_count 6
		.amdhsa_user_sgpr_private_segment_buffer 1
		.amdhsa_user_sgpr_dispatch_ptr 0
		.amdhsa_user_sgpr_queue_ptr 0
		.amdhsa_user_sgpr_kernarg_segment_ptr 1
		.amdhsa_user_sgpr_dispatch_id 0
		.amdhsa_user_sgpr_flat_scratch_init 0
		.amdhsa_user_sgpr_kernarg_preload_length 0
		.amdhsa_user_sgpr_kernarg_preload_offset 0
		.amdhsa_user_sgpr_private_segment_size 0
		.amdhsa_uses_dynamic_stack 0
		.amdhsa_system_sgpr_private_segment_wavefront_offset 0
		.amdhsa_system_sgpr_workgroup_id_x 1
		.amdhsa_system_sgpr_workgroup_id_y 0
		.amdhsa_system_sgpr_workgroup_id_z 0
		.amdhsa_system_sgpr_workgroup_info 0
		.amdhsa_system_vgpr_workitem_id 0
		.amdhsa_next_free_vgpr 1
		.amdhsa_next_free_sgpr 0
		.amdhsa_accum_offset 4
		.amdhsa_reserve_vcc 0
		.amdhsa_reserve_flat_scratch 0
		.amdhsa_float_round_mode_32 0
		.amdhsa_float_round_mode_16_64 0
		.amdhsa_float_denorm_mode_32 3
		.amdhsa_float_denorm_mode_16_64 3
		.amdhsa_dx10_clamp 1
		.amdhsa_ieee_mode 1
		.amdhsa_fp16_overflow 0
		.amdhsa_tg_split 0
		.amdhsa_exception_fp_ieee_invalid_op 0
		.amdhsa_exception_fp_denorm_src 0
		.amdhsa_exception_fp_ieee_div_zero 0
		.amdhsa_exception_fp_ieee_overflow 0
		.amdhsa_exception_fp_ieee_underflow 0
		.amdhsa_exception_fp_ieee_inexact 0
		.amdhsa_exception_int_div_zero 0
	.end_amdhsa_kernel
	.section	.text._ZN7rocprim17ROCPRIM_400000_NS6detail17trampoline_kernelINS0_14default_configENS1_25partition_config_selectorILNS1_17partition_subalgoE8EsNS0_10empty_typeEbEEZZNS1_14partition_implILS5_8ELb0ES3_jPKsPS6_PKS6_NS0_5tupleIJPsS6_EEENSE_IJSB_SB_EEENS0_18inequality_wrapperIN6hipcub16HIPCUB_304000_NS8EqualityEEEPlJS6_EEE10hipError_tPvRmT3_T4_T5_T6_T7_T9_mT8_P12ihipStream_tbDpT10_ENKUlT_T0_E_clISt17integral_constantIbLb1EES16_IbLb0EEEEDaS12_S13_EUlS12_E_NS1_11comp_targetILNS1_3genE3ELNS1_11target_archE908ELNS1_3gpuE7ELNS1_3repE0EEENS1_30default_config_static_selectorELNS0_4arch9wavefront6targetE1EEEvT1_,"axG",@progbits,_ZN7rocprim17ROCPRIM_400000_NS6detail17trampoline_kernelINS0_14default_configENS1_25partition_config_selectorILNS1_17partition_subalgoE8EsNS0_10empty_typeEbEEZZNS1_14partition_implILS5_8ELb0ES3_jPKsPS6_PKS6_NS0_5tupleIJPsS6_EEENSE_IJSB_SB_EEENS0_18inequality_wrapperIN6hipcub16HIPCUB_304000_NS8EqualityEEEPlJS6_EEE10hipError_tPvRmT3_T4_T5_T6_T7_T9_mT8_P12ihipStream_tbDpT10_ENKUlT_T0_E_clISt17integral_constantIbLb1EES16_IbLb0EEEEDaS12_S13_EUlS12_E_NS1_11comp_targetILNS1_3genE3ELNS1_11target_archE908ELNS1_3gpuE7ELNS1_3repE0EEENS1_30default_config_static_selectorELNS0_4arch9wavefront6targetE1EEEvT1_,comdat
.Lfunc_end567:
	.size	_ZN7rocprim17ROCPRIM_400000_NS6detail17trampoline_kernelINS0_14default_configENS1_25partition_config_selectorILNS1_17partition_subalgoE8EsNS0_10empty_typeEbEEZZNS1_14partition_implILS5_8ELb0ES3_jPKsPS6_PKS6_NS0_5tupleIJPsS6_EEENSE_IJSB_SB_EEENS0_18inequality_wrapperIN6hipcub16HIPCUB_304000_NS8EqualityEEEPlJS6_EEE10hipError_tPvRmT3_T4_T5_T6_T7_T9_mT8_P12ihipStream_tbDpT10_ENKUlT_T0_E_clISt17integral_constantIbLb1EES16_IbLb0EEEEDaS12_S13_EUlS12_E_NS1_11comp_targetILNS1_3genE3ELNS1_11target_archE908ELNS1_3gpuE7ELNS1_3repE0EEENS1_30default_config_static_selectorELNS0_4arch9wavefront6targetE1EEEvT1_, .Lfunc_end567-_ZN7rocprim17ROCPRIM_400000_NS6detail17trampoline_kernelINS0_14default_configENS1_25partition_config_selectorILNS1_17partition_subalgoE8EsNS0_10empty_typeEbEEZZNS1_14partition_implILS5_8ELb0ES3_jPKsPS6_PKS6_NS0_5tupleIJPsS6_EEENSE_IJSB_SB_EEENS0_18inequality_wrapperIN6hipcub16HIPCUB_304000_NS8EqualityEEEPlJS6_EEE10hipError_tPvRmT3_T4_T5_T6_T7_T9_mT8_P12ihipStream_tbDpT10_ENKUlT_T0_E_clISt17integral_constantIbLb1EES16_IbLb0EEEEDaS12_S13_EUlS12_E_NS1_11comp_targetILNS1_3genE3ELNS1_11target_archE908ELNS1_3gpuE7ELNS1_3repE0EEENS1_30default_config_static_selectorELNS0_4arch9wavefront6targetE1EEEvT1_
                                        ; -- End function
	.section	.AMDGPU.csdata,"",@progbits
; Kernel info:
; codeLenInByte = 0
; NumSgprs: 4
; NumVgprs: 0
; NumAgprs: 0
; TotalNumVgprs: 0
; ScratchSize: 0
; MemoryBound: 0
; FloatMode: 240
; IeeeMode: 1
; LDSByteSize: 0 bytes/workgroup (compile time only)
; SGPRBlocks: 0
; VGPRBlocks: 0
; NumSGPRsForWavesPerEU: 4
; NumVGPRsForWavesPerEU: 1
; AccumOffset: 4
; Occupancy: 8
; WaveLimiterHint : 0
; COMPUTE_PGM_RSRC2:SCRATCH_EN: 0
; COMPUTE_PGM_RSRC2:USER_SGPR: 6
; COMPUTE_PGM_RSRC2:TRAP_HANDLER: 0
; COMPUTE_PGM_RSRC2:TGID_X_EN: 1
; COMPUTE_PGM_RSRC2:TGID_Y_EN: 0
; COMPUTE_PGM_RSRC2:TGID_Z_EN: 0
; COMPUTE_PGM_RSRC2:TIDIG_COMP_CNT: 0
; COMPUTE_PGM_RSRC3_GFX90A:ACCUM_OFFSET: 0
; COMPUTE_PGM_RSRC3_GFX90A:TG_SPLIT: 0
	.section	.text._ZN7rocprim17ROCPRIM_400000_NS6detail17trampoline_kernelINS0_14default_configENS1_25partition_config_selectorILNS1_17partition_subalgoE8EsNS0_10empty_typeEbEEZZNS1_14partition_implILS5_8ELb0ES3_jPKsPS6_PKS6_NS0_5tupleIJPsS6_EEENSE_IJSB_SB_EEENS0_18inequality_wrapperIN6hipcub16HIPCUB_304000_NS8EqualityEEEPlJS6_EEE10hipError_tPvRmT3_T4_T5_T6_T7_T9_mT8_P12ihipStream_tbDpT10_ENKUlT_T0_E_clISt17integral_constantIbLb1EES16_IbLb0EEEEDaS12_S13_EUlS12_E_NS1_11comp_targetILNS1_3genE2ELNS1_11target_archE906ELNS1_3gpuE6ELNS1_3repE0EEENS1_30default_config_static_selectorELNS0_4arch9wavefront6targetE1EEEvT1_,"axG",@progbits,_ZN7rocprim17ROCPRIM_400000_NS6detail17trampoline_kernelINS0_14default_configENS1_25partition_config_selectorILNS1_17partition_subalgoE8EsNS0_10empty_typeEbEEZZNS1_14partition_implILS5_8ELb0ES3_jPKsPS6_PKS6_NS0_5tupleIJPsS6_EEENSE_IJSB_SB_EEENS0_18inequality_wrapperIN6hipcub16HIPCUB_304000_NS8EqualityEEEPlJS6_EEE10hipError_tPvRmT3_T4_T5_T6_T7_T9_mT8_P12ihipStream_tbDpT10_ENKUlT_T0_E_clISt17integral_constantIbLb1EES16_IbLb0EEEEDaS12_S13_EUlS12_E_NS1_11comp_targetILNS1_3genE2ELNS1_11target_archE906ELNS1_3gpuE6ELNS1_3repE0EEENS1_30default_config_static_selectorELNS0_4arch9wavefront6targetE1EEEvT1_,comdat
	.protected	_ZN7rocprim17ROCPRIM_400000_NS6detail17trampoline_kernelINS0_14default_configENS1_25partition_config_selectorILNS1_17partition_subalgoE8EsNS0_10empty_typeEbEEZZNS1_14partition_implILS5_8ELb0ES3_jPKsPS6_PKS6_NS0_5tupleIJPsS6_EEENSE_IJSB_SB_EEENS0_18inequality_wrapperIN6hipcub16HIPCUB_304000_NS8EqualityEEEPlJS6_EEE10hipError_tPvRmT3_T4_T5_T6_T7_T9_mT8_P12ihipStream_tbDpT10_ENKUlT_T0_E_clISt17integral_constantIbLb1EES16_IbLb0EEEEDaS12_S13_EUlS12_E_NS1_11comp_targetILNS1_3genE2ELNS1_11target_archE906ELNS1_3gpuE6ELNS1_3repE0EEENS1_30default_config_static_selectorELNS0_4arch9wavefront6targetE1EEEvT1_ ; -- Begin function _ZN7rocprim17ROCPRIM_400000_NS6detail17trampoline_kernelINS0_14default_configENS1_25partition_config_selectorILNS1_17partition_subalgoE8EsNS0_10empty_typeEbEEZZNS1_14partition_implILS5_8ELb0ES3_jPKsPS6_PKS6_NS0_5tupleIJPsS6_EEENSE_IJSB_SB_EEENS0_18inequality_wrapperIN6hipcub16HIPCUB_304000_NS8EqualityEEEPlJS6_EEE10hipError_tPvRmT3_T4_T5_T6_T7_T9_mT8_P12ihipStream_tbDpT10_ENKUlT_T0_E_clISt17integral_constantIbLb1EES16_IbLb0EEEEDaS12_S13_EUlS12_E_NS1_11comp_targetILNS1_3genE2ELNS1_11target_archE906ELNS1_3gpuE6ELNS1_3repE0EEENS1_30default_config_static_selectorELNS0_4arch9wavefront6targetE1EEEvT1_
	.globl	_ZN7rocprim17ROCPRIM_400000_NS6detail17trampoline_kernelINS0_14default_configENS1_25partition_config_selectorILNS1_17partition_subalgoE8EsNS0_10empty_typeEbEEZZNS1_14partition_implILS5_8ELb0ES3_jPKsPS6_PKS6_NS0_5tupleIJPsS6_EEENSE_IJSB_SB_EEENS0_18inequality_wrapperIN6hipcub16HIPCUB_304000_NS8EqualityEEEPlJS6_EEE10hipError_tPvRmT3_T4_T5_T6_T7_T9_mT8_P12ihipStream_tbDpT10_ENKUlT_T0_E_clISt17integral_constantIbLb1EES16_IbLb0EEEEDaS12_S13_EUlS12_E_NS1_11comp_targetILNS1_3genE2ELNS1_11target_archE906ELNS1_3gpuE6ELNS1_3repE0EEENS1_30default_config_static_selectorELNS0_4arch9wavefront6targetE1EEEvT1_
	.p2align	8
	.type	_ZN7rocprim17ROCPRIM_400000_NS6detail17trampoline_kernelINS0_14default_configENS1_25partition_config_selectorILNS1_17partition_subalgoE8EsNS0_10empty_typeEbEEZZNS1_14partition_implILS5_8ELb0ES3_jPKsPS6_PKS6_NS0_5tupleIJPsS6_EEENSE_IJSB_SB_EEENS0_18inequality_wrapperIN6hipcub16HIPCUB_304000_NS8EqualityEEEPlJS6_EEE10hipError_tPvRmT3_T4_T5_T6_T7_T9_mT8_P12ihipStream_tbDpT10_ENKUlT_T0_E_clISt17integral_constantIbLb1EES16_IbLb0EEEEDaS12_S13_EUlS12_E_NS1_11comp_targetILNS1_3genE2ELNS1_11target_archE906ELNS1_3gpuE6ELNS1_3repE0EEENS1_30default_config_static_selectorELNS0_4arch9wavefront6targetE1EEEvT1_,@function
_ZN7rocprim17ROCPRIM_400000_NS6detail17trampoline_kernelINS0_14default_configENS1_25partition_config_selectorILNS1_17partition_subalgoE8EsNS0_10empty_typeEbEEZZNS1_14partition_implILS5_8ELb0ES3_jPKsPS6_PKS6_NS0_5tupleIJPsS6_EEENSE_IJSB_SB_EEENS0_18inequality_wrapperIN6hipcub16HIPCUB_304000_NS8EqualityEEEPlJS6_EEE10hipError_tPvRmT3_T4_T5_T6_T7_T9_mT8_P12ihipStream_tbDpT10_ENKUlT_T0_E_clISt17integral_constantIbLb1EES16_IbLb0EEEEDaS12_S13_EUlS12_E_NS1_11comp_targetILNS1_3genE2ELNS1_11target_archE906ELNS1_3gpuE6ELNS1_3repE0EEENS1_30default_config_static_selectorELNS0_4arch9wavefront6targetE1EEEvT1_: ; @_ZN7rocprim17ROCPRIM_400000_NS6detail17trampoline_kernelINS0_14default_configENS1_25partition_config_selectorILNS1_17partition_subalgoE8EsNS0_10empty_typeEbEEZZNS1_14partition_implILS5_8ELb0ES3_jPKsPS6_PKS6_NS0_5tupleIJPsS6_EEENSE_IJSB_SB_EEENS0_18inequality_wrapperIN6hipcub16HIPCUB_304000_NS8EqualityEEEPlJS6_EEE10hipError_tPvRmT3_T4_T5_T6_T7_T9_mT8_P12ihipStream_tbDpT10_ENKUlT_T0_E_clISt17integral_constantIbLb1EES16_IbLb0EEEEDaS12_S13_EUlS12_E_NS1_11comp_targetILNS1_3genE2ELNS1_11target_archE906ELNS1_3gpuE6ELNS1_3repE0EEENS1_30default_config_static_selectorELNS0_4arch9wavefront6targetE1EEEvT1_
; %bb.0:
	.section	.rodata,"a",@progbits
	.p2align	6, 0x0
	.amdhsa_kernel _ZN7rocprim17ROCPRIM_400000_NS6detail17trampoline_kernelINS0_14default_configENS1_25partition_config_selectorILNS1_17partition_subalgoE8EsNS0_10empty_typeEbEEZZNS1_14partition_implILS5_8ELb0ES3_jPKsPS6_PKS6_NS0_5tupleIJPsS6_EEENSE_IJSB_SB_EEENS0_18inequality_wrapperIN6hipcub16HIPCUB_304000_NS8EqualityEEEPlJS6_EEE10hipError_tPvRmT3_T4_T5_T6_T7_T9_mT8_P12ihipStream_tbDpT10_ENKUlT_T0_E_clISt17integral_constantIbLb1EES16_IbLb0EEEEDaS12_S13_EUlS12_E_NS1_11comp_targetILNS1_3genE2ELNS1_11target_archE906ELNS1_3gpuE6ELNS1_3repE0EEENS1_30default_config_static_selectorELNS0_4arch9wavefront6targetE1EEEvT1_
		.amdhsa_group_segment_fixed_size 0
		.amdhsa_private_segment_fixed_size 0
		.amdhsa_kernarg_size 112
		.amdhsa_user_sgpr_count 6
		.amdhsa_user_sgpr_private_segment_buffer 1
		.amdhsa_user_sgpr_dispatch_ptr 0
		.amdhsa_user_sgpr_queue_ptr 0
		.amdhsa_user_sgpr_kernarg_segment_ptr 1
		.amdhsa_user_sgpr_dispatch_id 0
		.amdhsa_user_sgpr_flat_scratch_init 0
		.amdhsa_user_sgpr_kernarg_preload_length 0
		.amdhsa_user_sgpr_kernarg_preload_offset 0
		.amdhsa_user_sgpr_private_segment_size 0
		.amdhsa_uses_dynamic_stack 0
		.amdhsa_system_sgpr_private_segment_wavefront_offset 0
		.amdhsa_system_sgpr_workgroup_id_x 1
		.amdhsa_system_sgpr_workgroup_id_y 0
		.amdhsa_system_sgpr_workgroup_id_z 0
		.amdhsa_system_sgpr_workgroup_info 0
		.amdhsa_system_vgpr_workitem_id 0
		.amdhsa_next_free_vgpr 1
		.amdhsa_next_free_sgpr 0
		.amdhsa_accum_offset 4
		.amdhsa_reserve_vcc 0
		.amdhsa_reserve_flat_scratch 0
		.amdhsa_float_round_mode_32 0
		.amdhsa_float_round_mode_16_64 0
		.amdhsa_float_denorm_mode_32 3
		.amdhsa_float_denorm_mode_16_64 3
		.amdhsa_dx10_clamp 1
		.amdhsa_ieee_mode 1
		.amdhsa_fp16_overflow 0
		.amdhsa_tg_split 0
		.amdhsa_exception_fp_ieee_invalid_op 0
		.amdhsa_exception_fp_denorm_src 0
		.amdhsa_exception_fp_ieee_div_zero 0
		.amdhsa_exception_fp_ieee_overflow 0
		.amdhsa_exception_fp_ieee_underflow 0
		.amdhsa_exception_fp_ieee_inexact 0
		.amdhsa_exception_int_div_zero 0
	.end_amdhsa_kernel
	.section	.text._ZN7rocprim17ROCPRIM_400000_NS6detail17trampoline_kernelINS0_14default_configENS1_25partition_config_selectorILNS1_17partition_subalgoE8EsNS0_10empty_typeEbEEZZNS1_14partition_implILS5_8ELb0ES3_jPKsPS6_PKS6_NS0_5tupleIJPsS6_EEENSE_IJSB_SB_EEENS0_18inequality_wrapperIN6hipcub16HIPCUB_304000_NS8EqualityEEEPlJS6_EEE10hipError_tPvRmT3_T4_T5_T6_T7_T9_mT8_P12ihipStream_tbDpT10_ENKUlT_T0_E_clISt17integral_constantIbLb1EES16_IbLb0EEEEDaS12_S13_EUlS12_E_NS1_11comp_targetILNS1_3genE2ELNS1_11target_archE906ELNS1_3gpuE6ELNS1_3repE0EEENS1_30default_config_static_selectorELNS0_4arch9wavefront6targetE1EEEvT1_,"axG",@progbits,_ZN7rocprim17ROCPRIM_400000_NS6detail17trampoline_kernelINS0_14default_configENS1_25partition_config_selectorILNS1_17partition_subalgoE8EsNS0_10empty_typeEbEEZZNS1_14partition_implILS5_8ELb0ES3_jPKsPS6_PKS6_NS0_5tupleIJPsS6_EEENSE_IJSB_SB_EEENS0_18inequality_wrapperIN6hipcub16HIPCUB_304000_NS8EqualityEEEPlJS6_EEE10hipError_tPvRmT3_T4_T5_T6_T7_T9_mT8_P12ihipStream_tbDpT10_ENKUlT_T0_E_clISt17integral_constantIbLb1EES16_IbLb0EEEEDaS12_S13_EUlS12_E_NS1_11comp_targetILNS1_3genE2ELNS1_11target_archE906ELNS1_3gpuE6ELNS1_3repE0EEENS1_30default_config_static_selectorELNS0_4arch9wavefront6targetE1EEEvT1_,comdat
.Lfunc_end568:
	.size	_ZN7rocprim17ROCPRIM_400000_NS6detail17trampoline_kernelINS0_14default_configENS1_25partition_config_selectorILNS1_17partition_subalgoE8EsNS0_10empty_typeEbEEZZNS1_14partition_implILS5_8ELb0ES3_jPKsPS6_PKS6_NS0_5tupleIJPsS6_EEENSE_IJSB_SB_EEENS0_18inequality_wrapperIN6hipcub16HIPCUB_304000_NS8EqualityEEEPlJS6_EEE10hipError_tPvRmT3_T4_T5_T6_T7_T9_mT8_P12ihipStream_tbDpT10_ENKUlT_T0_E_clISt17integral_constantIbLb1EES16_IbLb0EEEEDaS12_S13_EUlS12_E_NS1_11comp_targetILNS1_3genE2ELNS1_11target_archE906ELNS1_3gpuE6ELNS1_3repE0EEENS1_30default_config_static_selectorELNS0_4arch9wavefront6targetE1EEEvT1_, .Lfunc_end568-_ZN7rocprim17ROCPRIM_400000_NS6detail17trampoline_kernelINS0_14default_configENS1_25partition_config_selectorILNS1_17partition_subalgoE8EsNS0_10empty_typeEbEEZZNS1_14partition_implILS5_8ELb0ES3_jPKsPS6_PKS6_NS0_5tupleIJPsS6_EEENSE_IJSB_SB_EEENS0_18inequality_wrapperIN6hipcub16HIPCUB_304000_NS8EqualityEEEPlJS6_EEE10hipError_tPvRmT3_T4_T5_T6_T7_T9_mT8_P12ihipStream_tbDpT10_ENKUlT_T0_E_clISt17integral_constantIbLb1EES16_IbLb0EEEEDaS12_S13_EUlS12_E_NS1_11comp_targetILNS1_3genE2ELNS1_11target_archE906ELNS1_3gpuE6ELNS1_3repE0EEENS1_30default_config_static_selectorELNS0_4arch9wavefront6targetE1EEEvT1_
                                        ; -- End function
	.section	.AMDGPU.csdata,"",@progbits
; Kernel info:
; codeLenInByte = 0
; NumSgprs: 4
; NumVgprs: 0
; NumAgprs: 0
; TotalNumVgprs: 0
; ScratchSize: 0
; MemoryBound: 0
; FloatMode: 240
; IeeeMode: 1
; LDSByteSize: 0 bytes/workgroup (compile time only)
; SGPRBlocks: 0
; VGPRBlocks: 0
; NumSGPRsForWavesPerEU: 4
; NumVGPRsForWavesPerEU: 1
; AccumOffset: 4
; Occupancy: 8
; WaveLimiterHint : 0
; COMPUTE_PGM_RSRC2:SCRATCH_EN: 0
; COMPUTE_PGM_RSRC2:USER_SGPR: 6
; COMPUTE_PGM_RSRC2:TRAP_HANDLER: 0
; COMPUTE_PGM_RSRC2:TGID_X_EN: 1
; COMPUTE_PGM_RSRC2:TGID_Y_EN: 0
; COMPUTE_PGM_RSRC2:TGID_Z_EN: 0
; COMPUTE_PGM_RSRC2:TIDIG_COMP_CNT: 0
; COMPUTE_PGM_RSRC3_GFX90A:ACCUM_OFFSET: 0
; COMPUTE_PGM_RSRC3_GFX90A:TG_SPLIT: 0
	.section	.text._ZN7rocprim17ROCPRIM_400000_NS6detail17trampoline_kernelINS0_14default_configENS1_25partition_config_selectorILNS1_17partition_subalgoE8EsNS0_10empty_typeEbEEZZNS1_14partition_implILS5_8ELb0ES3_jPKsPS6_PKS6_NS0_5tupleIJPsS6_EEENSE_IJSB_SB_EEENS0_18inequality_wrapperIN6hipcub16HIPCUB_304000_NS8EqualityEEEPlJS6_EEE10hipError_tPvRmT3_T4_T5_T6_T7_T9_mT8_P12ihipStream_tbDpT10_ENKUlT_T0_E_clISt17integral_constantIbLb1EES16_IbLb0EEEEDaS12_S13_EUlS12_E_NS1_11comp_targetILNS1_3genE10ELNS1_11target_archE1200ELNS1_3gpuE4ELNS1_3repE0EEENS1_30default_config_static_selectorELNS0_4arch9wavefront6targetE1EEEvT1_,"axG",@progbits,_ZN7rocprim17ROCPRIM_400000_NS6detail17trampoline_kernelINS0_14default_configENS1_25partition_config_selectorILNS1_17partition_subalgoE8EsNS0_10empty_typeEbEEZZNS1_14partition_implILS5_8ELb0ES3_jPKsPS6_PKS6_NS0_5tupleIJPsS6_EEENSE_IJSB_SB_EEENS0_18inequality_wrapperIN6hipcub16HIPCUB_304000_NS8EqualityEEEPlJS6_EEE10hipError_tPvRmT3_T4_T5_T6_T7_T9_mT8_P12ihipStream_tbDpT10_ENKUlT_T0_E_clISt17integral_constantIbLb1EES16_IbLb0EEEEDaS12_S13_EUlS12_E_NS1_11comp_targetILNS1_3genE10ELNS1_11target_archE1200ELNS1_3gpuE4ELNS1_3repE0EEENS1_30default_config_static_selectorELNS0_4arch9wavefront6targetE1EEEvT1_,comdat
	.protected	_ZN7rocprim17ROCPRIM_400000_NS6detail17trampoline_kernelINS0_14default_configENS1_25partition_config_selectorILNS1_17partition_subalgoE8EsNS0_10empty_typeEbEEZZNS1_14partition_implILS5_8ELb0ES3_jPKsPS6_PKS6_NS0_5tupleIJPsS6_EEENSE_IJSB_SB_EEENS0_18inequality_wrapperIN6hipcub16HIPCUB_304000_NS8EqualityEEEPlJS6_EEE10hipError_tPvRmT3_T4_T5_T6_T7_T9_mT8_P12ihipStream_tbDpT10_ENKUlT_T0_E_clISt17integral_constantIbLb1EES16_IbLb0EEEEDaS12_S13_EUlS12_E_NS1_11comp_targetILNS1_3genE10ELNS1_11target_archE1200ELNS1_3gpuE4ELNS1_3repE0EEENS1_30default_config_static_selectorELNS0_4arch9wavefront6targetE1EEEvT1_ ; -- Begin function _ZN7rocprim17ROCPRIM_400000_NS6detail17trampoline_kernelINS0_14default_configENS1_25partition_config_selectorILNS1_17partition_subalgoE8EsNS0_10empty_typeEbEEZZNS1_14partition_implILS5_8ELb0ES3_jPKsPS6_PKS6_NS0_5tupleIJPsS6_EEENSE_IJSB_SB_EEENS0_18inequality_wrapperIN6hipcub16HIPCUB_304000_NS8EqualityEEEPlJS6_EEE10hipError_tPvRmT3_T4_T5_T6_T7_T9_mT8_P12ihipStream_tbDpT10_ENKUlT_T0_E_clISt17integral_constantIbLb1EES16_IbLb0EEEEDaS12_S13_EUlS12_E_NS1_11comp_targetILNS1_3genE10ELNS1_11target_archE1200ELNS1_3gpuE4ELNS1_3repE0EEENS1_30default_config_static_selectorELNS0_4arch9wavefront6targetE1EEEvT1_
	.globl	_ZN7rocprim17ROCPRIM_400000_NS6detail17trampoline_kernelINS0_14default_configENS1_25partition_config_selectorILNS1_17partition_subalgoE8EsNS0_10empty_typeEbEEZZNS1_14partition_implILS5_8ELb0ES3_jPKsPS6_PKS6_NS0_5tupleIJPsS6_EEENSE_IJSB_SB_EEENS0_18inequality_wrapperIN6hipcub16HIPCUB_304000_NS8EqualityEEEPlJS6_EEE10hipError_tPvRmT3_T4_T5_T6_T7_T9_mT8_P12ihipStream_tbDpT10_ENKUlT_T0_E_clISt17integral_constantIbLb1EES16_IbLb0EEEEDaS12_S13_EUlS12_E_NS1_11comp_targetILNS1_3genE10ELNS1_11target_archE1200ELNS1_3gpuE4ELNS1_3repE0EEENS1_30default_config_static_selectorELNS0_4arch9wavefront6targetE1EEEvT1_
	.p2align	8
	.type	_ZN7rocprim17ROCPRIM_400000_NS6detail17trampoline_kernelINS0_14default_configENS1_25partition_config_selectorILNS1_17partition_subalgoE8EsNS0_10empty_typeEbEEZZNS1_14partition_implILS5_8ELb0ES3_jPKsPS6_PKS6_NS0_5tupleIJPsS6_EEENSE_IJSB_SB_EEENS0_18inequality_wrapperIN6hipcub16HIPCUB_304000_NS8EqualityEEEPlJS6_EEE10hipError_tPvRmT3_T4_T5_T6_T7_T9_mT8_P12ihipStream_tbDpT10_ENKUlT_T0_E_clISt17integral_constantIbLb1EES16_IbLb0EEEEDaS12_S13_EUlS12_E_NS1_11comp_targetILNS1_3genE10ELNS1_11target_archE1200ELNS1_3gpuE4ELNS1_3repE0EEENS1_30default_config_static_selectorELNS0_4arch9wavefront6targetE1EEEvT1_,@function
_ZN7rocprim17ROCPRIM_400000_NS6detail17trampoline_kernelINS0_14default_configENS1_25partition_config_selectorILNS1_17partition_subalgoE8EsNS0_10empty_typeEbEEZZNS1_14partition_implILS5_8ELb0ES3_jPKsPS6_PKS6_NS0_5tupleIJPsS6_EEENSE_IJSB_SB_EEENS0_18inequality_wrapperIN6hipcub16HIPCUB_304000_NS8EqualityEEEPlJS6_EEE10hipError_tPvRmT3_T4_T5_T6_T7_T9_mT8_P12ihipStream_tbDpT10_ENKUlT_T0_E_clISt17integral_constantIbLb1EES16_IbLb0EEEEDaS12_S13_EUlS12_E_NS1_11comp_targetILNS1_3genE10ELNS1_11target_archE1200ELNS1_3gpuE4ELNS1_3repE0EEENS1_30default_config_static_selectorELNS0_4arch9wavefront6targetE1EEEvT1_: ; @_ZN7rocprim17ROCPRIM_400000_NS6detail17trampoline_kernelINS0_14default_configENS1_25partition_config_selectorILNS1_17partition_subalgoE8EsNS0_10empty_typeEbEEZZNS1_14partition_implILS5_8ELb0ES3_jPKsPS6_PKS6_NS0_5tupleIJPsS6_EEENSE_IJSB_SB_EEENS0_18inequality_wrapperIN6hipcub16HIPCUB_304000_NS8EqualityEEEPlJS6_EEE10hipError_tPvRmT3_T4_T5_T6_T7_T9_mT8_P12ihipStream_tbDpT10_ENKUlT_T0_E_clISt17integral_constantIbLb1EES16_IbLb0EEEEDaS12_S13_EUlS12_E_NS1_11comp_targetILNS1_3genE10ELNS1_11target_archE1200ELNS1_3gpuE4ELNS1_3repE0EEENS1_30default_config_static_selectorELNS0_4arch9wavefront6targetE1EEEvT1_
; %bb.0:
	.section	.rodata,"a",@progbits
	.p2align	6, 0x0
	.amdhsa_kernel _ZN7rocprim17ROCPRIM_400000_NS6detail17trampoline_kernelINS0_14default_configENS1_25partition_config_selectorILNS1_17partition_subalgoE8EsNS0_10empty_typeEbEEZZNS1_14partition_implILS5_8ELb0ES3_jPKsPS6_PKS6_NS0_5tupleIJPsS6_EEENSE_IJSB_SB_EEENS0_18inequality_wrapperIN6hipcub16HIPCUB_304000_NS8EqualityEEEPlJS6_EEE10hipError_tPvRmT3_T4_T5_T6_T7_T9_mT8_P12ihipStream_tbDpT10_ENKUlT_T0_E_clISt17integral_constantIbLb1EES16_IbLb0EEEEDaS12_S13_EUlS12_E_NS1_11comp_targetILNS1_3genE10ELNS1_11target_archE1200ELNS1_3gpuE4ELNS1_3repE0EEENS1_30default_config_static_selectorELNS0_4arch9wavefront6targetE1EEEvT1_
		.amdhsa_group_segment_fixed_size 0
		.amdhsa_private_segment_fixed_size 0
		.amdhsa_kernarg_size 112
		.amdhsa_user_sgpr_count 6
		.amdhsa_user_sgpr_private_segment_buffer 1
		.amdhsa_user_sgpr_dispatch_ptr 0
		.amdhsa_user_sgpr_queue_ptr 0
		.amdhsa_user_sgpr_kernarg_segment_ptr 1
		.amdhsa_user_sgpr_dispatch_id 0
		.amdhsa_user_sgpr_flat_scratch_init 0
		.amdhsa_user_sgpr_kernarg_preload_length 0
		.amdhsa_user_sgpr_kernarg_preload_offset 0
		.amdhsa_user_sgpr_private_segment_size 0
		.amdhsa_uses_dynamic_stack 0
		.amdhsa_system_sgpr_private_segment_wavefront_offset 0
		.amdhsa_system_sgpr_workgroup_id_x 1
		.amdhsa_system_sgpr_workgroup_id_y 0
		.amdhsa_system_sgpr_workgroup_id_z 0
		.amdhsa_system_sgpr_workgroup_info 0
		.amdhsa_system_vgpr_workitem_id 0
		.amdhsa_next_free_vgpr 1
		.amdhsa_next_free_sgpr 0
		.amdhsa_accum_offset 4
		.amdhsa_reserve_vcc 0
		.amdhsa_reserve_flat_scratch 0
		.amdhsa_float_round_mode_32 0
		.amdhsa_float_round_mode_16_64 0
		.amdhsa_float_denorm_mode_32 3
		.amdhsa_float_denorm_mode_16_64 3
		.amdhsa_dx10_clamp 1
		.amdhsa_ieee_mode 1
		.amdhsa_fp16_overflow 0
		.amdhsa_tg_split 0
		.amdhsa_exception_fp_ieee_invalid_op 0
		.amdhsa_exception_fp_denorm_src 0
		.amdhsa_exception_fp_ieee_div_zero 0
		.amdhsa_exception_fp_ieee_overflow 0
		.amdhsa_exception_fp_ieee_underflow 0
		.amdhsa_exception_fp_ieee_inexact 0
		.amdhsa_exception_int_div_zero 0
	.end_amdhsa_kernel
	.section	.text._ZN7rocprim17ROCPRIM_400000_NS6detail17trampoline_kernelINS0_14default_configENS1_25partition_config_selectorILNS1_17partition_subalgoE8EsNS0_10empty_typeEbEEZZNS1_14partition_implILS5_8ELb0ES3_jPKsPS6_PKS6_NS0_5tupleIJPsS6_EEENSE_IJSB_SB_EEENS0_18inequality_wrapperIN6hipcub16HIPCUB_304000_NS8EqualityEEEPlJS6_EEE10hipError_tPvRmT3_T4_T5_T6_T7_T9_mT8_P12ihipStream_tbDpT10_ENKUlT_T0_E_clISt17integral_constantIbLb1EES16_IbLb0EEEEDaS12_S13_EUlS12_E_NS1_11comp_targetILNS1_3genE10ELNS1_11target_archE1200ELNS1_3gpuE4ELNS1_3repE0EEENS1_30default_config_static_selectorELNS0_4arch9wavefront6targetE1EEEvT1_,"axG",@progbits,_ZN7rocprim17ROCPRIM_400000_NS6detail17trampoline_kernelINS0_14default_configENS1_25partition_config_selectorILNS1_17partition_subalgoE8EsNS0_10empty_typeEbEEZZNS1_14partition_implILS5_8ELb0ES3_jPKsPS6_PKS6_NS0_5tupleIJPsS6_EEENSE_IJSB_SB_EEENS0_18inequality_wrapperIN6hipcub16HIPCUB_304000_NS8EqualityEEEPlJS6_EEE10hipError_tPvRmT3_T4_T5_T6_T7_T9_mT8_P12ihipStream_tbDpT10_ENKUlT_T0_E_clISt17integral_constantIbLb1EES16_IbLb0EEEEDaS12_S13_EUlS12_E_NS1_11comp_targetILNS1_3genE10ELNS1_11target_archE1200ELNS1_3gpuE4ELNS1_3repE0EEENS1_30default_config_static_selectorELNS0_4arch9wavefront6targetE1EEEvT1_,comdat
.Lfunc_end569:
	.size	_ZN7rocprim17ROCPRIM_400000_NS6detail17trampoline_kernelINS0_14default_configENS1_25partition_config_selectorILNS1_17partition_subalgoE8EsNS0_10empty_typeEbEEZZNS1_14partition_implILS5_8ELb0ES3_jPKsPS6_PKS6_NS0_5tupleIJPsS6_EEENSE_IJSB_SB_EEENS0_18inequality_wrapperIN6hipcub16HIPCUB_304000_NS8EqualityEEEPlJS6_EEE10hipError_tPvRmT3_T4_T5_T6_T7_T9_mT8_P12ihipStream_tbDpT10_ENKUlT_T0_E_clISt17integral_constantIbLb1EES16_IbLb0EEEEDaS12_S13_EUlS12_E_NS1_11comp_targetILNS1_3genE10ELNS1_11target_archE1200ELNS1_3gpuE4ELNS1_3repE0EEENS1_30default_config_static_selectorELNS0_4arch9wavefront6targetE1EEEvT1_, .Lfunc_end569-_ZN7rocprim17ROCPRIM_400000_NS6detail17trampoline_kernelINS0_14default_configENS1_25partition_config_selectorILNS1_17partition_subalgoE8EsNS0_10empty_typeEbEEZZNS1_14partition_implILS5_8ELb0ES3_jPKsPS6_PKS6_NS0_5tupleIJPsS6_EEENSE_IJSB_SB_EEENS0_18inequality_wrapperIN6hipcub16HIPCUB_304000_NS8EqualityEEEPlJS6_EEE10hipError_tPvRmT3_T4_T5_T6_T7_T9_mT8_P12ihipStream_tbDpT10_ENKUlT_T0_E_clISt17integral_constantIbLb1EES16_IbLb0EEEEDaS12_S13_EUlS12_E_NS1_11comp_targetILNS1_3genE10ELNS1_11target_archE1200ELNS1_3gpuE4ELNS1_3repE0EEENS1_30default_config_static_selectorELNS0_4arch9wavefront6targetE1EEEvT1_
                                        ; -- End function
	.section	.AMDGPU.csdata,"",@progbits
; Kernel info:
; codeLenInByte = 0
; NumSgprs: 4
; NumVgprs: 0
; NumAgprs: 0
; TotalNumVgprs: 0
; ScratchSize: 0
; MemoryBound: 0
; FloatMode: 240
; IeeeMode: 1
; LDSByteSize: 0 bytes/workgroup (compile time only)
; SGPRBlocks: 0
; VGPRBlocks: 0
; NumSGPRsForWavesPerEU: 4
; NumVGPRsForWavesPerEU: 1
; AccumOffset: 4
; Occupancy: 8
; WaveLimiterHint : 0
; COMPUTE_PGM_RSRC2:SCRATCH_EN: 0
; COMPUTE_PGM_RSRC2:USER_SGPR: 6
; COMPUTE_PGM_RSRC2:TRAP_HANDLER: 0
; COMPUTE_PGM_RSRC2:TGID_X_EN: 1
; COMPUTE_PGM_RSRC2:TGID_Y_EN: 0
; COMPUTE_PGM_RSRC2:TGID_Z_EN: 0
; COMPUTE_PGM_RSRC2:TIDIG_COMP_CNT: 0
; COMPUTE_PGM_RSRC3_GFX90A:ACCUM_OFFSET: 0
; COMPUTE_PGM_RSRC3_GFX90A:TG_SPLIT: 0
	.section	.text._ZN7rocprim17ROCPRIM_400000_NS6detail17trampoline_kernelINS0_14default_configENS1_25partition_config_selectorILNS1_17partition_subalgoE8EsNS0_10empty_typeEbEEZZNS1_14partition_implILS5_8ELb0ES3_jPKsPS6_PKS6_NS0_5tupleIJPsS6_EEENSE_IJSB_SB_EEENS0_18inequality_wrapperIN6hipcub16HIPCUB_304000_NS8EqualityEEEPlJS6_EEE10hipError_tPvRmT3_T4_T5_T6_T7_T9_mT8_P12ihipStream_tbDpT10_ENKUlT_T0_E_clISt17integral_constantIbLb1EES16_IbLb0EEEEDaS12_S13_EUlS12_E_NS1_11comp_targetILNS1_3genE9ELNS1_11target_archE1100ELNS1_3gpuE3ELNS1_3repE0EEENS1_30default_config_static_selectorELNS0_4arch9wavefront6targetE1EEEvT1_,"axG",@progbits,_ZN7rocprim17ROCPRIM_400000_NS6detail17trampoline_kernelINS0_14default_configENS1_25partition_config_selectorILNS1_17partition_subalgoE8EsNS0_10empty_typeEbEEZZNS1_14partition_implILS5_8ELb0ES3_jPKsPS6_PKS6_NS0_5tupleIJPsS6_EEENSE_IJSB_SB_EEENS0_18inequality_wrapperIN6hipcub16HIPCUB_304000_NS8EqualityEEEPlJS6_EEE10hipError_tPvRmT3_T4_T5_T6_T7_T9_mT8_P12ihipStream_tbDpT10_ENKUlT_T0_E_clISt17integral_constantIbLb1EES16_IbLb0EEEEDaS12_S13_EUlS12_E_NS1_11comp_targetILNS1_3genE9ELNS1_11target_archE1100ELNS1_3gpuE3ELNS1_3repE0EEENS1_30default_config_static_selectorELNS0_4arch9wavefront6targetE1EEEvT1_,comdat
	.protected	_ZN7rocprim17ROCPRIM_400000_NS6detail17trampoline_kernelINS0_14default_configENS1_25partition_config_selectorILNS1_17partition_subalgoE8EsNS0_10empty_typeEbEEZZNS1_14partition_implILS5_8ELb0ES3_jPKsPS6_PKS6_NS0_5tupleIJPsS6_EEENSE_IJSB_SB_EEENS0_18inequality_wrapperIN6hipcub16HIPCUB_304000_NS8EqualityEEEPlJS6_EEE10hipError_tPvRmT3_T4_T5_T6_T7_T9_mT8_P12ihipStream_tbDpT10_ENKUlT_T0_E_clISt17integral_constantIbLb1EES16_IbLb0EEEEDaS12_S13_EUlS12_E_NS1_11comp_targetILNS1_3genE9ELNS1_11target_archE1100ELNS1_3gpuE3ELNS1_3repE0EEENS1_30default_config_static_selectorELNS0_4arch9wavefront6targetE1EEEvT1_ ; -- Begin function _ZN7rocprim17ROCPRIM_400000_NS6detail17trampoline_kernelINS0_14default_configENS1_25partition_config_selectorILNS1_17partition_subalgoE8EsNS0_10empty_typeEbEEZZNS1_14partition_implILS5_8ELb0ES3_jPKsPS6_PKS6_NS0_5tupleIJPsS6_EEENSE_IJSB_SB_EEENS0_18inequality_wrapperIN6hipcub16HIPCUB_304000_NS8EqualityEEEPlJS6_EEE10hipError_tPvRmT3_T4_T5_T6_T7_T9_mT8_P12ihipStream_tbDpT10_ENKUlT_T0_E_clISt17integral_constantIbLb1EES16_IbLb0EEEEDaS12_S13_EUlS12_E_NS1_11comp_targetILNS1_3genE9ELNS1_11target_archE1100ELNS1_3gpuE3ELNS1_3repE0EEENS1_30default_config_static_selectorELNS0_4arch9wavefront6targetE1EEEvT1_
	.globl	_ZN7rocprim17ROCPRIM_400000_NS6detail17trampoline_kernelINS0_14default_configENS1_25partition_config_selectorILNS1_17partition_subalgoE8EsNS0_10empty_typeEbEEZZNS1_14partition_implILS5_8ELb0ES3_jPKsPS6_PKS6_NS0_5tupleIJPsS6_EEENSE_IJSB_SB_EEENS0_18inequality_wrapperIN6hipcub16HIPCUB_304000_NS8EqualityEEEPlJS6_EEE10hipError_tPvRmT3_T4_T5_T6_T7_T9_mT8_P12ihipStream_tbDpT10_ENKUlT_T0_E_clISt17integral_constantIbLb1EES16_IbLb0EEEEDaS12_S13_EUlS12_E_NS1_11comp_targetILNS1_3genE9ELNS1_11target_archE1100ELNS1_3gpuE3ELNS1_3repE0EEENS1_30default_config_static_selectorELNS0_4arch9wavefront6targetE1EEEvT1_
	.p2align	8
	.type	_ZN7rocprim17ROCPRIM_400000_NS6detail17trampoline_kernelINS0_14default_configENS1_25partition_config_selectorILNS1_17partition_subalgoE8EsNS0_10empty_typeEbEEZZNS1_14partition_implILS5_8ELb0ES3_jPKsPS6_PKS6_NS0_5tupleIJPsS6_EEENSE_IJSB_SB_EEENS0_18inequality_wrapperIN6hipcub16HIPCUB_304000_NS8EqualityEEEPlJS6_EEE10hipError_tPvRmT3_T4_T5_T6_T7_T9_mT8_P12ihipStream_tbDpT10_ENKUlT_T0_E_clISt17integral_constantIbLb1EES16_IbLb0EEEEDaS12_S13_EUlS12_E_NS1_11comp_targetILNS1_3genE9ELNS1_11target_archE1100ELNS1_3gpuE3ELNS1_3repE0EEENS1_30default_config_static_selectorELNS0_4arch9wavefront6targetE1EEEvT1_,@function
_ZN7rocprim17ROCPRIM_400000_NS6detail17trampoline_kernelINS0_14default_configENS1_25partition_config_selectorILNS1_17partition_subalgoE8EsNS0_10empty_typeEbEEZZNS1_14partition_implILS5_8ELb0ES3_jPKsPS6_PKS6_NS0_5tupleIJPsS6_EEENSE_IJSB_SB_EEENS0_18inequality_wrapperIN6hipcub16HIPCUB_304000_NS8EqualityEEEPlJS6_EEE10hipError_tPvRmT3_T4_T5_T6_T7_T9_mT8_P12ihipStream_tbDpT10_ENKUlT_T0_E_clISt17integral_constantIbLb1EES16_IbLb0EEEEDaS12_S13_EUlS12_E_NS1_11comp_targetILNS1_3genE9ELNS1_11target_archE1100ELNS1_3gpuE3ELNS1_3repE0EEENS1_30default_config_static_selectorELNS0_4arch9wavefront6targetE1EEEvT1_: ; @_ZN7rocprim17ROCPRIM_400000_NS6detail17trampoline_kernelINS0_14default_configENS1_25partition_config_selectorILNS1_17partition_subalgoE8EsNS0_10empty_typeEbEEZZNS1_14partition_implILS5_8ELb0ES3_jPKsPS6_PKS6_NS0_5tupleIJPsS6_EEENSE_IJSB_SB_EEENS0_18inequality_wrapperIN6hipcub16HIPCUB_304000_NS8EqualityEEEPlJS6_EEE10hipError_tPvRmT3_T4_T5_T6_T7_T9_mT8_P12ihipStream_tbDpT10_ENKUlT_T0_E_clISt17integral_constantIbLb1EES16_IbLb0EEEEDaS12_S13_EUlS12_E_NS1_11comp_targetILNS1_3genE9ELNS1_11target_archE1100ELNS1_3gpuE3ELNS1_3repE0EEENS1_30default_config_static_selectorELNS0_4arch9wavefront6targetE1EEEvT1_
; %bb.0:
	.section	.rodata,"a",@progbits
	.p2align	6, 0x0
	.amdhsa_kernel _ZN7rocprim17ROCPRIM_400000_NS6detail17trampoline_kernelINS0_14default_configENS1_25partition_config_selectorILNS1_17partition_subalgoE8EsNS0_10empty_typeEbEEZZNS1_14partition_implILS5_8ELb0ES3_jPKsPS6_PKS6_NS0_5tupleIJPsS6_EEENSE_IJSB_SB_EEENS0_18inequality_wrapperIN6hipcub16HIPCUB_304000_NS8EqualityEEEPlJS6_EEE10hipError_tPvRmT3_T4_T5_T6_T7_T9_mT8_P12ihipStream_tbDpT10_ENKUlT_T0_E_clISt17integral_constantIbLb1EES16_IbLb0EEEEDaS12_S13_EUlS12_E_NS1_11comp_targetILNS1_3genE9ELNS1_11target_archE1100ELNS1_3gpuE3ELNS1_3repE0EEENS1_30default_config_static_selectorELNS0_4arch9wavefront6targetE1EEEvT1_
		.amdhsa_group_segment_fixed_size 0
		.amdhsa_private_segment_fixed_size 0
		.amdhsa_kernarg_size 112
		.amdhsa_user_sgpr_count 6
		.amdhsa_user_sgpr_private_segment_buffer 1
		.amdhsa_user_sgpr_dispatch_ptr 0
		.amdhsa_user_sgpr_queue_ptr 0
		.amdhsa_user_sgpr_kernarg_segment_ptr 1
		.amdhsa_user_sgpr_dispatch_id 0
		.amdhsa_user_sgpr_flat_scratch_init 0
		.amdhsa_user_sgpr_kernarg_preload_length 0
		.amdhsa_user_sgpr_kernarg_preload_offset 0
		.amdhsa_user_sgpr_private_segment_size 0
		.amdhsa_uses_dynamic_stack 0
		.amdhsa_system_sgpr_private_segment_wavefront_offset 0
		.amdhsa_system_sgpr_workgroup_id_x 1
		.amdhsa_system_sgpr_workgroup_id_y 0
		.amdhsa_system_sgpr_workgroup_id_z 0
		.amdhsa_system_sgpr_workgroup_info 0
		.amdhsa_system_vgpr_workitem_id 0
		.amdhsa_next_free_vgpr 1
		.amdhsa_next_free_sgpr 0
		.amdhsa_accum_offset 4
		.amdhsa_reserve_vcc 0
		.amdhsa_reserve_flat_scratch 0
		.amdhsa_float_round_mode_32 0
		.amdhsa_float_round_mode_16_64 0
		.amdhsa_float_denorm_mode_32 3
		.amdhsa_float_denorm_mode_16_64 3
		.amdhsa_dx10_clamp 1
		.amdhsa_ieee_mode 1
		.amdhsa_fp16_overflow 0
		.amdhsa_tg_split 0
		.amdhsa_exception_fp_ieee_invalid_op 0
		.amdhsa_exception_fp_denorm_src 0
		.amdhsa_exception_fp_ieee_div_zero 0
		.amdhsa_exception_fp_ieee_overflow 0
		.amdhsa_exception_fp_ieee_underflow 0
		.amdhsa_exception_fp_ieee_inexact 0
		.amdhsa_exception_int_div_zero 0
	.end_amdhsa_kernel
	.section	.text._ZN7rocprim17ROCPRIM_400000_NS6detail17trampoline_kernelINS0_14default_configENS1_25partition_config_selectorILNS1_17partition_subalgoE8EsNS0_10empty_typeEbEEZZNS1_14partition_implILS5_8ELb0ES3_jPKsPS6_PKS6_NS0_5tupleIJPsS6_EEENSE_IJSB_SB_EEENS0_18inequality_wrapperIN6hipcub16HIPCUB_304000_NS8EqualityEEEPlJS6_EEE10hipError_tPvRmT3_T4_T5_T6_T7_T9_mT8_P12ihipStream_tbDpT10_ENKUlT_T0_E_clISt17integral_constantIbLb1EES16_IbLb0EEEEDaS12_S13_EUlS12_E_NS1_11comp_targetILNS1_3genE9ELNS1_11target_archE1100ELNS1_3gpuE3ELNS1_3repE0EEENS1_30default_config_static_selectorELNS0_4arch9wavefront6targetE1EEEvT1_,"axG",@progbits,_ZN7rocprim17ROCPRIM_400000_NS6detail17trampoline_kernelINS0_14default_configENS1_25partition_config_selectorILNS1_17partition_subalgoE8EsNS0_10empty_typeEbEEZZNS1_14partition_implILS5_8ELb0ES3_jPKsPS6_PKS6_NS0_5tupleIJPsS6_EEENSE_IJSB_SB_EEENS0_18inequality_wrapperIN6hipcub16HIPCUB_304000_NS8EqualityEEEPlJS6_EEE10hipError_tPvRmT3_T4_T5_T6_T7_T9_mT8_P12ihipStream_tbDpT10_ENKUlT_T0_E_clISt17integral_constantIbLb1EES16_IbLb0EEEEDaS12_S13_EUlS12_E_NS1_11comp_targetILNS1_3genE9ELNS1_11target_archE1100ELNS1_3gpuE3ELNS1_3repE0EEENS1_30default_config_static_selectorELNS0_4arch9wavefront6targetE1EEEvT1_,comdat
.Lfunc_end570:
	.size	_ZN7rocprim17ROCPRIM_400000_NS6detail17trampoline_kernelINS0_14default_configENS1_25partition_config_selectorILNS1_17partition_subalgoE8EsNS0_10empty_typeEbEEZZNS1_14partition_implILS5_8ELb0ES3_jPKsPS6_PKS6_NS0_5tupleIJPsS6_EEENSE_IJSB_SB_EEENS0_18inequality_wrapperIN6hipcub16HIPCUB_304000_NS8EqualityEEEPlJS6_EEE10hipError_tPvRmT3_T4_T5_T6_T7_T9_mT8_P12ihipStream_tbDpT10_ENKUlT_T0_E_clISt17integral_constantIbLb1EES16_IbLb0EEEEDaS12_S13_EUlS12_E_NS1_11comp_targetILNS1_3genE9ELNS1_11target_archE1100ELNS1_3gpuE3ELNS1_3repE0EEENS1_30default_config_static_selectorELNS0_4arch9wavefront6targetE1EEEvT1_, .Lfunc_end570-_ZN7rocprim17ROCPRIM_400000_NS6detail17trampoline_kernelINS0_14default_configENS1_25partition_config_selectorILNS1_17partition_subalgoE8EsNS0_10empty_typeEbEEZZNS1_14partition_implILS5_8ELb0ES3_jPKsPS6_PKS6_NS0_5tupleIJPsS6_EEENSE_IJSB_SB_EEENS0_18inequality_wrapperIN6hipcub16HIPCUB_304000_NS8EqualityEEEPlJS6_EEE10hipError_tPvRmT3_T4_T5_T6_T7_T9_mT8_P12ihipStream_tbDpT10_ENKUlT_T0_E_clISt17integral_constantIbLb1EES16_IbLb0EEEEDaS12_S13_EUlS12_E_NS1_11comp_targetILNS1_3genE9ELNS1_11target_archE1100ELNS1_3gpuE3ELNS1_3repE0EEENS1_30default_config_static_selectorELNS0_4arch9wavefront6targetE1EEEvT1_
                                        ; -- End function
	.section	.AMDGPU.csdata,"",@progbits
; Kernel info:
; codeLenInByte = 0
; NumSgprs: 4
; NumVgprs: 0
; NumAgprs: 0
; TotalNumVgprs: 0
; ScratchSize: 0
; MemoryBound: 0
; FloatMode: 240
; IeeeMode: 1
; LDSByteSize: 0 bytes/workgroup (compile time only)
; SGPRBlocks: 0
; VGPRBlocks: 0
; NumSGPRsForWavesPerEU: 4
; NumVGPRsForWavesPerEU: 1
; AccumOffset: 4
; Occupancy: 8
; WaveLimiterHint : 0
; COMPUTE_PGM_RSRC2:SCRATCH_EN: 0
; COMPUTE_PGM_RSRC2:USER_SGPR: 6
; COMPUTE_PGM_RSRC2:TRAP_HANDLER: 0
; COMPUTE_PGM_RSRC2:TGID_X_EN: 1
; COMPUTE_PGM_RSRC2:TGID_Y_EN: 0
; COMPUTE_PGM_RSRC2:TGID_Z_EN: 0
; COMPUTE_PGM_RSRC2:TIDIG_COMP_CNT: 0
; COMPUTE_PGM_RSRC3_GFX90A:ACCUM_OFFSET: 0
; COMPUTE_PGM_RSRC3_GFX90A:TG_SPLIT: 0
	.section	.text._ZN7rocprim17ROCPRIM_400000_NS6detail17trampoline_kernelINS0_14default_configENS1_25partition_config_selectorILNS1_17partition_subalgoE8EsNS0_10empty_typeEbEEZZNS1_14partition_implILS5_8ELb0ES3_jPKsPS6_PKS6_NS0_5tupleIJPsS6_EEENSE_IJSB_SB_EEENS0_18inequality_wrapperIN6hipcub16HIPCUB_304000_NS8EqualityEEEPlJS6_EEE10hipError_tPvRmT3_T4_T5_T6_T7_T9_mT8_P12ihipStream_tbDpT10_ENKUlT_T0_E_clISt17integral_constantIbLb1EES16_IbLb0EEEEDaS12_S13_EUlS12_E_NS1_11comp_targetILNS1_3genE8ELNS1_11target_archE1030ELNS1_3gpuE2ELNS1_3repE0EEENS1_30default_config_static_selectorELNS0_4arch9wavefront6targetE1EEEvT1_,"axG",@progbits,_ZN7rocprim17ROCPRIM_400000_NS6detail17trampoline_kernelINS0_14default_configENS1_25partition_config_selectorILNS1_17partition_subalgoE8EsNS0_10empty_typeEbEEZZNS1_14partition_implILS5_8ELb0ES3_jPKsPS6_PKS6_NS0_5tupleIJPsS6_EEENSE_IJSB_SB_EEENS0_18inequality_wrapperIN6hipcub16HIPCUB_304000_NS8EqualityEEEPlJS6_EEE10hipError_tPvRmT3_T4_T5_T6_T7_T9_mT8_P12ihipStream_tbDpT10_ENKUlT_T0_E_clISt17integral_constantIbLb1EES16_IbLb0EEEEDaS12_S13_EUlS12_E_NS1_11comp_targetILNS1_3genE8ELNS1_11target_archE1030ELNS1_3gpuE2ELNS1_3repE0EEENS1_30default_config_static_selectorELNS0_4arch9wavefront6targetE1EEEvT1_,comdat
	.protected	_ZN7rocprim17ROCPRIM_400000_NS6detail17trampoline_kernelINS0_14default_configENS1_25partition_config_selectorILNS1_17partition_subalgoE8EsNS0_10empty_typeEbEEZZNS1_14partition_implILS5_8ELb0ES3_jPKsPS6_PKS6_NS0_5tupleIJPsS6_EEENSE_IJSB_SB_EEENS0_18inequality_wrapperIN6hipcub16HIPCUB_304000_NS8EqualityEEEPlJS6_EEE10hipError_tPvRmT3_T4_T5_T6_T7_T9_mT8_P12ihipStream_tbDpT10_ENKUlT_T0_E_clISt17integral_constantIbLb1EES16_IbLb0EEEEDaS12_S13_EUlS12_E_NS1_11comp_targetILNS1_3genE8ELNS1_11target_archE1030ELNS1_3gpuE2ELNS1_3repE0EEENS1_30default_config_static_selectorELNS0_4arch9wavefront6targetE1EEEvT1_ ; -- Begin function _ZN7rocprim17ROCPRIM_400000_NS6detail17trampoline_kernelINS0_14default_configENS1_25partition_config_selectorILNS1_17partition_subalgoE8EsNS0_10empty_typeEbEEZZNS1_14partition_implILS5_8ELb0ES3_jPKsPS6_PKS6_NS0_5tupleIJPsS6_EEENSE_IJSB_SB_EEENS0_18inequality_wrapperIN6hipcub16HIPCUB_304000_NS8EqualityEEEPlJS6_EEE10hipError_tPvRmT3_T4_T5_T6_T7_T9_mT8_P12ihipStream_tbDpT10_ENKUlT_T0_E_clISt17integral_constantIbLb1EES16_IbLb0EEEEDaS12_S13_EUlS12_E_NS1_11comp_targetILNS1_3genE8ELNS1_11target_archE1030ELNS1_3gpuE2ELNS1_3repE0EEENS1_30default_config_static_selectorELNS0_4arch9wavefront6targetE1EEEvT1_
	.globl	_ZN7rocprim17ROCPRIM_400000_NS6detail17trampoline_kernelINS0_14default_configENS1_25partition_config_selectorILNS1_17partition_subalgoE8EsNS0_10empty_typeEbEEZZNS1_14partition_implILS5_8ELb0ES3_jPKsPS6_PKS6_NS0_5tupleIJPsS6_EEENSE_IJSB_SB_EEENS0_18inequality_wrapperIN6hipcub16HIPCUB_304000_NS8EqualityEEEPlJS6_EEE10hipError_tPvRmT3_T4_T5_T6_T7_T9_mT8_P12ihipStream_tbDpT10_ENKUlT_T0_E_clISt17integral_constantIbLb1EES16_IbLb0EEEEDaS12_S13_EUlS12_E_NS1_11comp_targetILNS1_3genE8ELNS1_11target_archE1030ELNS1_3gpuE2ELNS1_3repE0EEENS1_30default_config_static_selectorELNS0_4arch9wavefront6targetE1EEEvT1_
	.p2align	8
	.type	_ZN7rocprim17ROCPRIM_400000_NS6detail17trampoline_kernelINS0_14default_configENS1_25partition_config_selectorILNS1_17partition_subalgoE8EsNS0_10empty_typeEbEEZZNS1_14partition_implILS5_8ELb0ES3_jPKsPS6_PKS6_NS0_5tupleIJPsS6_EEENSE_IJSB_SB_EEENS0_18inequality_wrapperIN6hipcub16HIPCUB_304000_NS8EqualityEEEPlJS6_EEE10hipError_tPvRmT3_T4_T5_T6_T7_T9_mT8_P12ihipStream_tbDpT10_ENKUlT_T0_E_clISt17integral_constantIbLb1EES16_IbLb0EEEEDaS12_S13_EUlS12_E_NS1_11comp_targetILNS1_3genE8ELNS1_11target_archE1030ELNS1_3gpuE2ELNS1_3repE0EEENS1_30default_config_static_selectorELNS0_4arch9wavefront6targetE1EEEvT1_,@function
_ZN7rocprim17ROCPRIM_400000_NS6detail17trampoline_kernelINS0_14default_configENS1_25partition_config_selectorILNS1_17partition_subalgoE8EsNS0_10empty_typeEbEEZZNS1_14partition_implILS5_8ELb0ES3_jPKsPS6_PKS6_NS0_5tupleIJPsS6_EEENSE_IJSB_SB_EEENS0_18inequality_wrapperIN6hipcub16HIPCUB_304000_NS8EqualityEEEPlJS6_EEE10hipError_tPvRmT3_T4_T5_T6_T7_T9_mT8_P12ihipStream_tbDpT10_ENKUlT_T0_E_clISt17integral_constantIbLb1EES16_IbLb0EEEEDaS12_S13_EUlS12_E_NS1_11comp_targetILNS1_3genE8ELNS1_11target_archE1030ELNS1_3gpuE2ELNS1_3repE0EEENS1_30default_config_static_selectorELNS0_4arch9wavefront6targetE1EEEvT1_: ; @_ZN7rocprim17ROCPRIM_400000_NS6detail17trampoline_kernelINS0_14default_configENS1_25partition_config_selectorILNS1_17partition_subalgoE8EsNS0_10empty_typeEbEEZZNS1_14partition_implILS5_8ELb0ES3_jPKsPS6_PKS6_NS0_5tupleIJPsS6_EEENSE_IJSB_SB_EEENS0_18inequality_wrapperIN6hipcub16HIPCUB_304000_NS8EqualityEEEPlJS6_EEE10hipError_tPvRmT3_T4_T5_T6_T7_T9_mT8_P12ihipStream_tbDpT10_ENKUlT_T0_E_clISt17integral_constantIbLb1EES16_IbLb0EEEEDaS12_S13_EUlS12_E_NS1_11comp_targetILNS1_3genE8ELNS1_11target_archE1030ELNS1_3gpuE2ELNS1_3repE0EEENS1_30default_config_static_selectorELNS0_4arch9wavefront6targetE1EEEvT1_
; %bb.0:
	.section	.rodata,"a",@progbits
	.p2align	6, 0x0
	.amdhsa_kernel _ZN7rocprim17ROCPRIM_400000_NS6detail17trampoline_kernelINS0_14default_configENS1_25partition_config_selectorILNS1_17partition_subalgoE8EsNS0_10empty_typeEbEEZZNS1_14partition_implILS5_8ELb0ES3_jPKsPS6_PKS6_NS0_5tupleIJPsS6_EEENSE_IJSB_SB_EEENS0_18inequality_wrapperIN6hipcub16HIPCUB_304000_NS8EqualityEEEPlJS6_EEE10hipError_tPvRmT3_T4_T5_T6_T7_T9_mT8_P12ihipStream_tbDpT10_ENKUlT_T0_E_clISt17integral_constantIbLb1EES16_IbLb0EEEEDaS12_S13_EUlS12_E_NS1_11comp_targetILNS1_3genE8ELNS1_11target_archE1030ELNS1_3gpuE2ELNS1_3repE0EEENS1_30default_config_static_selectorELNS0_4arch9wavefront6targetE1EEEvT1_
		.amdhsa_group_segment_fixed_size 0
		.amdhsa_private_segment_fixed_size 0
		.amdhsa_kernarg_size 112
		.amdhsa_user_sgpr_count 6
		.amdhsa_user_sgpr_private_segment_buffer 1
		.amdhsa_user_sgpr_dispatch_ptr 0
		.amdhsa_user_sgpr_queue_ptr 0
		.amdhsa_user_sgpr_kernarg_segment_ptr 1
		.amdhsa_user_sgpr_dispatch_id 0
		.amdhsa_user_sgpr_flat_scratch_init 0
		.amdhsa_user_sgpr_kernarg_preload_length 0
		.amdhsa_user_sgpr_kernarg_preload_offset 0
		.amdhsa_user_sgpr_private_segment_size 0
		.amdhsa_uses_dynamic_stack 0
		.amdhsa_system_sgpr_private_segment_wavefront_offset 0
		.amdhsa_system_sgpr_workgroup_id_x 1
		.amdhsa_system_sgpr_workgroup_id_y 0
		.amdhsa_system_sgpr_workgroup_id_z 0
		.amdhsa_system_sgpr_workgroup_info 0
		.amdhsa_system_vgpr_workitem_id 0
		.amdhsa_next_free_vgpr 1
		.amdhsa_next_free_sgpr 0
		.amdhsa_accum_offset 4
		.amdhsa_reserve_vcc 0
		.amdhsa_reserve_flat_scratch 0
		.amdhsa_float_round_mode_32 0
		.amdhsa_float_round_mode_16_64 0
		.amdhsa_float_denorm_mode_32 3
		.amdhsa_float_denorm_mode_16_64 3
		.amdhsa_dx10_clamp 1
		.amdhsa_ieee_mode 1
		.amdhsa_fp16_overflow 0
		.amdhsa_tg_split 0
		.amdhsa_exception_fp_ieee_invalid_op 0
		.amdhsa_exception_fp_denorm_src 0
		.amdhsa_exception_fp_ieee_div_zero 0
		.amdhsa_exception_fp_ieee_overflow 0
		.amdhsa_exception_fp_ieee_underflow 0
		.amdhsa_exception_fp_ieee_inexact 0
		.amdhsa_exception_int_div_zero 0
	.end_amdhsa_kernel
	.section	.text._ZN7rocprim17ROCPRIM_400000_NS6detail17trampoline_kernelINS0_14default_configENS1_25partition_config_selectorILNS1_17partition_subalgoE8EsNS0_10empty_typeEbEEZZNS1_14partition_implILS5_8ELb0ES3_jPKsPS6_PKS6_NS0_5tupleIJPsS6_EEENSE_IJSB_SB_EEENS0_18inequality_wrapperIN6hipcub16HIPCUB_304000_NS8EqualityEEEPlJS6_EEE10hipError_tPvRmT3_T4_T5_T6_T7_T9_mT8_P12ihipStream_tbDpT10_ENKUlT_T0_E_clISt17integral_constantIbLb1EES16_IbLb0EEEEDaS12_S13_EUlS12_E_NS1_11comp_targetILNS1_3genE8ELNS1_11target_archE1030ELNS1_3gpuE2ELNS1_3repE0EEENS1_30default_config_static_selectorELNS0_4arch9wavefront6targetE1EEEvT1_,"axG",@progbits,_ZN7rocprim17ROCPRIM_400000_NS6detail17trampoline_kernelINS0_14default_configENS1_25partition_config_selectorILNS1_17partition_subalgoE8EsNS0_10empty_typeEbEEZZNS1_14partition_implILS5_8ELb0ES3_jPKsPS6_PKS6_NS0_5tupleIJPsS6_EEENSE_IJSB_SB_EEENS0_18inequality_wrapperIN6hipcub16HIPCUB_304000_NS8EqualityEEEPlJS6_EEE10hipError_tPvRmT3_T4_T5_T6_T7_T9_mT8_P12ihipStream_tbDpT10_ENKUlT_T0_E_clISt17integral_constantIbLb1EES16_IbLb0EEEEDaS12_S13_EUlS12_E_NS1_11comp_targetILNS1_3genE8ELNS1_11target_archE1030ELNS1_3gpuE2ELNS1_3repE0EEENS1_30default_config_static_selectorELNS0_4arch9wavefront6targetE1EEEvT1_,comdat
.Lfunc_end571:
	.size	_ZN7rocprim17ROCPRIM_400000_NS6detail17trampoline_kernelINS0_14default_configENS1_25partition_config_selectorILNS1_17partition_subalgoE8EsNS0_10empty_typeEbEEZZNS1_14partition_implILS5_8ELb0ES3_jPKsPS6_PKS6_NS0_5tupleIJPsS6_EEENSE_IJSB_SB_EEENS0_18inequality_wrapperIN6hipcub16HIPCUB_304000_NS8EqualityEEEPlJS6_EEE10hipError_tPvRmT3_T4_T5_T6_T7_T9_mT8_P12ihipStream_tbDpT10_ENKUlT_T0_E_clISt17integral_constantIbLb1EES16_IbLb0EEEEDaS12_S13_EUlS12_E_NS1_11comp_targetILNS1_3genE8ELNS1_11target_archE1030ELNS1_3gpuE2ELNS1_3repE0EEENS1_30default_config_static_selectorELNS0_4arch9wavefront6targetE1EEEvT1_, .Lfunc_end571-_ZN7rocprim17ROCPRIM_400000_NS6detail17trampoline_kernelINS0_14default_configENS1_25partition_config_selectorILNS1_17partition_subalgoE8EsNS0_10empty_typeEbEEZZNS1_14partition_implILS5_8ELb0ES3_jPKsPS6_PKS6_NS0_5tupleIJPsS6_EEENSE_IJSB_SB_EEENS0_18inequality_wrapperIN6hipcub16HIPCUB_304000_NS8EqualityEEEPlJS6_EEE10hipError_tPvRmT3_T4_T5_T6_T7_T9_mT8_P12ihipStream_tbDpT10_ENKUlT_T0_E_clISt17integral_constantIbLb1EES16_IbLb0EEEEDaS12_S13_EUlS12_E_NS1_11comp_targetILNS1_3genE8ELNS1_11target_archE1030ELNS1_3gpuE2ELNS1_3repE0EEENS1_30default_config_static_selectorELNS0_4arch9wavefront6targetE1EEEvT1_
                                        ; -- End function
	.section	.AMDGPU.csdata,"",@progbits
; Kernel info:
; codeLenInByte = 0
; NumSgprs: 4
; NumVgprs: 0
; NumAgprs: 0
; TotalNumVgprs: 0
; ScratchSize: 0
; MemoryBound: 0
; FloatMode: 240
; IeeeMode: 1
; LDSByteSize: 0 bytes/workgroup (compile time only)
; SGPRBlocks: 0
; VGPRBlocks: 0
; NumSGPRsForWavesPerEU: 4
; NumVGPRsForWavesPerEU: 1
; AccumOffset: 4
; Occupancy: 8
; WaveLimiterHint : 0
; COMPUTE_PGM_RSRC2:SCRATCH_EN: 0
; COMPUTE_PGM_RSRC2:USER_SGPR: 6
; COMPUTE_PGM_RSRC2:TRAP_HANDLER: 0
; COMPUTE_PGM_RSRC2:TGID_X_EN: 1
; COMPUTE_PGM_RSRC2:TGID_Y_EN: 0
; COMPUTE_PGM_RSRC2:TGID_Z_EN: 0
; COMPUTE_PGM_RSRC2:TIDIG_COMP_CNT: 0
; COMPUTE_PGM_RSRC3_GFX90A:ACCUM_OFFSET: 0
; COMPUTE_PGM_RSRC3_GFX90A:TG_SPLIT: 0
	.section	.text._ZN7rocprim17ROCPRIM_400000_NS6detail17trampoline_kernelINS0_14default_configENS1_25partition_config_selectorILNS1_17partition_subalgoE8EsNS0_10empty_typeEbEEZZNS1_14partition_implILS5_8ELb0ES3_jPKsPS6_PKS6_NS0_5tupleIJPsS6_EEENSE_IJSB_SB_EEENS0_18inequality_wrapperIN6hipcub16HIPCUB_304000_NS8EqualityEEEPlJS6_EEE10hipError_tPvRmT3_T4_T5_T6_T7_T9_mT8_P12ihipStream_tbDpT10_ENKUlT_T0_E_clISt17integral_constantIbLb0EES16_IbLb1EEEEDaS12_S13_EUlS12_E_NS1_11comp_targetILNS1_3genE0ELNS1_11target_archE4294967295ELNS1_3gpuE0ELNS1_3repE0EEENS1_30default_config_static_selectorELNS0_4arch9wavefront6targetE1EEEvT1_,"axG",@progbits,_ZN7rocprim17ROCPRIM_400000_NS6detail17trampoline_kernelINS0_14default_configENS1_25partition_config_selectorILNS1_17partition_subalgoE8EsNS0_10empty_typeEbEEZZNS1_14partition_implILS5_8ELb0ES3_jPKsPS6_PKS6_NS0_5tupleIJPsS6_EEENSE_IJSB_SB_EEENS0_18inequality_wrapperIN6hipcub16HIPCUB_304000_NS8EqualityEEEPlJS6_EEE10hipError_tPvRmT3_T4_T5_T6_T7_T9_mT8_P12ihipStream_tbDpT10_ENKUlT_T0_E_clISt17integral_constantIbLb0EES16_IbLb1EEEEDaS12_S13_EUlS12_E_NS1_11comp_targetILNS1_3genE0ELNS1_11target_archE4294967295ELNS1_3gpuE0ELNS1_3repE0EEENS1_30default_config_static_selectorELNS0_4arch9wavefront6targetE1EEEvT1_,comdat
	.protected	_ZN7rocprim17ROCPRIM_400000_NS6detail17trampoline_kernelINS0_14default_configENS1_25partition_config_selectorILNS1_17partition_subalgoE8EsNS0_10empty_typeEbEEZZNS1_14partition_implILS5_8ELb0ES3_jPKsPS6_PKS6_NS0_5tupleIJPsS6_EEENSE_IJSB_SB_EEENS0_18inequality_wrapperIN6hipcub16HIPCUB_304000_NS8EqualityEEEPlJS6_EEE10hipError_tPvRmT3_T4_T5_T6_T7_T9_mT8_P12ihipStream_tbDpT10_ENKUlT_T0_E_clISt17integral_constantIbLb0EES16_IbLb1EEEEDaS12_S13_EUlS12_E_NS1_11comp_targetILNS1_3genE0ELNS1_11target_archE4294967295ELNS1_3gpuE0ELNS1_3repE0EEENS1_30default_config_static_selectorELNS0_4arch9wavefront6targetE1EEEvT1_ ; -- Begin function _ZN7rocprim17ROCPRIM_400000_NS6detail17trampoline_kernelINS0_14default_configENS1_25partition_config_selectorILNS1_17partition_subalgoE8EsNS0_10empty_typeEbEEZZNS1_14partition_implILS5_8ELb0ES3_jPKsPS6_PKS6_NS0_5tupleIJPsS6_EEENSE_IJSB_SB_EEENS0_18inequality_wrapperIN6hipcub16HIPCUB_304000_NS8EqualityEEEPlJS6_EEE10hipError_tPvRmT3_T4_T5_T6_T7_T9_mT8_P12ihipStream_tbDpT10_ENKUlT_T0_E_clISt17integral_constantIbLb0EES16_IbLb1EEEEDaS12_S13_EUlS12_E_NS1_11comp_targetILNS1_3genE0ELNS1_11target_archE4294967295ELNS1_3gpuE0ELNS1_3repE0EEENS1_30default_config_static_selectorELNS0_4arch9wavefront6targetE1EEEvT1_
	.globl	_ZN7rocprim17ROCPRIM_400000_NS6detail17trampoline_kernelINS0_14default_configENS1_25partition_config_selectorILNS1_17partition_subalgoE8EsNS0_10empty_typeEbEEZZNS1_14partition_implILS5_8ELb0ES3_jPKsPS6_PKS6_NS0_5tupleIJPsS6_EEENSE_IJSB_SB_EEENS0_18inequality_wrapperIN6hipcub16HIPCUB_304000_NS8EqualityEEEPlJS6_EEE10hipError_tPvRmT3_T4_T5_T6_T7_T9_mT8_P12ihipStream_tbDpT10_ENKUlT_T0_E_clISt17integral_constantIbLb0EES16_IbLb1EEEEDaS12_S13_EUlS12_E_NS1_11comp_targetILNS1_3genE0ELNS1_11target_archE4294967295ELNS1_3gpuE0ELNS1_3repE0EEENS1_30default_config_static_selectorELNS0_4arch9wavefront6targetE1EEEvT1_
	.p2align	8
	.type	_ZN7rocprim17ROCPRIM_400000_NS6detail17trampoline_kernelINS0_14default_configENS1_25partition_config_selectorILNS1_17partition_subalgoE8EsNS0_10empty_typeEbEEZZNS1_14partition_implILS5_8ELb0ES3_jPKsPS6_PKS6_NS0_5tupleIJPsS6_EEENSE_IJSB_SB_EEENS0_18inequality_wrapperIN6hipcub16HIPCUB_304000_NS8EqualityEEEPlJS6_EEE10hipError_tPvRmT3_T4_T5_T6_T7_T9_mT8_P12ihipStream_tbDpT10_ENKUlT_T0_E_clISt17integral_constantIbLb0EES16_IbLb1EEEEDaS12_S13_EUlS12_E_NS1_11comp_targetILNS1_3genE0ELNS1_11target_archE4294967295ELNS1_3gpuE0ELNS1_3repE0EEENS1_30default_config_static_selectorELNS0_4arch9wavefront6targetE1EEEvT1_,@function
_ZN7rocprim17ROCPRIM_400000_NS6detail17trampoline_kernelINS0_14default_configENS1_25partition_config_selectorILNS1_17partition_subalgoE8EsNS0_10empty_typeEbEEZZNS1_14partition_implILS5_8ELb0ES3_jPKsPS6_PKS6_NS0_5tupleIJPsS6_EEENSE_IJSB_SB_EEENS0_18inequality_wrapperIN6hipcub16HIPCUB_304000_NS8EqualityEEEPlJS6_EEE10hipError_tPvRmT3_T4_T5_T6_T7_T9_mT8_P12ihipStream_tbDpT10_ENKUlT_T0_E_clISt17integral_constantIbLb0EES16_IbLb1EEEEDaS12_S13_EUlS12_E_NS1_11comp_targetILNS1_3genE0ELNS1_11target_archE4294967295ELNS1_3gpuE0ELNS1_3repE0EEENS1_30default_config_static_selectorELNS0_4arch9wavefront6targetE1EEEvT1_: ; @_ZN7rocprim17ROCPRIM_400000_NS6detail17trampoline_kernelINS0_14default_configENS1_25partition_config_selectorILNS1_17partition_subalgoE8EsNS0_10empty_typeEbEEZZNS1_14partition_implILS5_8ELb0ES3_jPKsPS6_PKS6_NS0_5tupleIJPsS6_EEENSE_IJSB_SB_EEENS0_18inequality_wrapperIN6hipcub16HIPCUB_304000_NS8EqualityEEEPlJS6_EEE10hipError_tPvRmT3_T4_T5_T6_T7_T9_mT8_P12ihipStream_tbDpT10_ENKUlT_T0_E_clISt17integral_constantIbLb0EES16_IbLb1EEEEDaS12_S13_EUlS12_E_NS1_11comp_targetILNS1_3genE0ELNS1_11target_archE4294967295ELNS1_3gpuE0ELNS1_3repE0EEENS1_30default_config_static_selectorELNS0_4arch9wavefront6targetE1EEEvT1_
; %bb.0:
	.section	.rodata,"a",@progbits
	.p2align	6, 0x0
	.amdhsa_kernel _ZN7rocprim17ROCPRIM_400000_NS6detail17trampoline_kernelINS0_14default_configENS1_25partition_config_selectorILNS1_17partition_subalgoE8EsNS0_10empty_typeEbEEZZNS1_14partition_implILS5_8ELb0ES3_jPKsPS6_PKS6_NS0_5tupleIJPsS6_EEENSE_IJSB_SB_EEENS0_18inequality_wrapperIN6hipcub16HIPCUB_304000_NS8EqualityEEEPlJS6_EEE10hipError_tPvRmT3_T4_T5_T6_T7_T9_mT8_P12ihipStream_tbDpT10_ENKUlT_T0_E_clISt17integral_constantIbLb0EES16_IbLb1EEEEDaS12_S13_EUlS12_E_NS1_11comp_targetILNS1_3genE0ELNS1_11target_archE4294967295ELNS1_3gpuE0ELNS1_3repE0EEENS1_30default_config_static_selectorELNS0_4arch9wavefront6targetE1EEEvT1_
		.amdhsa_group_segment_fixed_size 0
		.amdhsa_private_segment_fixed_size 0
		.amdhsa_kernarg_size 128
		.amdhsa_user_sgpr_count 6
		.amdhsa_user_sgpr_private_segment_buffer 1
		.amdhsa_user_sgpr_dispatch_ptr 0
		.amdhsa_user_sgpr_queue_ptr 0
		.amdhsa_user_sgpr_kernarg_segment_ptr 1
		.amdhsa_user_sgpr_dispatch_id 0
		.amdhsa_user_sgpr_flat_scratch_init 0
		.amdhsa_user_sgpr_kernarg_preload_length 0
		.amdhsa_user_sgpr_kernarg_preload_offset 0
		.amdhsa_user_sgpr_private_segment_size 0
		.amdhsa_uses_dynamic_stack 0
		.amdhsa_system_sgpr_private_segment_wavefront_offset 0
		.amdhsa_system_sgpr_workgroup_id_x 1
		.amdhsa_system_sgpr_workgroup_id_y 0
		.amdhsa_system_sgpr_workgroup_id_z 0
		.amdhsa_system_sgpr_workgroup_info 0
		.amdhsa_system_vgpr_workitem_id 0
		.amdhsa_next_free_vgpr 1
		.amdhsa_next_free_sgpr 0
		.amdhsa_accum_offset 4
		.amdhsa_reserve_vcc 0
		.amdhsa_reserve_flat_scratch 0
		.amdhsa_float_round_mode_32 0
		.amdhsa_float_round_mode_16_64 0
		.amdhsa_float_denorm_mode_32 3
		.amdhsa_float_denorm_mode_16_64 3
		.amdhsa_dx10_clamp 1
		.amdhsa_ieee_mode 1
		.amdhsa_fp16_overflow 0
		.amdhsa_tg_split 0
		.amdhsa_exception_fp_ieee_invalid_op 0
		.amdhsa_exception_fp_denorm_src 0
		.amdhsa_exception_fp_ieee_div_zero 0
		.amdhsa_exception_fp_ieee_overflow 0
		.amdhsa_exception_fp_ieee_underflow 0
		.amdhsa_exception_fp_ieee_inexact 0
		.amdhsa_exception_int_div_zero 0
	.end_amdhsa_kernel
	.section	.text._ZN7rocprim17ROCPRIM_400000_NS6detail17trampoline_kernelINS0_14default_configENS1_25partition_config_selectorILNS1_17partition_subalgoE8EsNS0_10empty_typeEbEEZZNS1_14partition_implILS5_8ELb0ES3_jPKsPS6_PKS6_NS0_5tupleIJPsS6_EEENSE_IJSB_SB_EEENS0_18inequality_wrapperIN6hipcub16HIPCUB_304000_NS8EqualityEEEPlJS6_EEE10hipError_tPvRmT3_T4_T5_T6_T7_T9_mT8_P12ihipStream_tbDpT10_ENKUlT_T0_E_clISt17integral_constantIbLb0EES16_IbLb1EEEEDaS12_S13_EUlS12_E_NS1_11comp_targetILNS1_3genE0ELNS1_11target_archE4294967295ELNS1_3gpuE0ELNS1_3repE0EEENS1_30default_config_static_selectorELNS0_4arch9wavefront6targetE1EEEvT1_,"axG",@progbits,_ZN7rocprim17ROCPRIM_400000_NS6detail17trampoline_kernelINS0_14default_configENS1_25partition_config_selectorILNS1_17partition_subalgoE8EsNS0_10empty_typeEbEEZZNS1_14partition_implILS5_8ELb0ES3_jPKsPS6_PKS6_NS0_5tupleIJPsS6_EEENSE_IJSB_SB_EEENS0_18inequality_wrapperIN6hipcub16HIPCUB_304000_NS8EqualityEEEPlJS6_EEE10hipError_tPvRmT3_T4_T5_T6_T7_T9_mT8_P12ihipStream_tbDpT10_ENKUlT_T0_E_clISt17integral_constantIbLb0EES16_IbLb1EEEEDaS12_S13_EUlS12_E_NS1_11comp_targetILNS1_3genE0ELNS1_11target_archE4294967295ELNS1_3gpuE0ELNS1_3repE0EEENS1_30default_config_static_selectorELNS0_4arch9wavefront6targetE1EEEvT1_,comdat
.Lfunc_end572:
	.size	_ZN7rocprim17ROCPRIM_400000_NS6detail17trampoline_kernelINS0_14default_configENS1_25partition_config_selectorILNS1_17partition_subalgoE8EsNS0_10empty_typeEbEEZZNS1_14partition_implILS5_8ELb0ES3_jPKsPS6_PKS6_NS0_5tupleIJPsS6_EEENSE_IJSB_SB_EEENS0_18inequality_wrapperIN6hipcub16HIPCUB_304000_NS8EqualityEEEPlJS6_EEE10hipError_tPvRmT3_T4_T5_T6_T7_T9_mT8_P12ihipStream_tbDpT10_ENKUlT_T0_E_clISt17integral_constantIbLb0EES16_IbLb1EEEEDaS12_S13_EUlS12_E_NS1_11comp_targetILNS1_3genE0ELNS1_11target_archE4294967295ELNS1_3gpuE0ELNS1_3repE0EEENS1_30default_config_static_selectorELNS0_4arch9wavefront6targetE1EEEvT1_, .Lfunc_end572-_ZN7rocprim17ROCPRIM_400000_NS6detail17trampoline_kernelINS0_14default_configENS1_25partition_config_selectorILNS1_17partition_subalgoE8EsNS0_10empty_typeEbEEZZNS1_14partition_implILS5_8ELb0ES3_jPKsPS6_PKS6_NS0_5tupleIJPsS6_EEENSE_IJSB_SB_EEENS0_18inequality_wrapperIN6hipcub16HIPCUB_304000_NS8EqualityEEEPlJS6_EEE10hipError_tPvRmT3_T4_T5_T6_T7_T9_mT8_P12ihipStream_tbDpT10_ENKUlT_T0_E_clISt17integral_constantIbLb0EES16_IbLb1EEEEDaS12_S13_EUlS12_E_NS1_11comp_targetILNS1_3genE0ELNS1_11target_archE4294967295ELNS1_3gpuE0ELNS1_3repE0EEENS1_30default_config_static_selectorELNS0_4arch9wavefront6targetE1EEEvT1_
                                        ; -- End function
	.section	.AMDGPU.csdata,"",@progbits
; Kernel info:
; codeLenInByte = 0
; NumSgprs: 4
; NumVgprs: 0
; NumAgprs: 0
; TotalNumVgprs: 0
; ScratchSize: 0
; MemoryBound: 0
; FloatMode: 240
; IeeeMode: 1
; LDSByteSize: 0 bytes/workgroup (compile time only)
; SGPRBlocks: 0
; VGPRBlocks: 0
; NumSGPRsForWavesPerEU: 4
; NumVGPRsForWavesPerEU: 1
; AccumOffset: 4
; Occupancy: 8
; WaveLimiterHint : 0
; COMPUTE_PGM_RSRC2:SCRATCH_EN: 0
; COMPUTE_PGM_RSRC2:USER_SGPR: 6
; COMPUTE_PGM_RSRC2:TRAP_HANDLER: 0
; COMPUTE_PGM_RSRC2:TGID_X_EN: 1
; COMPUTE_PGM_RSRC2:TGID_Y_EN: 0
; COMPUTE_PGM_RSRC2:TGID_Z_EN: 0
; COMPUTE_PGM_RSRC2:TIDIG_COMP_CNT: 0
; COMPUTE_PGM_RSRC3_GFX90A:ACCUM_OFFSET: 0
; COMPUTE_PGM_RSRC3_GFX90A:TG_SPLIT: 0
	.section	.text._ZN7rocprim17ROCPRIM_400000_NS6detail17trampoline_kernelINS0_14default_configENS1_25partition_config_selectorILNS1_17partition_subalgoE8EsNS0_10empty_typeEbEEZZNS1_14partition_implILS5_8ELb0ES3_jPKsPS6_PKS6_NS0_5tupleIJPsS6_EEENSE_IJSB_SB_EEENS0_18inequality_wrapperIN6hipcub16HIPCUB_304000_NS8EqualityEEEPlJS6_EEE10hipError_tPvRmT3_T4_T5_T6_T7_T9_mT8_P12ihipStream_tbDpT10_ENKUlT_T0_E_clISt17integral_constantIbLb0EES16_IbLb1EEEEDaS12_S13_EUlS12_E_NS1_11comp_targetILNS1_3genE5ELNS1_11target_archE942ELNS1_3gpuE9ELNS1_3repE0EEENS1_30default_config_static_selectorELNS0_4arch9wavefront6targetE1EEEvT1_,"axG",@progbits,_ZN7rocprim17ROCPRIM_400000_NS6detail17trampoline_kernelINS0_14default_configENS1_25partition_config_selectorILNS1_17partition_subalgoE8EsNS0_10empty_typeEbEEZZNS1_14partition_implILS5_8ELb0ES3_jPKsPS6_PKS6_NS0_5tupleIJPsS6_EEENSE_IJSB_SB_EEENS0_18inequality_wrapperIN6hipcub16HIPCUB_304000_NS8EqualityEEEPlJS6_EEE10hipError_tPvRmT3_T4_T5_T6_T7_T9_mT8_P12ihipStream_tbDpT10_ENKUlT_T0_E_clISt17integral_constantIbLb0EES16_IbLb1EEEEDaS12_S13_EUlS12_E_NS1_11comp_targetILNS1_3genE5ELNS1_11target_archE942ELNS1_3gpuE9ELNS1_3repE0EEENS1_30default_config_static_selectorELNS0_4arch9wavefront6targetE1EEEvT1_,comdat
	.protected	_ZN7rocprim17ROCPRIM_400000_NS6detail17trampoline_kernelINS0_14default_configENS1_25partition_config_selectorILNS1_17partition_subalgoE8EsNS0_10empty_typeEbEEZZNS1_14partition_implILS5_8ELb0ES3_jPKsPS6_PKS6_NS0_5tupleIJPsS6_EEENSE_IJSB_SB_EEENS0_18inequality_wrapperIN6hipcub16HIPCUB_304000_NS8EqualityEEEPlJS6_EEE10hipError_tPvRmT3_T4_T5_T6_T7_T9_mT8_P12ihipStream_tbDpT10_ENKUlT_T0_E_clISt17integral_constantIbLb0EES16_IbLb1EEEEDaS12_S13_EUlS12_E_NS1_11comp_targetILNS1_3genE5ELNS1_11target_archE942ELNS1_3gpuE9ELNS1_3repE0EEENS1_30default_config_static_selectorELNS0_4arch9wavefront6targetE1EEEvT1_ ; -- Begin function _ZN7rocprim17ROCPRIM_400000_NS6detail17trampoline_kernelINS0_14default_configENS1_25partition_config_selectorILNS1_17partition_subalgoE8EsNS0_10empty_typeEbEEZZNS1_14partition_implILS5_8ELb0ES3_jPKsPS6_PKS6_NS0_5tupleIJPsS6_EEENSE_IJSB_SB_EEENS0_18inequality_wrapperIN6hipcub16HIPCUB_304000_NS8EqualityEEEPlJS6_EEE10hipError_tPvRmT3_T4_T5_T6_T7_T9_mT8_P12ihipStream_tbDpT10_ENKUlT_T0_E_clISt17integral_constantIbLb0EES16_IbLb1EEEEDaS12_S13_EUlS12_E_NS1_11comp_targetILNS1_3genE5ELNS1_11target_archE942ELNS1_3gpuE9ELNS1_3repE0EEENS1_30default_config_static_selectorELNS0_4arch9wavefront6targetE1EEEvT1_
	.globl	_ZN7rocprim17ROCPRIM_400000_NS6detail17trampoline_kernelINS0_14default_configENS1_25partition_config_selectorILNS1_17partition_subalgoE8EsNS0_10empty_typeEbEEZZNS1_14partition_implILS5_8ELb0ES3_jPKsPS6_PKS6_NS0_5tupleIJPsS6_EEENSE_IJSB_SB_EEENS0_18inequality_wrapperIN6hipcub16HIPCUB_304000_NS8EqualityEEEPlJS6_EEE10hipError_tPvRmT3_T4_T5_T6_T7_T9_mT8_P12ihipStream_tbDpT10_ENKUlT_T0_E_clISt17integral_constantIbLb0EES16_IbLb1EEEEDaS12_S13_EUlS12_E_NS1_11comp_targetILNS1_3genE5ELNS1_11target_archE942ELNS1_3gpuE9ELNS1_3repE0EEENS1_30default_config_static_selectorELNS0_4arch9wavefront6targetE1EEEvT1_
	.p2align	8
	.type	_ZN7rocprim17ROCPRIM_400000_NS6detail17trampoline_kernelINS0_14default_configENS1_25partition_config_selectorILNS1_17partition_subalgoE8EsNS0_10empty_typeEbEEZZNS1_14partition_implILS5_8ELb0ES3_jPKsPS6_PKS6_NS0_5tupleIJPsS6_EEENSE_IJSB_SB_EEENS0_18inequality_wrapperIN6hipcub16HIPCUB_304000_NS8EqualityEEEPlJS6_EEE10hipError_tPvRmT3_T4_T5_T6_T7_T9_mT8_P12ihipStream_tbDpT10_ENKUlT_T0_E_clISt17integral_constantIbLb0EES16_IbLb1EEEEDaS12_S13_EUlS12_E_NS1_11comp_targetILNS1_3genE5ELNS1_11target_archE942ELNS1_3gpuE9ELNS1_3repE0EEENS1_30default_config_static_selectorELNS0_4arch9wavefront6targetE1EEEvT1_,@function
_ZN7rocprim17ROCPRIM_400000_NS6detail17trampoline_kernelINS0_14default_configENS1_25partition_config_selectorILNS1_17partition_subalgoE8EsNS0_10empty_typeEbEEZZNS1_14partition_implILS5_8ELb0ES3_jPKsPS6_PKS6_NS0_5tupleIJPsS6_EEENSE_IJSB_SB_EEENS0_18inequality_wrapperIN6hipcub16HIPCUB_304000_NS8EqualityEEEPlJS6_EEE10hipError_tPvRmT3_T4_T5_T6_T7_T9_mT8_P12ihipStream_tbDpT10_ENKUlT_T0_E_clISt17integral_constantIbLb0EES16_IbLb1EEEEDaS12_S13_EUlS12_E_NS1_11comp_targetILNS1_3genE5ELNS1_11target_archE942ELNS1_3gpuE9ELNS1_3repE0EEENS1_30default_config_static_selectorELNS0_4arch9wavefront6targetE1EEEvT1_: ; @_ZN7rocprim17ROCPRIM_400000_NS6detail17trampoline_kernelINS0_14default_configENS1_25partition_config_selectorILNS1_17partition_subalgoE8EsNS0_10empty_typeEbEEZZNS1_14partition_implILS5_8ELb0ES3_jPKsPS6_PKS6_NS0_5tupleIJPsS6_EEENSE_IJSB_SB_EEENS0_18inequality_wrapperIN6hipcub16HIPCUB_304000_NS8EqualityEEEPlJS6_EEE10hipError_tPvRmT3_T4_T5_T6_T7_T9_mT8_P12ihipStream_tbDpT10_ENKUlT_T0_E_clISt17integral_constantIbLb0EES16_IbLb1EEEEDaS12_S13_EUlS12_E_NS1_11comp_targetILNS1_3genE5ELNS1_11target_archE942ELNS1_3gpuE9ELNS1_3repE0EEENS1_30default_config_static_selectorELNS0_4arch9wavefront6targetE1EEEvT1_
; %bb.0:
	.section	.rodata,"a",@progbits
	.p2align	6, 0x0
	.amdhsa_kernel _ZN7rocprim17ROCPRIM_400000_NS6detail17trampoline_kernelINS0_14default_configENS1_25partition_config_selectorILNS1_17partition_subalgoE8EsNS0_10empty_typeEbEEZZNS1_14partition_implILS5_8ELb0ES3_jPKsPS6_PKS6_NS0_5tupleIJPsS6_EEENSE_IJSB_SB_EEENS0_18inequality_wrapperIN6hipcub16HIPCUB_304000_NS8EqualityEEEPlJS6_EEE10hipError_tPvRmT3_T4_T5_T6_T7_T9_mT8_P12ihipStream_tbDpT10_ENKUlT_T0_E_clISt17integral_constantIbLb0EES16_IbLb1EEEEDaS12_S13_EUlS12_E_NS1_11comp_targetILNS1_3genE5ELNS1_11target_archE942ELNS1_3gpuE9ELNS1_3repE0EEENS1_30default_config_static_selectorELNS0_4arch9wavefront6targetE1EEEvT1_
		.amdhsa_group_segment_fixed_size 0
		.amdhsa_private_segment_fixed_size 0
		.amdhsa_kernarg_size 128
		.amdhsa_user_sgpr_count 6
		.amdhsa_user_sgpr_private_segment_buffer 1
		.amdhsa_user_sgpr_dispatch_ptr 0
		.amdhsa_user_sgpr_queue_ptr 0
		.amdhsa_user_sgpr_kernarg_segment_ptr 1
		.amdhsa_user_sgpr_dispatch_id 0
		.amdhsa_user_sgpr_flat_scratch_init 0
		.amdhsa_user_sgpr_kernarg_preload_length 0
		.amdhsa_user_sgpr_kernarg_preload_offset 0
		.amdhsa_user_sgpr_private_segment_size 0
		.amdhsa_uses_dynamic_stack 0
		.amdhsa_system_sgpr_private_segment_wavefront_offset 0
		.amdhsa_system_sgpr_workgroup_id_x 1
		.amdhsa_system_sgpr_workgroup_id_y 0
		.amdhsa_system_sgpr_workgroup_id_z 0
		.amdhsa_system_sgpr_workgroup_info 0
		.amdhsa_system_vgpr_workitem_id 0
		.amdhsa_next_free_vgpr 1
		.amdhsa_next_free_sgpr 0
		.amdhsa_accum_offset 4
		.amdhsa_reserve_vcc 0
		.amdhsa_reserve_flat_scratch 0
		.amdhsa_float_round_mode_32 0
		.amdhsa_float_round_mode_16_64 0
		.amdhsa_float_denorm_mode_32 3
		.amdhsa_float_denorm_mode_16_64 3
		.amdhsa_dx10_clamp 1
		.amdhsa_ieee_mode 1
		.amdhsa_fp16_overflow 0
		.amdhsa_tg_split 0
		.amdhsa_exception_fp_ieee_invalid_op 0
		.amdhsa_exception_fp_denorm_src 0
		.amdhsa_exception_fp_ieee_div_zero 0
		.amdhsa_exception_fp_ieee_overflow 0
		.amdhsa_exception_fp_ieee_underflow 0
		.amdhsa_exception_fp_ieee_inexact 0
		.amdhsa_exception_int_div_zero 0
	.end_amdhsa_kernel
	.section	.text._ZN7rocprim17ROCPRIM_400000_NS6detail17trampoline_kernelINS0_14default_configENS1_25partition_config_selectorILNS1_17partition_subalgoE8EsNS0_10empty_typeEbEEZZNS1_14partition_implILS5_8ELb0ES3_jPKsPS6_PKS6_NS0_5tupleIJPsS6_EEENSE_IJSB_SB_EEENS0_18inequality_wrapperIN6hipcub16HIPCUB_304000_NS8EqualityEEEPlJS6_EEE10hipError_tPvRmT3_T4_T5_T6_T7_T9_mT8_P12ihipStream_tbDpT10_ENKUlT_T0_E_clISt17integral_constantIbLb0EES16_IbLb1EEEEDaS12_S13_EUlS12_E_NS1_11comp_targetILNS1_3genE5ELNS1_11target_archE942ELNS1_3gpuE9ELNS1_3repE0EEENS1_30default_config_static_selectorELNS0_4arch9wavefront6targetE1EEEvT1_,"axG",@progbits,_ZN7rocprim17ROCPRIM_400000_NS6detail17trampoline_kernelINS0_14default_configENS1_25partition_config_selectorILNS1_17partition_subalgoE8EsNS0_10empty_typeEbEEZZNS1_14partition_implILS5_8ELb0ES3_jPKsPS6_PKS6_NS0_5tupleIJPsS6_EEENSE_IJSB_SB_EEENS0_18inequality_wrapperIN6hipcub16HIPCUB_304000_NS8EqualityEEEPlJS6_EEE10hipError_tPvRmT3_T4_T5_T6_T7_T9_mT8_P12ihipStream_tbDpT10_ENKUlT_T0_E_clISt17integral_constantIbLb0EES16_IbLb1EEEEDaS12_S13_EUlS12_E_NS1_11comp_targetILNS1_3genE5ELNS1_11target_archE942ELNS1_3gpuE9ELNS1_3repE0EEENS1_30default_config_static_selectorELNS0_4arch9wavefront6targetE1EEEvT1_,comdat
.Lfunc_end573:
	.size	_ZN7rocprim17ROCPRIM_400000_NS6detail17trampoline_kernelINS0_14default_configENS1_25partition_config_selectorILNS1_17partition_subalgoE8EsNS0_10empty_typeEbEEZZNS1_14partition_implILS5_8ELb0ES3_jPKsPS6_PKS6_NS0_5tupleIJPsS6_EEENSE_IJSB_SB_EEENS0_18inequality_wrapperIN6hipcub16HIPCUB_304000_NS8EqualityEEEPlJS6_EEE10hipError_tPvRmT3_T4_T5_T6_T7_T9_mT8_P12ihipStream_tbDpT10_ENKUlT_T0_E_clISt17integral_constantIbLb0EES16_IbLb1EEEEDaS12_S13_EUlS12_E_NS1_11comp_targetILNS1_3genE5ELNS1_11target_archE942ELNS1_3gpuE9ELNS1_3repE0EEENS1_30default_config_static_selectorELNS0_4arch9wavefront6targetE1EEEvT1_, .Lfunc_end573-_ZN7rocprim17ROCPRIM_400000_NS6detail17trampoline_kernelINS0_14default_configENS1_25partition_config_selectorILNS1_17partition_subalgoE8EsNS0_10empty_typeEbEEZZNS1_14partition_implILS5_8ELb0ES3_jPKsPS6_PKS6_NS0_5tupleIJPsS6_EEENSE_IJSB_SB_EEENS0_18inequality_wrapperIN6hipcub16HIPCUB_304000_NS8EqualityEEEPlJS6_EEE10hipError_tPvRmT3_T4_T5_T6_T7_T9_mT8_P12ihipStream_tbDpT10_ENKUlT_T0_E_clISt17integral_constantIbLb0EES16_IbLb1EEEEDaS12_S13_EUlS12_E_NS1_11comp_targetILNS1_3genE5ELNS1_11target_archE942ELNS1_3gpuE9ELNS1_3repE0EEENS1_30default_config_static_selectorELNS0_4arch9wavefront6targetE1EEEvT1_
                                        ; -- End function
	.section	.AMDGPU.csdata,"",@progbits
; Kernel info:
; codeLenInByte = 0
; NumSgprs: 4
; NumVgprs: 0
; NumAgprs: 0
; TotalNumVgprs: 0
; ScratchSize: 0
; MemoryBound: 0
; FloatMode: 240
; IeeeMode: 1
; LDSByteSize: 0 bytes/workgroup (compile time only)
; SGPRBlocks: 0
; VGPRBlocks: 0
; NumSGPRsForWavesPerEU: 4
; NumVGPRsForWavesPerEU: 1
; AccumOffset: 4
; Occupancy: 8
; WaveLimiterHint : 0
; COMPUTE_PGM_RSRC2:SCRATCH_EN: 0
; COMPUTE_PGM_RSRC2:USER_SGPR: 6
; COMPUTE_PGM_RSRC2:TRAP_HANDLER: 0
; COMPUTE_PGM_RSRC2:TGID_X_EN: 1
; COMPUTE_PGM_RSRC2:TGID_Y_EN: 0
; COMPUTE_PGM_RSRC2:TGID_Z_EN: 0
; COMPUTE_PGM_RSRC2:TIDIG_COMP_CNT: 0
; COMPUTE_PGM_RSRC3_GFX90A:ACCUM_OFFSET: 0
; COMPUTE_PGM_RSRC3_GFX90A:TG_SPLIT: 0
	.section	.text._ZN7rocprim17ROCPRIM_400000_NS6detail17trampoline_kernelINS0_14default_configENS1_25partition_config_selectorILNS1_17partition_subalgoE8EsNS0_10empty_typeEbEEZZNS1_14partition_implILS5_8ELb0ES3_jPKsPS6_PKS6_NS0_5tupleIJPsS6_EEENSE_IJSB_SB_EEENS0_18inequality_wrapperIN6hipcub16HIPCUB_304000_NS8EqualityEEEPlJS6_EEE10hipError_tPvRmT3_T4_T5_T6_T7_T9_mT8_P12ihipStream_tbDpT10_ENKUlT_T0_E_clISt17integral_constantIbLb0EES16_IbLb1EEEEDaS12_S13_EUlS12_E_NS1_11comp_targetILNS1_3genE4ELNS1_11target_archE910ELNS1_3gpuE8ELNS1_3repE0EEENS1_30default_config_static_selectorELNS0_4arch9wavefront6targetE1EEEvT1_,"axG",@progbits,_ZN7rocprim17ROCPRIM_400000_NS6detail17trampoline_kernelINS0_14default_configENS1_25partition_config_selectorILNS1_17partition_subalgoE8EsNS0_10empty_typeEbEEZZNS1_14partition_implILS5_8ELb0ES3_jPKsPS6_PKS6_NS0_5tupleIJPsS6_EEENSE_IJSB_SB_EEENS0_18inequality_wrapperIN6hipcub16HIPCUB_304000_NS8EqualityEEEPlJS6_EEE10hipError_tPvRmT3_T4_T5_T6_T7_T9_mT8_P12ihipStream_tbDpT10_ENKUlT_T0_E_clISt17integral_constantIbLb0EES16_IbLb1EEEEDaS12_S13_EUlS12_E_NS1_11comp_targetILNS1_3genE4ELNS1_11target_archE910ELNS1_3gpuE8ELNS1_3repE0EEENS1_30default_config_static_selectorELNS0_4arch9wavefront6targetE1EEEvT1_,comdat
	.protected	_ZN7rocprim17ROCPRIM_400000_NS6detail17trampoline_kernelINS0_14default_configENS1_25partition_config_selectorILNS1_17partition_subalgoE8EsNS0_10empty_typeEbEEZZNS1_14partition_implILS5_8ELb0ES3_jPKsPS6_PKS6_NS0_5tupleIJPsS6_EEENSE_IJSB_SB_EEENS0_18inequality_wrapperIN6hipcub16HIPCUB_304000_NS8EqualityEEEPlJS6_EEE10hipError_tPvRmT3_T4_T5_T6_T7_T9_mT8_P12ihipStream_tbDpT10_ENKUlT_T0_E_clISt17integral_constantIbLb0EES16_IbLb1EEEEDaS12_S13_EUlS12_E_NS1_11comp_targetILNS1_3genE4ELNS1_11target_archE910ELNS1_3gpuE8ELNS1_3repE0EEENS1_30default_config_static_selectorELNS0_4arch9wavefront6targetE1EEEvT1_ ; -- Begin function _ZN7rocprim17ROCPRIM_400000_NS6detail17trampoline_kernelINS0_14default_configENS1_25partition_config_selectorILNS1_17partition_subalgoE8EsNS0_10empty_typeEbEEZZNS1_14partition_implILS5_8ELb0ES3_jPKsPS6_PKS6_NS0_5tupleIJPsS6_EEENSE_IJSB_SB_EEENS0_18inequality_wrapperIN6hipcub16HIPCUB_304000_NS8EqualityEEEPlJS6_EEE10hipError_tPvRmT3_T4_T5_T6_T7_T9_mT8_P12ihipStream_tbDpT10_ENKUlT_T0_E_clISt17integral_constantIbLb0EES16_IbLb1EEEEDaS12_S13_EUlS12_E_NS1_11comp_targetILNS1_3genE4ELNS1_11target_archE910ELNS1_3gpuE8ELNS1_3repE0EEENS1_30default_config_static_selectorELNS0_4arch9wavefront6targetE1EEEvT1_
	.globl	_ZN7rocprim17ROCPRIM_400000_NS6detail17trampoline_kernelINS0_14default_configENS1_25partition_config_selectorILNS1_17partition_subalgoE8EsNS0_10empty_typeEbEEZZNS1_14partition_implILS5_8ELb0ES3_jPKsPS6_PKS6_NS0_5tupleIJPsS6_EEENSE_IJSB_SB_EEENS0_18inequality_wrapperIN6hipcub16HIPCUB_304000_NS8EqualityEEEPlJS6_EEE10hipError_tPvRmT3_T4_T5_T6_T7_T9_mT8_P12ihipStream_tbDpT10_ENKUlT_T0_E_clISt17integral_constantIbLb0EES16_IbLb1EEEEDaS12_S13_EUlS12_E_NS1_11comp_targetILNS1_3genE4ELNS1_11target_archE910ELNS1_3gpuE8ELNS1_3repE0EEENS1_30default_config_static_selectorELNS0_4arch9wavefront6targetE1EEEvT1_
	.p2align	8
	.type	_ZN7rocprim17ROCPRIM_400000_NS6detail17trampoline_kernelINS0_14default_configENS1_25partition_config_selectorILNS1_17partition_subalgoE8EsNS0_10empty_typeEbEEZZNS1_14partition_implILS5_8ELb0ES3_jPKsPS6_PKS6_NS0_5tupleIJPsS6_EEENSE_IJSB_SB_EEENS0_18inequality_wrapperIN6hipcub16HIPCUB_304000_NS8EqualityEEEPlJS6_EEE10hipError_tPvRmT3_T4_T5_T6_T7_T9_mT8_P12ihipStream_tbDpT10_ENKUlT_T0_E_clISt17integral_constantIbLb0EES16_IbLb1EEEEDaS12_S13_EUlS12_E_NS1_11comp_targetILNS1_3genE4ELNS1_11target_archE910ELNS1_3gpuE8ELNS1_3repE0EEENS1_30default_config_static_selectorELNS0_4arch9wavefront6targetE1EEEvT1_,@function
_ZN7rocprim17ROCPRIM_400000_NS6detail17trampoline_kernelINS0_14default_configENS1_25partition_config_selectorILNS1_17partition_subalgoE8EsNS0_10empty_typeEbEEZZNS1_14partition_implILS5_8ELb0ES3_jPKsPS6_PKS6_NS0_5tupleIJPsS6_EEENSE_IJSB_SB_EEENS0_18inequality_wrapperIN6hipcub16HIPCUB_304000_NS8EqualityEEEPlJS6_EEE10hipError_tPvRmT3_T4_T5_T6_T7_T9_mT8_P12ihipStream_tbDpT10_ENKUlT_T0_E_clISt17integral_constantIbLb0EES16_IbLb1EEEEDaS12_S13_EUlS12_E_NS1_11comp_targetILNS1_3genE4ELNS1_11target_archE910ELNS1_3gpuE8ELNS1_3repE0EEENS1_30default_config_static_selectorELNS0_4arch9wavefront6targetE1EEEvT1_: ; @_ZN7rocprim17ROCPRIM_400000_NS6detail17trampoline_kernelINS0_14default_configENS1_25partition_config_selectorILNS1_17partition_subalgoE8EsNS0_10empty_typeEbEEZZNS1_14partition_implILS5_8ELb0ES3_jPKsPS6_PKS6_NS0_5tupleIJPsS6_EEENSE_IJSB_SB_EEENS0_18inequality_wrapperIN6hipcub16HIPCUB_304000_NS8EqualityEEEPlJS6_EEE10hipError_tPvRmT3_T4_T5_T6_T7_T9_mT8_P12ihipStream_tbDpT10_ENKUlT_T0_E_clISt17integral_constantIbLb0EES16_IbLb1EEEEDaS12_S13_EUlS12_E_NS1_11comp_targetILNS1_3genE4ELNS1_11target_archE910ELNS1_3gpuE8ELNS1_3repE0EEENS1_30default_config_static_selectorELNS0_4arch9wavefront6targetE1EEEvT1_
; %bb.0:
	s_load_dwordx2 s[52:53], s[4:5], 0x28
	s_load_dwordx4 s[48:51], s[4:5], 0x40
	s_load_dwordx2 s[6:7], s[4:5], 0x50
	s_load_dwordx2 s[56:57], s[4:5], 0x60
	v_cmp_ne_u32_e64 s[2:3], 0, v0
	v_cmp_eq_u32_e64 s[0:1], 0, v0
	s_and_saveexec_b64 s[8:9], s[0:1]
	s_cbranch_execz .LBB574_4
; %bb.1:
	s_mov_b64 s[12:13], exec
	v_mbcnt_lo_u32_b32 v1, s12, 0
	v_mbcnt_hi_u32_b32 v1, s13, v1
	v_cmp_eq_u32_e32 vcc, 0, v1
                                        ; implicit-def: $vgpr2
	s_and_saveexec_b64 s[10:11], vcc
	s_cbranch_execz .LBB574_3
; %bb.2:
	s_load_dwordx2 s[14:15], s[4:5], 0x70
	s_bcnt1_i32_b64 s12, s[12:13]
	v_mov_b32_e32 v2, 0
	v_mov_b32_e32 v3, s12
	s_waitcnt lgkmcnt(0)
	global_atomic_add v2, v2, v3, s[14:15] glc
.LBB574_3:
	s_or_b64 exec, exec, s[10:11]
	s_waitcnt vmcnt(0)
	v_readfirstlane_b32 s10, v2
	v_add_u32_e32 v1, s10, v1
	v_mov_b32_e32 v2, 0
	ds_write_b32 v2, v1
.LBB574_4:
	s_or_b64 exec, exec, s[8:9]
	v_mov_b32_e32 v3, 0
	s_load_dwordx4 s[8:11], s[4:5], 0x8
	s_load_dword s12, s[4:5], 0x68
	s_waitcnt lgkmcnt(0)
	s_barrier
	ds_read_b32 v1, v3
	s_waitcnt lgkmcnt(0)
	s_barrier
	global_load_dwordx2 v[8:9], v3, s[50:51]
	s_lshl_b64 s[4:5], s[10:11], 1
	v_mov_b32_e32 v5, s7
	s_add_u32 s7, s8, s4
	s_movk_i32 s4, 0x1600
	v_mul_lo_u32 v2, v1, s4
	s_mul_i32 s4, s12, 0x1600
	s_addc_u32 s8, s9, s5
	s_add_i32 s5, s4, s10
	s_add_i32 s9, s12, -1
	s_sub_i32 s64, s6, s5
	s_add_u32 s4, s10, s4
	v_readfirstlane_b32 s33, v1
	s_addc_u32 s5, s11, 0
	v_mov_b32_e32 v4, s6
	s_cmp_eq_u32 s33, s9
	v_cmp_ge_u64_e32 vcc, s[4:5], v[4:5]
	s_cselect_b64 s[50:51], -1, 0
	v_lshlrev_b64 v[2:3], 1, v[2:3]
	s_and_b64 s[58:59], vcc, s[50:51]
	v_mov_b32_e32 v1, s8
	v_add_co_u32_e32 v14, vcc, s7, v2
	s_xor_b64 s[54:55], s[58:59], -1
	v_addc_co_u32_e32 v15, vcc, v1, v3, vcc
	s_mov_b64 s[4:5], -1
	s_and_b64 vcc, exec, s[54:55]
	s_cbranch_vccz .LBB574_6
; %bb.5:
	v_lshlrev_b32_e32 v1, 1, v0
	v_add_co_u32_e32 v4, vcc, v14, v1
	v_addc_co_u32_e32 v5, vcc, 0, v15, vcc
	v_add_co_u32_e32 v2, vcc, 0x1000, v4
	v_readfirstlane_b32 s4, v14
	v_readfirstlane_b32 s5, v15
	v_addc_co_u32_e32 v3, vcc, 0, v5, vcc
	s_nop 3
	global_load_ushort v6, v1, s[4:5]
	global_load_ushort v7, v1, s[4:5] offset:512
	global_load_ushort v10, v1, s[4:5] offset:1024
	global_load_ushort v11, v1, s[4:5] offset:1536
	global_load_ushort v12, v1, s[4:5] offset:2048
	global_load_ushort v13, v1, s[4:5] offset:2560
	global_load_ushort v16, v1, s[4:5] offset:3072
	global_load_ushort v17, v1, s[4:5] offset:3584
	global_load_ushort v18, v[2:3], off
	global_load_ushort v19, v[2:3], off offset:512
	global_load_ushort v20, v[2:3], off offset:1024
	;; [unrolled: 1-line block ×7, first 2 shown]
	v_add_co_u32_e32 v2, vcc, 0x2000, v4
	v_addc_co_u32_e32 v3, vcc, 0, v5, vcc
	global_load_ushort v4, v[2:3], off
	global_load_ushort v5, v[2:3], off offset:512
	global_load_ushort v26, v[2:3], off offset:1024
	;; [unrolled: 1-line block ×5, first 2 shown]
	s_mov_b64 s[4:5], 0
	s_waitcnt vmcnt(21)
	ds_write_b16 v1, v6
	s_waitcnt vmcnt(20)
	ds_write_b16 v1, v7 offset:512
	s_waitcnt vmcnt(19)
	ds_write_b16 v1, v10 offset:1024
	;; [unrolled: 2-line block ×21, first 2 shown]
	s_waitcnt lgkmcnt(0)
	s_barrier
.LBB574_6:
	s_andn2_b64 vcc, exec, s[4:5]
	s_addk_i32 s64, 0x1600
	s_cbranch_vccnz .LBB574_52
; %bb.7:
	v_cmp_gt_u32_e32 vcc, s64, v0
                                        ; implicit-def: $vgpr1
	s_and_saveexec_b64 s[4:5], vcc
	s_cbranch_execz .LBB574_9
; %bb.8:
	v_lshlrev_b32_e32 v1, 1, v0
	v_readfirstlane_b32 s6, v14
	v_readfirstlane_b32 s7, v15
	s_nop 4
	global_load_ushort v1, v1, s[6:7]
.LBB574_9:
	s_or_b64 exec, exec, s[4:5]
	v_or_b32_e32 v2, 0x100, v0
	v_cmp_gt_u32_e32 vcc, s64, v2
                                        ; implicit-def: $vgpr2
	s_and_saveexec_b64 s[4:5], vcc
	s_cbranch_execz .LBB574_11
; %bb.10:
	v_lshlrev_b32_e32 v2, 1, v0
	v_readfirstlane_b32 s6, v14
	v_readfirstlane_b32 s7, v15
	s_nop 4
	global_load_ushort v2, v2, s[6:7] offset:512
.LBB574_11:
	s_or_b64 exec, exec, s[4:5]
	v_or_b32_e32 v3, 0x200, v0
	v_cmp_gt_u32_e32 vcc, s64, v3
                                        ; implicit-def: $vgpr3
	s_and_saveexec_b64 s[4:5], vcc
	s_cbranch_execz .LBB574_13
; %bb.12:
	v_lshlrev_b32_e32 v3, 1, v0
	v_readfirstlane_b32 s6, v14
	v_readfirstlane_b32 s7, v15
	s_nop 4
	global_load_ushort v3, v3, s[6:7] offset:1024
.LBB574_13:
	s_or_b64 exec, exec, s[4:5]
	v_or_b32_e32 v4, 0x300, v0
	v_cmp_gt_u32_e32 vcc, s64, v4
                                        ; implicit-def: $vgpr4
	s_and_saveexec_b64 s[4:5], vcc
	s_cbranch_execz .LBB574_15
; %bb.14:
	v_lshlrev_b32_e32 v4, 1, v0
	v_readfirstlane_b32 s6, v14
	v_readfirstlane_b32 s7, v15
	s_nop 4
	global_load_ushort v4, v4, s[6:7] offset:1536
.LBB574_15:
	s_or_b64 exec, exec, s[4:5]
	v_or_b32_e32 v5, 0x400, v0
	v_cmp_gt_u32_e32 vcc, s64, v5
                                        ; implicit-def: $vgpr5
	s_and_saveexec_b64 s[4:5], vcc
	s_cbranch_execz .LBB574_17
; %bb.16:
	v_lshlrev_b32_e32 v5, 1, v0
	v_readfirstlane_b32 s6, v14
	v_readfirstlane_b32 s7, v15
	s_nop 4
	global_load_ushort v5, v5, s[6:7] offset:2048
.LBB574_17:
	s_or_b64 exec, exec, s[4:5]
	v_or_b32_e32 v6, 0x500, v0
	v_cmp_gt_u32_e32 vcc, s64, v6
                                        ; implicit-def: $vgpr6
	s_and_saveexec_b64 s[4:5], vcc
	s_cbranch_execz .LBB574_19
; %bb.18:
	v_lshlrev_b32_e32 v6, 1, v0
	v_readfirstlane_b32 s6, v14
	v_readfirstlane_b32 s7, v15
	s_nop 4
	global_load_ushort v6, v6, s[6:7] offset:2560
.LBB574_19:
	s_or_b64 exec, exec, s[4:5]
	v_or_b32_e32 v7, 0x600, v0
	v_cmp_gt_u32_e32 vcc, s64, v7
                                        ; implicit-def: $vgpr7
	s_and_saveexec_b64 s[4:5], vcc
	s_cbranch_execz .LBB574_21
; %bb.20:
	v_lshlrev_b32_e32 v7, 1, v0
	v_readfirstlane_b32 s6, v14
	v_readfirstlane_b32 s7, v15
	s_nop 4
	global_load_ushort v7, v7, s[6:7] offset:3072
.LBB574_21:
	s_or_b64 exec, exec, s[4:5]
	v_or_b32_e32 v10, 0x700, v0
	v_cmp_gt_u32_e32 vcc, s64, v10
                                        ; implicit-def: $vgpr10
	s_and_saveexec_b64 s[4:5], vcc
	s_cbranch_execz .LBB574_23
; %bb.22:
	v_lshlrev_b32_e32 v10, 1, v0
	v_readfirstlane_b32 s6, v14
	v_readfirstlane_b32 s7, v15
	s_nop 4
	global_load_ushort v10, v10, s[6:7] offset:3584
.LBB574_23:
	s_or_b64 exec, exec, s[4:5]
	v_or_b32_e32 v12, 0x800, v0
	v_cmp_gt_u32_e32 vcc, s64, v12
                                        ; implicit-def: $vgpr11
	s_and_saveexec_b64 s[4:5], vcc
	s_cbranch_execz .LBB574_25
; %bb.24:
	v_lshlrev_b32_e32 v11, 1, v12
	v_readfirstlane_b32 s6, v14
	v_readfirstlane_b32 s7, v15
	s_nop 4
	global_load_ushort v11, v11, s[6:7]
.LBB574_25:
	s_or_b64 exec, exec, s[4:5]
	v_or_b32_e32 v13, 0x900, v0
	v_cmp_gt_u32_e32 vcc, s64, v13
                                        ; implicit-def: $vgpr12
	s_and_saveexec_b64 s[4:5], vcc
	s_cbranch_execz .LBB574_27
; %bb.26:
	v_lshlrev_b32_e32 v12, 1, v13
	v_readfirstlane_b32 s6, v14
	v_readfirstlane_b32 s7, v15
	s_nop 4
	global_load_ushort v12, v12, s[6:7]
.LBB574_27:
	s_or_b64 exec, exec, s[4:5]
	v_or_b32_e32 v16, 0xa00, v0
	v_cmp_gt_u32_e32 vcc, s64, v16
                                        ; implicit-def: $vgpr13
	s_and_saveexec_b64 s[4:5], vcc
	s_cbranch_execz .LBB574_29
; %bb.28:
	v_lshlrev_b32_e32 v13, 1, v16
	v_readfirstlane_b32 s6, v14
	v_readfirstlane_b32 s7, v15
	s_nop 4
	global_load_ushort v13, v13, s[6:7]
.LBB574_29:
	s_or_b64 exec, exec, s[4:5]
	v_or_b32_e32 v17, 0xb00, v0
	v_cmp_gt_u32_e32 vcc, s64, v17
                                        ; implicit-def: $vgpr16
	s_and_saveexec_b64 s[4:5], vcc
	s_cbranch_execz .LBB574_31
; %bb.30:
	v_lshlrev_b32_e32 v16, 1, v17
	v_readfirstlane_b32 s6, v14
	v_readfirstlane_b32 s7, v15
	s_nop 4
	global_load_ushort v16, v16, s[6:7]
.LBB574_31:
	s_or_b64 exec, exec, s[4:5]
	v_or_b32_e32 v18, 0xc00, v0
	v_cmp_gt_u32_e32 vcc, s64, v18
                                        ; implicit-def: $vgpr17
	s_and_saveexec_b64 s[4:5], vcc
	s_cbranch_execz .LBB574_33
; %bb.32:
	v_lshlrev_b32_e32 v17, 1, v18
	v_readfirstlane_b32 s6, v14
	v_readfirstlane_b32 s7, v15
	s_nop 4
	global_load_ushort v17, v17, s[6:7]
.LBB574_33:
	s_or_b64 exec, exec, s[4:5]
	v_or_b32_e32 v19, 0xd00, v0
	v_cmp_gt_u32_e32 vcc, s64, v19
                                        ; implicit-def: $vgpr18
	s_and_saveexec_b64 s[4:5], vcc
	s_cbranch_execz .LBB574_35
; %bb.34:
	v_lshlrev_b32_e32 v18, 1, v19
	v_readfirstlane_b32 s6, v14
	v_readfirstlane_b32 s7, v15
	s_nop 4
	global_load_ushort v18, v18, s[6:7]
.LBB574_35:
	s_or_b64 exec, exec, s[4:5]
	v_or_b32_e32 v20, 0xe00, v0
	v_cmp_gt_u32_e32 vcc, s64, v20
                                        ; implicit-def: $vgpr19
	s_and_saveexec_b64 s[4:5], vcc
	s_cbranch_execz .LBB574_37
; %bb.36:
	v_lshlrev_b32_e32 v19, 1, v20
	v_readfirstlane_b32 s6, v14
	v_readfirstlane_b32 s7, v15
	s_nop 4
	global_load_ushort v19, v19, s[6:7]
.LBB574_37:
	s_or_b64 exec, exec, s[4:5]
	v_or_b32_e32 v21, 0xf00, v0
	v_cmp_gt_u32_e32 vcc, s64, v21
                                        ; implicit-def: $vgpr20
	s_and_saveexec_b64 s[4:5], vcc
	s_cbranch_execz .LBB574_39
; %bb.38:
	v_lshlrev_b32_e32 v20, 1, v21
	v_readfirstlane_b32 s6, v14
	v_readfirstlane_b32 s7, v15
	s_nop 4
	global_load_ushort v20, v20, s[6:7]
.LBB574_39:
	s_or_b64 exec, exec, s[4:5]
	v_or_b32_e32 v22, 0x1000, v0
	v_cmp_gt_u32_e32 vcc, s64, v22
                                        ; implicit-def: $vgpr21
	s_and_saveexec_b64 s[4:5], vcc
	s_cbranch_execz .LBB574_41
; %bb.40:
	v_lshlrev_b32_e32 v21, 1, v22
	v_readfirstlane_b32 s6, v14
	v_readfirstlane_b32 s7, v15
	s_nop 4
	global_load_ushort v21, v21, s[6:7]
.LBB574_41:
	s_or_b64 exec, exec, s[4:5]
	v_or_b32_e32 v23, 0x1100, v0
	v_cmp_gt_u32_e32 vcc, s64, v23
                                        ; implicit-def: $vgpr22
	s_and_saveexec_b64 s[4:5], vcc
	s_cbranch_execz .LBB574_43
; %bb.42:
	v_lshlrev_b32_e32 v22, 1, v23
	v_readfirstlane_b32 s6, v14
	v_readfirstlane_b32 s7, v15
	s_nop 4
	global_load_ushort v22, v22, s[6:7]
.LBB574_43:
	s_or_b64 exec, exec, s[4:5]
	v_or_b32_e32 v24, 0x1200, v0
	v_cmp_gt_u32_e32 vcc, s64, v24
                                        ; implicit-def: $vgpr23
	s_and_saveexec_b64 s[4:5], vcc
	s_cbranch_execz .LBB574_45
; %bb.44:
	v_lshlrev_b32_e32 v23, 1, v24
	v_readfirstlane_b32 s6, v14
	v_readfirstlane_b32 s7, v15
	s_nop 4
	global_load_ushort v23, v23, s[6:7]
.LBB574_45:
	s_or_b64 exec, exec, s[4:5]
	v_or_b32_e32 v25, 0x1300, v0
	v_cmp_gt_u32_e32 vcc, s64, v25
                                        ; implicit-def: $vgpr24
	s_and_saveexec_b64 s[4:5], vcc
	s_cbranch_execz .LBB574_47
; %bb.46:
	v_lshlrev_b32_e32 v24, 1, v25
	v_readfirstlane_b32 s6, v14
	v_readfirstlane_b32 s7, v15
	s_nop 4
	global_load_ushort v24, v24, s[6:7]
.LBB574_47:
	s_or_b64 exec, exec, s[4:5]
	v_or_b32_e32 v26, 0x1400, v0
	v_cmp_gt_u32_e32 vcc, s64, v26
                                        ; implicit-def: $vgpr25
	s_and_saveexec_b64 s[4:5], vcc
	s_cbranch_execz .LBB574_49
; %bb.48:
	v_lshlrev_b32_e32 v25, 1, v26
	v_readfirstlane_b32 s6, v14
	v_readfirstlane_b32 s7, v15
	s_nop 4
	global_load_ushort v25, v25, s[6:7]
.LBB574_49:
	s_or_b64 exec, exec, s[4:5]
	v_or_b32_e32 v27, 0x1500, v0
	v_cmp_gt_u32_e32 vcc, s64, v27
                                        ; implicit-def: $vgpr26
	s_and_saveexec_b64 s[4:5], vcc
	s_cbranch_execz .LBB574_51
; %bb.50:
	v_lshlrev_b32_e32 v26, 1, v27
	v_readfirstlane_b32 s6, v14
	v_readfirstlane_b32 s7, v15
	s_nop 4
	global_load_ushort v26, v26, s[6:7]
.LBB574_51:
	s_or_b64 exec, exec, s[4:5]
	v_lshlrev_b32_e32 v27, 1, v0
	s_waitcnt vmcnt(0)
	ds_write_b16 v27, v1
	ds_write_b16 v27, v2 offset:512
	ds_write_b16 v27, v3 offset:1024
	;; [unrolled: 1-line block ×21, first 2 shown]
	s_waitcnt lgkmcnt(0)
	s_barrier
.LBB574_52:
	v_mul_u32_u24_e32 v23, 22, v0
	v_lshlrev_b32_e32 v38, 1, v23
	ds_read_b32 v62, v38 offset:40
	ds_read2_b32 v[2:3], v38 offset0:8 offset1:9
	ds_read2_b32 v[4:5], v38 offset0:6 offset1:7
	ds_read2_b32 v[12:13], v38 offset1:1
	ds_read2_b32 v[10:11], v38 offset0:2 offset1:3
	ds_read2_b32 v[6:7], v38 offset0:4 offset1:5
	s_cmp_lg_u32 s33, 0
	s_cselect_b64 s[60:61], -1, 0
	s_cmp_lg_u64 s[10:11], 0
	s_cselect_b64 s[4:5], -1, 0
	s_or_b64 s[4:5], s[4:5], s[60:61]
	v_mad_u32_u24 v16, v0, 22, 21
	v_mad_u32_u24 v17, v0, 22, 20
	s_waitcnt lgkmcnt(5)
	v_lshrrev_b32_e32 v1, 16, v62
	v_mad_u32_u24 v18, v0, 22, 19
	s_waitcnt lgkmcnt(4)
	v_lshrrev_b32_e32 v64, 16, v2
	v_lshrrev_b32_e32 v63, 16, v3
	v_mad_u32_u24 v19, v0, 22, 18
	v_mad_u32_u24 v20, v0, 22, 17
	;; [unrolled: 1-line block ×4, first 2 shown]
	s_waitcnt lgkmcnt(3)
	v_lshrrev_b32_e32 v66, 16, v4
	v_lshrrev_b32_e32 v65, 16, v5
	v_mad_u32_u24 v24, v0, 22, 14
	s_waitcnt lgkmcnt(2)
	v_lshrrev_b32_e32 v76, 16, v12
	v_lshrrev_b32_e32 v74, 16, v13
	v_or_b32_e32 v37, 1, v23
	v_mad_u32_u24 v36, v0, 22, 2
	v_mad_u32_u24 v34, v0, 22, 3
	;; [unrolled: 1-line block ×3, first 2 shown]
	s_waitcnt lgkmcnt(1)
	v_lshrrev_b32_e32 v72, 16, v10
	v_lshrrev_b32_e32 v69, 16, v11
	v_mad_u32_u24 v35, v0, 22, 5
	v_mad_u32_u24 v33, v0, 22, 6
	;; [unrolled: 1-line block ×4, first 2 shown]
	s_waitcnt lgkmcnt(0)
	v_lshrrev_b32_e32 v68, 16, v6
	v_lshrrev_b32_e32 v67, 16, v7
	v_mad_u32_u24 v31, v0, 22, 9
	v_mad_u32_u24 v29, v0, 22, 10
	;; [unrolled: 1-line block ×5, first 2 shown]
	s_mov_b64 s[62:63], 0
	s_and_b64 vcc, exec, s[4:5]
	s_barrier
	s_cbranch_vccz .LBB574_57
; %bb.53:
	global_load_ushort v14, v[14:15], off offset:-2
	v_lshlrev_b32_e32 v15, 1, v0
	s_and_b64 vcc, exec, s[54:55]
	ds_write_b16 v15, v1
	s_cbranch_vccz .LBB574_59
; %bb.54:
	s_waitcnt vmcnt(0)
	v_mov_b32_e32 v39, v14
	s_waitcnt lgkmcnt(0)
	s_barrier
	s_and_saveexec_b64 s[4:5], s[2:3]
	s_cbranch_execz .LBB574_56
; %bb.55:
	v_add_u32_e32 v39, -2, v15
	ds_read_u16 v39, v39
.LBB574_56:
	s_or_b64 exec, exec, s[4:5]
	v_cmp_ne_u16_e32 vcc, v62, v1
	v_cndmask_b32_e64 v70, 0, 1, vcc
	v_cmp_ne_u16_e32 vcc, v63, v62
	v_cndmask_b32_e64 v71, 0, 1, vcc
	;; [unrolled: 2-line block ×21, first 2 shown]
	s_waitcnt lgkmcnt(0)
	v_cmp_ne_u16_e64 s[4:5], v39, v12
	s_branch .LBB574_63
.LBB574_57:
                                        ; implicit-def: $sgpr4_sgpr5
                                        ; implicit-def: $vgpr93
                                        ; implicit-def: $vgpr92
                                        ; implicit-def: $vgpr91
                                        ; implicit-def: $vgpr90
                                        ; implicit-def: $vgpr89
                                        ; implicit-def: $vgpr88
                                        ; implicit-def: $vgpr87
                                        ; implicit-def: $vgpr86
                                        ; implicit-def: $vgpr85
                                        ; implicit-def: $vgpr84
                                        ; implicit-def: $vgpr83
                                        ; implicit-def: $vgpr82
                                        ; implicit-def: $vgpr81
                                        ; implicit-def: $vgpr80
                                        ; implicit-def: $vgpr79
                                        ; implicit-def: $vgpr78
                                        ; implicit-def: $vgpr77
                                        ; implicit-def: $vgpr75
                                        ; implicit-def: $vgpr73
                                        ; implicit-def: $vgpr71
                                        ; implicit-def: $vgpr70
	s_branch .LBB574_64
.LBB574_58:
                                        ; implicit-def: $sgpr8
	s_branch .LBB574_72
.LBB574_59:
                                        ; implicit-def: $sgpr4_sgpr5
                                        ; implicit-def: $vgpr93
                                        ; implicit-def: $vgpr92
                                        ; implicit-def: $vgpr91
                                        ; implicit-def: $vgpr90
                                        ; implicit-def: $vgpr89
                                        ; implicit-def: $vgpr88
                                        ; implicit-def: $vgpr87
                                        ; implicit-def: $vgpr86
                                        ; implicit-def: $vgpr85
                                        ; implicit-def: $vgpr84
                                        ; implicit-def: $vgpr83
                                        ; implicit-def: $vgpr82
                                        ; implicit-def: $vgpr81
                                        ; implicit-def: $vgpr80
                                        ; implicit-def: $vgpr79
                                        ; implicit-def: $vgpr78
                                        ; implicit-def: $vgpr77
                                        ; implicit-def: $vgpr75
                                        ; implicit-def: $vgpr73
                                        ; implicit-def: $vgpr71
                                        ; implicit-def: $vgpr70
	s_cbranch_execz .LBB574_63
; %bb.60:
	s_waitcnt lgkmcnt(0)
	s_barrier
	s_and_saveexec_b64 s[4:5], s[2:3]
	s_cbranch_execz .LBB574_62
; %bb.61:
	s_waitcnt vmcnt(0)
	v_add_u32_e32 v14, -2, v15
	ds_read_u16 v14, v14
.LBB574_62:
	s_or_b64 exec, exec, s[4:5]
	v_cmp_gt_u32_e32 vcc, s64, v16
	v_cmp_ne_u16_e64 s[4:5], v62, v1
	s_and_b64 s[4:5], vcc, s[4:5]
	v_cndmask_b32_e64 v70, 0, 1, s[4:5]
	v_cmp_gt_u32_e32 vcc, s64, v17
	v_cmp_ne_u16_e64 s[4:5], v63, v62
	s_and_b64 s[4:5], vcc, s[4:5]
	v_cndmask_b32_e64 v71, 0, 1, s[4:5]
	;; [unrolled: 4-line block ×21, first 2 shown]
	v_cmp_gt_u32_e32 vcc, s64, v23
	s_waitcnt vmcnt(0) lgkmcnt(0)
	v_cmp_ne_u16_e64 s[4:5], v14, v12
	s_and_b64 s[4:5], vcc, s[4:5]
.LBB574_63:
	s_mov_b64 s[62:63], -1
	s_cbranch_execnz .LBB574_58
.LBB574_64:
	s_movk_i32 s4, 0xffd6
	s_waitcnt vmcnt(0)
	v_mad_i32_i24 v14, v0, s4, v38
	s_and_b64 vcc, exec, s[54:55]
	v_cmp_ne_u16_e64 s[4:5], v62, v1
	v_cmp_ne_u16_e64 s[6:7], v63, v62
	;; [unrolled: 1-line block ×21, first 2 shown]
	ds_write_b16 v14, v1
	s_cbranch_vccz .LBB574_68
; %bb.65:
	v_cndmask_b32_e64 v70, 0, 1, s[4:5]
	v_cndmask_b32_e64 v71, 0, 1, s[6:7]
	;; [unrolled: 1-line block ×21, first 2 shown]
	s_waitcnt lgkmcnt(0)
	s_barrier
	s_waitcnt lgkmcnt(0)
                                        ; implicit-def: $sgpr4_sgpr5
	s_and_saveexec_b64 s[6:7], s[2:3]
	s_xor_b64 s[6:7], exec, s[6:7]
	s_cbranch_execz .LBB574_67
; %bb.66:
	v_add_u32_e32 v15, -2, v14
	ds_read_u16 v15, v15
	s_or_b64 s[62:63], s[62:63], exec
	s_waitcnt lgkmcnt(0)
	v_cmp_ne_u16_e32 vcc, v15, v12
	s_and_b64 s[4:5], vcc, exec
.LBB574_67:
	s_or_b64 exec, exec, s[6:7]
	s_mov_b32 s8, 1
	s_branch .LBB574_72
.LBB574_68:
                                        ; implicit-def: $sgpr4_sgpr5
                                        ; implicit-def: $vgpr93
                                        ; implicit-def: $vgpr92
                                        ; implicit-def: $vgpr91
                                        ; implicit-def: $vgpr90
                                        ; implicit-def: $vgpr89
                                        ; implicit-def: $vgpr88
                                        ; implicit-def: $vgpr87
                                        ; implicit-def: $vgpr86
                                        ; implicit-def: $vgpr85
                                        ; implicit-def: $vgpr84
                                        ; implicit-def: $vgpr83
                                        ; implicit-def: $vgpr82
                                        ; implicit-def: $vgpr81
                                        ; implicit-def: $vgpr80
                                        ; implicit-def: $vgpr79
                                        ; implicit-def: $vgpr78
                                        ; implicit-def: $vgpr77
                                        ; implicit-def: $vgpr75
                                        ; implicit-def: $vgpr73
                                        ; implicit-def: $vgpr71
                                        ; implicit-def: $vgpr70
                                        ; implicit-def: $sgpr8
	s_cbranch_execz .LBB574_72
; %bb.69:
	v_cmp_gt_u32_e32 vcc, s64, v16
	v_cmp_ne_u16_e64 s[4:5], v62, v1
	s_and_b64 s[4:5], vcc, s[4:5]
	v_cndmask_b32_e64 v70, 0, 1, s[4:5]
	v_cmp_gt_u32_e32 vcc, s64, v17
	v_cmp_ne_u16_e64 s[4:5], v63, v62
	s_and_b64 s[4:5], vcc, s[4:5]
	v_cndmask_b32_e64 v71, 0, 1, s[4:5]
	v_cmp_gt_u32_e32 vcc, s64, v18
	v_cmp_ne_u16_e64 s[4:5], v3, v63
	s_and_b64 s[4:5], vcc, s[4:5]
	v_cndmask_b32_e64 v73, 0, 1, s[4:5]
	v_cmp_gt_u32_e32 vcc, s64, v19
	v_cmp_ne_u16_e64 s[4:5], v64, v3
	s_and_b64 s[4:5], vcc, s[4:5]
	v_cndmask_b32_e64 v75, 0, 1, s[4:5]
	v_cmp_gt_u32_e32 vcc, s64, v20
	v_cmp_ne_u16_e64 s[4:5], v2, v64
	s_and_b64 s[4:5], vcc, s[4:5]
	v_cndmask_b32_e64 v77, 0, 1, s[4:5]
	v_cmp_gt_u32_e32 vcc, s64, v21
	v_cmp_ne_u16_e64 s[4:5], v65, v2
	s_and_b64 s[4:5], vcc, s[4:5]
	v_cndmask_b32_e64 v78, 0, 1, s[4:5]
	v_cmp_gt_u32_e32 vcc, s64, v22
	v_cmp_ne_u16_e64 s[4:5], v5, v65
	s_and_b64 s[4:5], vcc, s[4:5]
	v_cndmask_b32_e64 v79, 0, 1, s[4:5]
	v_cmp_gt_u32_e32 vcc, s64, v24
	v_cmp_ne_u16_e64 s[4:5], v66, v5
	s_and_b64 s[4:5], vcc, s[4:5]
	v_cndmask_b32_e64 v80, 0, 1, s[4:5]
	v_cmp_gt_u32_e32 vcc, s64, v25
	v_cmp_ne_u16_e64 s[4:5], v4, v66
	s_and_b64 s[4:5], vcc, s[4:5]
	v_cndmask_b32_e64 v81, 0, 1, s[4:5]
	v_cmp_gt_u32_e32 vcc, s64, v26
	v_cmp_ne_u16_e64 s[4:5], v67, v4
	s_and_b64 s[4:5], vcc, s[4:5]
	v_cndmask_b32_e64 v82, 0, 1, s[4:5]
	v_cmp_gt_u32_e32 vcc, s64, v27
	v_cmp_ne_u16_e64 s[4:5], v7, v67
	s_and_b64 s[4:5], vcc, s[4:5]
	v_cndmask_b32_e64 v83, 0, 1, s[4:5]
	v_cmp_gt_u32_e32 vcc, s64, v29
	v_cmp_ne_u16_e64 s[4:5], v68, v7
	s_and_b64 s[4:5], vcc, s[4:5]
	v_cndmask_b32_e64 v84, 0, 1, s[4:5]
	v_cmp_gt_u32_e32 vcc, s64, v31
	v_cmp_ne_u16_e64 s[4:5], v6, v68
	s_and_b64 s[4:5], vcc, s[4:5]
	v_cndmask_b32_e64 v85, 0, 1, s[4:5]
	v_cmp_gt_u32_e32 vcc, s64, v28
	v_cmp_ne_u16_e64 s[4:5], v69, v6
	s_and_b64 s[4:5], vcc, s[4:5]
	v_cndmask_b32_e64 v86, 0, 1, s[4:5]
	v_cmp_gt_u32_e32 vcc, s64, v30
	v_cmp_ne_u16_e64 s[4:5], v11, v69
	s_and_b64 s[4:5], vcc, s[4:5]
	v_cndmask_b32_e64 v87, 0, 1, s[4:5]
	v_cmp_gt_u32_e32 vcc, s64, v33
	v_cmp_ne_u16_e64 s[4:5], v72, v11
	s_and_b64 s[4:5], vcc, s[4:5]
	v_cndmask_b32_e64 v88, 0, 1, s[4:5]
	v_cmp_gt_u32_e32 vcc, s64, v35
	v_cmp_ne_u16_e64 s[4:5], v10, v72
	s_and_b64 s[4:5], vcc, s[4:5]
	v_cndmask_b32_e64 v89, 0, 1, s[4:5]
	v_cmp_gt_u32_e32 vcc, s64, v32
	v_cmp_ne_u16_e64 s[4:5], v74, v10
	s_and_b64 s[4:5], vcc, s[4:5]
	v_cndmask_b32_e64 v90, 0, 1, s[4:5]
	v_cmp_gt_u32_e32 vcc, s64, v34
	v_cmp_ne_u16_e64 s[4:5], v13, v74
	s_and_b64 s[4:5], vcc, s[4:5]
	v_cndmask_b32_e64 v91, 0, 1, s[4:5]
	v_cmp_gt_u32_e32 vcc, s64, v36
	v_cmp_ne_u16_e64 s[4:5], v76, v13
	s_and_b64 s[4:5], vcc, s[4:5]
	v_cndmask_b32_e64 v92, 0, 1, s[4:5]
	v_cmp_gt_u32_e32 vcc, s64, v37
	v_cmp_ne_u16_e64 s[4:5], v12, v76
	s_and_b64 s[4:5], vcc, s[4:5]
	v_cndmask_b32_e64 v93, 0, 1, s[4:5]
	s_waitcnt lgkmcnt(0)
	s_barrier
	s_waitcnt lgkmcnt(0)
                                        ; implicit-def: $sgpr4_sgpr5
	s_and_saveexec_b64 s[6:7], s[2:3]
	s_cbranch_execz .LBB574_71
; %bb.70:
	v_add_u32_e32 v14, -2, v14
	ds_read_u16 v14, v14
	v_cmp_gt_u32_e32 vcc, s64, v23
	s_or_b64 s[62:63], s[62:63], exec
	s_waitcnt lgkmcnt(0)
	v_cmp_ne_u16_e64 s[2:3], v14, v12
	s_and_b64 s[2:3], vcc, s[2:3]
	s_and_b64 s[4:5], s[2:3], exec
.LBB574_71:
	s_or_b64 exec, exec, s[6:7]
	s_mov_b32 s8, 1
.LBB574_72:
	v_mov_b32_e32 v94, s8
	s_and_saveexec_b64 s[2:3], s[62:63]
; %bb.73:
	v_cndmask_b32_e64 v94, 0, 1, s[4:5]
; %bb.74:
	s_or_b64 exec, exec, s[2:3]
	s_andn2_b64 vcc, exec, s[58:59]
	s_cbranch_vccnz .LBB574_76
; %bb.75:
	v_cmp_gt_u32_e32 vcc, s64, v23
	v_cndmask_b32_e32 v94, 0, v94, vcc
	v_cmp_gt_u32_e32 vcc, s64, v37
	v_cndmask_b32_e32 v93, 0, v93, vcc
	;; [unrolled: 2-line block ×22, first 2 shown]
.LBB574_76:
	v_and_b32_e32 v49, 0xff, v75
	v_and_b32_e32 v51, 0xff, v73
	s_waitcnt vmcnt(0)
	v_add_u32_sdwa v14, v71, v70 dst_sel:DWORD dst_unused:UNUSED_PAD src0_sel:BYTE_0 src1_sel:BYTE_0
	v_and_b32_e32 v45, 0xff, v78
	v_and_b32_e32 v47, 0xff, v77
	v_add3_u32 v14, v14, v51, v49
	v_and_b32_e32 v41, 0xff, v80
	v_and_b32_e32 v43, 0xff, v79
	v_add3_u32 v14, v14, v47, v45
	;; [unrolled: 3-line block ×9, first 2 shown]
	v_add3_u32 v40, v14, v25, v24
	v_mbcnt_lo_u32_b32 v14, -1, 0
	v_mbcnt_hi_u32_b32 v36, -1, v14
	v_and_b32_e32 v14, 15, v36
	v_cmp_eq_u32_e64 s[14:15], 0, v14
	v_cmp_lt_u32_e64 s[12:13], 1, v14
	v_cmp_lt_u32_e64 s[10:11], 3, v14
	;; [unrolled: 1-line block ×3, first 2 shown]
	v_and_b32_e32 v14, 16, v36
	v_cmp_eq_u32_e64 s[6:7], 0, v14
	v_or_b32_e32 v14, 63, v0
	v_cmp_lt_u32_e64 s[2:3], 31, v36
	v_lshrrev_b32_e32 v38, 6, v0
	v_cmp_eq_u32_e64 s[4:5], v14, v0
	s_and_b64 vcc, exec, s[60:61]
	s_waitcnt lgkmcnt(0)
	s_barrier
	s_cbranch_vccz .LBB574_103
; %bb.77:
	v_mov_b32_dpp v14, v40 row_shr:1 row_mask:0xf bank_mask:0xf
	v_cndmask_b32_e64 v14, v14, 0, s[14:15]
	v_add_u32_e32 v14, v14, v40
	s_nop 1
	v_mov_b32_dpp v15, v14 row_shr:2 row_mask:0xf bank_mask:0xf
	v_cndmask_b32_e64 v15, 0, v15, s[12:13]
	v_add_u32_e32 v14, v14, v15
	s_nop 1
	;; [unrolled: 4-line block ×4, first 2 shown]
	v_mov_b32_dpp v15, v14 row_bcast:15 row_mask:0xf bank_mask:0xf
	v_cndmask_b32_e64 v15, v15, 0, s[6:7]
	v_add_u32_e32 v14, v14, v15
	s_nop 1
	v_mov_b32_dpp v15, v14 row_bcast:31 row_mask:0xf bank_mask:0xf
	v_cndmask_b32_e64 v15, 0, v15, s[2:3]
	v_add_u32_e32 v14, v14, v15
	s_and_saveexec_b64 s[16:17], s[4:5]
	s_cbranch_execz .LBB574_79
; %bb.78:
	v_lshlrev_b32_e32 v15, 2, v38
	ds_write_b32 v15, v14
.LBB574_79:
	s_or_b64 exec, exec, s[16:17]
	v_cmp_gt_u32_e32 vcc, 4, v0
	s_waitcnt lgkmcnt(0)
	s_barrier
	s_and_saveexec_b64 s[16:17], vcc
	s_cbranch_execz .LBB574_81
; %bb.80:
	v_lshlrev_b32_e32 v15, 2, v0
	ds_read_b32 v16, v15
	v_and_b32_e32 v17, 3, v36
	v_cmp_ne_u32_e32 vcc, 0, v17
	s_waitcnt lgkmcnt(0)
	v_mov_b32_dpp v18, v16 row_shr:1 row_mask:0xf bank_mask:0xf
	v_cndmask_b32_e32 v18, 0, v18, vcc
	v_add_u32_e32 v16, v18, v16
	v_cmp_lt_u32_e32 vcc, 1, v17
	s_nop 0
	v_mov_b32_dpp v18, v16 row_shr:2 row_mask:0xf bank_mask:0xf
	v_cndmask_b32_e32 v17, 0, v18, vcc
	v_add_u32_e32 v16, v16, v17
	ds_write_b32 v15, v16
.LBB574_81:
	s_or_b64 exec, exec, s[16:17]
	v_cmp_gt_u32_e32 vcc, 64, v0
	v_cmp_lt_u32_e64 s[16:17], 63, v0
	s_waitcnt lgkmcnt(0)
	s_barrier
	s_waitcnt lgkmcnt(0)
                                        ; implicit-def: $vgpr42
	s_and_saveexec_b64 s[18:19], s[16:17]
	s_cbranch_execz .LBB574_83
; %bb.82:
	v_lshl_add_u32 v15, v38, 2, -4
	ds_read_b32 v42, v15
	s_waitcnt lgkmcnt(0)
	v_add_u32_e32 v14, v42, v14
.LBB574_83:
	s_or_b64 exec, exec, s[18:19]
	v_add_u32_e32 v15, -1, v36
	v_and_b32_e32 v16, 64, v36
	v_cmp_lt_i32_e64 s[16:17], v15, v16
	v_cndmask_b32_e64 v15, v15, v36, s[16:17]
	v_lshlrev_b32_e32 v15, 2, v15
	ds_bpermute_b32 v44, v15, v14
	v_cmp_eq_u32_e64 s[16:17], 0, v36
	s_and_saveexec_b64 s[18:19], vcc
	s_cbranch_execz .LBB574_102
; %bb.84:
	v_mov_b32_e32 v21, 0
	ds_read_b32 v14, v21 offset:12
	s_and_saveexec_b64 s[20:21], s[16:17]
	s_cbranch_execz .LBB574_86
; %bb.85:
	s_add_i32 s22, s33, 64
	s_mov_b32 s23, 0
	s_lshl_b64 s[22:23], s[22:23], 3
	s_add_u32 s22, s56, s22
	v_mov_b32_e32 v15, 1
	s_addc_u32 s23, s57, s23
	s_waitcnt lgkmcnt(0)
	global_store_dwordx2 v21, v[14:15], s[22:23]
.LBB574_86:
	s_or_b64 exec, exec, s[20:21]
	v_xad_u32 v16, v36, -1, s33
	v_add_u32_e32 v20, 64, v16
	v_lshlrev_b64 v[18:19], 3, v[20:21]
	v_mov_b32_e32 v15, s57
	v_add_co_u32_e32 v22, vcc, s56, v18
	v_addc_co_u32_e32 v23, vcc, v15, v19, vcc
	global_load_dwordx2 v[18:19], v[22:23], off glc
	s_waitcnt vmcnt(0)
	v_cmp_eq_u16_sdwa s[22:23], v19, v21 src0_sel:BYTE_0 src1_sel:DWORD
	s_and_saveexec_b64 s[20:21], s[22:23]
	s_cbranch_execz .LBB574_90
; %bb.87:
	s_mov_b64 s[22:23], 0
	v_mov_b32_e32 v15, 0
.LBB574_88:                             ; =>This Inner Loop Header: Depth=1
	global_load_dwordx2 v[18:19], v[22:23], off glc
	s_waitcnt vmcnt(0)
	v_cmp_ne_u16_sdwa s[24:25], v19, v15 src0_sel:BYTE_0 src1_sel:DWORD
	s_or_b64 s[22:23], s[24:25], s[22:23]
	s_andn2_b64 exec, exec, s[22:23]
	s_cbranch_execnz .LBB574_88
; %bb.89:
	s_or_b64 exec, exec, s[22:23]
.LBB574_90:
	s_or_b64 exec, exec, s[20:21]
	v_and_b32_e32 v48, 63, v36
	v_mov_b32_e32 v46, 2
	v_cmp_ne_u32_e32 vcc, 63, v48
	v_cmp_eq_u16_sdwa s[20:21], v19, v46 src0_sel:BYTE_0 src1_sel:DWORD
	v_lshlrev_b64 v[20:21], v36, -1
	v_addc_co_u32_e32 v22, vcc, 0, v36, vcc
	v_and_b32_e32 v15, s21, v21
	v_lshlrev_b32_e32 v50, 2, v22
	v_or_b32_e32 v15, 0x80000000, v15
	ds_bpermute_b32 v22, v50, v18
	v_and_b32_e32 v17, s20, v20
	v_ffbl_b32_e32 v15, v15
	v_add_u32_e32 v15, 32, v15
	v_ffbl_b32_e32 v17, v17
	v_min_u32_e32 v15, v17, v15
	v_cmp_lt_u32_e32 vcc, v48, v15
	s_waitcnt lgkmcnt(0)
	v_cndmask_b32_e32 v17, 0, v22, vcc
	v_cmp_gt_u32_e32 vcc, 62, v48
	v_add_u32_e32 v17, v17, v18
	v_cndmask_b32_e64 v18, 0, 1, vcc
	v_lshlrev_b32_e32 v18, 1, v18
	v_add_lshl_u32 v52, v18, v36, 2
	ds_bpermute_b32 v18, v52, v17
	v_add_u32_e32 v53, 2, v48
	v_cmp_le_u32_e32 vcc, v53, v15
	v_add_u32_e32 v55, 4, v48
	v_add_u32_e32 v57, 8, v48
	s_waitcnt lgkmcnt(0)
	v_cndmask_b32_e32 v18, 0, v18, vcc
	v_cmp_gt_u32_e32 vcc, 60, v48
	v_add_u32_e32 v17, v17, v18
	v_cndmask_b32_e64 v18, 0, 1, vcc
	v_lshlrev_b32_e32 v18, 2, v18
	v_add_lshl_u32 v54, v18, v36, 2
	ds_bpermute_b32 v18, v54, v17
	v_cmp_le_u32_e32 vcc, v55, v15
	v_add_u32_e32 v59, 16, v48
	v_add_u32_e32 v61, 32, v48
	s_waitcnt lgkmcnt(0)
	v_cndmask_b32_e32 v18, 0, v18, vcc
	v_cmp_gt_u32_e32 vcc, 56, v48
	v_add_u32_e32 v17, v17, v18
	v_cndmask_b32_e64 v18, 0, 1, vcc
	v_lshlrev_b32_e32 v18, 3, v18
	v_add_lshl_u32 v56, v18, v36, 2
	ds_bpermute_b32 v18, v56, v17
	v_cmp_le_u32_e32 vcc, v57, v15
	s_waitcnt lgkmcnt(0)
	v_cndmask_b32_e32 v18, 0, v18, vcc
	v_cmp_gt_u32_e32 vcc, 48, v48
	v_add_u32_e32 v17, v17, v18
	v_cndmask_b32_e64 v18, 0, 1, vcc
	v_lshlrev_b32_e32 v18, 4, v18
	v_add_lshl_u32 v58, v18, v36, 2
	ds_bpermute_b32 v18, v58, v17
	v_cmp_le_u32_e32 vcc, v59, v15
	;; [unrolled: 9-line block ×3, first 2 shown]
	s_waitcnt lgkmcnt(0)
	v_cndmask_b32_e32 v15, 0, v18, vcc
	v_add_u32_e32 v18, v17, v15
	v_mov_b32_e32 v17, 0
	s_branch .LBB574_92
.LBB574_91:                             ;   in Loop: Header=BB574_92 Depth=1
	s_or_b64 exec, exec, s[20:21]
	v_cmp_eq_u16_sdwa s[20:21], v19, v46 src0_sel:BYTE_0 src1_sel:DWORD
	v_and_b32_e32 v22, s21, v21
	v_or_b32_e32 v22, 0x80000000, v22
	ds_bpermute_b32 v95, v50, v18
	v_and_b32_e32 v23, s20, v20
	v_ffbl_b32_e32 v22, v22
	v_add_u32_e32 v22, 32, v22
	v_ffbl_b32_e32 v23, v23
	v_min_u32_e32 v22, v23, v22
	v_cmp_lt_u32_e32 vcc, v48, v22
	s_waitcnt lgkmcnt(0)
	v_cndmask_b32_e32 v23, 0, v95, vcc
	v_add_u32_e32 v18, v23, v18
	ds_bpermute_b32 v23, v52, v18
	v_cmp_le_u32_e32 vcc, v53, v22
	v_subrev_u32_e32 v16, 64, v16
	s_waitcnt lgkmcnt(0)
	v_cndmask_b32_e32 v23, 0, v23, vcc
	v_add_u32_e32 v18, v18, v23
	ds_bpermute_b32 v23, v54, v18
	v_cmp_le_u32_e32 vcc, v55, v22
	s_waitcnt lgkmcnt(0)
	v_cndmask_b32_e32 v23, 0, v23, vcc
	v_add_u32_e32 v18, v18, v23
	ds_bpermute_b32 v23, v56, v18
	v_cmp_le_u32_e32 vcc, v57, v22
	;; [unrolled: 5-line block ×4, first 2 shown]
	s_waitcnt lgkmcnt(0)
	v_cndmask_b32_e32 v22, 0, v23, vcc
	v_add3_u32 v18, v22, v15, v18
.LBB574_92:                             ; =>This Loop Header: Depth=1
                                        ;     Child Loop BB574_95 Depth 2
	v_cmp_ne_u16_sdwa s[20:21], v19, v46 src0_sel:BYTE_0 src1_sel:DWORD
	v_cndmask_b32_e64 v15, 0, 1, s[20:21]
	;;#ASMSTART
	;;#ASMEND
	v_cmp_ne_u32_e32 vcc, 0, v15
	s_cmp_lg_u64 vcc, exec
	v_mov_b32_e32 v15, v18
	s_cbranch_scc1 .LBB574_97
; %bb.93:                               ;   in Loop: Header=BB574_92 Depth=1
	v_lshlrev_b64 v[18:19], 3, v[16:17]
	v_mov_b32_e32 v23, s57
	v_add_co_u32_e32 v22, vcc, s56, v18
	v_addc_co_u32_e32 v23, vcc, v23, v19, vcc
	global_load_dwordx2 v[18:19], v[22:23], off glc
	s_waitcnt vmcnt(0)
	v_cmp_eq_u16_sdwa s[22:23], v19, v17 src0_sel:BYTE_0 src1_sel:DWORD
	s_and_saveexec_b64 s[20:21], s[22:23]
	s_cbranch_execz .LBB574_91
; %bb.94:                               ;   in Loop: Header=BB574_92 Depth=1
	s_mov_b64 s[22:23], 0
.LBB574_95:                             ;   Parent Loop BB574_92 Depth=1
                                        ; =>  This Inner Loop Header: Depth=2
	global_load_dwordx2 v[18:19], v[22:23], off glc
	s_waitcnt vmcnt(0)
	v_cmp_ne_u16_sdwa s[24:25], v19, v17 src0_sel:BYTE_0 src1_sel:DWORD
	s_or_b64 s[22:23], s[24:25], s[22:23]
	s_andn2_b64 exec, exec, s[22:23]
	s_cbranch_execnz .LBB574_95
; %bb.96:                               ;   in Loop: Header=BB574_92 Depth=1
	s_or_b64 exec, exec, s[22:23]
	s_branch .LBB574_91
.LBB574_97:                             ;   in Loop: Header=BB574_92 Depth=1
                                        ; implicit-def: $vgpr18
                                        ; implicit-def: $vgpr19
	s_cbranch_execz .LBB574_92
; %bb.98:
	s_and_saveexec_b64 s[20:21], s[16:17]
	s_cbranch_execz .LBB574_100
; %bb.99:
	s_add_i32 s22, s33, 64
	s_mov_b32 s23, 0
	s_lshl_b64 s[22:23], s[22:23], 3
	s_add_u32 s22, s56, s22
	v_add_u32_e32 v16, v15, v14
	v_mov_b32_e32 v17, 2
	s_addc_u32 s23, s57, s23
	v_mov_b32_e32 v18, 0
	global_store_dwordx2 v18, v[16:17], s[22:23]
	ds_write_b64 v18, v[14:15] offset:11264
.LBB574_100:
	s_or_b64 exec, exec, s[20:21]
	s_and_b64 exec, exec, s[0:1]
	s_cbranch_execz .LBB574_102
; %bb.101:
	v_mov_b32_e32 v14, 0
	ds_write_b32 v14, v15 offset:12
.LBB574_102:
	s_or_b64 exec, exec, s[18:19]
	v_mov_b32_e32 v14, 0
	s_waitcnt lgkmcnt(0)
	s_barrier
	ds_read_b32 v16, v14 offset:12
	s_waitcnt lgkmcnt(0)
	s_barrier
	ds_read_b64 v[14:15], v14 offset:11264
	v_cndmask_b32_e64 v17, v44, v42, s[16:17]
	v_cndmask_b32_e64 v17, v17, 0, s[0:1]
	v_add_u32_e32 v56, v16, v17
	s_waitcnt lgkmcnt(0)
	v_mov_b32_e32 v16, v15
	s_branch .LBB574_113
.LBB574_103:
                                        ; implicit-def: $vgpr16
                                        ; implicit-def: $vgpr14
                                        ; implicit-def: $vgpr56
	s_cbranch_execz .LBB574_113
; %bb.104:
	s_nop 0
	v_mov_b32_dpp v14, v40 row_shr:1 row_mask:0xf bank_mask:0xf
	v_cndmask_b32_e64 v14, v14, 0, s[14:15]
	v_add_u32_e32 v14, v14, v40
	s_nop 1
	v_mov_b32_dpp v15, v14 row_shr:2 row_mask:0xf bank_mask:0xf
	v_cndmask_b32_e64 v15, 0, v15, s[12:13]
	v_add_u32_e32 v14, v14, v15
	;; [unrolled: 4-line block ×4, first 2 shown]
	s_nop 1
	v_mov_b32_dpp v15, v14 row_bcast:15 row_mask:0xf bank_mask:0xf
	v_cndmask_b32_e64 v15, v15, 0, s[6:7]
	v_add_u32_e32 v14, v14, v15
	s_nop 1
	v_mov_b32_dpp v15, v14 row_bcast:31 row_mask:0xf bank_mask:0xf
	v_cndmask_b32_e64 v15, 0, v15, s[2:3]
	v_add_u32_e32 v14, v14, v15
	s_and_saveexec_b64 s[2:3], s[4:5]
	s_cbranch_execz .LBB574_106
; %bb.105:
	v_lshlrev_b32_e32 v15, 2, v38
	ds_write_b32 v15, v14
.LBB574_106:
	s_or_b64 exec, exec, s[2:3]
	v_cmp_gt_u32_e32 vcc, 4, v0
	s_waitcnt lgkmcnt(0)
	s_barrier
	s_and_saveexec_b64 s[2:3], vcc
	s_cbranch_execz .LBB574_108
; %bb.107:
	v_lshlrev_b32_e32 v15, 2, v0
	ds_read_b32 v16, v15
	v_and_b32_e32 v17, 3, v36
	v_cmp_ne_u32_e32 vcc, 0, v17
	s_waitcnt lgkmcnt(0)
	v_mov_b32_dpp v18, v16 row_shr:1 row_mask:0xf bank_mask:0xf
	v_cndmask_b32_e32 v18, 0, v18, vcc
	v_add_u32_e32 v16, v18, v16
	v_cmp_lt_u32_e32 vcc, 1, v17
	s_nop 0
	v_mov_b32_dpp v18, v16 row_shr:2 row_mask:0xf bank_mask:0xf
	v_cndmask_b32_e32 v17, 0, v18, vcc
	v_add_u32_e32 v16, v16, v17
	ds_write_b32 v15, v16
.LBB574_108:
	s_or_b64 exec, exec, s[2:3]
	v_cmp_lt_u32_e32 vcc, 63, v0
	v_mov_b32_e32 v15, 0
	v_mov_b32_e32 v16, 0
	s_waitcnt lgkmcnt(0)
	s_barrier
	s_and_saveexec_b64 s[2:3], vcc
	s_cbranch_execz .LBB574_110
; %bb.109:
	v_lshl_add_u32 v16, v38, 2, -4
	ds_read_b32 v16, v16
.LBB574_110:
	s_or_b64 exec, exec, s[2:3]
	v_add_u32_e32 v17, -1, v36
	v_and_b32_e32 v18, 64, v36
	v_cmp_lt_i32_e32 vcc, v17, v18
	v_cndmask_b32_e32 v17, v17, v36, vcc
	s_waitcnt lgkmcnt(0)
	v_add_u32_e32 v14, v16, v14
	v_lshlrev_b32_e32 v17, 2, v17
	ds_bpermute_b32 v17, v17, v14
	ds_read_b32 v14, v15 offset:12
	s_and_saveexec_b64 s[2:3], s[0:1]
	s_cbranch_execz .LBB574_112
; %bb.111:
	v_mov_b32_e32 v18, 0
	v_mov_b32_e32 v15, 2
	s_waitcnt lgkmcnt(0)
	global_store_dwordx2 v18, v[14:15], s[56:57] offset:512
.LBB574_112:
	s_or_b64 exec, exec, s[2:3]
	v_cmp_eq_u32_e32 vcc, 0, v36
	s_waitcnt lgkmcnt(1)
	v_cndmask_b32_e32 v15, v17, v16, vcc
	v_mov_b32_e32 v16, 0
	v_cndmask_b32_e64 v56, v15, 0, s[0:1]
	s_waitcnt lgkmcnt(0)
	s_barrier
.LBB574_113:
	v_add_u32_e32 v60, v56, v24
	v_add_u32_e32 v58, v60, v25
	;; [unrolled: 1-line block ×19, first 2 shown]
	s_movk_i32 s2, 0x101
	v_add_u32_e32 v20, v22, v51
	v_cmp_gt_u32_e32 vcc, s2, v14
	v_add_u32_sdwa v18, v20, v71 dst_sel:DWORD dst_unused:UNUSED_PAD src0_sel:DWORD src1_sel:BYTE_0
	s_mov_b64 s[2:3], -1
	s_cbranch_vccnz .LBB574_117
; %bb.114:
	s_and_b64 vcc, exec, s[2:3]
	s_cbranch_vccnz .LBB574_184
.LBB574_115:
	s_and_b64 s[0:1], s[0:1], s[50:51]
	s_and_saveexec_b64 s[2:3], s[0:1]
	s_cbranch_execnz .LBB574_244
.LBB574_116:
	s_endpgm
.LBB574_117:
	v_lshlrev_b64 v[96:97], 1, v[8:9]
	v_mov_b32_e32 v17, s53
	v_add_co_u32_e32 v15, vcc, s52, v96
	v_add_u32_e32 v19, v16, v14
	v_addc_co_u32_e32 v17, vcc, v17, v97, vcc
	v_cmp_lt_u32_e32 vcc, v56, v19
	s_or_b64 s[4:5], s[54:55], vcc
	s_and_saveexec_b64 s[2:3], s[4:5]
	s_cbranch_execz .LBB574_120
; %bb.118:
	v_and_b32_e32 v21, 1, v94
	v_cmp_eq_u32_e32 vcc, 1, v21
	s_and_b64 exec, exec, vcc
	s_cbranch_execz .LBB574_120
; %bb.119:
	v_mov_b32_e32 v57, 0
	v_lshlrev_b64 v[96:97], 1, v[56:57]
	v_add_co_u32_e32 v96, vcc, v15, v96
	v_addc_co_u32_e32 v97, vcc, v17, v97, vcc
	global_store_short v[96:97], v12, off
.LBB574_120:
	s_or_b64 exec, exec, s[2:3]
	v_cmp_lt_u32_e32 vcc, v60, v19
	s_or_b64 s[4:5], s[54:55], vcc
	s_and_saveexec_b64 s[2:3], s[4:5]
	s_cbranch_execz .LBB574_123
; %bb.121:
	v_and_b32_e32 v21, 1, v93
	v_cmp_eq_u32_e32 vcc, 1, v21
	s_and_b64 exec, exec, vcc
	s_cbranch_execz .LBB574_123
; %bb.122:
	v_mov_b32_e32 v61, 0
	v_lshlrev_b64 v[96:97], 1, v[60:61]
	v_add_co_u32_e32 v96, vcc, v15, v96
	v_addc_co_u32_e32 v97, vcc, v17, v97, vcc
	global_store_short v[96:97], v76, off
.LBB574_123:
	s_or_b64 exec, exec, s[2:3]
	;; [unrolled: 17-line block ×22, first 2 shown]
	s_branch .LBB574_115
.LBB574_184:
	v_and_b32_e32 v15, 1, v94
	v_cmp_eq_u32_e32 vcc, 1, v15
	s_and_saveexec_b64 s[2:3], vcc
	s_cbranch_execz .LBB574_186
; %bb.185:
	v_sub_u32_e32 v15, v56, v16
	v_lshlrev_b32_e32 v15, 1, v15
	ds_write_b16 v15, v12
.LBB574_186:
	s_or_b64 exec, exec, s[2:3]
	v_and_b32_e32 v12, 1, v93
	v_cmp_eq_u32_e32 vcc, 1, v12
	s_and_saveexec_b64 s[2:3], vcc
	s_cbranch_execz .LBB574_188
; %bb.187:
	v_sub_u32_e32 v12, v60, v16
	v_lshlrev_b32_e32 v12, 1, v12
	ds_write_b16 v12, v76
.LBB574_188:
	s_or_b64 exec, exec, s[2:3]
	;; [unrolled: 10-line block ×22, first 2 shown]
	v_cmp_lt_u32_e32 vcc, v0, v14
	s_waitcnt lgkmcnt(0)
	s_barrier
	s_and_saveexec_b64 s[6:7], vcc
	s_cbranch_execz .LBB574_243
; %bb.229:
	v_lshlrev_b64 v[2:3], 1, v[8:9]
	v_mov_b32_e32 v17, 0
	v_mov_b32_e32 v1, s53
	v_add_co_u32_e32 v4, vcc, s52, v2
	v_addc_co_u32_e32 v1, vcc, v1, v3, vcc
	v_lshlrev_b64 v[2:3], 1, v[16:17]
	v_add_co_u32_e32 v12, vcc, v4, v2
	v_addc_co_u32_e32 v13, vcc, v1, v3, vcc
	v_xad_u32 v1, v0, -1, v14
	s_movk_i32 s2, 0x1700
	v_cmp_gt_u32_e32 vcc, s2, v1
	s_movk_i32 s2, 0x16ff
	v_cmp_lt_u32_e64 s[2:3], s2, v1
	s_and_saveexec_b64 s[8:9], s[2:3]
	s_cbranch_execz .LBB574_240
; %bb.230:
	v_sub_u32_e32 v2, v0, v14
	v_or_b32_e32 v2, 0xff, v2
	v_cmp_ge_u32_e64 s[2:3], v2, v0
	s_mov_b64 s[4:5], -1
	s_and_saveexec_b64 s[10:11], s[2:3]
	s_cbranch_execz .LBB574_239
; %bb.231:
	v_lshrrev_b32_e32 v15, 8, v1
	v_add_u32_e32 v4, -3, v15
	v_or_b32_e32 v3, 0x300, v0
	v_or_b32_e32 v2, 0x200, v0
	v_lshrrev_b32_e32 v5, 2, v4
	v_or_b32_e32 v1, 0x100, v0
	v_add_u32_e32 v18, 1, v5
	v_cmp_lt_u32_e64 s[2:3], 11, v4
	v_pk_mov_b32 v[6:7], v[2:3], v[2:3] op_sel:[0,1]
	v_mov_b32_e32 v21, 0
	v_lshlrev_b32_e32 v17, 1, v0
	v_pk_mov_b32 v[4:5], v[0:1], v[0:1] op_sel:[0,1]
	s_and_saveexec_b64 s[12:13], s[2:3]
	s_cbranch_execz .LBB574_235
; %bb.232:
	v_pk_mov_b32 v[6:7], v[2:3], v[2:3] op_sel:[0,1]
	v_and_b32_e32 v19, 0x7ffffffc, v18
	s_mov_b32 s16, 0
	s_mov_b64 s[14:15], 0
	v_mov_b32_e32 v11, 0
	v_mov_b32_e32 v20, v17
	v_pk_mov_b32 v[4:5], v[0:1], v[0:1] op_sel:[0,1]
.LBB574_233:                            ; =>This Inner Loop Header: Depth=1
	v_mov_b32_e32 v10, v4
	v_lshlrev_b64 v[38:39], 1, v[10:11]
	v_add_u32_e32 v24, 0x400, v5
	v_mov_b32_e32 v25, v11
	v_add_co_u32_e64 v38, s[4:5], v12, v38
	v_lshlrev_b64 v[24:25], 1, v[24:25]
	v_addc_co_u32_e64 v39, s[4:5], v13, v39, s[4:5]
	v_add_u32_e32 v22, 0x400, v6
	v_mov_b32_e32 v23, v11
	v_add_co_u32_e64 v24, s[4:5], v12, v24
	v_lshlrev_b64 v[22:23], 1, v[22:23]
	v_addc_co_u32_e64 v25, s[4:5], v13, v25, s[4:5]
	v_add_u32_e32 v2, 0x400, v7
	v_mov_b32_e32 v3, v11
	v_add_co_u32_e64 v22, s[4:5], v12, v22
	v_add_u32_e32 v19, -4, v19
	v_mov_b32_e32 v10, v5
	v_lshlrev_b64 v[2:3], 1, v[2:3]
	v_addc_co_u32_e64 v23, s[4:5], v13, v23, s[4:5]
	v_add_u32_e32 v30, 0x800, v5
	v_mov_b32_e32 v31, v11
	s_add_i32 s16, s16, 16
	v_cmp_eq_u32_e64 s[2:3], 0, v19
	v_lshlrev_b64 v[40:41], 1, v[10:11]
	v_add_co_u32_e64 v2, s[4:5], v12, v2
	v_lshlrev_b64 v[30:31], 1, v[30:31]
	v_mov_b32_e32 v10, v6
	v_addc_co_u32_e64 v3, s[4:5], v13, v3, s[4:5]
	s_or_b64 s[14:15], s[2:3], s[14:15]
	v_add_co_u32_e64 v40, s[2:3], v12, v40
	v_add_u32_e32 v28, 0x800, v6
	v_mov_b32_e32 v29, v11
	v_add_co_u32_e64 v30, s[4:5], v12, v30
	v_addc_co_u32_e64 v41, s[2:3], v13, v41, s[2:3]
	v_lshlrev_b64 v[42:43], 1, v[10:11]
	v_lshlrev_b64 v[28:29], 1, v[28:29]
	v_addc_co_u32_e64 v31, s[4:5], v13, v31, s[4:5]
	v_mov_b32_e32 v10, v7
	v_add_co_u32_e64 v42, s[2:3], v12, v42
	ds_read_u16 v1, v20
	ds_read_u16 v46, v20 offset:512
	ds_read_u16 v47, v20 offset:1024
	;; [unrolled: 1-line block ×7, first 2 shown]
	v_add_u32_e32 v26, 0x800, v7
	v_mov_b32_e32 v27, v11
	v_add_co_u32_e64 v28, s[4:5], v12, v28
	v_addc_co_u32_e64 v43, s[2:3], v13, v43, s[2:3]
	v_lshlrev_b64 v[44:45], 1, v[10:11]
	v_lshlrev_b64 v[26:27], 1, v[26:27]
	v_addc_co_u32_e64 v29, s[4:5], v13, v29, s[4:5]
	v_add_u32_e32 v10, 0x400, v4
	v_add_co_u32_e64 v44, s[2:3], v12, v44
	v_add_u32_e32 v36, 0xc00, v5
	ds_read_u16 v53, v20 offset:4096
	ds_read_u16 v54, v20 offset:4608
	;; [unrolled: 1-line block ×8, first 2 shown]
	v_mov_b32_e32 v37, v11
	v_add_co_u32_e64 v26, s[4:5], v12, v26
	v_addc_co_u32_e64 v45, s[2:3], v13, v45, s[2:3]
	s_waitcnt lgkmcnt(14)
	global_store_short v[38:39], v1, off
	global_store_short v[40:41], v46, off
	s_waitcnt lgkmcnt(13)
	global_store_short v[42:43], v47, off
	v_lshlrev_b64 v[38:39], 1, v[10:11]
	v_lshlrev_b64 v[36:37], 1, v[36:37]
	v_addc_co_u32_e64 v27, s[4:5], v13, v27, s[4:5]
	v_add_u32_e32 v10, 0x800, v4
	v_add_co_u32_e64 v38, s[2:3], v12, v38
	v_add_u32_e32 v34, 0xc00, v6
	v_mov_b32_e32 v35, v11
	v_add_co_u32_e64 v36, s[4:5], v12, v36
	v_addc_co_u32_e64 v39, s[2:3], v13, v39, s[2:3]
	v_lshlrev_b64 v[40:41], 1, v[10:11]
	v_lshlrev_b64 v[34:35], 1, v[34:35]
	v_addc_co_u32_e64 v37, s[4:5], v13, v37, s[4:5]
	s_waitcnt lgkmcnt(12)
	global_store_short v[44:45], v48, off
	v_add_u32_e32 v10, 0xc00, v4
	s_waitcnt lgkmcnt(11)
	global_store_short v[38:39], v49, off
	s_waitcnt lgkmcnt(10)
	global_store_short v[24:25], v50, off
	;; [unrolled: 2-line block ×4, first 2 shown]
	v_add_co_u32_e64 v2, s[2:3], v12, v40
	v_add_u32_e32 v32, 0xc00, v7
	v_mov_b32_e32 v33, v11
	v_add_co_u32_e64 v34, s[4:5], v12, v34
	v_addc_co_u32_e64 v3, s[2:3], v13, v41, s[2:3]
	v_lshlrev_b64 v[22:23], 1, v[10:11]
	v_lshlrev_b64 v[32:33], 1, v[32:33]
	v_addc_co_u32_e64 v35, s[4:5], v13, v35, s[4:5]
	s_waitcnt lgkmcnt(7)
	global_store_short v[2:3], v53, off
	s_waitcnt lgkmcnt(6)
	global_store_short v[30:31], v54, off
	;; [unrolled: 2-line block ×4, first 2 shown]
	v_add_co_u32_e64 v2, s[2:3], v12, v22
	v_add_u32_e32 v20, 0x2000, v20
	v_add_u32_e32 v5, 0x1000, v5
	v_mov_b32_e32 v21, s16
	v_add_co_u32_e64 v32, s[4:5], v12, v32
	v_add_u32_e32 v6, 0x1000, v6
	v_add_u32_e32 v7, 0x1000, v7
	;; [unrolled: 1-line block ×3, first 2 shown]
	v_addc_co_u32_e64 v3, s[2:3], v13, v23, s[2:3]
	v_addc_co_u32_e64 v33, s[4:5], v13, v33, s[4:5]
	s_waitcnt lgkmcnt(3)
	global_store_short v[2:3], v57, off
	s_waitcnt lgkmcnt(2)
	global_store_short v[36:37], v58, off
	;; [unrolled: 2-line block ×4, first 2 shown]
	s_andn2_b64 exec, exec, s[14:15]
	s_cbranch_execnz .LBB574_233
; %bb.234:
	s_or_b64 exec, exec, s[14:15]
.LBB574_235:
	s_or_b64 exec, exec, s[12:13]
	v_and_b32_e32 v1, 3, v18
	v_cmp_ne_u32_e64 s[2:3], 0, v1
	s_and_saveexec_b64 s[12:13], s[2:3]
	s_cbranch_execz .LBB574_238
; %bb.236:
	v_lshl_or_b32 v10, v21, 9, v17
	s_mov_b64 s[14:15], 0
	v_mov_b32_e32 v3, 0
.LBB574_237:                            ; =>This Inner Loop Header: Depth=1
	v_mov_b32_e32 v2, v4
	v_add_u32_e32 v1, -1, v1
	v_lshlrev_b64 v[18:19], 1, v[2:3]
	v_mov_b32_e32 v2, v5
	v_cmp_eq_u32_e64 s[2:3], 0, v1
	v_lshlrev_b64 v[20:21], 1, v[2:3]
	ds_read_u16 v11, v10
	ds_read_u16 v17, v10 offset:512
	ds_read_u16 v26, v10 offset:1024
	;; [unrolled: 1-line block ×3, first 2 shown]
	v_mov_b32_e32 v2, v6
	s_or_b64 s[14:15], s[2:3], s[14:15]
	v_add_co_u32_e64 v20, s[2:3], v12, v20
	v_addc_co_u32_e64 v21, s[2:3], v13, v21, s[2:3]
	v_lshlrev_b64 v[22:23], 1, v[2:3]
	v_mov_b32_e32 v2, v7
	v_add_co_u32_e64 v22, s[2:3], v12, v22
	v_add_co_u32_e64 v18, s[4:5], v12, v18
	v_addc_co_u32_e64 v23, s[2:3], v13, v23, s[2:3]
	v_lshlrev_b64 v[24:25], 1, v[2:3]
	v_add_u32_e32 v4, 0x400, v4
	v_add_u32_e32 v10, 0x800, v10
	;; [unrolled: 1-line block ×3, first 2 shown]
	v_addc_co_u32_e64 v19, s[4:5], v13, v19, s[4:5]
	v_add_u32_e32 v6, 0x400, v6
	v_add_u32_e32 v7, 0x400, v7
	v_add_co_u32_e64 v24, s[2:3], v12, v24
	v_addc_co_u32_e64 v25, s[2:3], v13, v25, s[2:3]
	s_waitcnt lgkmcnt(3)
	global_store_short v[18:19], v11, off
	s_waitcnt lgkmcnt(2)
	global_store_short v[20:21], v17, off
	;; [unrolled: 2-line block ×4, first 2 shown]
	s_andn2_b64 exec, exec, s[14:15]
	s_cbranch_execnz .LBB574_237
.LBB574_238:
	s_or_b64 exec, exec, s[12:13]
	v_add_u32_e32 v1, 1, v15
	v_and_b32_e32 v2, 0x1fffffc, v1
	v_cmp_ne_u32_e64 s[2:3], v1, v2
	v_lshl_or_b32 v0, v2, 8, v0
	s_orn2_b64 s[4:5], s[2:3], exec
.LBB574_239:
	s_or_b64 exec, exec, s[10:11]
	s_andn2_b64 s[2:3], vcc, exec
	s_and_b64 s[4:5], s[4:5], exec
	s_or_b64 vcc, s[2:3], s[4:5]
.LBB574_240:
	s_or_b64 exec, exec, s[8:9]
	s_and_b64 exec, exec, vcc
	s_cbranch_execz .LBB574_243
; %bb.241:
	v_lshlrev_b32_e32 v2, 1, v0
	s_mov_b64 s[2:3], 0
	v_mov_b32_e32 v1, 0
.LBB574_242:                            ; =>This Inner Loop Header: Depth=1
	ds_read_u16 v3, v2
	v_lshlrev_b64 v[4:5], 1, v[0:1]
	v_add_co_u32_e32 v4, vcc, v12, v4
	v_add_u32_e32 v0, 0x100, v0
	v_addc_co_u32_e32 v5, vcc, v13, v5, vcc
	v_cmp_ge_u32_e32 vcc, v0, v14
	v_add_u32_e32 v2, 0x200, v2
	s_or_b64 s[2:3], vcc, s[2:3]
	s_waitcnt lgkmcnt(0)
	global_store_short v[4:5], v3, off
	s_andn2_b64 exec, exec, s[2:3]
	s_cbranch_execnz .LBB574_242
.LBB574_243:
	s_or_b64 exec, exec, s[6:7]
	s_and_b64 s[0:1], s[0:1], s[50:51]
	s_and_saveexec_b64 s[2:3], s[0:1]
	s_cbranch_execz .LBB574_116
.LBB574_244:
	v_add_co_u32_e32 v0, vcc, v8, v14
	v_addc_co_u32_e32 v1, vcc, 0, v9, vcc
	v_add_co_u32_e32 v0, vcc, v0, v16
	v_mov_b32_e32 v2, 0
	v_addc_co_u32_e32 v1, vcc, 0, v1, vcc
	global_store_dwordx2 v2, v[0:1], s[48:49]
	s_endpgm
	.section	.rodata,"a",@progbits
	.p2align	6, 0x0
	.amdhsa_kernel _ZN7rocprim17ROCPRIM_400000_NS6detail17trampoline_kernelINS0_14default_configENS1_25partition_config_selectorILNS1_17partition_subalgoE8EsNS0_10empty_typeEbEEZZNS1_14partition_implILS5_8ELb0ES3_jPKsPS6_PKS6_NS0_5tupleIJPsS6_EEENSE_IJSB_SB_EEENS0_18inequality_wrapperIN6hipcub16HIPCUB_304000_NS8EqualityEEEPlJS6_EEE10hipError_tPvRmT3_T4_T5_T6_T7_T9_mT8_P12ihipStream_tbDpT10_ENKUlT_T0_E_clISt17integral_constantIbLb0EES16_IbLb1EEEEDaS12_S13_EUlS12_E_NS1_11comp_targetILNS1_3genE4ELNS1_11target_archE910ELNS1_3gpuE8ELNS1_3repE0EEENS1_30default_config_static_selectorELNS0_4arch9wavefront6targetE1EEEvT1_
		.amdhsa_group_segment_fixed_size 11272
		.amdhsa_private_segment_fixed_size 0
		.amdhsa_kernarg_size 128
		.amdhsa_user_sgpr_count 6
		.amdhsa_user_sgpr_private_segment_buffer 1
		.amdhsa_user_sgpr_dispatch_ptr 0
		.amdhsa_user_sgpr_queue_ptr 0
		.amdhsa_user_sgpr_kernarg_segment_ptr 1
		.amdhsa_user_sgpr_dispatch_id 0
		.amdhsa_user_sgpr_flat_scratch_init 0
		.amdhsa_user_sgpr_kernarg_preload_length 0
		.amdhsa_user_sgpr_kernarg_preload_offset 0
		.amdhsa_user_sgpr_private_segment_size 0
		.amdhsa_uses_dynamic_stack 0
		.amdhsa_system_sgpr_private_segment_wavefront_offset 0
		.amdhsa_system_sgpr_workgroup_id_x 1
		.amdhsa_system_sgpr_workgroup_id_y 0
		.amdhsa_system_sgpr_workgroup_id_z 0
		.amdhsa_system_sgpr_workgroup_info 0
		.amdhsa_system_vgpr_workitem_id 0
		.amdhsa_next_free_vgpr 98
		.amdhsa_next_free_sgpr 65
		.amdhsa_accum_offset 100
		.amdhsa_reserve_vcc 1
		.amdhsa_reserve_flat_scratch 0
		.amdhsa_float_round_mode_32 0
		.amdhsa_float_round_mode_16_64 0
		.amdhsa_float_denorm_mode_32 3
		.amdhsa_float_denorm_mode_16_64 3
		.amdhsa_dx10_clamp 1
		.amdhsa_ieee_mode 1
		.amdhsa_fp16_overflow 0
		.amdhsa_tg_split 0
		.amdhsa_exception_fp_ieee_invalid_op 0
		.amdhsa_exception_fp_denorm_src 0
		.amdhsa_exception_fp_ieee_div_zero 0
		.amdhsa_exception_fp_ieee_overflow 0
		.amdhsa_exception_fp_ieee_underflow 0
		.amdhsa_exception_fp_ieee_inexact 0
		.amdhsa_exception_int_div_zero 0
	.end_amdhsa_kernel
	.section	.text._ZN7rocprim17ROCPRIM_400000_NS6detail17trampoline_kernelINS0_14default_configENS1_25partition_config_selectorILNS1_17partition_subalgoE8EsNS0_10empty_typeEbEEZZNS1_14partition_implILS5_8ELb0ES3_jPKsPS6_PKS6_NS0_5tupleIJPsS6_EEENSE_IJSB_SB_EEENS0_18inequality_wrapperIN6hipcub16HIPCUB_304000_NS8EqualityEEEPlJS6_EEE10hipError_tPvRmT3_T4_T5_T6_T7_T9_mT8_P12ihipStream_tbDpT10_ENKUlT_T0_E_clISt17integral_constantIbLb0EES16_IbLb1EEEEDaS12_S13_EUlS12_E_NS1_11comp_targetILNS1_3genE4ELNS1_11target_archE910ELNS1_3gpuE8ELNS1_3repE0EEENS1_30default_config_static_selectorELNS0_4arch9wavefront6targetE1EEEvT1_,"axG",@progbits,_ZN7rocprim17ROCPRIM_400000_NS6detail17trampoline_kernelINS0_14default_configENS1_25partition_config_selectorILNS1_17partition_subalgoE8EsNS0_10empty_typeEbEEZZNS1_14partition_implILS5_8ELb0ES3_jPKsPS6_PKS6_NS0_5tupleIJPsS6_EEENSE_IJSB_SB_EEENS0_18inequality_wrapperIN6hipcub16HIPCUB_304000_NS8EqualityEEEPlJS6_EEE10hipError_tPvRmT3_T4_T5_T6_T7_T9_mT8_P12ihipStream_tbDpT10_ENKUlT_T0_E_clISt17integral_constantIbLb0EES16_IbLb1EEEEDaS12_S13_EUlS12_E_NS1_11comp_targetILNS1_3genE4ELNS1_11target_archE910ELNS1_3gpuE8ELNS1_3repE0EEENS1_30default_config_static_selectorELNS0_4arch9wavefront6targetE1EEEvT1_,comdat
.Lfunc_end574:
	.size	_ZN7rocprim17ROCPRIM_400000_NS6detail17trampoline_kernelINS0_14default_configENS1_25partition_config_selectorILNS1_17partition_subalgoE8EsNS0_10empty_typeEbEEZZNS1_14partition_implILS5_8ELb0ES3_jPKsPS6_PKS6_NS0_5tupleIJPsS6_EEENSE_IJSB_SB_EEENS0_18inequality_wrapperIN6hipcub16HIPCUB_304000_NS8EqualityEEEPlJS6_EEE10hipError_tPvRmT3_T4_T5_T6_T7_T9_mT8_P12ihipStream_tbDpT10_ENKUlT_T0_E_clISt17integral_constantIbLb0EES16_IbLb1EEEEDaS12_S13_EUlS12_E_NS1_11comp_targetILNS1_3genE4ELNS1_11target_archE910ELNS1_3gpuE8ELNS1_3repE0EEENS1_30default_config_static_selectorELNS0_4arch9wavefront6targetE1EEEvT1_, .Lfunc_end574-_ZN7rocprim17ROCPRIM_400000_NS6detail17trampoline_kernelINS0_14default_configENS1_25partition_config_selectorILNS1_17partition_subalgoE8EsNS0_10empty_typeEbEEZZNS1_14partition_implILS5_8ELb0ES3_jPKsPS6_PKS6_NS0_5tupleIJPsS6_EEENSE_IJSB_SB_EEENS0_18inequality_wrapperIN6hipcub16HIPCUB_304000_NS8EqualityEEEPlJS6_EEE10hipError_tPvRmT3_T4_T5_T6_T7_T9_mT8_P12ihipStream_tbDpT10_ENKUlT_T0_E_clISt17integral_constantIbLb0EES16_IbLb1EEEEDaS12_S13_EUlS12_E_NS1_11comp_targetILNS1_3genE4ELNS1_11target_archE910ELNS1_3gpuE8ELNS1_3repE0EEENS1_30default_config_static_selectorELNS0_4arch9wavefront6targetE1EEEvT1_
                                        ; -- End function
	.section	.AMDGPU.csdata,"",@progbits
; Kernel info:
; codeLenInByte = 10696
; NumSgprs: 69
; NumVgprs: 98
; NumAgprs: 0
; TotalNumVgprs: 98
; ScratchSize: 0
; MemoryBound: 0
; FloatMode: 240
; IeeeMode: 1
; LDSByteSize: 11272 bytes/workgroup (compile time only)
; SGPRBlocks: 8
; VGPRBlocks: 12
; NumSGPRsForWavesPerEU: 69
; NumVGPRsForWavesPerEU: 98
; AccumOffset: 100
; Occupancy: 4
; WaveLimiterHint : 1
; COMPUTE_PGM_RSRC2:SCRATCH_EN: 0
; COMPUTE_PGM_RSRC2:USER_SGPR: 6
; COMPUTE_PGM_RSRC2:TRAP_HANDLER: 0
; COMPUTE_PGM_RSRC2:TGID_X_EN: 1
; COMPUTE_PGM_RSRC2:TGID_Y_EN: 0
; COMPUTE_PGM_RSRC2:TGID_Z_EN: 0
; COMPUTE_PGM_RSRC2:TIDIG_COMP_CNT: 0
; COMPUTE_PGM_RSRC3_GFX90A:ACCUM_OFFSET: 24
; COMPUTE_PGM_RSRC3_GFX90A:TG_SPLIT: 0
	.section	.text._ZN7rocprim17ROCPRIM_400000_NS6detail17trampoline_kernelINS0_14default_configENS1_25partition_config_selectorILNS1_17partition_subalgoE8EsNS0_10empty_typeEbEEZZNS1_14partition_implILS5_8ELb0ES3_jPKsPS6_PKS6_NS0_5tupleIJPsS6_EEENSE_IJSB_SB_EEENS0_18inequality_wrapperIN6hipcub16HIPCUB_304000_NS8EqualityEEEPlJS6_EEE10hipError_tPvRmT3_T4_T5_T6_T7_T9_mT8_P12ihipStream_tbDpT10_ENKUlT_T0_E_clISt17integral_constantIbLb0EES16_IbLb1EEEEDaS12_S13_EUlS12_E_NS1_11comp_targetILNS1_3genE3ELNS1_11target_archE908ELNS1_3gpuE7ELNS1_3repE0EEENS1_30default_config_static_selectorELNS0_4arch9wavefront6targetE1EEEvT1_,"axG",@progbits,_ZN7rocprim17ROCPRIM_400000_NS6detail17trampoline_kernelINS0_14default_configENS1_25partition_config_selectorILNS1_17partition_subalgoE8EsNS0_10empty_typeEbEEZZNS1_14partition_implILS5_8ELb0ES3_jPKsPS6_PKS6_NS0_5tupleIJPsS6_EEENSE_IJSB_SB_EEENS0_18inequality_wrapperIN6hipcub16HIPCUB_304000_NS8EqualityEEEPlJS6_EEE10hipError_tPvRmT3_T4_T5_T6_T7_T9_mT8_P12ihipStream_tbDpT10_ENKUlT_T0_E_clISt17integral_constantIbLb0EES16_IbLb1EEEEDaS12_S13_EUlS12_E_NS1_11comp_targetILNS1_3genE3ELNS1_11target_archE908ELNS1_3gpuE7ELNS1_3repE0EEENS1_30default_config_static_selectorELNS0_4arch9wavefront6targetE1EEEvT1_,comdat
	.protected	_ZN7rocprim17ROCPRIM_400000_NS6detail17trampoline_kernelINS0_14default_configENS1_25partition_config_selectorILNS1_17partition_subalgoE8EsNS0_10empty_typeEbEEZZNS1_14partition_implILS5_8ELb0ES3_jPKsPS6_PKS6_NS0_5tupleIJPsS6_EEENSE_IJSB_SB_EEENS0_18inequality_wrapperIN6hipcub16HIPCUB_304000_NS8EqualityEEEPlJS6_EEE10hipError_tPvRmT3_T4_T5_T6_T7_T9_mT8_P12ihipStream_tbDpT10_ENKUlT_T0_E_clISt17integral_constantIbLb0EES16_IbLb1EEEEDaS12_S13_EUlS12_E_NS1_11comp_targetILNS1_3genE3ELNS1_11target_archE908ELNS1_3gpuE7ELNS1_3repE0EEENS1_30default_config_static_selectorELNS0_4arch9wavefront6targetE1EEEvT1_ ; -- Begin function _ZN7rocprim17ROCPRIM_400000_NS6detail17trampoline_kernelINS0_14default_configENS1_25partition_config_selectorILNS1_17partition_subalgoE8EsNS0_10empty_typeEbEEZZNS1_14partition_implILS5_8ELb0ES3_jPKsPS6_PKS6_NS0_5tupleIJPsS6_EEENSE_IJSB_SB_EEENS0_18inequality_wrapperIN6hipcub16HIPCUB_304000_NS8EqualityEEEPlJS6_EEE10hipError_tPvRmT3_T4_T5_T6_T7_T9_mT8_P12ihipStream_tbDpT10_ENKUlT_T0_E_clISt17integral_constantIbLb0EES16_IbLb1EEEEDaS12_S13_EUlS12_E_NS1_11comp_targetILNS1_3genE3ELNS1_11target_archE908ELNS1_3gpuE7ELNS1_3repE0EEENS1_30default_config_static_selectorELNS0_4arch9wavefront6targetE1EEEvT1_
	.globl	_ZN7rocprim17ROCPRIM_400000_NS6detail17trampoline_kernelINS0_14default_configENS1_25partition_config_selectorILNS1_17partition_subalgoE8EsNS0_10empty_typeEbEEZZNS1_14partition_implILS5_8ELb0ES3_jPKsPS6_PKS6_NS0_5tupleIJPsS6_EEENSE_IJSB_SB_EEENS0_18inequality_wrapperIN6hipcub16HIPCUB_304000_NS8EqualityEEEPlJS6_EEE10hipError_tPvRmT3_T4_T5_T6_T7_T9_mT8_P12ihipStream_tbDpT10_ENKUlT_T0_E_clISt17integral_constantIbLb0EES16_IbLb1EEEEDaS12_S13_EUlS12_E_NS1_11comp_targetILNS1_3genE3ELNS1_11target_archE908ELNS1_3gpuE7ELNS1_3repE0EEENS1_30default_config_static_selectorELNS0_4arch9wavefront6targetE1EEEvT1_
	.p2align	8
	.type	_ZN7rocprim17ROCPRIM_400000_NS6detail17trampoline_kernelINS0_14default_configENS1_25partition_config_selectorILNS1_17partition_subalgoE8EsNS0_10empty_typeEbEEZZNS1_14partition_implILS5_8ELb0ES3_jPKsPS6_PKS6_NS0_5tupleIJPsS6_EEENSE_IJSB_SB_EEENS0_18inequality_wrapperIN6hipcub16HIPCUB_304000_NS8EqualityEEEPlJS6_EEE10hipError_tPvRmT3_T4_T5_T6_T7_T9_mT8_P12ihipStream_tbDpT10_ENKUlT_T0_E_clISt17integral_constantIbLb0EES16_IbLb1EEEEDaS12_S13_EUlS12_E_NS1_11comp_targetILNS1_3genE3ELNS1_11target_archE908ELNS1_3gpuE7ELNS1_3repE0EEENS1_30default_config_static_selectorELNS0_4arch9wavefront6targetE1EEEvT1_,@function
_ZN7rocprim17ROCPRIM_400000_NS6detail17trampoline_kernelINS0_14default_configENS1_25partition_config_selectorILNS1_17partition_subalgoE8EsNS0_10empty_typeEbEEZZNS1_14partition_implILS5_8ELb0ES3_jPKsPS6_PKS6_NS0_5tupleIJPsS6_EEENSE_IJSB_SB_EEENS0_18inequality_wrapperIN6hipcub16HIPCUB_304000_NS8EqualityEEEPlJS6_EEE10hipError_tPvRmT3_T4_T5_T6_T7_T9_mT8_P12ihipStream_tbDpT10_ENKUlT_T0_E_clISt17integral_constantIbLb0EES16_IbLb1EEEEDaS12_S13_EUlS12_E_NS1_11comp_targetILNS1_3genE3ELNS1_11target_archE908ELNS1_3gpuE7ELNS1_3repE0EEENS1_30default_config_static_selectorELNS0_4arch9wavefront6targetE1EEEvT1_: ; @_ZN7rocprim17ROCPRIM_400000_NS6detail17trampoline_kernelINS0_14default_configENS1_25partition_config_selectorILNS1_17partition_subalgoE8EsNS0_10empty_typeEbEEZZNS1_14partition_implILS5_8ELb0ES3_jPKsPS6_PKS6_NS0_5tupleIJPsS6_EEENSE_IJSB_SB_EEENS0_18inequality_wrapperIN6hipcub16HIPCUB_304000_NS8EqualityEEEPlJS6_EEE10hipError_tPvRmT3_T4_T5_T6_T7_T9_mT8_P12ihipStream_tbDpT10_ENKUlT_T0_E_clISt17integral_constantIbLb0EES16_IbLb1EEEEDaS12_S13_EUlS12_E_NS1_11comp_targetILNS1_3genE3ELNS1_11target_archE908ELNS1_3gpuE7ELNS1_3repE0EEENS1_30default_config_static_selectorELNS0_4arch9wavefront6targetE1EEEvT1_
; %bb.0:
	.section	.rodata,"a",@progbits
	.p2align	6, 0x0
	.amdhsa_kernel _ZN7rocprim17ROCPRIM_400000_NS6detail17trampoline_kernelINS0_14default_configENS1_25partition_config_selectorILNS1_17partition_subalgoE8EsNS0_10empty_typeEbEEZZNS1_14partition_implILS5_8ELb0ES3_jPKsPS6_PKS6_NS0_5tupleIJPsS6_EEENSE_IJSB_SB_EEENS0_18inequality_wrapperIN6hipcub16HIPCUB_304000_NS8EqualityEEEPlJS6_EEE10hipError_tPvRmT3_T4_T5_T6_T7_T9_mT8_P12ihipStream_tbDpT10_ENKUlT_T0_E_clISt17integral_constantIbLb0EES16_IbLb1EEEEDaS12_S13_EUlS12_E_NS1_11comp_targetILNS1_3genE3ELNS1_11target_archE908ELNS1_3gpuE7ELNS1_3repE0EEENS1_30default_config_static_selectorELNS0_4arch9wavefront6targetE1EEEvT1_
		.amdhsa_group_segment_fixed_size 0
		.amdhsa_private_segment_fixed_size 0
		.amdhsa_kernarg_size 128
		.amdhsa_user_sgpr_count 6
		.amdhsa_user_sgpr_private_segment_buffer 1
		.amdhsa_user_sgpr_dispatch_ptr 0
		.amdhsa_user_sgpr_queue_ptr 0
		.amdhsa_user_sgpr_kernarg_segment_ptr 1
		.amdhsa_user_sgpr_dispatch_id 0
		.amdhsa_user_sgpr_flat_scratch_init 0
		.amdhsa_user_sgpr_kernarg_preload_length 0
		.amdhsa_user_sgpr_kernarg_preload_offset 0
		.amdhsa_user_sgpr_private_segment_size 0
		.amdhsa_uses_dynamic_stack 0
		.amdhsa_system_sgpr_private_segment_wavefront_offset 0
		.amdhsa_system_sgpr_workgroup_id_x 1
		.amdhsa_system_sgpr_workgroup_id_y 0
		.amdhsa_system_sgpr_workgroup_id_z 0
		.amdhsa_system_sgpr_workgroup_info 0
		.amdhsa_system_vgpr_workitem_id 0
		.amdhsa_next_free_vgpr 1
		.amdhsa_next_free_sgpr 0
		.amdhsa_accum_offset 4
		.amdhsa_reserve_vcc 0
		.amdhsa_reserve_flat_scratch 0
		.amdhsa_float_round_mode_32 0
		.amdhsa_float_round_mode_16_64 0
		.amdhsa_float_denorm_mode_32 3
		.amdhsa_float_denorm_mode_16_64 3
		.amdhsa_dx10_clamp 1
		.amdhsa_ieee_mode 1
		.amdhsa_fp16_overflow 0
		.amdhsa_tg_split 0
		.amdhsa_exception_fp_ieee_invalid_op 0
		.amdhsa_exception_fp_denorm_src 0
		.amdhsa_exception_fp_ieee_div_zero 0
		.amdhsa_exception_fp_ieee_overflow 0
		.amdhsa_exception_fp_ieee_underflow 0
		.amdhsa_exception_fp_ieee_inexact 0
		.amdhsa_exception_int_div_zero 0
	.end_amdhsa_kernel
	.section	.text._ZN7rocprim17ROCPRIM_400000_NS6detail17trampoline_kernelINS0_14default_configENS1_25partition_config_selectorILNS1_17partition_subalgoE8EsNS0_10empty_typeEbEEZZNS1_14partition_implILS5_8ELb0ES3_jPKsPS6_PKS6_NS0_5tupleIJPsS6_EEENSE_IJSB_SB_EEENS0_18inequality_wrapperIN6hipcub16HIPCUB_304000_NS8EqualityEEEPlJS6_EEE10hipError_tPvRmT3_T4_T5_T6_T7_T9_mT8_P12ihipStream_tbDpT10_ENKUlT_T0_E_clISt17integral_constantIbLb0EES16_IbLb1EEEEDaS12_S13_EUlS12_E_NS1_11comp_targetILNS1_3genE3ELNS1_11target_archE908ELNS1_3gpuE7ELNS1_3repE0EEENS1_30default_config_static_selectorELNS0_4arch9wavefront6targetE1EEEvT1_,"axG",@progbits,_ZN7rocprim17ROCPRIM_400000_NS6detail17trampoline_kernelINS0_14default_configENS1_25partition_config_selectorILNS1_17partition_subalgoE8EsNS0_10empty_typeEbEEZZNS1_14partition_implILS5_8ELb0ES3_jPKsPS6_PKS6_NS0_5tupleIJPsS6_EEENSE_IJSB_SB_EEENS0_18inequality_wrapperIN6hipcub16HIPCUB_304000_NS8EqualityEEEPlJS6_EEE10hipError_tPvRmT3_T4_T5_T6_T7_T9_mT8_P12ihipStream_tbDpT10_ENKUlT_T0_E_clISt17integral_constantIbLb0EES16_IbLb1EEEEDaS12_S13_EUlS12_E_NS1_11comp_targetILNS1_3genE3ELNS1_11target_archE908ELNS1_3gpuE7ELNS1_3repE0EEENS1_30default_config_static_selectorELNS0_4arch9wavefront6targetE1EEEvT1_,comdat
.Lfunc_end575:
	.size	_ZN7rocprim17ROCPRIM_400000_NS6detail17trampoline_kernelINS0_14default_configENS1_25partition_config_selectorILNS1_17partition_subalgoE8EsNS0_10empty_typeEbEEZZNS1_14partition_implILS5_8ELb0ES3_jPKsPS6_PKS6_NS0_5tupleIJPsS6_EEENSE_IJSB_SB_EEENS0_18inequality_wrapperIN6hipcub16HIPCUB_304000_NS8EqualityEEEPlJS6_EEE10hipError_tPvRmT3_T4_T5_T6_T7_T9_mT8_P12ihipStream_tbDpT10_ENKUlT_T0_E_clISt17integral_constantIbLb0EES16_IbLb1EEEEDaS12_S13_EUlS12_E_NS1_11comp_targetILNS1_3genE3ELNS1_11target_archE908ELNS1_3gpuE7ELNS1_3repE0EEENS1_30default_config_static_selectorELNS0_4arch9wavefront6targetE1EEEvT1_, .Lfunc_end575-_ZN7rocprim17ROCPRIM_400000_NS6detail17trampoline_kernelINS0_14default_configENS1_25partition_config_selectorILNS1_17partition_subalgoE8EsNS0_10empty_typeEbEEZZNS1_14partition_implILS5_8ELb0ES3_jPKsPS6_PKS6_NS0_5tupleIJPsS6_EEENSE_IJSB_SB_EEENS0_18inequality_wrapperIN6hipcub16HIPCUB_304000_NS8EqualityEEEPlJS6_EEE10hipError_tPvRmT3_T4_T5_T6_T7_T9_mT8_P12ihipStream_tbDpT10_ENKUlT_T0_E_clISt17integral_constantIbLb0EES16_IbLb1EEEEDaS12_S13_EUlS12_E_NS1_11comp_targetILNS1_3genE3ELNS1_11target_archE908ELNS1_3gpuE7ELNS1_3repE0EEENS1_30default_config_static_selectorELNS0_4arch9wavefront6targetE1EEEvT1_
                                        ; -- End function
	.section	.AMDGPU.csdata,"",@progbits
; Kernel info:
; codeLenInByte = 0
; NumSgprs: 4
; NumVgprs: 0
; NumAgprs: 0
; TotalNumVgprs: 0
; ScratchSize: 0
; MemoryBound: 0
; FloatMode: 240
; IeeeMode: 1
; LDSByteSize: 0 bytes/workgroup (compile time only)
; SGPRBlocks: 0
; VGPRBlocks: 0
; NumSGPRsForWavesPerEU: 4
; NumVGPRsForWavesPerEU: 1
; AccumOffset: 4
; Occupancy: 8
; WaveLimiterHint : 0
; COMPUTE_PGM_RSRC2:SCRATCH_EN: 0
; COMPUTE_PGM_RSRC2:USER_SGPR: 6
; COMPUTE_PGM_RSRC2:TRAP_HANDLER: 0
; COMPUTE_PGM_RSRC2:TGID_X_EN: 1
; COMPUTE_PGM_RSRC2:TGID_Y_EN: 0
; COMPUTE_PGM_RSRC2:TGID_Z_EN: 0
; COMPUTE_PGM_RSRC2:TIDIG_COMP_CNT: 0
; COMPUTE_PGM_RSRC3_GFX90A:ACCUM_OFFSET: 0
; COMPUTE_PGM_RSRC3_GFX90A:TG_SPLIT: 0
	.section	.text._ZN7rocprim17ROCPRIM_400000_NS6detail17trampoline_kernelINS0_14default_configENS1_25partition_config_selectorILNS1_17partition_subalgoE8EsNS0_10empty_typeEbEEZZNS1_14partition_implILS5_8ELb0ES3_jPKsPS6_PKS6_NS0_5tupleIJPsS6_EEENSE_IJSB_SB_EEENS0_18inequality_wrapperIN6hipcub16HIPCUB_304000_NS8EqualityEEEPlJS6_EEE10hipError_tPvRmT3_T4_T5_T6_T7_T9_mT8_P12ihipStream_tbDpT10_ENKUlT_T0_E_clISt17integral_constantIbLb0EES16_IbLb1EEEEDaS12_S13_EUlS12_E_NS1_11comp_targetILNS1_3genE2ELNS1_11target_archE906ELNS1_3gpuE6ELNS1_3repE0EEENS1_30default_config_static_selectorELNS0_4arch9wavefront6targetE1EEEvT1_,"axG",@progbits,_ZN7rocprim17ROCPRIM_400000_NS6detail17trampoline_kernelINS0_14default_configENS1_25partition_config_selectorILNS1_17partition_subalgoE8EsNS0_10empty_typeEbEEZZNS1_14partition_implILS5_8ELb0ES3_jPKsPS6_PKS6_NS0_5tupleIJPsS6_EEENSE_IJSB_SB_EEENS0_18inequality_wrapperIN6hipcub16HIPCUB_304000_NS8EqualityEEEPlJS6_EEE10hipError_tPvRmT3_T4_T5_T6_T7_T9_mT8_P12ihipStream_tbDpT10_ENKUlT_T0_E_clISt17integral_constantIbLb0EES16_IbLb1EEEEDaS12_S13_EUlS12_E_NS1_11comp_targetILNS1_3genE2ELNS1_11target_archE906ELNS1_3gpuE6ELNS1_3repE0EEENS1_30default_config_static_selectorELNS0_4arch9wavefront6targetE1EEEvT1_,comdat
	.protected	_ZN7rocprim17ROCPRIM_400000_NS6detail17trampoline_kernelINS0_14default_configENS1_25partition_config_selectorILNS1_17partition_subalgoE8EsNS0_10empty_typeEbEEZZNS1_14partition_implILS5_8ELb0ES3_jPKsPS6_PKS6_NS0_5tupleIJPsS6_EEENSE_IJSB_SB_EEENS0_18inequality_wrapperIN6hipcub16HIPCUB_304000_NS8EqualityEEEPlJS6_EEE10hipError_tPvRmT3_T4_T5_T6_T7_T9_mT8_P12ihipStream_tbDpT10_ENKUlT_T0_E_clISt17integral_constantIbLb0EES16_IbLb1EEEEDaS12_S13_EUlS12_E_NS1_11comp_targetILNS1_3genE2ELNS1_11target_archE906ELNS1_3gpuE6ELNS1_3repE0EEENS1_30default_config_static_selectorELNS0_4arch9wavefront6targetE1EEEvT1_ ; -- Begin function _ZN7rocprim17ROCPRIM_400000_NS6detail17trampoline_kernelINS0_14default_configENS1_25partition_config_selectorILNS1_17partition_subalgoE8EsNS0_10empty_typeEbEEZZNS1_14partition_implILS5_8ELb0ES3_jPKsPS6_PKS6_NS0_5tupleIJPsS6_EEENSE_IJSB_SB_EEENS0_18inequality_wrapperIN6hipcub16HIPCUB_304000_NS8EqualityEEEPlJS6_EEE10hipError_tPvRmT3_T4_T5_T6_T7_T9_mT8_P12ihipStream_tbDpT10_ENKUlT_T0_E_clISt17integral_constantIbLb0EES16_IbLb1EEEEDaS12_S13_EUlS12_E_NS1_11comp_targetILNS1_3genE2ELNS1_11target_archE906ELNS1_3gpuE6ELNS1_3repE0EEENS1_30default_config_static_selectorELNS0_4arch9wavefront6targetE1EEEvT1_
	.globl	_ZN7rocprim17ROCPRIM_400000_NS6detail17trampoline_kernelINS0_14default_configENS1_25partition_config_selectorILNS1_17partition_subalgoE8EsNS0_10empty_typeEbEEZZNS1_14partition_implILS5_8ELb0ES3_jPKsPS6_PKS6_NS0_5tupleIJPsS6_EEENSE_IJSB_SB_EEENS0_18inequality_wrapperIN6hipcub16HIPCUB_304000_NS8EqualityEEEPlJS6_EEE10hipError_tPvRmT3_T4_T5_T6_T7_T9_mT8_P12ihipStream_tbDpT10_ENKUlT_T0_E_clISt17integral_constantIbLb0EES16_IbLb1EEEEDaS12_S13_EUlS12_E_NS1_11comp_targetILNS1_3genE2ELNS1_11target_archE906ELNS1_3gpuE6ELNS1_3repE0EEENS1_30default_config_static_selectorELNS0_4arch9wavefront6targetE1EEEvT1_
	.p2align	8
	.type	_ZN7rocprim17ROCPRIM_400000_NS6detail17trampoline_kernelINS0_14default_configENS1_25partition_config_selectorILNS1_17partition_subalgoE8EsNS0_10empty_typeEbEEZZNS1_14partition_implILS5_8ELb0ES3_jPKsPS6_PKS6_NS0_5tupleIJPsS6_EEENSE_IJSB_SB_EEENS0_18inequality_wrapperIN6hipcub16HIPCUB_304000_NS8EqualityEEEPlJS6_EEE10hipError_tPvRmT3_T4_T5_T6_T7_T9_mT8_P12ihipStream_tbDpT10_ENKUlT_T0_E_clISt17integral_constantIbLb0EES16_IbLb1EEEEDaS12_S13_EUlS12_E_NS1_11comp_targetILNS1_3genE2ELNS1_11target_archE906ELNS1_3gpuE6ELNS1_3repE0EEENS1_30default_config_static_selectorELNS0_4arch9wavefront6targetE1EEEvT1_,@function
_ZN7rocprim17ROCPRIM_400000_NS6detail17trampoline_kernelINS0_14default_configENS1_25partition_config_selectorILNS1_17partition_subalgoE8EsNS0_10empty_typeEbEEZZNS1_14partition_implILS5_8ELb0ES3_jPKsPS6_PKS6_NS0_5tupleIJPsS6_EEENSE_IJSB_SB_EEENS0_18inequality_wrapperIN6hipcub16HIPCUB_304000_NS8EqualityEEEPlJS6_EEE10hipError_tPvRmT3_T4_T5_T6_T7_T9_mT8_P12ihipStream_tbDpT10_ENKUlT_T0_E_clISt17integral_constantIbLb0EES16_IbLb1EEEEDaS12_S13_EUlS12_E_NS1_11comp_targetILNS1_3genE2ELNS1_11target_archE906ELNS1_3gpuE6ELNS1_3repE0EEENS1_30default_config_static_selectorELNS0_4arch9wavefront6targetE1EEEvT1_: ; @_ZN7rocprim17ROCPRIM_400000_NS6detail17trampoline_kernelINS0_14default_configENS1_25partition_config_selectorILNS1_17partition_subalgoE8EsNS0_10empty_typeEbEEZZNS1_14partition_implILS5_8ELb0ES3_jPKsPS6_PKS6_NS0_5tupleIJPsS6_EEENSE_IJSB_SB_EEENS0_18inequality_wrapperIN6hipcub16HIPCUB_304000_NS8EqualityEEEPlJS6_EEE10hipError_tPvRmT3_T4_T5_T6_T7_T9_mT8_P12ihipStream_tbDpT10_ENKUlT_T0_E_clISt17integral_constantIbLb0EES16_IbLb1EEEEDaS12_S13_EUlS12_E_NS1_11comp_targetILNS1_3genE2ELNS1_11target_archE906ELNS1_3gpuE6ELNS1_3repE0EEENS1_30default_config_static_selectorELNS0_4arch9wavefront6targetE1EEEvT1_
; %bb.0:
	.section	.rodata,"a",@progbits
	.p2align	6, 0x0
	.amdhsa_kernel _ZN7rocprim17ROCPRIM_400000_NS6detail17trampoline_kernelINS0_14default_configENS1_25partition_config_selectorILNS1_17partition_subalgoE8EsNS0_10empty_typeEbEEZZNS1_14partition_implILS5_8ELb0ES3_jPKsPS6_PKS6_NS0_5tupleIJPsS6_EEENSE_IJSB_SB_EEENS0_18inequality_wrapperIN6hipcub16HIPCUB_304000_NS8EqualityEEEPlJS6_EEE10hipError_tPvRmT3_T4_T5_T6_T7_T9_mT8_P12ihipStream_tbDpT10_ENKUlT_T0_E_clISt17integral_constantIbLb0EES16_IbLb1EEEEDaS12_S13_EUlS12_E_NS1_11comp_targetILNS1_3genE2ELNS1_11target_archE906ELNS1_3gpuE6ELNS1_3repE0EEENS1_30default_config_static_selectorELNS0_4arch9wavefront6targetE1EEEvT1_
		.amdhsa_group_segment_fixed_size 0
		.amdhsa_private_segment_fixed_size 0
		.amdhsa_kernarg_size 128
		.amdhsa_user_sgpr_count 6
		.amdhsa_user_sgpr_private_segment_buffer 1
		.amdhsa_user_sgpr_dispatch_ptr 0
		.amdhsa_user_sgpr_queue_ptr 0
		.amdhsa_user_sgpr_kernarg_segment_ptr 1
		.amdhsa_user_sgpr_dispatch_id 0
		.amdhsa_user_sgpr_flat_scratch_init 0
		.amdhsa_user_sgpr_kernarg_preload_length 0
		.amdhsa_user_sgpr_kernarg_preload_offset 0
		.amdhsa_user_sgpr_private_segment_size 0
		.amdhsa_uses_dynamic_stack 0
		.amdhsa_system_sgpr_private_segment_wavefront_offset 0
		.amdhsa_system_sgpr_workgroup_id_x 1
		.amdhsa_system_sgpr_workgroup_id_y 0
		.amdhsa_system_sgpr_workgroup_id_z 0
		.amdhsa_system_sgpr_workgroup_info 0
		.amdhsa_system_vgpr_workitem_id 0
		.amdhsa_next_free_vgpr 1
		.amdhsa_next_free_sgpr 0
		.amdhsa_accum_offset 4
		.amdhsa_reserve_vcc 0
		.amdhsa_reserve_flat_scratch 0
		.amdhsa_float_round_mode_32 0
		.amdhsa_float_round_mode_16_64 0
		.amdhsa_float_denorm_mode_32 3
		.amdhsa_float_denorm_mode_16_64 3
		.amdhsa_dx10_clamp 1
		.amdhsa_ieee_mode 1
		.amdhsa_fp16_overflow 0
		.amdhsa_tg_split 0
		.amdhsa_exception_fp_ieee_invalid_op 0
		.amdhsa_exception_fp_denorm_src 0
		.amdhsa_exception_fp_ieee_div_zero 0
		.amdhsa_exception_fp_ieee_overflow 0
		.amdhsa_exception_fp_ieee_underflow 0
		.amdhsa_exception_fp_ieee_inexact 0
		.amdhsa_exception_int_div_zero 0
	.end_amdhsa_kernel
	.section	.text._ZN7rocprim17ROCPRIM_400000_NS6detail17trampoline_kernelINS0_14default_configENS1_25partition_config_selectorILNS1_17partition_subalgoE8EsNS0_10empty_typeEbEEZZNS1_14partition_implILS5_8ELb0ES3_jPKsPS6_PKS6_NS0_5tupleIJPsS6_EEENSE_IJSB_SB_EEENS0_18inequality_wrapperIN6hipcub16HIPCUB_304000_NS8EqualityEEEPlJS6_EEE10hipError_tPvRmT3_T4_T5_T6_T7_T9_mT8_P12ihipStream_tbDpT10_ENKUlT_T0_E_clISt17integral_constantIbLb0EES16_IbLb1EEEEDaS12_S13_EUlS12_E_NS1_11comp_targetILNS1_3genE2ELNS1_11target_archE906ELNS1_3gpuE6ELNS1_3repE0EEENS1_30default_config_static_selectorELNS0_4arch9wavefront6targetE1EEEvT1_,"axG",@progbits,_ZN7rocprim17ROCPRIM_400000_NS6detail17trampoline_kernelINS0_14default_configENS1_25partition_config_selectorILNS1_17partition_subalgoE8EsNS0_10empty_typeEbEEZZNS1_14partition_implILS5_8ELb0ES3_jPKsPS6_PKS6_NS0_5tupleIJPsS6_EEENSE_IJSB_SB_EEENS0_18inequality_wrapperIN6hipcub16HIPCUB_304000_NS8EqualityEEEPlJS6_EEE10hipError_tPvRmT3_T4_T5_T6_T7_T9_mT8_P12ihipStream_tbDpT10_ENKUlT_T0_E_clISt17integral_constantIbLb0EES16_IbLb1EEEEDaS12_S13_EUlS12_E_NS1_11comp_targetILNS1_3genE2ELNS1_11target_archE906ELNS1_3gpuE6ELNS1_3repE0EEENS1_30default_config_static_selectorELNS0_4arch9wavefront6targetE1EEEvT1_,comdat
.Lfunc_end576:
	.size	_ZN7rocprim17ROCPRIM_400000_NS6detail17trampoline_kernelINS0_14default_configENS1_25partition_config_selectorILNS1_17partition_subalgoE8EsNS0_10empty_typeEbEEZZNS1_14partition_implILS5_8ELb0ES3_jPKsPS6_PKS6_NS0_5tupleIJPsS6_EEENSE_IJSB_SB_EEENS0_18inequality_wrapperIN6hipcub16HIPCUB_304000_NS8EqualityEEEPlJS6_EEE10hipError_tPvRmT3_T4_T5_T6_T7_T9_mT8_P12ihipStream_tbDpT10_ENKUlT_T0_E_clISt17integral_constantIbLb0EES16_IbLb1EEEEDaS12_S13_EUlS12_E_NS1_11comp_targetILNS1_3genE2ELNS1_11target_archE906ELNS1_3gpuE6ELNS1_3repE0EEENS1_30default_config_static_selectorELNS0_4arch9wavefront6targetE1EEEvT1_, .Lfunc_end576-_ZN7rocprim17ROCPRIM_400000_NS6detail17trampoline_kernelINS0_14default_configENS1_25partition_config_selectorILNS1_17partition_subalgoE8EsNS0_10empty_typeEbEEZZNS1_14partition_implILS5_8ELb0ES3_jPKsPS6_PKS6_NS0_5tupleIJPsS6_EEENSE_IJSB_SB_EEENS0_18inequality_wrapperIN6hipcub16HIPCUB_304000_NS8EqualityEEEPlJS6_EEE10hipError_tPvRmT3_T4_T5_T6_T7_T9_mT8_P12ihipStream_tbDpT10_ENKUlT_T0_E_clISt17integral_constantIbLb0EES16_IbLb1EEEEDaS12_S13_EUlS12_E_NS1_11comp_targetILNS1_3genE2ELNS1_11target_archE906ELNS1_3gpuE6ELNS1_3repE0EEENS1_30default_config_static_selectorELNS0_4arch9wavefront6targetE1EEEvT1_
                                        ; -- End function
	.section	.AMDGPU.csdata,"",@progbits
; Kernel info:
; codeLenInByte = 0
; NumSgprs: 4
; NumVgprs: 0
; NumAgprs: 0
; TotalNumVgprs: 0
; ScratchSize: 0
; MemoryBound: 0
; FloatMode: 240
; IeeeMode: 1
; LDSByteSize: 0 bytes/workgroup (compile time only)
; SGPRBlocks: 0
; VGPRBlocks: 0
; NumSGPRsForWavesPerEU: 4
; NumVGPRsForWavesPerEU: 1
; AccumOffset: 4
; Occupancy: 8
; WaveLimiterHint : 0
; COMPUTE_PGM_RSRC2:SCRATCH_EN: 0
; COMPUTE_PGM_RSRC2:USER_SGPR: 6
; COMPUTE_PGM_RSRC2:TRAP_HANDLER: 0
; COMPUTE_PGM_RSRC2:TGID_X_EN: 1
; COMPUTE_PGM_RSRC2:TGID_Y_EN: 0
; COMPUTE_PGM_RSRC2:TGID_Z_EN: 0
; COMPUTE_PGM_RSRC2:TIDIG_COMP_CNT: 0
; COMPUTE_PGM_RSRC3_GFX90A:ACCUM_OFFSET: 0
; COMPUTE_PGM_RSRC3_GFX90A:TG_SPLIT: 0
	.section	.text._ZN7rocprim17ROCPRIM_400000_NS6detail17trampoline_kernelINS0_14default_configENS1_25partition_config_selectorILNS1_17partition_subalgoE8EsNS0_10empty_typeEbEEZZNS1_14partition_implILS5_8ELb0ES3_jPKsPS6_PKS6_NS0_5tupleIJPsS6_EEENSE_IJSB_SB_EEENS0_18inequality_wrapperIN6hipcub16HIPCUB_304000_NS8EqualityEEEPlJS6_EEE10hipError_tPvRmT3_T4_T5_T6_T7_T9_mT8_P12ihipStream_tbDpT10_ENKUlT_T0_E_clISt17integral_constantIbLb0EES16_IbLb1EEEEDaS12_S13_EUlS12_E_NS1_11comp_targetILNS1_3genE10ELNS1_11target_archE1200ELNS1_3gpuE4ELNS1_3repE0EEENS1_30default_config_static_selectorELNS0_4arch9wavefront6targetE1EEEvT1_,"axG",@progbits,_ZN7rocprim17ROCPRIM_400000_NS6detail17trampoline_kernelINS0_14default_configENS1_25partition_config_selectorILNS1_17partition_subalgoE8EsNS0_10empty_typeEbEEZZNS1_14partition_implILS5_8ELb0ES3_jPKsPS6_PKS6_NS0_5tupleIJPsS6_EEENSE_IJSB_SB_EEENS0_18inequality_wrapperIN6hipcub16HIPCUB_304000_NS8EqualityEEEPlJS6_EEE10hipError_tPvRmT3_T4_T5_T6_T7_T9_mT8_P12ihipStream_tbDpT10_ENKUlT_T0_E_clISt17integral_constantIbLb0EES16_IbLb1EEEEDaS12_S13_EUlS12_E_NS1_11comp_targetILNS1_3genE10ELNS1_11target_archE1200ELNS1_3gpuE4ELNS1_3repE0EEENS1_30default_config_static_selectorELNS0_4arch9wavefront6targetE1EEEvT1_,comdat
	.protected	_ZN7rocprim17ROCPRIM_400000_NS6detail17trampoline_kernelINS0_14default_configENS1_25partition_config_selectorILNS1_17partition_subalgoE8EsNS0_10empty_typeEbEEZZNS1_14partition_implILS5_8ELb0ES3_jPKsPS6_PKS6_NS0_5tupleIJPsS6_EEENSE_IJSB_SB_EEENS0_18inequality_wrapperIN6hipcub16HIPCUB_304000_NS8EqualityEEEPlJS6_EEE10hipError_tPvRmT3_T4_T5_T6_T7_T9_mT8_P12ihipStream_tbDpT10_ENKUlT_T0_E_clISt17integral_constantIbLb0EES16_IbLb1EEEEDaS12_S13_EUlS12_E_NS1_11comp_targetILNS1_3genE10ELNS1_11target_archE1200ELNS1_3gpuE4ELNS1_3repE0EEENS1_30default_config_static_selectorELNS0_4arch9wavefront6targetE1EEEvT1_ ; -- Begin function _ZN7rocprim17ROCPRIM_400000_NS6detail17trampoline_kernelINS0_14default_configENS1_25partition_config_selectorILNS1_17partition_subalgoE8EsNS0_10empty_typeEbEEZZNS1_14partition_implILS5_8ELb0ES3_jPKsPS6_PKS6_NS0_5tupleIJPsS6_EEENSE_IJSB_SB_EEENS0_18inequality_wrapperIN6hipcub16HIPCUB_304000_NS8EqualityEEEPlJS6_EEE10hipError_tPvRmT3_T4_T5_T6_T7_T9_mT8_P12ihipStream_tbDpT10_ENKUlT_T0_E_clISt17integral_constantIbLb0EES16_IbLb1EEEEDaS12_S13_EUlS12_E_NS1_11comp_targetILNS1_3genE10ELNS1_11target_archE1200ELNS1_3gpuE4ELNS1_3repE0EEENS1_30default_config_static_selectorELNS0_4arch9wavefront6targetE1EEEvT1_
	.globl	_ZN7rocprim17ROCPRIM_400000_NS6detail17trampoline_kernelINS0_14default_configENS1_25partition_config_selectorILNS1_17partition_subalgoE8EsNS0_10empty_typeEbEEZZNS1_14partition_implILS5_8ELb0ES3_jPKsPS6_PKS6_NS0_5tupleIJPsS6_EEENSE_IJSB_SB_EEENS0_18inequality_wrapperIN6hipcub16HIPCUB_304000_NS8EqualityEEEPlJS6_EEE10hipError_tPvRmT3_T4_T5_T6_T7_T9_mT8_P12ihipStream_tbDpT10_ENKUlT_T0_E_clISt17integral_constantIbLb0EES16_IbLb1EEEEDaS12_S13_EUlS12_E_NS1_11comp_targetILNS1_3genE10ELNS1_11target_archE1200ELNS1_3gpuE4ELNS1_3repE0EEENS1_30default_config_static_selectorELNS0_4arch9wavefront6targetE1EEEvT1_
	.p2align	8
	.type	_ZN7rocprim17ROCPRIM_400000_NS6detail17trampoline_kernelINS0_14default_configENS1_25partition_config_selectorILNS1_17partition_subalgoE8EsNS0_10empty_typeEbEEZZNS1_14partition_implILS5_8ELb0ES3_jPKsPS6_PKS6_NS0_5tupleIJPsS6_EEENSE_IJSB_SB_EEENS0_18inequality_wrapperIN6hipcub16HIPCUB_304000_NS8EqualityEEEPlJS6_EEE10hipError_tPvRmT3_T4_T5_T6_T7_T9_mT8_P12ihipStream_tbDpT10_ENKUlT_T0_E_clISt17integral_constantIbLb0EES16_IbLb1EEEEDaS12_S13_EUlS12_E_NS1_11comp_targetILNS1_3genE10ELNS1_11target_archE1200ELNS1_3gpuE4ELNS1_3repE0EEENS1_30default_config_static_selectorELNS0_4arch9wavefront6targetE1EEEvT1_,@function
_ZN7rocprim17ROCPRIM_400000_NS6detail17trampoline_kernelINS0_14default_configENS1_25partition_config_selectorILNS1_17partition_subalgoE8EsNS0_10empty_typeEbEEZZNS1_14partition_implILS5_8ELb0ES3_jPKsPS6_PKS6_NS0_5tupleIJPsS6_EEENSE_IJSB_SB_EEENS0_18inequality_wrapperIN6hipcub16HIPCUB_304000_NS8EqualityEEEPlJS6_EEE10hipError_tPvRmT3_T4_T5_T6_T7_T9_mT8_P12ihipStream_tbDpT10_ENKUlT_T0_E_clISt17integral_constantIbLb0EES16_IbLb1EEEEDaS12_S13_EUlS12_E_NS1_11comp_targetILNS1_3genE10ELNS1_11target_archE1200ELNS1_3gpuE4ELNS1_3repE0EEENS1_30default_config_static_selectorELNS0_4arch9wavefront6targetE1EEEvT1_: ; @_ZN7rocprim17ROCPRIM_400000_NS6detail17trampoline_kernelINS0_14default_configENS1_25partition_config_selectorILNS1_17partition_subalgoE8EsNS0_10empty_typeEbEEZZNS1_14partition_implILS5_8ELb0ES3_jPKsPS6_PKS6_NS0_5tupleIJPsS6_EEENSE_IJSB_SB_EEENS0_18inequality_wrapperIN6hipcub16HIPCUB_304000_NS8EqualityEEEPlJS6_EEE10hipError_tPvRmT3_T4_T5_T6_T7_T9_mT8_P12ihipStream_tbDpT10_ENKUlT_T0_E_clISt17integral_constantIbLb0EES16_IbLb1EEEEDaS12_S13_EUlS12_E_NS1_11comp_targetILNS1_3genE10ELNS1_11target_archE1200ELNS1_3gpuE4ELNS1_3repE0EEENS1_30default_config_static_selectorELNS0_4arch9wavefront6targetE1EEEvT1_
; %bb.0:
	.section	.rodata,"a",@progbits
	.p2align	6, 0x0
	.amdhsa_kernel _ZN7rocprim17ROCPRIM_400000_NS6detail17trampoline_kernelINS0_14default_configENS1_25partition_config_selectorILNS1_17partition_subalgoE8EsNS0_10empty_typeEbEEZZNS1_14partition_implILS5_8ELb0ES3_jPKsPS6_PKS6_NS0_5tupleIJPsS6_EEENSE_IJSB_SB_EEENS0_18inequality_wrapperIN6hipcub16HIPCUB_304000_NS8EqualityEEEPlJS6_EEE10hipError_tPvRmT3_T4_T5_T6_T7_T9_mT8_P12ihipStream_tbDpT10_ENKUlT_T0_E_clISt17integral_constantIbLb0EES16_IbLb1EEEEDaS12_S13_EUlS12_E_NS1_11comp_targetILNS1_3genE10ELNS1_11target_archE1200ELNS1_3gpuE4ELNS1_3repE0EEENS1_30default_config_static_selectorELNS0_4arch9wavefront6targetE1EEEvT1_
		.amdhsa_group_segment_fixed_size 0
		.amdhsa_private_segment_fixed_size 0
		.amdhsa_kernarg_size 128
		.amdhsa_user_sgpr_count 6
		.amdhsa_user_sgpr_private_segment_buffer 1
		.amdhsa_user_sgpr_dispatch_ptr 0
		.amdhsa_user_sgpr_queue_ptr 0
		.amdhsa_user_sgpr_kernarg_segment_ptr 1
		.amdhsa_user_sgpr_dispatch_id 0
		.amdhsa_user_sgpr_flat_scratch_init 0
		.amdhsa_user_sgpr_kernarg_preload_length 0
		.amdhsa_user_sgpr_kernarg_preload_offset 0
		.amdhsa_user_sgpr_private_segment_size 0
		.amdhsa_uses_dynamic_stack 0
		.amdhsa_system_sgpr_private_segment_wavefront_offset 0
		.amdhsa_system_sgpr_workgroup_id_x 1
		.amdhsa_system_sgpr_workgroup_id_y 0
		.amdhsa_system_sgpr_workgroup_id_z 0
		.amdhsa_system_sgpr_workgroup_info 0
		.amdhsa_system_vgpr_workitem_id 0
		.amdhsa_next_free_vgpr 1
		.amdhsa_next_free_sgpr 0
		.amdhsa_accum_offset 4
		.amdhsa_reserve_vcc 0
		.amdhsa_reserve_flat_scratch 0
		.amdhsa_float_round_mode_32 0
		.amdhsa_float_round_mode_16_64 0
		.amdhsa_float_denorm_mode_32 3
		.amdhsa_float_denorm_mode_16_64 3
		.amdhsa_dx10_clamp 1
		.amdhsa_ieee_mode 1
		.amdhsa_fp16_overflow 0
		.amdhsa_tg_split 0
		.amdhsa_exception_fp_ieee_invalid_op 0
		.amdhsa_exception_fp_denorm_src 0
		.amdhsa_exception_fp_ieee_div_zero 0
		.amdhsa_exception_fp_ieee_overflow 0
		.amdhsa_exception_fp_ieee_underflow 0
		.amdhsa_exception_fp_ieee_inexact 0
		.amdhsa_exception_int_div_zero 0
	.end_amdhsa_kernel
	.section	.text._ZN7rocprim17ROCPRIM_400000_NS6detail17trampoline_kernelINS0_14default_configENS1_25partition_config_selectorILNS1_17partition_subalgoE8EsNS0_10empty_typeEbEEZZNS1_14partition_implILS5_8ELb0ES3_jPKsPS6_PKS6_NS0_5tupleIJPsS6_EEENSE_IJSB_SB_EEENS0_18inequality_wrapperIN6hipcub16HIPCUB_304000_NS8EqualityEEEPlJS6_EEE10hipError_tPvRmT3_T4_T5_T6_T7_T9_mT8_P12ihipStream_tbDpT10_ENKUlT_T0_E_clISt17integral_constantIbLb0EES16_IbLb1EEEEDaS12_S13_EUlS12_E_NS1_11comp_targetILNS1_3genE10ELNS1_11target_archE1200ELNS1_3gpuE4ELNS1_3repE0EEENS1_30default_config_static_selectorELNS0_4arch9wavefront6targetE1EEEvT1_,"axG",@progbits,_ZN7rocprim17ROCPRIM_400000_NS6detail17trampoline_kernelINS0_14default_configENS1_25partition_config_selectorILNS1_17partition_subalgoE8EsNS0_10empty_typeEbEEZZNS1_14partition_implILS5_8ELb0ES3_jPKsPS6_PKS6_NS0_5tupleIJPsS6_EEENSE_IJSB_SB_EEENS0_18inequality_wrapperIN6hipcub16HIPCUB_304000_NS8EqualityEEEPlJS6_EEE10hipError_tPvRmT3_T4_T5_T6_T7_T9_mT8_P12ihipStream_tbDpT10_ENKUlT_T0_E_clISt17integral_constantIbLb0EES16_IbLb1EEEEDaS12_S13_EUlS12_E_NS1_11comp_targetILNS1_3genE10ELNS1_11target_archE1200ELNS1_3gpuE4ELNS1_3repE0EEENS1_30default_config_static_selectorELNS0_4arch9wavefront6targetE1EEEvT1_,comdat
.Lfunc_end577:
	.size	_ZN7rocprim17ROCPRIM_400000_NS6detail17trampoline_kernelINS0_14default_configENS1_25partition_config_selectorILNS1_17partition_subalgoE8EsNS0_10empty_typeEbEEZZNS1_14partition_implILS5_8ELb0ES3_jPKsPS6_PKS6_NS0_5tupleIJPsS6_EEENSE_IJSB_SB_EEENS0_18inequality_wrapperIN6hipcub16HIPCUB_304000_NS8EqualityEEEPlJS6_EEE10hipError_tPvRmT3_T4_T5_T6_T7_T9_mT8_P12ihipStream_tbDpT10_ENKUlT_T0_E_clISt17integral_constantIbLb0EES16_IbLb1EEEEDaS12_S13_EUlS12_E_NS1_11comp_targetILNS1_3genE10ELNS1_11target_archE1200ELNS1_3gpuE4ELNS1_3repE0EEENS1_30default_config_static_selectorELNS0_4arch9wavefront6targetE1EEEvT1_, .Lfunc_end577-_ZN7rocprim17ROCPRIM_400000_NS6detail17trampoline_kernelINS0_14default_configENS1_25partition_config_selectorILNS1_17partition_subalgoE8EsNS0_10empty_typeEbEEZZNS1_14partition_implILS5_8ELb0ES3_jPKsPS6_PKS6_NS0_5tupleIJPsS6_EEENSE_IJSB_SB_EEENS0_18inequality_wrapperIN6hipcub16HIPCUB_304000_NS8EqualityEEEPlJS6_EEE10hipError_tPvRmT3_T4_T5_T6_T7_T9_mT8_P12ihipStream_tbDpT10_ENKUlT_T0_E_clISt17integral_constantIbLb0EES16_IbLb1EEEEDaS12_S13_EUlS12_E_NS1_11comp_targetILNS1_3genE10ELNS1_11target_archE1200ELNS1_3gpuE4ELNS1_3repE0EEENS1_30default_config_static_selectorELNS0_4arch9wavefront6targetE1EEEvT1_
                                        ; -- End function
	.section	.AMDGPU.csdata,"",@progbits
; Kernel info:
; codeLenInByte = 0
; NumSgprs: 4
; NumVgprs: 0
; NumAgprs: 0
; TotalNumVgprs: 0
; ScratchSize: 0
; MemoryBound: 0
; FloatMode: 240
; IeeeMode: 1
; LDSByteSize: 0 bytes/workgroup (compile time only)
; SGPRBlocks: 0
; VGPRBlocks: 0
; NumSGPRsForWavesPerEU: 4
; NumVGPRsForWavesPerEU: 1
; AccumOffset: 4
; Occupancy: 8
; WaveLimiterHint : 0
; COMPUTE_PGM_RSRC2:SCRATCH_EN: 0
; COMPUTE_PGM_RSRC2:USER_SGPR: 6
; COMPUTE_PGM_RSRC2:TRAP_HANDLER: 0
; COMPUTE_PGM_RSRC2:TGID_X_EN: 1
; COMPUTE_PGM_RSRC2:TGID_Y_EN: 0
; COMPUTE_PGM_RSRC2:TGID_Z_EN: 0
; COMPUTE_PGM_RSRC2:TIDIG_COMP_CNT: 0
; COMPUTE_PGM_RSRC3_GFX90A:ACCUM_OFFSET: 0
; COMPUTE_PGM_RSRC3_GFX90A:TG_SPLIT: 0
	.section	.text._ZN7rocprim17ROCPRIM_400000_NS6detail17trampoline_kernelINS0_14default_configENS1_25partition_config_selectorILNS1_17partition_subalgoE8EsNS0_10empty_typeEbEEZZNS1_14partition_implILS5_8ELb0ES3_jPKsPS6_PKS6_NS0_5tupleIJPsS6_EEENSE_IJSB_SB_EEENS0_18inequality_wrapperIN6hipcub16HIPCUB_304000_NS8EqualityEEEPlJS6_EEE10hipError_tPvRmT3_T4_T5_T6_T7_T9_mT8_P12ihipStream_tbDpT10_ENKUlT_T0_E_clISt17integral_constantIbLb0EES16_IbLb1EEEEDaS12_S13_EUlS12_E_NS1_11comp_targetILNS1_3genE9ELNS1_11target_archE1100ELNS1_3gpuE3ELNS1_3repE0EEENS1_30default_config_static_selectorELNS0_4arch9wavefront6targetE1EEEvT1_,"axG",@progbits,_ZN7rocprim17ROCPRIM_400000_NS6detail17trampoline_kernelINS0_14default_configENS1_25partition_config_selectorILNS1_17partition_subalgoE8EsNS0_10empty_typeEbEEZZNS1_14partition_implILS5_8ELb0ES3_jPKsPS6_PKS6_NS0_5tupleIJPsS6_EEENSE_IJSB_SB_EEENS0_18inequality_wrapperIN6hipcub16HIPCUB_304000_NS8EqualityEEEPlJS6_EEE10hipError_tPvRmT3_T4_T5_T6_T7_T9_mT8_P12ihipStream_tbDpT10_ENKUlT_T0_E_clISt17integral_constantIbLb0EES16_IbLb1EEEEDaS12_S13_EUlS12_E_NS1_11comp_targetILNS1_3genE9ELNS1_11target_archE1100ELNS1_3gpuE3ELNS1_3repE0EEENS1_30default_config_static_selectorELNS0_4arch9wavefront6targetE1EEEvT1_,comdat
	.protected	_ZN7rocprim17ROCPRIM_400000_NS6detail17trampoline_kernelINS0_14default_configENS1_25partition_config_selectorILNS1_17partition_subalgoE8EsNS0_10empty_typeEbEEZZNS1_14partition_implILS5_8ELb0ES3_jPKsPS6_PKS6_NS0_5tupleIJPsS6_EEENSE_IJSB_SB_EEENS0_18inequality_wrapperIN6hipcub16HIPCUB_304000_NS8EqualityEEEPlJS6_EEE10hipError_tPvRmT3_T4_T5_T6_T7_T9_mT8_P12ihipStream_tbDpT10_ENKUlT_T0_E_clISt17integral_constantIbLb0EES16_IbLb1EEEEDaS12_S13_EUlS12_E_NS1_11comp_targetILNS1_3genE9ELNS1_11target_archE1100ELNS1_3gpuE3ELNS1_3repE0EEENS1_30default_config_static_selectorELNS0_4arch9wavefront6targetE1EEEvT1_ ; -- Begin function _ZN7rocprim17ROCPRIM_400000_NS6detail17trampoline_kernelINS0_14default_configENS1_25partition_config_selectorILNS1_17partition_subalgoE8EsNS0_10empty_typeEbEEZZNS1_14partition_implILS5_8ELb0ES3_jPKsPS6_PKS6_NS0_5tupleIJPsS6_EEENSE_IJSB_SB_EEENS0_18inequality_wrapperIN6hipcub16HIPCUB_304000_NS8EqualityEEEPlJS6_EEE10hipError_tPvRmT3_T4_T5_T6_T7_T9_mT8_P12ihipStream_tbDpT10_ENKUlT_T0_E_clISt17integral_constantIbLb0EES16_IbLb1EEEEDaS12_S13_EUlS12_E_NS1_11comp_targetILNS1_3genE9ELNS1_11target_archE1100ELNS1_3gpuE3ELNS1_3repE0EEENS1_30default_config_static_selectorELNS0_4arch9wavefront6targetE1EEEvT1_
	.globl	_ZN7rocprim17ROCPRIM_400000_NS6detail17trampoline_kernelINS0_14default_configENS1_25partition_config_selectorILNS1_17partition_subalgoE8EsNS0_10empty_typeEbEEZZNS1_14partition_implILS5_8ELb0ES3_jPKsPS6_PKS6_NS0_5tupleIJPsS6_EEENSE_IJSB_SB_EEENS0_18inequality_wrapperIN6hipcub16HIPCUB_304000_NS8EqualityEEEPlJS6_EEE10hipError_tPvRmT3_T4_T5_T6_T7_T9_mT8_P12ihipStream_tbDpT10_ENKUlT_T0_E_clISt17integral_constantIbLb0EES16_IbLb1EEEEDaS12_S13_EUlS12_E_NS1_11comp_targetILNS1_3genE9ELNS1_11target_archE1100ELNS1_3gpuE3ELNS1_3repE0EEENS1_30default_config_static_selectorELNS0_4arch9wavefront6targetE1EEEvT1_
	.p2align	8
	.type	_ZN7rocprim17ROCPRIM_400000_NS6detail17trampoline_kernelINS0_14default_configENS1_25partition_config_selectorILNS1_17partition_subalgoE8EsNS0_10empty_typeEbEEZZNS1_14partition_implILS5_8ELb0ES3_jPKsPS6_PKS6_NS0_5tupleIJPsS6_EEENSE_IJSB_SB_EEENS0_18inequality_wrapperIN6hipcub16HIPCUB_304000_NS8EqualityEEEPlJS6_EEE10hipError_tPvRmT3_T4_T5_T6_T7_T9_mT8_P12ihipStream_tbDpT10_ENKUlT_T0_E_clISt17integral_constantIbLb0EES16_IbLb1EEEEDaS12_S13_EUlS12_E_NS1_11comp_targetILNS1_3genE9ELNS1_11target_archE1100ELNS1_3gpuE3ELNS1_3repE0EEENS1_30default_config_static_selectorELNS0_4arch9wavefront6targetE1EEEvT1_,@function
_ZN7rocprim17ROCPRIM_400000_NS6detail17trampoline_kernelINS0_14default_configENS1_25partition_config_selectorILNS1_17partition_subalgoE8EsNS0_10empty_typeEbEEZZNS1_14partition_implILS5_8ELb0ES3_jPKsPS6_PKS6_NS0_5tupleIJPsS6_EEENSE_IJSB_SB_EEENS0_18inequality_wrapperIN6hipcub16HIPCUB_304000_NS8EqualityEEEPlJS6_EEE10hipError_tPvRmT3_T4_T5_T6_T7_T9_mT8_P12ihipStream_tbDpT10_ENKUlT_T0_E_clISt17integral_constantIbLb0EES16_IbLb1EEEEDaS12_S13_EUlS12_E_NS1_11comp_targetILNS1_3genE9ELNS1_11target_archE1100ELNS1_3gpuE3ELNS1_3repE0EEENS1_30default_config_static_selectorELNS0_4arch9wavefront6targetE1EEEvT1_: ; @_ZN7rocprim17ROCPRIM_400000_NS6detail17trampoline_kernelINS0_14default_configENS1_25partition_config_selectorILNS1_17partition_subalgoE8EsNS0_10empty_typeEbEEZZNS1_14partition_implILS5_8ELb0ES3_jPKsPS6_PKS6_NS0_5tupleIJPsS6_EEENSE_IJSB_SB_EEENS0_18inequality_wrapperIN6hipcub16HIPCUB_304000_NS8EqualityEEEPlJS6_EEE10hipError_tPvRmT3_T4_T5_T6_T7_T9_mT8_P12ihipStream_tbDpT10_ENKUlT_T0_E_clISt17integral_constantIbLb0EES16_IbLb1EEEEDaS12_S13_EUlS12_E_NS1_11comp_targetILNS1_3genE9ELNS1_11target_archE1100ELNS1_3gpuE3ELNS1_3repE0EEENS1_30default_config_static_selectorELNS0_4arch9wavefront6targetE1EEEvT1_
; %bb.0:
	.section	.rodata,"a",@progbits
	.p2align	6, 0x0
	.amdhsa_kernel _ZN7rocprim17ROCPRIM_400000_NS6detail17trampoline_kernelINS0_14default_configENS1_25partition_config_selectorILNS1_17partition_subalgoE8EsNS0_10empty_typeEbEEZZNS1_14partition_implILS5_8ELb0ES3_jPKsPS6_PKS6_NS0_5tupleIJPsS6_EEENSE_IJSB_SB_EEENS0_18inequality_wrapperIN6hipcub16HIPCUB_304000_NS8EqualityEEEPlJS6_EEE10hipError_tPvRmT3_T4_T5_T6_T7_T9_mT8_P12ihipStream_tbDpT10_ENKUlT_T0_E_clISt17integral_constantIbLb0EES16_IbLb1EEEEDaS12_S13_EUlS12_E_NS1_11comp_targetILNS1_3genE9ELNS1_11target_archE1100ELNS1_3gpuE3ELNS1_3repE0EEENS1_30default_config_static_selectorELNS0_4arch9wavefront6targetE1EEEvT1_
		.amdhsa_group_segment_fixed_size 0
		.amdhsa_private_segment_fixed_size 0
		.amdhsa_kernarg_size 128
		.amdhsa_user_sgpr_count 6
		.amdhsa_user_sgpr_private_segment_buffer 1
		.amdhsa_user_sgpr_dispatch_ptr 0
		.amdhsa_user_sgpr_queue_ptr 0
		.amdhsa_user_sgpr_kernarg_segment_ptr 1
		.amdhsa_user_sgpr_dispatch_id 0
		.amdhsa_user_sgpr_flat_scratch_init 0
		.amdhsa_user_sgpr_kernarg_preload_length 0
		.amdhsa_user_sgpr_kernarg_preload_offset 0
		.amdhsa_user_sgpr_private_segment_size 0
		.amdhsa_uses_dynamic_stack 0
		.amdhsa_system_sgpr_private_segment_wavefront_offset 0
		.amdhsa_system_sgpr_workgroup_id_x 1
		.amdhsa_system_sgpr_workgroup_id_y 0
		.amdhsa_system_sgpr_workgroup_id_z 0
		.amdhsa_system_sgpr_workgroup_info 0
		.amdhsa_system_vgpr_workitem_id 0
		.amdhsa_next_free_vgpr 1
		.amdhsa_next_free_sgpr 0
		.amdhsa_accum_offset 4
		.amdhsa_reserve_vcc 0
		.amdhsa_reserve_flat_scratch 0
		.amdhsa_float_round_mode_32 0
		.amdhsa_float_round_mode_16_64 0
		.amdhsa_float_denorm_mode_32 3
		.amdhsa_float_denorm_mode_16_64 3
		.amdhsa_dx10_clamp 1
		.amdhsa_ieee_mode 1
		.amdhsa_fp16_overflow 0
		.amdhsa_tg_split 0
		.amdhsa_exception_fp_ieee_invalid_op 0
		.amdhsa_exception_fp_denorm_src 0
		.amdhsa_exception_fp_ieee_div_zero 0
		.amdhsa_exception_fp_ieee_overflow 0
		.amdhsa_exception_fp_ieee_underflow 0
		.amdhsa_exception_fp_ieee_inexact 0
		.amdhsa_exception_int_div_zero 0
	.end_amdhsa_kernel
	.section	.text._ZN7rocprim17ROCPRIM_400000_NS6detail17trampoline_kernelINS0_14default_configENS1_25partition_config_selectorILNS1_17partition_subalgoE8EsNS0_10empty_typeEbEEZZNS1_14partition_implILS5_8ELb0ES3_jPKsPS6_PKS6_NS0_5tupleIJPsS6_EEENSE_IJSB_SB_EEENS0_18inequality_wrapperIN6hipcub16HIPCUB_304000_NS8EqualityEEEPlJS6_EEE10hipError_tPvRmT3_T4_T5_T6_T7_T9_mT8_P12ihipStream_tbDpT10_ENKUlT_T0_E_clISt17integral_constantIbLb0EES16_IbLb1EEEEDaS12_S13_EUlS12_E_NS1_11comp_targetILNS1_3genE9ELNS1_11target_archE1100ELNS1_3gpuE3ELNS1_3repE0EEENS1_30default_config_static_selectorELNS0_4arch9wavefront6targetE1EEEvT1_,"axG",@progbits,_ZN7rocprim17ROCPRIM_400000_NS6detail17trampoline_kernelINS0_14default_configENS1_25partition_config_selectorILNS1_17partition_subalgoE8EsNS0_10empty_typeEbEEZZNS1_14partition_implILS5_8ELb0ES3_jPKsPS6_PKS6_NS0_5tupleIJPsS6_EEENSE_IJSB_SB_EEENS0_18inequality_wrapperIN6hipcub16HIPCUB_304000_NS8EqualityEEEPlJS6_EEE10hipError_tPvRmT3_T4_T5_T6_T7_T9_mT8_P12ihipStream_tbDpT10_ENKUlT_T0_E_clISt17integral_constantIbLb0EES16_IbLb1EEEEDaS12_S13_EUlS12_E_NS1_11comp_targetILNS1_3genE9ELNS1_11target_archE1100ELNS1_3gpuE3ELNS1_3repE0EEENS1_30default_config_static_selectorELNS0_4arch9wavefront6targetE1EEEvT1_,comdat
.Lfunc_end578:
	.size	_ZN7rocprim17ROCPRIM_400000_NS6detail17trampoline_kernelINS0_14default_configENS1_25partition_config_selectorILNS1_17partition_subalgoE8EsNS0_10empty_typeEbEEZZNS1_14partition_implILS5_8ELb0ES3_jPKsPS6_PKS6_NS0_5tupleIJPsS6_EEENSE_IJSB_SB_EEENS0_18inequality_wrapperIN6hipcub16HIPCUB_304000_NS8EqualityEEEPlJS6_EEE10hipError_tPvRmT3_T4_T5_T6_T7_T9_mT8_P12ihipStream_tbDpT10_ENKUlT_T0_E_clISt17integral_constantIbLb0EES16_IbLb1EEEEDaS12_S13_EUlS12_E_NS1_11comp_targetILNS1_3genE9ELNS1_11target_archE1100ELNS1_3gpuE3ELNS1_3repE0EEENS1_30default_config_static_selectorELNS0_4arch9wavefront6targetE1EEEvT1_, .Lfunc_end578-_ZN7rocprim17ROCPRIM_400000_NS6detail17trampoline_kernelINS0_14default_configENS1_25partition_config_selectorILNS1_17partition_subalgoE8EsNS0_10empty_typeEbEEZZNS1_14partition_implILS5_8ELb0ES3_jPKsPS6_PKS6_NS0_5tupleIJPsS6_EEENSE_IJSB_SB_EEENS0_18inequality_wrapperIN6hipcub16HIPCUB_304000_NS8EqualityEEEPlJS6_EEE10hipError_tPvRmT3_T4_T5_T6_T7_T9_mT8_P12ihipStream_tbDpT10_ENKUlT_T0_E_clISt17integral_constantIbLb0EES16_IbLb1EEEEDaS12_S13_EUlS12_E_NS1_11comp_targetILNS1_3genE9ELNS1_11target_archE1100ELNS1_3gpuE3ELNS1_3repE0EEENS1_30default_config_static_selectorELNS0_4arch9wavefront6targetE1EEEvT1_
                                        ; -- End function
	.section	.AMDGPU.csdata,"",@progbits
; Kernel info:
; codeLenInByte = 0
; NumSgprs: 4
; NumVgprs: 0
; NumAgprs: 0
; TotalNumVgprs: 0
; ScratchSize: 0
; MemoryBound: 0
; FloatMode: 240
; IeeeMode: 1
; LDSByteSize: 0 bytes/workgroup (compile time only)
; SGPRBlocks: 0
; VGPRBlocks: 0
; NumSGPRsForWavesPerEU: 4
; NumVGPRsForWavesPerEU: 1
; AccumOffset: 4
; Occupancy: 8
; WaveLimiterHint : 0
; COMPUTE_PGM_RSRC2:SCRATCH_EN: 0
; COMPUTE_PGM_RSRC2:USER_SGPR: 6
; COMPUTE_PGM_RSRC2:TRAP_HANDLER: 0
; COMPUTE_PGM_RSRC2:TGID_X_EN: 1
; COMPUTE_PGM_RSRC2:TGID_Y_EN: 0
; COMPUTE_PGM_RSRC2:TGID_Z_EN: 0
; COMPUTE_PGM_RSRC2:TIDIG_COMP_CNT: 0
; COMPUTE_PGM_RSRC3_GFX90A:ACCUM_OFFSET: 0
; COMPUTE_PGM_RSRC3_GFX90A:TG_SPLIT: 0
	.section	.text._ZN7rocprim17ROCPRIM_400000_NS6detail17trampoline_kernelINS0_14default_configENS1_25partition_config_selectorILNS1_17partition_subalgoE8EsNS0_10empty_typeEbEEZZNS1_14partition_implILS5_8ELb0ES3_jPKsPS6_PKS6_NS0_5tupleIJPsS6_EEENSE_IJSB_SB_EEENS0_18inequality_wrapperIN6hipcub16HIPCUB_304000_NS8EqualityEEEPlJS6_EEE10hipError_tPvRmT3_T4_T5_T6_T7_T9_mT8_P12ihipStream_tbDpT10_ENKUlT_T0_E_clISt17integral_constantIbLb0EES16_IbLb1EEEEDaS12_S13_EUlS12_E_NS1_11comp_targetILNS1_3genE8ELNS1_11target_archE1030ELNS1_3gpuE2ELNS1_3repE0EEENS1_30default_config_static_selectorELNS0_4arch9wavefront6targetE1EEEvT1_,"axG",@progbits,_ZN7rocprim17ROCPRIM_400000_NS6detail17trampoline_kernelINS0_14default_configENS1_25partition_config_selectorILNS1_17partition_subalgoE8EsNS0_10empty_typeEbEEZZNS1_14partition_implILS5_8ELb0ES3_jPKsPS6_PKS6_NS0_5tupleIJPsS6_EEENSE_IJSB_SB_EEENS0_18inequality_wrapperIN6hipcub16HIPCUB_304000_NS8EqualityEEEPlJS6_EEE10hipError_tPvRmT3_T4_T5_T6_T7_T9_mT8_P12ihipStream_tbDpT10_ENKUlT_T0_E_clISt17integral_constantIbLb0EES16_IbLb1EEEEDaS12_S13_EUlS12_E_NS1_11comp_targetILNS1_3genE8ELNS1_11target_archE1030ELNS1_3gpuE2ELNS1_3repE0EEENS1_30default_config_static_selectorELNS0_4arch9wavefront6targetE1EEEvT1_,comdat
	.protected	_ZN7rocprim17ROCPRIM_400000_NS6detail17trampoline_kernelINS0_14default_configENS1_25partition_config_selectorILNS1_17partition_subalgoE8EsNS0_10empty_typeEbEEZZNS1_14partition_implILS5_8ELb0ES3_jPKsPS6_PKS6_NS0_5tupleIJPsS6_EEENSE_IJSB_SB_EEENS0_18inequality_wrapperIN6hipcub16HIPCUB_304000_NS8EqualityEEEPlJS6_EEE10hipError_tPvRmT3_T4_T5_T6_T7_T9_mT8_P12ihipStream_tbDpT10_ENKUlT_T0_E_clISt17integral_constantIbLb0EES16_IbLb1EEEEDaS12_S13_EUlS12_E_NS1_11comp_targetILNS1_3genE8ELNS1_11target_archE1030ELNS1_3gpuE2ELNS1_3repE0EEENS1_30default_config_static_selectorELNS0_4arch9wavefront6targetE1EEEvT1_ ; -- Begin function _ZN7rocprim17ROCPRIM_400000_NS6detail17trampoline_kernelINS0_14default_configENS1_25partition_config_selectorILNS1_17partition_subalgoE8EsNS0_10empty_typeEbEEZZNS1_14partition_implILS5_8ELb0ES3_jPKsPS6_PKS6_NS0_5tupleIJPsS6_EEENSE_IJSB_SB_EEENS0_18inequality_wrapperIN6hipcub16HIPCUB_304000_NS8EqualityEEEPlJS6_EEE10hipError_tPvRmT3_T4_T5_T6_T7_T9_mT8_P12ihipStream_tbDpT10_ENKUlT_T0_E_clISt17integral_constantIbLb0EES16_IbLb1EEEEDaS12_S13_EUlS12_E_NS1_11comp_targetILNS1_3genE8ELNS1_11target_archE1030ELNS1_3gpuE2ELNS1_3repE0EEENS1_30default_config_static_selectorELNS0_4arch9wavefront6targetE1EEEvT1_
	.globl	_ZN7rocprim17ROCPRIM_400000_NS6detail17trampoline_kernelINS0_14default_configENS1_25partition_config_selectorILNS1_17partition_subalgoE8EsNS0_10empty_typeEbEEZZNS1_14partition_implILS5_8ELb0ES3_jPKsPS6_PKS6_NS0_5tupleIJPsS6_EEENSE_IJSB_SB_EEENS0_18inequality_wrapperIN6hipcub16HIPCUB_304000_NS8EqualityEEEPlJS6_EEE10hipError_tPvRmT3_T4_T5_T6_T7_T9_mT8_P12ihipStream_tbDpT10_ENKUlT_T0_E_clISt17integral_constantIbLb0EES16_IbLb1EEEEDaS12_S13_EUlS12_E_NS1_11comp_targetILNS1_3genE8ELNS1_11target_archE1030ELNS1_3gpuE2ELNS1_3repE0EEENS1_30default_config_static_selectorELNS0_4arch9wavefront6targetE1EEEvT1_
	.p2align	8
	.type	_ZN7rocprim17ROCPRIM_400000_NS6detail17trampoline_kernelINS0_14default_configENS1_25partition_config_selectorILNS1_17partition_subalgoE8EsNS0_10empty_typeEbEEZZNS1_14partition_implILS5_8ELb0ES3_jPKsPS6_PKS6_NS0_5tupleIJPsS6_EEENSE_IJSB_SB_EEENS0_18inequality_wrapperIN6hipcub16HIPCUB_304000_NS8EqualityEEEPlJS6_EEE10hipError_tPvRmT3_T4_T5_T6_T7_T9_mT8_P12ihipStream_tbDpT10_ENKUlT_T0_E_clISt17integral_constantIbLb0EES16_IbLb1EEEEDaS12_S13_EUlS12_E_NS1_11comp_targetILNS1_3genE8ELNS1_11target_archE1030ELNS1_3gpuE2ELNS1_3repE0EEENS1_30default_config_static_selectorELNS0_4arch9wavefront6targetE1EEEvT1_,@function
_ZN7rocprim17ROCPRIM_400000_NS6detail17trampoline_kernelINS0_14default_configENS1_25partition_config_selectorILNS1_17partition_subalgoE8EsNS0_10empty_typeEbEEZZNS1_14partition_implILS5_8ELb0ES3_jPKsPS6_PKS6_NS0_5tupleIJPsS6_EEENSE_IJSB_SB_EEENS0_18inequality_wrapperIN6hipcub16HIPCUB_304000_NS8EqualityEEEPlJS6_EEE10hipError_tPvRmT3_T4_T5_T6_T7_T9_mT8_P12ihipStream_tbDpT10_ENKUlT_T0_E_clISt17integral_constantIbLb0EES16_IbLb1EEEEDaS12_S13_EUlS12_E_NS1_11comp_targetILNS1_3genE8ELNS1_11target_archE1030ELNS1_3gpuE2ELNS1_3repE0EEENS1_30default_config_static_selectorELNS0_4arch9wavefront6targetE1EEEvT1_: ; @_ZN7rocprim17ROCPRIM_400000_NS6detail17trampoline_kernelINS0_14default_configENS1_25partition_config_selectorILNS1_17partition_subalgoE8EsNS0_10empty_typeEbEEZZNS1_14partition_implILS5_8ELb0ES3_jPKsPS6_PKS6_NS0_5tupleIJPsS6_EEENSE_IJSB_SB_EEENS0_18inequality_wrapperIN6hipcub16HIPCUB_304000_NS8EqualityEEEPlJS6_EEE10hipError_tPvRmT3_T4_T5_T6_T7_T9_mT8_P12ihipStream_tbDpT10_ENKUlT_T0_E_clISt17integral_constantIbLb0EES16_IbLb1EEEEDaS12_S13_EUlS12_E_NS1_11comp_targetILNS1_3genE8ELNS1_11target_archE1030ELNS1_3gpuE2ELNS1_3repE0EEENS1_30default_config_static_selectorELNS0_4arch9wavefront6targetE1EEEvT1_
; %bb.0:
	.section	.rodata,"a",@progbits
	.p2align	6, 0x0
	.amdhsa_kernel _ZN7rocprim17ROCPRIM_400000_NS6detail17trampoline_kernelINS0_14default_configENS1_25partition_config_selectorILNS1_17partition_subalgoE8EsNS0_10empty_typeEbEEZZNS1_14partition_implILS5_8ELb0ES3_jPKsPS6_PKS6_NS0_5tupleIJPsS6_EEENSE_IJSB_SB_EEENS0_18inequality_wrapperIN6hipcub16HIPCUB_304000_NS8EqualityEEEPlJS6_EEE10hipError_tPvRmT3_T4_T5_T6_T7_T9_mT8_P12ihipStream_tbDpT10_ENKUlT_T0_E_clISt17integral_constantIbLb0EES16_IbLb1EEEEDaS12_S13_EUlS12_E_NS1_11comp_targetILNS1_3genE8ELNS1_11target_archE1030ELNS1_3gpuE2ELNS1_3repE0EEENS1_30default_config_static_selectorELNS0_4arch9wavefront6targetE1EEEvT1_
		.amdhsa_group_segment_fixed_size 0
		.amdhsa_private_segment_fixed_size 0
		.amdhsa_kernarg_size 128
		.amdhsa_user_sgpr_count 6
		.amdhsa_user_sgpr_private_segment_buffer 1
		.amdhsa_user_sgpr_dispatch_ptr 0
		.amdhsa_user_sgpr_queue_ptr 0
		.amdhsa_user_sgpr_kernarg_segment_ptr 1
		.amdhsa_user_sgpr_dispatch_id 0
		.amdhsa_user_sgpr_flat_scratch_init 0
		.amdhsa_user_sgpr_kernarg_preload_length 0
		.amdhsa_user_sgpr_kernarg_preload_offset 0
		.amdhsa_user_sgpr_private_segment_size 0
		.amdhsa_uses_dynamic_stack 0
		.amdhsa_system_sgpr_private_segment_wavefront_offset 0
		.amdhsa_system_sgpr_workgroup_id_x 1
		.amdhsa_system_sgpr_workgroup_id_y 0
		.amdhsa_system_sgpr_workgroup_id_z 0
		.amdhsa_system_sgpr_workgroup_info 0
		.amdhsa_system_vgpr_workitem_id 0
		.amdhsa_next_free_vgpr 1
		.amdhsa_next_free_sgpr 0
		.amdhsa_accum_offset 4
		.amdhsa_reserve_vcc 0
		.amdhsa_reserve_flat_scratch 0
		.amdhsa_float_round_mode_32 0
		.amdhsa_float_round_mode_16_64 0
		.amdhsa_float_denorm_mode_32 3
		.amdhsa_float_denorm_mode_16_64 3
		.amdhsa_dx10_clamp 1
		.amdhsa_ieee_mode 1
		.amdhsa_fp16_overflow 0
		.amdhsa_tg_split 0
		.amdhsa_exception_fp_ieee_invalid_op 0
		.amdhsa_exception_fp_denorm_src 0
		.amdhsa_exception_fp_ieee_div_zero 0
		.amdhsa_exception_fp_ieee_overflow 0
		.amdhsa_exception_fp_ieee_underflow 0
		.amdhsa_exception_fp_ieee_inexact 0
		.amdhsa_exception_int_div_zero 0
	.end_amdhsa_kernel
	.section	.text._ZN7rocprim17ROCPRIM_400000_NS6detail17trampoline_kernelINS0_14default_configENS1_25partition_config_selectorILNS1_17partition_subalgoE8EsNS0_10empty_typeEbEEZZNS1_14partition_implILS5_8ELb0ES3_jPKsPS6_PKS6_NS0_5tupleIJPsS6_EEENSE_IJSB_SB_EEENS0_18inequality_wrapperIN6hipcub16HIPCUB_304000_NS8EqualityEEEPlJS6_EEE10hipError_tPvRmT3_T4_T5_T6_T7_T9_mT8_P12ihipStream_tbDpT10_ENKUlT_T0_E_clISt17integral_constantIbLb0EES16_IbLb1EEEEDaS12_S13_EUlS12_E_NS1_11comp_targetILNS1_3genE8ELNS1_11target_archE1030ELNS1_3gpuE2ELNS1_3repE0EEENS1_30default_config_static_selectorELNS0_4arch9wavefront6targetE1EEEvT1_,"axG",@progbits,_ZN7rocprim17ROCPRIM_400000_NS6detail17trampoline_kernelINS0_14default_configENS1_25partition_config_selectorILNS1_17partition_subalgoE8EsNS0_10empty_typeEbEEZZNS1_14partition_implILS5_8ELb0ES3_jPKsPS6_PKS6_NS0_5tupleIJPsS6_EEENSE_IJSB_SB_EEENS0_18inequality_wrapperIN6hipcub16HIPCUB_304000_NS8EqualityEEEPlJS6_EEE10hipError_tPvRmT3_T4_T5_T6_T7_T9_mT8_P12ihipStream_tbDpT10_ENKUlT_T0_E_clISt17integral_constantIbLb0EES16_IbLb1EEEEDaS12_S13_EUlS12_E_NS1_11comp_targetILNS1_3genE8ELNS1_11target_archE1030ELNS1_3gpuE2ELNS1_3repE0EEENS1_30default_config_static_selectorELNS0_4arch9wavefront6targetE1EEEvT1_,comdat
.Lfunc_end579:
	.size	_ZN7rocprim17ROCPRIM_400000_NS6detail17trampoline_kernelINS0_14default_configENS1_25partition_config_selectorILNS1_17partition_subalgoE8EsNS0_10empty_typeEbEEZZNS1_14partition_implILS5_8ELb0ES3_jPKsPS6_PKS6_NS0_5tupleIJPsS6_EEENSE_IJSB_SB_EEENS0_18inequality_wrapperIN6hipcub16HIPCUB_304000_NS8EqualityEEEPlJS6_EEE10hipError_tPvRmT3_T4_T5_T6_T7_T9_mT8_P12ihipStream_tbDpT10_ENKUlT_T0_E_clISt17integral_constantIbLb0EES16_IbLb1EEEEDaS12_S13_EUlS12_E_NS1_11comp_targetILNS1_3genE8ELNS1_11target_archE1030ELNS1_3gpuE2ELNS1_3repE0EEENS1_30default_config_static_selectorELNS0_4arch9wavefront6targetE1EEEvT1_, .Lfunc_end579-_ZN7rocprim17ROCPRIM_400000_NS6detail17trampoline_kernelINS0_14default_configENS1_25partition_config_selectorILNS1_17partition_subalgoE8EsNS0_10empty_typeEbEEZZNS1_14partition_implILS5_8ELb0ES3_jPKsPS6_PKS6_NS0_5tupleIJPsS6_EEENSE_IJSB_SB_EEENS0_18inequality_wrapperIN6hipcub16HIPCUB_304000_NS8EqualityEEEPlJS6_EEE10hipError_tPvRmT3_T4_T5_T6_T7_T9_mT8_P12ihipStream_tbDpT10_ENKUlT_T0_E_clISt17integral_constantIbLb0EES16_IbLb1EEEEDaS12_S13_EUlS12_E_NS1_11comp_targetILNS1_3genE8ELNS1_11target_archE1030ELNS1_3gpuE2ELNS1_3repE0EEENS1_30default_config_static_selectorELNS0_4arch9wavefront6targetE1EEEvT1_
                                        ; -- End function
	.section	.AMDGPU.csdata,"",@progbits
; Kernel info:
; codeLenInByte = 0
; NumSgprs: 4
; NumVgprs: 0
; NumAgprs: 0
; TotalNumVgprs: 0
; ScratchSize: 0
; MemoryBound: 0
; FloatMode: 240
; IeeeMode: 1
; LDSByteSize: 0 bytes/workgroup (compile time only)
; SGPRBlocks: 0
; VGPRBlocks: 0
; NumSGPRsForWavesPerEU: 4
; NumVGPRsForWavesPerEU: 1
; AccumOffset: 4
; Occupancy: 8
; WaveLimiterHint : 0
; COMPUTE_PGM_RSRC2:SCRATCH_EN: 0
; COMPUTE_PGM_RSRC2:USER_SGPR: 6
; COMPUTE_PGM_RSRC2:TRAP_HANDLER: 0
; COMPUTE_PGM_RSRC2:TGID_X_EN: 1
; COMPUTE_PGM_RSRC2:TGID_Y_EN: 0
; COMPUTE_PGM_RSRC2:TGID_Z_EN: 0
; COMPUTE_PGM_RSRC2:TIDIG_COMP_CNT: 0
; COMPUTE_PGM_RSRC3_GFX90A:ACCUM_OFFSET: 0
; COMPUTE_PGM_RSRC3_GFX90A:TG_SPLIT: 0
	.section	.text._ZN7rocprim17ROCPRIM_400000_NS6detail17trampoline_kernelINS0_14default_configENS1_33run_length_encode_config_selectorIsjNS0_4plusIjEEEEZZNS1_33reduce_by_key_impl_wrapped_configILNS1_25lookback_scan_determinismE0ES3_S7_PKsNS0_17constant_iteratorIjlEEPsPlSF_S6_NS0_8equal_toIsEEEE10hipError_tPvRmT2_T3_mT4_T5_T6_T7_T8_P12ihipStream_tbENKUlT_T0_E_clISt17integral_constantIbLb0EESZ_EEDaSU_SV_EUlSU_E_NS1_11comp_targetILNS1_3genE0ELNS1_11target_archE4294967295ELNS1_3gpuE0ELNS1_3repE0EEENS1_30default_config_static_selectorELNS0_4arch9wavefront6targetE1EEEvT1_,"axG",@progbits,_ZN7rocprim17ROCPRIM_400000_NS6detail17trampoline_kernelINS0_14default_configENS1_33run_length_encode_config_selectorIsjNS0_4plusIjEEEEZZNS1_33reduce_by_key_impl_wrapped_configILNS1_25lookback_scan_determinismE0ES3_S7_PKsNS0_17constant_iteratorIjlEEPsPlSF_S6_NS0_8equal_toIsEEEE10hipError_tPvRmT2_T3_mT4_T5_T6_T7_T8_P12ihipStream_tbENKUlT_T0_E_clISt17integral_constantIbLb0EESZ_EEDaSU_SV_EUlSU_E_NS1_11comp_targetILNS1_3genE0ELNS1_11target_archE4294967295ELNS1_3gpuE0ELNS1_3repE0EEENS1_30default_config_static_selectorELNS0_4arch9wavefront6targetE1EEEvT1_,comdat
	.protected	_ZN7rocprim17ROCPRIM_400000_NS6detail17trampoline_kernelINS0_14default_configENS1_33run_length_encode_config_selectorIsjNS0_4plusIjEEEEZZNS1_33reduce_by_key_impl_wrapped_configILNS1_25lookback_scan_determinismE0ES3_S7_PKsNS0_17constant_iteratorIjlEEPsPlSF_S6_NS0_8equal_toIsEEEE10hipError_tPvRmT2_T3_mT4_T5_T6_T7_T8_P12ihipStream_tbENKUlT_T0_E_clISt17integral_constantIbLb0EESZ_EEDaSU_SV_EUlSU_E_NS1_11comp_targetILNS1_3genE0ELNS1_11target_archE4294967295ELNS1_3gpuE0ELNS1_3repE0EEENS1_30default_config_static_selectorELNS0_4arch9wavefront6targetE1EEEvT1_ ; -- Begin function _ZN7rocprim17ROCPRIM_400000_NS6detail17trampoline_kernelINS0_14default_configENS1_33run_length_encode_config_selectorIsjNS0_4plusIjEEEEZZNS1_33reduce_by_key_impl_wrapped_configILNS1_25lookback_scan_determinismE0ES3_S7_PKsNS0_17constant_iteratorIjlEEPsPlSF_S6_NS0_8equal_toIsEEEE10hipError_tPvRmT2_T3_mT4_T5_T6_T7_T8_P12ihipStream_tbENKUlT_T0_E_clISt17integral_constantIbLb0EESZ_EEDaSU_SV_EUlSU_E_NS1_11comp_targetILNS1_3genE0ELNS1_11target_archE4294967295ELNS1_3gpuE0ELNS1_3repE0EEENS1_30default_config_static_selectorELNS0_4arch9wavefront6targetE1EEEvT1_
	.globl	_ZN7rocprim17ROCPRIM_400000_NS6detail17trampoline_kernelINS0_14default_configENS1_33run_length_encode_config_selectorIsjNS0_4plusIjEEEEZZNS1_33reduce_by_key_impl_wrapped_configILNS1_25lookback_scan_determinismE0ES3_S7_PKsNS0_17constant_iteratorIjlEEPsPlSF_S6_NS0_8equal_toIsEEEE10hipError_tPvRmT2_T3_mT4_T5_T6_T7_T8_P12ihipStream_tbENKUlT_T0_E_clISt17integral_constantIbLb0EESZ_EEDaSU_SV_EUlSU_E_NS1_11comp_targetILNS1_3genE0ELNS1_11target_archE4294967295ELNS1_3gpuE0ELNS1_3repE0EEENS1_30default_config_static_selectorELNS0_4arch9wavefront6targetE1EEEvT1_
	.p2align	8
	.type	_ZN7rocprim17ROCPRIM_400000_NS6detail17trampoline_kernelINS0_14default_configENS1_33run_length_encode_config_selectorIsjNS0_4plusIjEEEEZZNS1_33reduce_by_key_impl_wrapped_configILNS1_25lookback_scan_determinismE0ES3_S7_PKsNS0_17constant_iteratorIjlEEPsPlSF_S6_NS0_8equal_toIsEEEE10hipError_tPvRmT2_T3_mT4_T5_T6_T7_T8_P12ihipStream_tbENKUlT_T0_E_clISt17integral_constantIbLb0EESZ_EEDaSU_SV_EUlSU_E_NS1_11comp_targetILNS1_3genE0ELNS1_11target_archE4294967295ELNS1_3gpuE0ELNS1_3repE0EEENS1_30default_config_static_selectorELNS0_4arch9wavefront6targetE1EEEvT1_,@function
_ZN7rocprim17ROCPRIM_400000_NS6detail17trampoline_kernelINS0_14default_configENS1_33run_length_encode_config_selectorIsjNS0_4plusIjEEEEZZNS1_33reduce_by_key_impl_wrapped_configILNS1_25lookback_scan_determinismE0ES3_S7_PKsNS0_17constant_iteratorIjlEEPsPlSF_S6_NS0_8equal_toIsEEEE10hipError_tPvRmT2_T3_mT4_T5_T6_T7_T8_P12ihipStream_tbENKUlT_T0_E_clISt17integral_constantIbLb0EESZ_EEDaSU_SV_EUlSU_E_NS1_11comp_targetILNS1_3genE0ELNS1_11target_archE4294967295ELNS1_3gpuE0ELNS1_3repE0EEENS1_30default_config_static_selectorELNS0_4arch9wavefront6targetE1EEEvT1_: ; @_ZN7rocprim17ROCPRIM_400000_NS6detail17trampoline_kernelINS0_14default_configENS1_33run_length_encode_config_selectorIsjNS0_4plusIjEEEEZZNS1_33reduce_by_key_impl_wrapped_configILNS1_25lookback_scan_determinismE0ES3_S7_PKsNS0_17constant_iteratorIjlEEPsPlSF_S6_NS0_8equal_toIsEEEE10hipError_tPvRmT2_T3_mT4_T5_T6_T7_T8_P12ihipStream_tbENKUlT_T0_E_clISt17integral_constantIbLb0EESZ_EEDaSU_SV_EUlSU_E_NS1_11comp_targetILNS1_3genE0ELNS1_11target_archE4294967295ELNS1_3gpuE0ELNS1_3repE0EEENS1_30default_config_static_selectorELNS0_4arch9wavefront6targetE1EEEvT1_
; %bb.0:
	.section	.rodata,"a",@progbits
	.p2align	6, 0x0
	.amdhsa_kernel _ZN7rocprim17ROCPRIM_400000_NS6detail17trampoline_kernelINS0_14default_configENS1_33run_length_encode_config_selectorIsjNS0_4plusIjEEEEZZNS1_33reduce_by_key_impl_wrapped_configILNS1_25lookback_scan_determinismE0ES3_S7_PKsNS0_17constant_iteratorIjlEEPsPlSF_S6_NS0_8equal_toIsEEEE10hipError_tPvRmT2_T3_mT4_T5_T6_T7_T8_P12ihipStream_tbENKUlT_T0_E_clISt17integral_constantIbLb0EESZ_EEDaSU_SV_EUlSU_E_NS1_11comp_targetILNS1_3genE0ELNS1_11target_archE4294967295ELNS1_3gpuE0ELNS1_3repE0EEENS1_30default_config_static_selectorELNS0_4arch9wavefront6targetE1EEEvT1_
		.amdhsa_group_segment_fixed_size 0
		.amdhsa_private_segment_fixed_size 0
		.amdhsa_kernarg_size 128
		.amdhsa_user_sgpr_count 6
		.amdhsa_user_sgpr_private_segment_buffer 1
		.amdhsa_user_sgpr_dispatch_ptr 0
		.amdhsa_user_sgpr_queue_ptr 0
		.amdhsa_user_sgpr_kernarg_segment_ptr 1
		.amdhsa_user_sgpr_dispatch_id 0
		.amdhsa_user_sgpr_flat_scratch_init 0
		.amdhsa_user_sgpr_kernarg_preload_length 0
		.amdhsa_user_sgpr_kernarg_preload_offset 0
		.amdhsa_user_sgpr_private_segment_size 0
		.amdhsa_uses_dynamic_stack 0
		.amdhsa_system_sgpr_private_segment_wavefront_offset 0
		.amdhsa_system_sgpr_workgroup_id_x 1
		.amdhsa_system_sgpr_workgroup_id_y 0
		.amdhsa_system_sgpr_workgroup_id_z 0
		.amdhsa_system_sgpr_workgroup_info 0
		.amdhsa_system_vgpr_workitem_id 0
		.amdhsa_next_free_vgpr 1
		.amdhsa_next_free_sgpr 0
		.amdhsa_accum_offset 4
		.amdhsa_reserve_vcc 0
		.amdhsa_reserve_flat_scratch 0
		.amdhsa_float_round_mode_32 0
		.amdhsa_float_round_mode_16_64 0
		.amdhsa_float_denorm_mode_32 3
		.amdhsa_float_denorm_mode_16_64 3
		.amdhsa_dx10_clamp 1
		.amdhsa_ieee_mode 1
		.amdhsa_fp16_overflow 0
		.amdhsa_tg_split 0
		.amdhsa_exception_fp_ieee_invalid_op 0
		.amdhsa_exception_fp_denorm_src 0
		.amdhsa_exception_fp_ieee_div_zero 0
		.amdhsa_exception_fp_ieee_overflow 0
		.amdhsa_exception_fp_ieee_underflow 0
		.amdhsa_exception_fp_ieee_inexact 0
		.amdhsa_exception_int_div_zero 0
	.end_amdhsa_kernel
	.section	.text._ZN7rocprim17ROCPRIM_400000_NS6detail17trampoline_kernelINS0_14default_configENS1_33run_length_encode_config_selectorIsjNS0_4plusIjEEEEZZNS1_33reduce_by_key_impl_wrapped_configILNS1_25lookback_scan_determinismE0ES3_S7_PKsNS0_17constant_iteratorIjlEEPsPlSF_S6_NS0_8equal_toIsEEEE10hipError_tPvRmT2_T3_mT4_T5_T6_T7_T8_P12ihipStream_tbENKUlT_T0_E_clISt17integral_constantIbLb0EESZ_EEDaSU_SV_EUlSU_E_NS1_11comp_targetILNS1_3genE0ELNS1_11target_archE4294967295ELNS1_3gpuE0ELNS1_3repE0EEENS1_30default_config_static_selectorELNS0_4arch9wavefront6targetE1EEEvT1_,"axG",@progbits,_ZN7rocprim17ROCPRIM_400000_NS6detail17trampoline_kernelINS0_14default_configENS1_33run_length_encode_config_selectorIsjNS0_4plusIjEEEEZZNS1_33reduce_by_key_impl_wrapped_configILNS1_25lookback_scan_determinismE0ES3_S7_PKsNS0_17constant_iteratorIjlEEPsPlSF_S6_NS0_8equal_toIsEEEE10hipError_tPvRmT2_T3_mT4_T5_T6_T7_T8_P12ihipStream_tbENKUlT_T0_E_clISt17integral_constantIbLb0EESZ_EEDaSU_SV_EUlSU_E_NS1_11comp_targetILNS1_3genE0ELNS1_11target_archE4294967295ELNS1_3gpuE0ELNS1_3repE0EEENS1_30default_config_static_selectorELNS0_4arch9wavefront6targetE1EEEvT1_,comdat
.Lfunc_end580:
	.size	_ZN7rocprim17ROCPRIM_400000_NS6detail17trampoline_kernelINS0_14default_configENS1_33run_length_encode_config_selectorIsjNS0_4plusIjEEEEZZNS1_33reduce_by_key_impl_wrapped_configILNS1_25lookback_scan_determinismE0ES3_S7_PKsNS0_17constant_iteratorIjlEEPsPlSF_S6_NS0_8equal_toIsEEEE10hipError_tPvRmT2_T3_mT4_T5_T6_T7_T8_P12ihipStream_tbENKUlT_T0_E_clISt17integral_constantIbLb0EESZ_EEDaSU_SV_EUlSU_E_NS1_11comp_targetILNS1_3genE0ELNS1_11target_archE4294967295ELNS1_3gpuE0ELNS1_3repE0EEENS1_30default_config_static_selectorELNS0_4arch9wavefront6targetE1EEEvT1_, .Lfunc_end580-_ZN7rocprim17ROCPRIM_400000_NS6detail17trampoline_kernelINS0_14default_configENS1_33run_length_encode_config_selectorIsjNS0_4plusIjEEEEZZNS1_33reduce_by_key_impl_wrapped_configILNS1_25lookback_scan_determinismE0ES3_S7_PKsNS0_17constant_iteratorIjlEEPsPlSF_S6_NS0_8equal_toIsEEEE10hipError_tPvRmT2_T3_mT4_T5_T6_T7_T8_P12ihipStream_tbENKUlT_T0_E_clISt17integral_constantIbLb0EESZ_EEDaSU_SV_EUlSU_E_NS1_11comp_targetILNS1_3genE0ELNS1_11target_archE4294967295ELNS1_3gpuE0ELNS1_3repE0EEENS1_30default_config_static_selectorELNS0_4arch9wavefront6targetE1EEEvT1_
                                        ; -- End function
	.section	.AMDGPU.csdata,"",@progbits
; Kernel info:
; codeLenInByte = 0
; NumSgprs: 4
; NumVgprs: 0
; NumAgprs: 0
; TotalNumVgprs: 0
; ScratchSize: 0
; MemoryBound: 0
; FloatMode: 240
; IeeeMode: 1
; LDSByteSize: 0 bytes/workgroup (compile time only)
; SGPRBlocks: 0
; VGPRBlocks: 0
; NumSGPRsForWavesPerEU: 4
; NumVGPRsForWavesPerEU: 1
; AccumOffset: 4
; Occupancy: 8
; WaveLimiterHint : 0
; COMPUTE_PGM_RSRC2:SCRATCH_EN: 0
; COMPUTE_PGM_RSRC2:USER_SGPR: 6
; COMPUTE_PGM_RSRC2:TRAP_HANDLER: 0
; COMPUTE_PGM_RSRC2:TGID_X_EN: 1
; COMPUTE_PGM_RSRC2:TGID_Y_EN: 0
; COMPUTE_PGM_RSRC2:TGID_Z_EN: 0
; COMPUTE_PGM_RSRC2:TIDIG_COMP_CNT: 0
; COMPUTE_PGM_RSRC3_GFX90A:ACCUM_OFFSET: 0
; COMPUTE_PGM_RSRC3_GFX90A:TG_SPLIT: 0
	.section	.text._ZN7rocprim17ROCPRIM_400000_NS6detail17trampoline_kernelINS0_14default_configENS1_33run_length_encode_config_selectorIsjNS0_4plusIjEEEEZZNS1_33reduce_by_key_impl_wrapped_configILNS1_25lookback_scan_determinismE0ES3_S7_PKsNS0_17constant_iteratorIjlEEPsPlSF_S6_NS0_8equal_toIsEEEE10hipError_tPvRmT2_T3_mT4_T5_T6_T7_T8_P12ihipStream_tbENKUlT_T0_E_clISt17integral_constantIbLb0EESZ_EEDaSU_SV_EUlSU_E_NS1_11comp_targetILNS1_3genE5ELNS1_11target_archE942ELNS1_3gpuE9ELNS1_3repE0EEENS1_30default_config_static_selectorELNS0_4arch9wavefront6targetE1EEEvT1_,"axG",@progbits,_ZN7rocprim17ROCPRIM_400000_NS6detail17trampoline_kernelINS0_14default_configENS1_33run_length_encode_config_selectorIsjNS0_4plusIjEEEEZZNS1_33reduce_by_key_impl_wrapped_configILNS1_25lookback_scan_determinismE0ES3_S7_PKsNS0_17constant_iteratorIjlEEPsPlSF_S6_NS0_8equal_toIsEEEE10hipError_tPvRmT2_T3_mT4_T5_T6_T7_T8_P12ihipStream_tbENKUlT_T0_E_clISt17integral_constantIbLb0EESZ_EEDaSU_SV_EUlSU_E_NS1_11comp_targetILNS1_3genE5ELNS1_11target_archE942ELNS1_3gpuE9ELNS1_3repE0EEENS1_30default_config_static_selectorELNS0_4arch9wavefront6targetE1EEEvT1_,comdat
	.protected	_ZN7rocprim17ROCPRIM_400000_NS6detail17trampoline_kernelINS0_14default_configENS1_33run_length_encode_config_selectorIsjNS0_4plusIjEEEEZZNS1_33reduce_by_key_impl_wrapped_configILNS1_25lookback_scan_determinismE0ES3_S7_PKsNS0_17constant_iteratorIjlEEPsPlSF_S6_NS0_8equal_toIsEEEE10hipError_tPvRmT2_T3_mT4_T5_T6_T7_T8_P12ihipStream_tbENKUlT_T0_E_clISt17integral_constantIbLb0EESZ_EEDaSU_SV_EUlSU_E_NS1_11comp_targetILNS1_3genE5ELNS1_11target_archE942ELNS1_3gpuE9ELNS1_3repE0EEENS1_30default_config_static_selectorELNS0_4arch9wavefront6targetE1EEEvT1_ ; -- Begin function _ZN7rocprim17ROCPRIM_400000_NS6detail17trampoline_kernelINS0_14default_configENS1_33run_length_encode_config_selectorIsjNS0_4plusIjEEEEZZNS1_33reduce_by_key_impl_wrapped_configILNS1_25lookback_scan_determinismE0ES3_S7_PKsNS0_17constant_iteratorIjlEEPsPlSF_S6_NS0_8equal_toIsEEEE10hipError_tPvRmT2_T3_mT4_T5_T6_T7_T8_P12ihipStream_tbENKUlT_T0_E_clISt17integral_constantIbLb0EESZ_EEDaSU_SV_EUlSU_E_NS1_11comp_targetILNS1_3genE5ELNS1_11target_archE942ELNS1_3gpuE9ELNS1_3repE0EEENS1_30default_config_static_selectorELNS0_4arch9wavefront6targetE1EEEvT1_
	.globl	_ZN7rocprim17ROCPRIM_400000_NS6detail17trampoline_kernelINS0_14default_configENS1_33run_length_encode_config_selectorIsjNS0_4plusIjEEEEZZNS1_33reduce_by_key_impl_wrapped_configILNS1_25lookback_scan_determinismE0ES3_S7_PKsNS0_17constant_iteratorIjlEEPsPlSF_S6_NS0_8equal_toIsEEEE10hipError_tPvRmT2_T3_mT4_T5_T6_T7_T8_P12ihipStream_tbENKUlT_T0_E_clISt17integral_constantIbLb0EESZ_EEDaSU_SV_EUlSU_E_NS1_11comp_targetILNS1_3genE5ELNS1_11target_archE942ELNS1_3gpuE9ELNS1_3repE0EEENS1_30default_config_static_selectorELNS0_4arch9wavefront6targetE1EEEvT1_
	.p2align	8
	.type	_ZN7rocprim17ROCPRIM_400000_NS6detail17trampoline_kernelINS0_14default_configENS1_33run_length_encode_config_selectorIsjNS0_4plusIjEEEEZZNS1_33reduce_by_key_impl_wrapped_configILNS1_25lookback_scan_determinismE0ES3_S7_PKsNS0_17constant_iteratorIjlEEPsPlSF_S6_NS0_8equal_toIsEEEE10hipError_tPvRmT2_T3_mT4_T5_T6_T7_T8_P12ihipStream_tbENKUlT_T0_E_clISt17integral_constantIbLb0EESZ_EEDaSU_SV_EUlSU_E_NS1_11comp_targetILNS1_3genE5ELNS1_11target_archE942ELNS1_3gpuE9ELNS1_3repE0EEENS1_30default_config_static_selectorELNS0_4arch9wavefront6targetE1EEEvT1_,@function
_ZN7rocprim17ROCPRIM_400000_NS6detail17trampoline_kernelINS0_14default_configENS1_33run_length_encode_config_selectorIsjNS0_4plusIjEEEEZZNS1_33reduce_by_key_impl_wrapped_configILNS1_25lookback_scan_determinismE0ES3_S7_PKsNS0_17constant_iteratorIjlEEPsPlSF_S6_NS0_8equal_toIsEEEE10hipError_tPvRmT2_T3_mT4_T5_T6_T7_T8_P12ihipStream_tbENKUlT_T0_E_clISt17integral_constantIbLb0EESZ_EEDaSU_SV_EUlSU_E_NS1_11comp_targetILNS1_3genE5ELNS1_11target_archE942ELNS1_3gpuE9ELNS1_3repE0EEENS1_30default_config_static_selectorELNS0_4arch9wavefront6targetE1EEEvT1_: ; @_ZN7rocprim17ROCPRIM_400000_NS6detail17trampoline_kernelINS0_14default_configENS1_33run_length_encode_config_selectorIsjNS0_4plusIjEEEEZZNS1_33reduce_by_key_impl_wrapped_configILNS1_25lookback_scan_determinismE0ES3_S7_PKsNS0_17constant_iteratorIjlEEPsPlSF_S6_NS0_8equal_toIsEEEE10hipError_tPvRmT2_T3_mT4_T5_T6_T7_T8_P12ihipStream_tbENKUlT_T0_E_clISt17integral_constantIbLb0EESZ_EEDaSU_SV_EUlSU_E_NS1_11comp_targetILNS1_3genE5ELNS1_11target_archE942ELNS1_3gpuE9ELNS1_3repE0EEENS1_30default_config_static_selectorELNS0_4arch9wavefront6targetE1EEEvT1_
; %bb.0:
	.section	.rodata,"a",@progbits
	.p2align	6, 0x0
	.amdhsa_kernel _ZN7rocprim17ROCPRIM_400000_NS6detail17trampoline_kernelINS0_14default_configENS1_33run_length_encode_config_selectorIsjNS0_4plusIjEEEEZZNS1_33reduce_by_key_impl_wrapped_configILNS1_25lookback_scan_determinismE0ES3_S7_PKsNS0_17constant_iteratorIjlEEPsPlSF_S6_NS0_8equal_toIsEEEE10hipError_tPvRmT2_T3_mT4_T5_T6_T7_T8_P12ihipStream_tbENKUlT_T0_E_clISt17integral_constantIbLb0EESZ_EEDaSU_SV_EUlSU_E_NS1_11comp_targetILNS1_3genE5ELNS1_11target_archE942ELNS1_3gpuE9ELNS1_3repE0EEENS1_30default_config_static_selectorELNS0_4arch9wavefront6targetE1EEEvT1_
		.amdhsa_group_segment_fixed_size 0
		.amdhsa_private_segment_fixed_size 0
		.amdhsa_kernarg_size 128
		.amdhsa_user_sgpr_count 6
		.amdhsa_user_sgpr_private_segment_buffer 1
		.amdhsa_user_sgpr_dispatch_ptr 0
		.amdhsa_user_sgpr_queue_ptr 0
		.amdhsa_user_sgpr_kernarg_segment_ptr 1
		.amdhsa_user_sgpr_dispatch_id 0
		.amdhsa_user_sgpr_flat_scratch_init 0
		.amdhsa_user_sgpr_kernarg_preload_length 0
		.amdhsa_user_sgpr_kernarg_preload_offset 0
		.amdhsa_user_sgpr_private_segment_size 0
		.amdhsa_uses_dynamic_stack 0
		.amdhsa_system_sgpr_private_segment_wavefront_offset 0
		.amdhsa_system_sgpr_workgroup_id_x 1
		.amdhsa_system_sgpr_workgroup_id_y 0
		.amdhsa_system_sgpr_workgroup_id_z 0
		.amdhsa_system_sgpr_workgroup_info 0
		.amdhsa_system_vgpr_workitem_id 0
		.amdhsa_next_free_vgpr 1
		.amdhsa_next_free_sgpr 0
		.amdhsa_accum_offset 4
		.amdhsa_reserve_vcc 0
		.amdhsa_reserve_flat_scratch 0
		.amdhsa_float_round_mode_32 0
		.amdhsa_float_round_mode_16_64 0
		.amdhsa_float_denorm_mode_32 3
		.amdhsa_float_denorm_mode_16_64 3
		.amdhsa_dx10_clamp 1
		.amdhsa_ieee_mode 1
		.amdhsa_fp16_overflow 0
		.amdhsa_tg_split 0
		.amdhsa_exception_fp_ieee_invalid_op 0
		.amdhsa_exception_fp_denorm_src 0
		.amdhsa_exception_fp_ieee_div_zero 0
		.amdhsa_exception_fp_ieee_overflow 0
		.amdhsa_exception_fp_ieee_underflow 0
		.amdhsa_exception_fp_ieee_inexact 0
		.amdhsa_exception_int_div_zero 0
	.end_amdhsa_kernel
	.section	.text._ZN7rocprim17ROCPRIM_400000_NS6detail17trampoline_kernelINS0_14default_configENS1_33run_length_encode_config_selectorIsjNS0_4plusIjEEEEZZNS1_33reduce_by_key_impl_wrapped_configILNS1_25lookback_scan_determinismE0ES3_S7_PKsNS0_17constant_iteratorIjlEEPsPlSF_S6_NS0_8equal_toIsEEEE10hipError_tPvRmT2_T3_mT4_T5_T6_T7_T8_P12ihipStream_tbENKUlT_T0_E_clISt17integral_constantIbLb0EESZ_EEDaSU_SV_EUlSU_E_NS1_11comp_targetILNS1_3genE5ELNS1_11target_archE942ELNS1_3gpuE9ELNS1_3repE0EEENS1_30default_config_static_selectorELNS0_4arch9wavefront6targetE1EEEvT1_,"axG",@progbits,_ZN7rocprim17ROCPRIM_400000_NS6detail17trampoline_kernelINS0_14default_configENS1_33run_length_encode_config_selectorIsjNS0_4plusIjEEEEZZNS1_33reduce_by_key_impl_wrapped_configILNS1_25lookback_scan_determinismE0ES3_S7_PKsNS0_17constant_iteratorIjlEEPsPlSF_S6_NS0_8equal_toIsEEEE10hipError_tPvRmT2_T3_mT4_T5_T6_T7_T8_P12ihipStream_tbENKUlT_T0_E_clISt17integral_constantIbLb0EESZ_EEDaSU_SV_EUlSU_E_NS1_11comp_targetILNS1_3genE5ELNS1_11target_archE942ELNS1_3gpuE9ELNS1_3repE0EEENS1_30default_config_static_selectorELNS0_4arch9wavefront6targetE1EEEvT1_,comdat
.Lfunc_end581:
	.size	_ZN7rocprim17ROCPRIM_400000_NS6detail17trampoline_kernelINS0_14default_configENS1_33run_length_encode_config_selectorIsjNS0_4plusIjEEEEZZNS1_33reduce_by_key_impl_wrapped_configILNS1_25lookback_scan_determinismE0ES3_S7_PKsNS0_17constant_iteratorIjlEEPsPlSF_S6_NS0_8equal_toIsEEEE10hipError_tPvRmT2_T3_mT4_T5_T6_T7_T8_P12ihipStream_tbENKUlT_T0_E_clISt17integral_constantIbLb0EESZ_EEDaSU_SV_EUlSU_E_NS1_11comp_targetILNS1_3genE5ELNS1_11target_archE942ELNS1_3gpuE9ELNS1_3repE0EEENS1_30default_config_static_selectorELNS0_4arch9wavefront6targetE1EEEvT1_, .Lfunc_end581-_ZN7rocprim17ROCPRIM_400000_NS6detail17trampoline_kernelINS0_14default_configENS1_33run_length_encode_config_selectorIsjNS0_4plusIjEEEEZZNS1_33reduce_by_key_impl_wrapped_configILNS1_25lookback_scan_determinismE0ES3_S7_PKsNS0_17constant_iteratorIjlEEPsPlSF_S6_NS0_8equal_toIsEEEE10hipError_tPvRmT2_T3_mT4_T5_T6_T7_T8_P12ihipStream_tbENKUlT_T0_E_clISt17integral_constantIbLb0EESZ_EEDaSU_SV_EUlSU_E_NS1_11comp_targetILNS1_3genE5ELNS1_11target_archE942ELNS1_3gpuE9ELNS1_3repE0EEENS1_30default_config_static_selectorELNS0_4arch9wavefront6targetE1EEEvT1_
                                        ; -- End function
	.section	.AMDGPU.csdata,"",@progbits
; Kernel info:
; codeLenInByte = 0
; NumSgprs: 4
; NumVgprs: 0
; NumAgprs: 0
; TotalNumVgprs: 0
; ScratchSize: 0
; MemoryBound: 0
; FloatMode: 240
; IeeeMode: 1
; LDSByteSize: 0 bytes/workgroup (compile time only)
; SGPRBlocks: 0
; VGPRBlocks: 0
; NumSGPRsForWavesPerEU: 4
; NumVGPRsForWavesPerEU: 1
; AccumOffset: 4
; Occupancy: 8
; WaveLimiterHint : 0
; COMPUTE_PGM_RSRC2:SCRATCH_EN: 0
; COMPUTE_PGM_RSRC2:USER_SGPR: 6
; COMPUTE_PGM_RSRC2:TRAP_HANDLER: 0
; COMPUTE_PGM_RSRC2:TGID_X_EN: 1
; COMPUTE_PGM_RSRC2:TGID_Y_EN: 0
; COMPUTE_PGM_RSRC2:TGID_Z_EN: 0
; COMPUTE_PGM_RSRC2:TIDIG_COMP_CNT: 0
; COMPUTE_PGM_RSRC3_GFX90A:ACCUM_OFFSET: 0
; COMPUTE_PGM_RSRC3_GFX90A:TG_SPLIT: 0
	.section	.text._ZN7rocprim17ROCPRIM_400000_NS6detail17trampoline_kernelINS0_14default_configENS1_33run_length_encode_config_selectorIsjNS0_4plusIjEEEEZZNS1_33reduce_by_key_impl_wrapped_configILNS1_25lookback_scan_determinismE0ES3_S7_PKsNS0_17constant_iteratorIjlEEPsPlSF_S6_NS0_8equal_toIsEEEE10hipError_tPvRmT2_T3_mT4_T5_T6_T7_T8_P12ihipStream_tbENKUlT_T0_E_clISt17integral_constantIbLb0EESZ_EEDaSU_SV_EUlSU_E_NS1_11comp_targetILNS1_3genE4ELNS1_11target_archE910ELNS1_3gpuE8ELNS1_3repE0EEENS1_30default_config_static_selectorELNS0_4arch9wavefront6targetE1EEEvT1_,"axG",@progbits,_ZN7rocprim17ROCPRIM_400000_NS6detail17trampoline_kernelINS0_14default_configENS1_33run_length_encode_config_selectorIsjNS0_4plusIjEEEEZZNS1_33reduce_by_key_impl_wrapped_configILNS1_25lookback_scan_determinismE0ES3_S7_PKsNS0_17constant_iteratorIjlEEPsPlSF_S6_NS0_8equal_toIsEEEE10hipError_tPvRmT2_T3_mT4_T5_T6_T7_T8_P12ihipStream_tbENKUlT_T0_E_clISt17integral_constantIbLb0EESZ_EEDaSU_SV_EUlSU_E_NS1_11comp_targetILNS1_3genE4ELNS1_11target_archE910ELNS1_3gpuE8ELNS1_3repE0EEENS1_30default_config_static_selectorELNS0_4arch9wavefront6targetE1EEEvT1_,comdat
	.protected	_ZN7rocprim17ROCPRIM_400000_NS6detail17trampoline_kernelINS0_14default_configENS1_33run_length_encode_config_selectorIsjNS0_4plusIjEEEEZZNS1_33reduce_by_key_impl_wrapped_configILNS1_25lookback_scan_determinismE0ES3_S7_PKsNS0_17constant_iteratorIjlEEPsPlSF_S6_NS0_8equal_toIsEEEE10hipError_tPvRmT2_T3_mT4_T5_T6_T7_T8_P12ihipStream_tbENKUlT_T0_E_clISt17integral_constantIbLb0EESZ_EEDaSU_SV_EUlSU_E_NS1_11comp_targetILNS1_3genE4ELNS1_11target_archE910ELNS1_3gpuE8ELNS1_3repE0EEENS1_30default_config_static_selectorELNS0_4arch9wavefront6targetE1EEEvT1_ ; -- Begin function _ZN7rocprim17ROCPRIM_400000_NS6detail17trampoline_kernelINS0_14default_configENS1_33run_length_encode_config_selectorIsjNS0_4plusIjEEEEZZNS1_33reduce_by_key_impl_wrapped_configILNS1_25lookback_scan_determinismE0ES3_S7_PKsNS0_17constant_iteratorIjlEEPsPlSF_S6_NS0_8equal_toIsEEEE10hipError_tPvRmT2_T3_mT4_T5_T6_T7_T8_P12ihipStream_tbENKUlT_T0_E_clISt17integral_constantIbLb0EESZ_EEDaSU_SV_EUlSU_E_NS1_11comp_targetILNS1_3genE4ELNS1_11target_archE910ELNS1_3gpuE8ELNS1_3repE0EEENS1_30default_config_static_selectorELNS0_4arch9wavefront6targetE1EEEvT1_
	.globl	_ZN7rocprim17ROCPRIM_400000_NS6detail17trampoline_kernelINS0_14default_configENS1_33run_length_encode_config_selectorIsjNS0_4plusIjEEEEZZNS1_33reduce_by_key_impl_wrapped_configILNS1_25lookback_scan_determinismE0ES3_S7_PKsNS0_17constant_iteratorIjlEEPsPlSF_S6_NS0_8equal_toIsEEEE10hipError_tPvRmT2_T3_mT4_T5_T6_T7_T8_P12ihipStream_tbENKUlT_T0_E_clISt17integral_constantIbLb0EESZ_EEDaSU_SV_EUlSU_E_NS1_11comp_targetILNS1_3genE4ELNS1_11target_archE910ELNS1_3gpuE8ELNS1_3repE0EEENS1_30default_config_static_selectorELNS0_4arch9wavefront6targetE1EEEvT1_
	.p2align	8
	.type	_ZN7rocprim17ROCPRIM_400000_NS6detail17trampoline_kernelINS0_14default_configENS1_33run_length_encode_config_selectorIsjNS0_4plusIjEEEEZZNS1_33reduce_by_key_impl_wrapped_configILNS1_25lookback_scan_determinismE0ES3_S7_PKsNS0_17constant_iteratorIjlEEPsPlSF_S6_NS0_8equal_toIsEEEE10hipError_tPvRmT2_T3_mT4_T5_T6_T7_T8_P12ihipStream_tbENKUlT_T0_E_clISt17integral_constantIbLb0EESZ_EEDaSU_SV_EUlSU_E_NS1_11comp_targetILNS1_3genE4ELNS1_11target_archE910ELNS1_3gpuE8ELNS1_3repE0EEENS1_30default_config_static_selectorELNS0_4arch9wavefront6targetE1EEEvT1_,@function
_ZN7rocprim17ROCPRIM_400000_NS6detail17trampoline_kernelINS0_14default_configENS1_33run_length_encode_config_selectorIsjNS0_4plusIjEEEEZZNS1_33reduce_by_key_impl_wrapped_configILNS1_25lookback_scan_determinismE0ES3_S7_PKsNS0_17constant_iteratorIjlEEPsPlSF_S6_NS0_8equal_toIsEEEE10hipError_tPvRmT2_T3_mT4_T5_T6_T7_T8_P12ihipStream_tbENKUlT_T0_E_clISt17integral_constantIbLb0EESZ_EEDaSU_SV_EUlSU_E_NS1_11comp_targetILNS1_3genE4ELNS1_11target_archE910ELNS1_3gpuE8ELNS1_3repE0EEENS1_30default_config_static_selectorELNS0_4arch9wavefront6targetE1EEEvT1_: ; @_ZN7rocprim17ROCPRIM_400000_NS6detail17trampoline_kernelINS0_14default_configENS1_33run_length_encode_config_selectorIsjNS0_4plusIjEEEEZZNS1_33reduce_by_key_impl_wrapped_configILNS1_25lookback_scan_determinismE0ES3_S7_PKsNS0_17constant_iteratorIjlEEPsPlSF_S6_NS0_8equal_toIsEEEE10hipError_tPvRmT2_T3_mT4_T5_T6_T7_T8_P12ihipStream_tbENKUlT_T0_E_clISt17integral_constantIbLb0EESZ_EEDaSU_SV_EUlSU_E_NS1_11comp_targetILNS1_3genE4ELNS1_11target_archE910ELNS1_3gpuE8ELNS1_3repE0EEENS1_30default_config_static_selectorELNS0_4arch9wavefront6targetE1EEEvT1_
; %bb.0:
	s_load_dwordx8 s[36:43], s[4:5], 0x40
	s_load_dwordx4 s[0:3], s[4:5], 0x0
	s_load_dword s7, s[4:5], 0x10
	s_load_dwordx4 s[28:31], s[4:5], 0x60
	s_mov_b64 s[12:13], -1
	s_waitcnt lgkmcnt(0)
	s_mul_i32 s8, s40, s39
	s_mul_hi_u32 s9, s40, s38
	s_add_i32 s8, s9, s8
	s_mul_i32 s9, s41, s38
	s_add_i32 s9, s8, s9
	s_lshl_b64 s[2:3], s[2:3], 1
	s_add_u32 s2, s0, s2
	s_addc_u32 s3, s1, s3
	s_mul_i32 s0, s6, 0xa80
	s_mov_b32 s1, 0
	s_lshl_b64 s[0:1], s[0:1], 1
	s_add_u32 s2, s2, s0
	s_mul_i32 s8, s40, s38
	s_addc_u32 s3, s3, s1
	s_add_u32 s8, s8, s6
	s_addc_u32 s9, s9, 0
	s_add_u32 s10, s42, -1
	s_addc_u32 s11, s43, -1
	s_cmp_eq_u64 s[8:9], s[10:11]
	s_cselect_b64 s[34:35], -1, 0
	s_cmp_lg_u64 s[8:9], s[10:11]
	s_cselect_b64 s[0:1], -1, 0
	s_mul_i32 s33, s10, 0xfffff580
	s_and_b64 vcc, exec, s[34:35]
	s_cbranch_vccnz .LBB582_2
; %bb.1:
	v_lshlrev_b32_e32 v1, 1, v0
	v_mov_b32_e32 v2, s3
	v_add_co_u32_e32 v3, vcc, s2, v1
	v_addc_co_u32_e32 v4, vcc, 0, v2, vcc
	v_add_co_u32_e32 v2, vcc, 0x1000, v3
	global_load_ushort v5, v1, s[2:3]
	global_load_ushort v6, v1, s[2:3] offset:384
	global_load_ushort v7, v1, s[2:3] offset:768
	;; [unrolled: 1-line block ×7, first 2 shown]
	v_addc_co_u32_e32 v3, vcc, 0, v4, vcc
	global_load_ushort v4, v1, s[2:3] offset:3072
	global_load_ushort v13, v1, s[2:3] offset:3456
	;; [unrolled: 1-line block ×3, first 2 shown]
	global_load_ushort v15, v[2:3], off offset:128
	global_load_ushort v16, v[2:3], off offset:512
	;; [unrolled: 1-line block ×3, first 2 shown]
	v_mad_u32_u24 v2, v0, 26, v1
	s_mov_b64 s[10:11], -1
	s_waitcnt vmcnt(13)
	ds_write_b16 v1, v5
	s_waitcnt vmcnt(12)
	ds_write_b16 v1, v6 offset:384
	s_waitcnt vmcnt(11)
	ds_write_b16 v1, v7 offset:768
	;; [unrolled: 2-line block ×13, first 2 shown]
	s_waitcnt lgkmcnt(0)
	s_barrier
	ds_read2_b32 v[12:13], v2 offset1:1
	ds_read2_b32 v[10:11], v2 offset0:2 offset1:3
	ds_read2_b32 v[8:9], v2 offset0:4 offset1:5
	ds_read_b32 v1, v2 offset:24
	s_add_i32 s33, s33, s28
	s_cbranch_execz .LBB582_3
	s_branch .LBB582_32
.LBB582_2:
	s_mov_b64 s[10:11], 0
                                        ; implicit-def: $vgpr12
                                        ; implicit-def: $vgpr10
                                        ; implicit-def: $vgpr8
                                        ; implicit-def: $vgpr1
	s_add_i32 s33, s33, s28
	s_andn2_b64 vcc, exec, s[12:13]
	s_cbranch_vccnz .LBB582_32
.LBB582_3:
	v_cmp_gt_u32_e32 vcc, s33, v0
                                        ; implicit-def: $vgpr1
	s_and_saveexec_b64 s[10:11], vcc
	s_cbranch_execz .LBB582_5
; %bb.4:
	s_waitcnt lgkmcnt(0)
	v_lshlrev_b32_e32 v1, 1, v0
	global_load_ushort v1, v1, s[2:3]
.LBB582_5:
	s_or_b64 exec, exec, s[10:11]
	v_add_u32_e32 v2, 0xc0, v0
	v_cmp_gt_u32_e32 vcc, s33, v2
                                        ; implicit-def: $vgpr2
	s_and_saveexec_b64 s[10:11], vcc
	s_cbranch_execz .LBB582_7
; %bb.6:
	v_lshlrev_b32_e32 v2, 1, v0
	global_load_ushort v2, v2, s[2:3] offset:384
.LBB582_7:
	s_or_b64 exec, exec, s[10:11]
	v_add_u32_e32 v3, 0x180, v0
	v_cmp_gt_u32_e32 vcc, s33, v3
                                        ; implicit-def: $vgpr3
	s_and_saveexec_b64 s[10:11], vcc
	s_cbranch_execz .LBB582_9
; %bb.8:
	v_lshlrev_b32_e32 v3, 1, v0
	global_load_ushort v3, v3, s[2:3] offset:768
.LBB582_9:
	s_or_b64 exec, exec, s[10:11]
	v_add_u32_e32 v4, 0x240, v0
	v_cmp_gt_u32_e32 vcc, s33, v4
                                        ; implicit-def: $vgpr4
	s_and_saveexec_b64 s[10:11], vcc
	s_cbranch_execz .LBB582_11
; %bb.10:
	v_lshlrev_b32_e32 v4, 1, v0
	global_load_ushort v4, v4, s[2:3] offset:1152
.LBB582_11:
	s_or_b64 exec, exec, s[10:11]
	v_or_b32_e32 v5, 0x300, v0
	v_cmp_gt_u32_e32 vcc, s33, v5
                                        ; implicit-def: $vgpr5
	s_and_saveexec_b64 s[10:11], vcc
	s_cbranch_execz .LBB582_13
; %bb.12:
	v_lshlrev_b32_e32 v5, 1, v0
	global_load_ushort v5, v5, s[2:3] offset:1536
.LBB582_13:
	s_or_b64 exec, exec, s[10:11]
	v_add_u32_e32 v6, 0x3c0, v0
	v_cmp_gt_u32_e32 vcc, s33, v6
                                        ; implicit-def: $vgpr6
	s_and_saveexec_b64 s[10:11], vcc
	s_cbranch_execz .LBB582_15
; %bb.14:
	v_lshlrev_b32_e32 v6, 1, v0
	global_load_ushort v6, v6, s[2:3] offset:1920
.LBB582_15:
	s_or_b64 exec, exec, s[10:11]
	v_add_u32_e32 v7, 0x480, v0
	v_cmp_gt_u32_e32 vcc, s33, v7
                                        ; implicit-def: $vgpr7
	s_and_saveexec_b64 s[10:11], vcc
	s_cbranch_execz .LBB582_17
; %bb.16:
	v_lshlrev_b32_e32 v7, 1, v0
	global_load_ushort v7, v7, s[2:3] offset:2304
.LBB582_17:
	s_or_b64 exec, exec, s[10:11]
	s_waitcnt lgkmcnt(1)
	v_add_u32_e32 v8, 0x540, v0
	v_cmp_gt_u32_e32 vcc, s33, v8
                                        ; implicit-def: $vgpr8
	s_and_saveexec_b64 s[10:11], vcc
	s_cbranch_execz .LBB582_19
; %bb.18:
	v_lshlrev_b32_e32 v8, 1, v0
	global_load_ushort v8, v8, s[2:3] offset:2688
.LBB582_19:
	s_or_b64 exec, exec, s[10:11]
	v_or_b32_e32 v9, 0x600, v0
	v_cmp_gt_u32_e32 vcc, s33, v9
                                        ; implicit-def: $vgpr9
	s_and_saveexec_b64 s[10:11], vcc
	s_cbranch_execz .LBB582_21
; %bb.20:
	v_lshlrev_b32_e32 v9, 1, v0
	global_load_ushort v9, v9, s[2:3] offset:3072
.LBB582_21:
	s_or_b64 exec, exec, s[10:11]
	v_add_u32_e32 v10, 0x6c0, v0
	v_cmp_gt_u32_e32 vcc, s33, v10
                                        ; implicit-def: $vgpr10
	s_and_saveexec_b64 s[10:11], vcc
	s_cbranch_execz .LBB582_23
; %bb.22:
	v_lshlrev_b32_e32 v10, 1, v0
	global_load_ushort v10, v10, s[2:3] offset:3456
.LBB582_23:
	s_or_b64 exec, exec, s[10:11]
	v_add_u32_e32 v11, 0x780, v0
	v_cmp_gt_u32_e32 vcc, s33, v11
                                        ; implicit-def: $vgpr11
	s_and_saveexec_b64 s[10:11], vcc
	s_cbranch_execz .LBB582_25
; %bb.24:
	v_lshlrev_b32_e32 v11, 1, v0
	global_load_ushort v11, v11, s[2:3] offset:3840
.LBB582_25:
	s_or_b64 exec, exec, s[10:11]
	v_add_u32_e32 v13, 0x840, v0
	v_cmp_gt_u32_e32 vcc, s33, v13
                                        ; implicit-def: $vgpr12
	s_and_saveexec_b64 s[10:11], vcc
	s_cbranch_execz .LBB582_27
; %bb.26:
	v_lshlrev_b32_e32 v12, 1, v13
	global_load_ushort v12, v12, s[2:3]
.LBB582_27:
	s_or_b64 exec, exec, s[10:11]
	v_or_b32_e32 v14, 0x900, v0
	v_cmp_gt_u32_e32 vcc, s33, v14
                                        ; implicit-def: $vgpr13
	s_and_saveexec_b64 s[10:11], vcc
	s_cbranch_execz .LBB582_29
; %bb.28:
	v_lshlrev_b32_e32 v13, 1, v14
	global_load_ushort v13, v13, s[2:3]
.LBB582_29:
	s_or_b64 exec, exec, s[10:11]
	v_add_u32_e32 v15, 0x9c0, v0
	v_cmp_gt_u32_e32 vcc, s33, v15
                                        ; implicit-def: $vgpr14
	s_and_saveexec_b64 s[10:11], vcc
	s_cbranch_execz .LBB582_31
; %bb.30:
	v_lshlrev_b32_e32 v14, 1, v15
	global_load_ushort v14, v14, s[2:3]
.LBB582_31:
	s_or_b64 exec, exec, s[10:11]
	v_lshlrev_b32_e32 v15, 1, v0
	s_waitcnt vmcnt(0) lgkmcnt(0)
	ds_write_b16 v15, v1
	ds_write_b16 v15, v2 offset:384
	ds_write_b16 v15, v3 offset:768
	;; [unrolled: 1-line block ×13, first 2 shown]
	v_mad_u32_u24 v1, v0, 26, v15
	s_waitcnt lgkmcnt(0)
	s_barrier
	ds_read2_b32 v[12:13], v1 offset1:1
	ds_read2_b32 v[10:11], v1 offset0:2 offset1:3
	ds_read2_b32 v[8:9], v1 offset0:4 offset1:5
	ds_read_b32 v1, v1 offset:24
	v_mad_u32_u24 v2, v0, 14, 13
	v_cmp_gt_u32_e64 s[10:11], s33, v2
.LBB582_32:
	v_mov_b32_e32 v42, s7
                                        ; implicit-def: $vgpr43
	s_and_saveexec_b64 s[12:13], s[10:11]
; %bb.33:
	v_mov_b32_e32 v43, s7
; %bb.34:
	s_or_b64 exec, exec, s[12:13]
	s_load_dwordx2 s[48:49], s[4:5], 0x70
	s_cmp_eq_u64 s[8:9], 0
	s_cselect_b64 s[44:45], -1, 0
	s_cmp_lg_u64 s[8:9], 0
	s_mov_b64 s[10:11], 0
	s_cselect_b64 s[12:13], -1, 0
	s_and_b64 vcc, exec, s[0:1]
	s_waitcnt lgkmcnt(0)
	s_barrier
	s_cbranch_vccz .LBB582_40
; %bb.35:
	s_and_b64 vcc, exec, s[12:13]
	s_cbranch_vccz .LBB582_41
; %bb.36:
	v_mov_b32_e32 v2, 0
	global_load_ushort v2, v2, s[2:3] offset:-2
	v_lshrrev_b32_e32 v4, 16, v1
	v_lshlrev_b32_e32 v3, 1, v0
	v_cmp_ne_u16_e32 vcc, v1, v4
	v_cmp_ne_u16_sdwa s[10:11], v9, v1 src0_sel:WORD_1 src1_sel:DWORD
	v_cmp_ne_u16_sdwa s[14:15], v9, v9 src0_sel:DWORD src1_sel:WORD_1
	v_cmp_ne_u16_sdwa s[16:17], v8, v9 src0_sel:WORD_1 src1_sel:DWORD
	v_cmp_ne_u16_sdwa s[18:19], v8, v8 src0_sel:DWORD src1_sel:WORD_1
	;; [unrolled: 2-line block ×6, first 2 shown]
	v_cmp_ne_u32_e64 s[0:1], 0, v0
	ds_write_b16 v3, v4
	s_waitcnt lgkmcnt(0)
	s_barrier
	s_and_saveexec_b64 s[52:53], s[0:1]
	s_cbranch_execz .LBB582_38
; %bb.37:
	s_waitcnt vmcnt(0)
	v_add_u32_e32 v2, -2, v3
	ds_read_u16 v2, v2
.LBB582_38:
	s_or_b64 exec, exec, s[52:53]
	v_cndmask_b32_e64 v44, 0, 1, vcc
	v_cndmask_b32_e64 v45, 0, 1, s[10:11]
	v_cndmask_b32_e64 v46, 0, 1, s[14:15]
	;; [unrolled: 1-line block ×12, first 2 shown]
	s_waitcnt vmcnt(0) lgkmcnt(0)
	v_cmp_ne_u16_e64 s[0:1], v2, v12
	s_mov_b64 s[10:11], -1
.LBB582_39:
                                        ; implicit-def: $sgpr7
	s_branch .LBB582_53
.LBB582_40:
                                        ; implicit-def: $sgpr0_sgpr1
                                        ; implicit-def: $vgpr44
                                        ; implicit-def: $vgpr45
                                        ; implicit-def: $vgpr46
                                        ; implicit-def: $vgpr47
                                        ; implicit-def: $vgpr48
                                        ; implicit-def: $vgpr49
                                        ; implicit-def: $vgpr50
                                        ; implicit-def: $vgpr51
                                        ; implicit-def: $vgpr52
                                        ; implicit-def: $vgpr53
                                        ; implicit-def: $vgpr54
                                        ; implicit-def: $vgpr55
                                        ; implicit-def: $vgpr56
                                        ; implicit-def: $sgpr7
	s_cbranch_execnz .LBB582_45
	s_branch .LBB582_53
.LBB582_41:
                                        ; implicit-def: $sgpr0_sgpr1
                                        ; implicit-def: $vgpr44
                                        ; implicit-def: $vgpr45
                                        ; implicit-def: $vgpr46
                                        ; implicit-def: $vgpr47
                                        ; implicit-def: $vgpr48
                                        ; implicit-def: $vgpr49
                                        ; implicit-def: $vgpr50
                                        ; implicit-def: $vgpr51
                                        ; implicit-def: $vgpr52
                                        ; implicit-def: $vgpr53
                                        ; implicit-def: $vgpr54
                                        ; implicit-def: $vgpr55
                                        ; implicit-def: $vgpr56
	s_cbranch_execz .LBB582_39
; %bb.42:
	v_cmp_ne_u16_sdwa s[0:1], v9, v1 src0_sel:WORD_1 src1_sel:DWORD
	v_cndmask_b32_e64 v45, 0, 1, s[0:1]
	v_cmp_ne_u16_sdwa s[0:1], v9, v9 src0_sel:DWORD src1_sel:WORD_1
	v_cndmask_b32_e64 v46, 0, 1, s[0:1]
	v_cmp_ne_u16_sdwa s[0:1], v8, v9 src0_sel:WORD_1 src1_sel:DWORD
	v_cndmask_b32_e64 v47, 0, 1, s[0:1]
	v_cmp_ne_u16_sdwa s[0:1], v8, v8 src0_sel:DWORD src1_sel:WORD_1
	v_cndmask_b32_e64 v48, 0, 1, s[0:1]
	;; [unrolled: 4-line block ×4, first 2 shown]
	v_cmp_ne_u16_sdwa s[0:1], v13, v10 src0_sel:WORD_1 src1_sel:DWORD
	v_cndmask_b32_e64 v53, 0, 1, s[0:1]
	v_cmp_ne_u16_sdwa s[0:1], v13, v13 src0_sel:DWORD src1_sel:WORD_1
	v_lshrrev_b32_e32 v3, 16, v1
	v_cndmask_b32_e64 v54, 0, 1, s[0:1]
	v_cmp_ne_u16_sdwa s[0:1], v12, v13 src0_sel:WORD_1 src1_sel:DWORD
	v_cmp_ne_u16_e32 vcc, v1, v3
	v_cndmask_b32_e64 v55, 0, 1, s[0:1]
	v_cmp_ne_u16_sdwa s[0:1], v12, v12 src0_sel:DWORD src1_sel:WORD_1
	s_mov_b32 s7, 1
	v_lshlrev_b32_e32 v2, 1, v0
	v_cndmask_b32_e64 v44, 0, 1, vcc
	v_cndmask_b32_e64 v56, 0, 1, s[0:1]
	v_cmp_ne_u32_e32 vcc, 0, v0
	ds_write_b16 v2, v3
	s_waitcnt lgkmcnt(0)
	s_barrier
	s_waitcnt lgkmcnt(0)
                                        ; implicit-def: $sgpr0_sgpr1
	s_and_saveexec_b64 s[14:15], vcc
	s_xor_b64 s[14:15], exec, s[14:15]
	s_cbranch_execz .LBB582_44
; %bb.43:
	v_add_u32_e32 v2, -2, v2
	ds_read_u16 v2, v2
	s_or_b64 s[10:11], s[10:11], exec
	s_waitcnt lgkmcnt(0)
	v_cmp_ne_u16_e32 vcc, v2, v12
	s_and_b64 s[0:1], vcc, exec
.LBB582_44:
	s_or_b64 exec, exec, s[14:15]
	s_branch .LBB582_53
.LBB582_45:
	s_mul_hi_u32 s1, s8, 0xfffff580
	s_mul_i32 s0, s9, 0xfffff580
	s_sub_i32 s1, s1, s8
	s_add_i32 s1, s1, s0
	s_mul_i32 s0, s8, 0xfffff580
	s_add_u32 s8, s0, s28
	s_addc_u32 s9, s1, s29
	s_and_b64 vcc, exec, s[12:13]
	v_lshrrev_b32_e32 v34, 16, v1
	v_mul_u32_u24_e32 v2, 14, v0
	v_mad_u32_u24 v4, v0, 14, 13
	v_mad_u32_u24 v32, v0, 14, 12
	v_cmp_ne_u16_sdwa s[46:47], v9, v1 src0_sel:WORD_1 src1_sel:DWORD
	v_mad_u32_u24 v30, v0, 14, 11
	v_cmp_ne_u16_sdwa s[14:15], v9, v9 src0_sel:DWORD src1_sel:WORD_1
	v_mad_u32_u24 v28, v0, 14, 10
	v_cmp_ne_u16_sdwa s[16:17], v8, v9 src0_sel:WORD_1 src1_sel:DWORD
	v_mad_u32_u24 v26, v0, 14, 9
	v_cmp_ne_u16_sdwa s[22:23], v8, v8 src0_sel:DWORD src1_sel:WORD_1
	;; [unrolled: 4-line block ×5, first 2 shown]
	v_mad_u32_u24 v6, v0, 14, 2
	v_cmp_ne_u16_sdwa s[18:19], v12, v13 src0_sel:WORD_1 src1_sel:DWORD
	v_cmp_ne_u16_sdwa s[12:13], v12, v12 src0_sel:DWORD src1_sel:WORD_1
	v_cmp_ne_u32_e64 s[0:1], 0, v0
	s_cbranch_vccz .LBB582_50
; %bb.46:
	v_mov_b32_e32 v5, 0
	global_load_ushort v35, v5, s[2:3] offset:-2
	v_cmp_gt_u64_e32 vcc, s[8:9], v[4:5]
	v_cmp_ne_u16_e64 s[2:3], v1, v34
	v_mov_b32_e32 v33, v5
	s_and_b64 s[2:3], vcc, s[2:3]
	v_cmp_gt_u64_e32 vcc, s[8:9], v[32:33]
	v_mov_b32_e32 v31, v5
	s_and_b64 s[10:11], vcc, s[46:47]
	v_cmp_gt_u64_e32 vcc, s[8:9], v[30:31]
	;; [unrolled: 3-line block ×11, first 2 shown]
	v_or_b32_e32 v36, 1, v2
	v_mov_b32_e32 v37, v5
	s_and_b64 s[18:19], vcc, s[18:19]
	v_cmp_gt_u64_e32 vcc, s[8:9], v[36:37]
	v_lshlrev_b32_e32 v3, 1, v0
	s_and_b64 s[12:13], vcc, s[12:13]
	ds_write_b16 v3, v34
	s_waitcnt lgkmcnt(0)
	s_barrier
	s_and_saveexec_b64 s[46:47], s[0:1]
	s_cbranch_execz .LBB582_48
; %bb.47:
	v_add_u32_e32 v3, -2, v3
	s_waitcnt vmcnt(0)
	ds_read_u16 v35, v3
.LBB582_48:
	s_or_b64 exec, exec, s[46:47]
	v_mov_b32_e32 v3, v5
	v_cmp_gt_u64_e32 vcc, s[8:9], v[2:3]
	s_waitcnt vmcnt(0) lgkmcnt(0)
	v_cmp_ne_u16_e64 s[0:1], v35, v12
	v_cndmask_b32_e64 v44, 0, 1, s[2:3]
	v_cndmask_b32_e64 v45, 0, 1, s[10:11]
	;; [unrolled: 1-line block ×13, first 2 shown]
	s_and_b64 s[0:1], vcc, s[0:1]
	s_mov_b64 s[10:11], -1
.LBB582_49:
                                        ; implicit-def: $sgpr7
	v_mov_b32_e32 v57, s7
	s_and_saveexec_b64 s[2:3], s[10:11]
	s_cbranch_execnz .LBB582_54
	s_branch .LBB582_55
.LBB582_50:
                                        ; implicit-def: $sgpr0_sgpr1
                                        ; implicit-def: $vgpr44
                                        ; implicit-def: $vgpr45
                                        ; implicit-def: $vgpr46
                                        ; implicit-def: $vgpr47
                                        ; implicit-def: $vgpr48
                                        ; implicit-def: $vgpr49
                                        ; implicit-def: $vgpr50
                                        ; implicit-def: $vgpr51
                                        ; implicit-def: $vgpr52
                                        ; implicit-def: $vgpr53
                                        ; implicit-def: $vgpr54
                                        ; implicit-def: $vgpr55
                                        ; implicit-def: $vgpr56
	s_cbranch_execz .LBB582_49
; %bb.51:
	v_mov_b32_e32 v5, 0
	v_cmp_gt_u64_e32 vcc, s[8:9], v[4:5]
	v_cmp_ne_u16_e64 s[0:1], v1, v34
	s_and_b64 s[0:1], vcc, s[0:1]
	v_mov_b32_e32 v33, v5
	v_cndmask_b32_e64 v44, 0, 1, s[0:1]
	v_cmp_gt_u64_e32 vcc, s[8:9], v[32:33]
	v_cmp_ne_u16_sdwa s[0:1], v9, v1 src0_sel:WORD_1 src1_sel:DWORD
	s_and_b64 s[0:1], vcc, s[0:1]
	v_mov_b32_e32 v31, v5
	v_cndmask_b32_e64 v45, 0, 1, s[0:1]
	v_cmp_gt_u64_e32 vcc, s[8:9], v[30:31]
	v_cmp_ne_u16_sdwa s[0:1], v9, v9 src0_sel:DWORD src1_sel:WORD_1
	s_and_b64 s[0:1], vcc, s[0:1]
	v_mov_b32_e32 v29, v5
	v_cndmask_b32_e64 v46, 0, 1, s[0:1]
	v_cmp_gt_u64_e32 vcc, s[8:9], v[28:29]
	v_cmp_ne_u16_sdwa s[0:1], v8, v9 src0_sel:WORD_1 src1_sel:DWORD
	s_and_b64 s[0:1], vcc, s[0:1]
	v_mov_b32_e32 v27, v5
	v_cndmask_b32_e64 v47, 0, 1, s[0:1]
	v_cmp_gt_u64_e32 vcc, s[8:9], v[26:27]
	v_cmp_ne_u16_sdwa s[0:1], v8, v8 src0_sel:DWORD src1_sel:WORD_1
	s_and_b64 s[0:1], vcc, s[0:1]
	v_mov_b32_e32 v25, v5
	v_cndmask_b32_e64 v48, 0, 1, s[0:1]
	v_cmp_gt_u64_e32 vcc, s[8:9], v[24:25]
	v_cmp_ne_u16_sdwa s[0:1], v11, v8 src0_sel:WORD_1 src1_sel:DWORD
	s_and_b64 s[0:1], vcc, s[0:1]
	v_mov_b32_e32 v23, v5
	v_cndmask_b32_e64 v49, 0, 1, s[0:1]
	v_cmp_gt_u64_e32 vcc, s[8:9], v[22:23]
	v_cmp_ne_u16_sdwa s[0:1], v11, v11 src0_sel:DWORD src1_sel:WORD_1
	s_and_b64 s[0:1], vcc, s[0:1]
	v_mov_b32_e32 v21, v5
	v_cndmask_b32_e64 v50, 0, 1, s[0:1]
	v_cmp_gt_u64_e32 vcc, s[8:9], v[20:21]
	v_cmp_ne_u16_sdwa s[0:1], v10, v11 src0_sel:WORD_1 src1_sel:DWORD
	s_and_b64 s[0:1], vcc, s[0:1]
	v_mov_b32_e32 v19, v5
	v_cndmask_b32_e64 v51, 0, 1, s[0:1]
	v_cmp_gt_u64_e32 vcc, s[8:9], v[18:19]
	v_cmp_ne_u16_sdwa s[0:1], v10, v10 src0_sel:DWORD src1_sel:WORD_1
	s_and_b64 s[0:1], vcc, s[0:1]
	v_mov_b32_e32 v17, v5
	v_cndmask_b32_e64 v52, 0, 1, s[0:1]
	v_cmp_gt_u64_e32 vcc, s[8:9], v[16:17]
	v_cmp_ne_u16_sdwa s[0:1], v13, v10 src0_sel:WORD_1 src1_sel:DWORD
	s_and_b64 s[0:1], vcc, s[0:1]
	v_mov_b32_e32 v15, v5
	v_cndmask_b32_e64 v53, 0, 1, s[0:1]
	v_cmp_gt_u64_e32 vcc, s[8:9], v[14:15]
	v_cmp_ne_u16_sdwa s[0:1], v13, v13 src0_sel:DWORD src1_sel:WORD_1
	s_and_b64 s[0:1], vcc, s[0:1]
	v_mov_b32_e32 v7, v5
	v_cndmask_b32_e64 v54, 0, 1, s[0:1]
	v_cmp_gt_u64_e32 vcc, s[8:9], v[6:7]
	v_cmp_ne_u16_sdwa s[0:1], v12, v13 src0_sel:WORD_1 src1_sel:DWORD
	s_and_b64 s[0:1], vcc, s[0:1]
	v_or_b32_e32 v4, 1, v2
	v_cndmask_b32_e64 v55, 0, 1, s[0:1]
	v_cmp_gt_u64_e32 vcc, s[8:9], v[4:5]
	v_cmp_ne_u16_sdwa s[0:1], v12, v12 src0_sel:DWORD src1_sel:WORD_1
	s_and_b64 s[0:1], vcc, s[0:1]
	s_mov_b32 s7, 1
	v_lshlrev_b32_e32 v3, 1, v0
	v_cndmask_b32_e64 v56, 0, 1, s[0:1]
	v_cmp_ne_u32_e32 vcc, 0, v0
	ds_write_b16 v3, v34
	s_waitcnt lgkmcnt(0)
	s_barrier
	s_waitcnt lgkmcnt(0)
                                        ; implicit-def: $sgpr0_sgpr1
	s_and_saveexec_b64 s[2:3], vcc
	s_cbranch_execz .LBB582_134
; %bb.52:
	v_add_u32_e32 v3, -2, v3
	ds_read_u16 v4, v3
	v_mov_b32_e32 v3, v5
	v_cmp_gt_u64_e32 vcc, s[8:9], v[2:3]
	s_or_b64 s[10:11], s[10:11], exec
	s_waitcnt lgkmcnt(0)
	v_cmp_ne_u16_e64 s[0:1], v4, v12
	s_and_b64 s[0:1], vcc, s[0:1]
	s_and_b64 s[0:1], s[0:1], exec
	s_or_b64 exec, exec, s[2:3]
.LBB582_53:
	v_mov_b32_e32 v57, s7
	s_and_saveexec_b64 s[2:3], s[10:11]
.LBB582_54:
	v_cndmask_b32_e64 v57, 0, 1, s[0:1]
.LBB582_55:
	s_or_b64 exec, exec, s[2:3]
	s_load_dwordx4 s[40:43], s[4:5], 0x20
	s_load_dwordx2 s[46:47], s[4:5], 0x30
	s_cmp_eq_u64 s[38:39], 0
	v_add_u32_e32 v2, v56, v57
	s_cselect_b64 s[38:39], -1, 0
	s_cmp_lg_u32 s6, 0
	v_cmp_eq_u32_e64 s[22:23], 0, v56
	v_cmp_eq_u32_e64 s[20:21], 0, v55
	v_add3_u32 v60, v2, v55, v54
	v_cmp_eq_u32_e64 s[18:19], 0, v54
	v_cmp_eq_u32_e64 s[16:17], 0, v53
	;; [unrolled: 1-line block ×10, first 2 shown]
	v_cmp_eq_u32_e32 vcc, 0, v44
	v_mbcnt_lo_u32_b32 v59, -1, 0
	v_lshrrev_b32_e32 v58, 6, v0
	s_cbranch_scc0 .LBB582_82
; %bb.56:
	v_cndmask_b32_e64 v2, 0, v42, s[22:23]
	v_add_u32_e32 v2, v2, v42
	v_cndmask_b32_e64 v2, 0, v2, s[20:21]
	v_add_u32_e32 v2, v2, v42
	v_cndmask_b32_e64 v2, 0, v2, s[18:19]
	v_add_u32_e32 v2, v2, v42
	v_cndmask_b32_e64 v2, 0, v2, s[16:17]
	v_add_u32_e32 v2, v2, v42
	v_cndmask_b32_e64 v2, 0, v2, s[14:15]
	v_add_u32_e32 v2, v2, v42
	v_cndmask_b32_e64 v2, 0, v2, s[12:13]
	v_add_u32_e32 v2, v2, v42
	v_cndmask_b32_e64 v2, 0, v2, s[10:11]
	v_add_u32_e32 v2, v2, v42
	v_cndmask_b32_e64 v2, 0, v2, s[8:9]
	v_add_u32_e32 v2, v2, v42
	v_cndmask_b32_e64 v2, 0, v2, s[26:27]
	v_add_u32_e32 v2, v2, v42
	v_cndmask_b32_e64 v2, 0, v2, s[4:5]
	v_add_u32_e32 v2, v2, v42
	v_cndmask_b32_e64 v2, 0, v2, s[2:3]
	v_add3_u32 v3, v60, v53, v52
	v_add_u32_e32 v2, v2, v42
	v_add3_u32 v3, v3, v51, v50
	v_cndmask_b32_e64 v2, 0, v2, s[0:1]
	v_add3_u32 v3, v3, v49, v48
	v_add_u32_e32 v2, v2, v42
	v_add3_u32 v3, v3, v47, v46
	v_cndmask_b32_e32 v2, 0, v2, vcc
	v_add3_u32 v3, v3, v45, v44
	v_add_u32_e32 v2, v2, v43
	v_mbcnt_hi_u32_b32 v17, -1, v59
	v_and_b32_e32 v4, 15, v17
	v_mov_b32_dpp v6, v2 row_shr:1 row_mask:0xf bank_mask:0xf
	v_cmp_eq_u32_e32 vcc, 0, v3
	v_mov_b32_dpp v5, v3 row_shr:1 row_mask:0xf bank_mask:0xf
	v_cndmask_b32_e32 v6, 0, v6, vcc
	v_cmp_eq_u32_e32 vcc, 0, v4
	v_cndmask_b32_e64 v5, v5, 0, vcc
	v_add_u32_e32 v3, v5, v3
	v_cndmask_b32_e64 v5, v6, 0, vcc
	v_add_u32_e32 v2, v5, v2
	v_cmp_eq_u32_e32 vcc, 0, v3
	v_mov_b32_dpp v5, v3 row_shr:2 row_mask:0xf bank_mask:0xf
	v_cmp_lt_u32_e64 s[24:25], 1, v4
	v_mov_b32_dpp v6, v2 row_shr:2 row_mask:0xf bank_mask:0xf
	v_cndmask_b32_e64 v5, 0, v5, s[24:25]
	s_and_b64 vcc, s[24:25], vcc
	v_cndmask_b32_e32 v6, 0, v6, vcc
	v_add_u32_e32 v3, v3, v5
	v_add_u32_e32 v2, v6, v2
	v_cmp_eq_u32_e32 vcc, 0, v3
	v_mov_b32_dpp v5, v3 row_shr:4 row_mask:0xf bank_mask:0xf
	v_cmp_lt_u32_e64 s[24:25], 3, v4
	v_mov_b32_dpp v6, v2 row_shr:4 row_mask:0xf bank_mask:0xf
	v_cndmask_b32_e64 v5, 0, v5, s[24:25]
	s_and_b64 vcc, s[24:25], vcc
	v_cndmask_b32_e32 v6, 0, v6, vcc
	v_add_u32_e32 v3, v5, v3
	v_add_u32_e32 v2, v2, v6
	v_cmp_eq_u32_e32 vcc, 0, v3
	v_cmp_lt_u32_e64 s[24:25], 7, v4
	v_mov_b32_dpp v5, v3 row_shr:8 row_mask:0xf bank_mask:0xf
	v_mov_b32_dpp v6, v2 row_shr:8 row_mask:0xf bank_mask:0xf
	s_and_b64 vcc, s[24:25], vcc
	v_cndmask_b32_e64 v4, 0, v5, s[24:25]
	v_cndmask_b32_e32 v5, 0, v6, vcc
	v_add_u32_e32 v2, v5, v2
	v_add_u32_e32 v3, v4, v3
	v_bfe_i32 v6, v17, 4, 1
	v_mov_b32_dpp v5, v2 row_bcast:15 row_mask:0xf bank_mask:0xf
	v_mov_b32_dpp v4, v3 row_bcast:15 row_mask:0xf bank_mask:0xf
	v_cmp_eq_u32_e32 vcc, 0, v3
	v_cndmask_b32_e32 v5, 0, v5, vcc
	v_and_b32_e32 v4, v6, v4
	v_add_u32_e32 v3, v4, v3
	v_and_b32_e32 v4, v6, v5
	v_add_u32_e32 v4, v4, v2
	v_mov_b32_dpp v2, v3 row_bcast:31 row_mask:0xf bank_mask:0xf
	v_cmp_eq_u32_e32 vcc, 0, v3
	v_cmp_lt_u32_e64 s[24:25], 31, v17
	v_mov_b32_dpp v5, v4 row_bcast:31 row_mask:0xf bank_mask:0xf
	v_cndmask_b32_e64 v2, 0, v2, s[24:25]
	s_and_b64 vcc, s[24:25], vcc
	v_add_u32_e32 v2, v2, v3
	v_cndmask_b32_e32 v3, 0, v5, vcc
	v_add_u32_e32 v3, v3, v4
	v_and_b32_e32 v4, 0xc0, v0
	v_min_u32_e32 v4, 0x80, v4
	v_or_b32_e32 v4, 63, v4
	v_cmp_eq_u32_e32 vcc, v4, v0
	v_lshlrev_b32_e32 v4, 3, v58
	s_and_saveexec_b64 s[24:25], vcc
	s_cbranch_execz .LBB582_58
; %bb.57:
	ds_write_b64 v4, v[2:3] offset:784
.LBB582_58:
	s_or_b64 exec, exec, s[24:25]
	v_cmp_gt_u32_e32 vcc, 3, v0
	s_waitcnt lgkmcnt(0)
	s_barrier
	s_and_saveexec_b64 s[28:29], vcc
	s_cbranch_execz .LBB582_60
; %bb.59:
	v_lshlrev_b32_e32 v5, 3, v0
	ds_read_b64 v[6:7], v5 offset:784
	v_and_b32_e32 v14, 3, v17
	v_cmp_lt_u32_e64 s[24:25], 1, v14
	s_waitcnt lgkmcnt(0)
	v_mov_b32_dpp v16, v7 row_shr:1 row_mask:0xf bank_mask:0xf
	v_cmp_eq_u32_e32 vcc, 0, v6
	v_mov_b32_dpp v15, v6 row_shr:1 row_mask:0xf bank_mask:0xf
	v_cndmask_b32_e32 v16, 0, v16, vcc
	v_cmp_eq_u32_e32 vcc, 0, v14
	v_cndmask_b32_e64 v15, v15, 0, vcc
	v_add_u32_e32 v6, v15, v6
	v_cndmask_b32_e64 v15, v16, 0, vcc
	v_add_u32_e32 v7, v15, v7
	v_cmp_eq_u32_e32 vcc, 0, v6
	v_mov_b32_dpp v15, v6 row_shr:2 row_mask:0xf bank_mask:0xf
	v_mov_b32_dpp v16, v7 row_shr:2 row_mask:0xf bank_mask:0xf
	v_cndmask_b32_e64 v14, 0, v15, s[24:25]
	s_and_b64 vcc, s[24:25], vcc
	v_add_u32_e32 v6, v14, v6
	v_cndmask_b32_e32 v14, 0, v16, vcc
	v_add_u32_e32 v7, v14, v7
	ds_write_b64 v5, v[6:7] offset:784
.LBB582_60:
	s_or_b64 exec, exec, s[28:29]
	v_cmp_gt_u32_e32 vcc, 64, v0
	v_cmp_lt_u32_e64 s[24:25], 63, v0
	v_mov_b32_e32 v14, 0
	v_mov_b32_e32 v15, 0
	s_waitcnt lgkmcnt(0)
	s_barrier
	s_and_saveexec_b64 s[28:29], s[24:25]
	s_cbranch_execz .LBB582_62
; %bb.61:
	ds_read_b64 v[14:15], v4 offset:776
	v_cmp_eq_u32_e64 s[24:25], 0, v2
	s_waitcnt lgkmcnt(0)
	v_add_u32_e32 v4, v14, v2
	v_cndmask_b32_e64 v2, 0, v15, s[24:25]
	v_add_u32_e32 v3, v2, v3
	v_mov_b32_e32 v2, v4
.LBB582_62:
	s_or_b64 exec, exec, s[28:29]
	v_add_u32_e32 v4, -1, v17
	v_and_b32_e32 v5, 64, v17
	v_cmp_lt_i32_e64 s[24:25], v4, v5
	v_cndmask_b32_e64 v4, v4, v17, s[24:25]
	v_lshlrev_b32_e32 v4, 2, v4
	ds_bpermute_b32 v22, v4, v2
	ds_bpermute_b32 v23, v4, v3
	v_cmp_eq_u32_e64 s[24:25], 0, v17
	s_and_saveexec_b64 s[50:51], vcc
	s_cbranch_execz .LBB582_81
; %bb.63:
	v_mov_b32_e32 v7, 0
	ds_read_b64 v[2:3], v7 offset:800
	s_waitcnt lgkmcnt(0)
	v_readfirstlane_b32 s7, v2
	v_readfirstlane_b32 s54, v3
	s_and_saveexec_b64 s[28:29], s[24:25]
	s_cbranch_execz .LBB582_65
; %bb.64:
	s_add_i32 s52, s6, 64
	s_mov_b32 s53, 0
	s_lshl_b64 s[56:57], s[52:53], 4
	s_add_u32 s56, s36, s56
	s_addc_u32 s57, s37, s57
	s_and_b32 s59, s54, 0xff000000
	s_mov_b32 s58, s53
	s_and_b32 s61, s54, 0xff0000
	s_mov_b32 s60, s53
	s_or_b64 s[58:59], s[60:61], s[58:59]
	s_and_b32 s61, s54, 0xff00
	s_or_b64 s[58:59], s[58:59], s[60:61]
	s_and_b32 s61, s54, 0xff
	s_or_b64 s[52:53], s[58:59], s[60:61]
	v_mov_b32_e32 v4, s7
	v_mov_b32_e32 v5, s53
	;; [unrolled: 1-line block ×3, first 2 shown]
	v_pk_mov_b32 v[2:3], s[56:57], s[56:57] op_sel:[0,1]
	;;#ASMSTART
	global_store_dwordx4 v[2:3], v[4:7] off	
s_waitcnt vmcnt(0)
	;;#ASMEND
.LBB582_65:
	s_or_b64 exec, exec, s[28:29]
	v_xad_u32 v16, v17, -1, s6
	v_add_u32_e32 v6, 64, v16
	v_lshlrev_b64 v[2:3], 4, v[6:7]
	v_mov_b32_e32 v4, s37
	v_add_co_u32_e32 v18, vcc, s36, v2
	v_addc_co_u32_e32 v19, vcc, v4, v3, vcc
	;;#ASMSTART
	global_load_dwordx4 v[2:5], v[18:19] off glc	
s_waitcnt vmcnt(0)
	;;#ASMEND
	v_and_b32_e32 v5, 0xff, v3
	v_and_b32_e32 v6, 0xff00, v3
	v_or3_b32 v5, 0, v5, v6
	v_or3_b32 v2, v2, 0, 0
	v_and_b32_e32 v6, 0xff000000, v3
	v_and_b32_e32 v3, 0xff0000, v3
	v_or3_b32 v3, v5, v3, v6
	v_or3_b32 v2, v2, 0, 0
	v_cmp_eq_u16_sdwa s[52:53], v4, v7 src0_sel:BYTE_0 src1_sel:DWORD
	s_and_saveexec_b64 s[28:29], s[52:53]
	s_cbranch_execz .LBB582_69
; %bb.66:
	s_mov_b64 s[52:53], 0
	v_mov_b32_e32 v6, 0
.LBB582_67:                             ; =>This Inner Loop Header: Depth=1
	;;#ASMSTART
	global_load_dwordx4 v[2:5], v[18:19] off glc	
s_waitcnt vmcnt(0)
	;;#ASMEND
	v_cmp_ne_u16_sdwa s[56:57], v4, v6 src0_sel:BYTE_0 src1_sel:DWORD
	s_or_b64 s[52:53], s[56:57], s[52:53]
	s_andn2_b64 exec, exec, s[52:53]
	s_cbranch_execnz .LBB582_67
; %bb.68:
	s_or_b64 exec, exec, s[52:53]
.LBB582_69:
	s_or_b64 exec, exec, s[28:29]
	v_mov_b32_e32 v24, 2
	v_cmp_eq_u16_sdwa s[28:29], v4, v24 src0_sel:BYTE_0 src1_sel:DWORD
	v_lshlrev_b64 v[18:19], v17, -1
	v_and_b32_e32 v5, s29, v19
	v_and_b32_e32 v25, 63, v17
	v_or_b32_e32 v5, 0x80000000, v5
	v_cmp_ne_u32_e32 vcc, 63, v25
	v_and_b32_e32 v6, s28, v18
	v_ffbl_b32_e32 v5, v5
	v_addc_co_u32_e32 v7, vcc, 0, v17, vcc
	v_add_u32_e32 v5, 32, v5
	v_ffbl_b32_e32 v6, v6
	v_lshlrev_b32_e32 v26, 2, v7
	v_min_u32_e32 v5, v6, v5
	ds_bpermute_b32 v6, v26, v3
	v_cmp_eq_u32_e32 vcc, 0, v2
	v_cmp_lt_u32_e64 s[28:29], v25, v5
	ds_bpermute_b32 v7, v26, v2
	s_and_b64 vcc, s[28:29], vcc
	s_waitcnt lgkmcnt(1)
	v_cndmask_b32_e32 v6, 0, v6, vcc
	v_cmp_gt_u32_e32 vcc, 62, v25
	v_add_u32_e32 v3, v6, v3
	v_cndmask_b32_e64 v6, 0, 1, vcc
	v_lshlrev_b32_e32 v6, 1, v6
	v_add_lshl_u32 v27, v6, v17, 2
	s_waitcnt lgkmcnt(0)
	v_cndmask_b32_e64 v7, 0, v7, s[28:29]
	ds_bpermute_b32 v6, v27, v3
	v_add_u32_e32 v2, v7, v2
	ds_bpermute_b32 v7, v27, v2
	v_add_u32_e32 v28, 2, v25
	v_cmp_eq_u32_e32 vcc, 0, v2
	s_waitcnt lgkmcnt(1)
	v_cndmask_b32_e32 v6, 0, v6, vcc
	v_cmp_gt_u32_e32 vcc, v28, v5
	v_cndmask_b32_e64 v6, v6, 0, vcc
	v_add_u32_e32 v3, v6, v3
	s_waitcnt lgkmcnt(0)
	v_cndmask_b32_e64 v6, v7, 0, vcc
	v_cmp_gt_u32_e32 vcc, 60, v25
	v_cndmask_b32_e64 v7, 0, 1, vcc
	v_lshlrev_b32_e32 v7, 2, v7
	v_add_lshl_u32 v29, v7, v17, 2
	ds_bpermute_b32 v7, v29, v3
	v_add_u32_e32 v2, v2, v6
	ds_bpermute_b32 v6, v29, v2
	v_add_u32_e32 v30, 4, v25
	v_cmp_eq_u32_e32 vcc, 0, v2
	s_waitcnt lgkmcnt(1)
	v_cndmask_b32_e32 v7, 0, v7, vcc
	v_cmp_gt_u32_e32 vcc, v30, v5
	v_cndmask_b32_e64 v7, v7, 0, vcc
	s_waitcnt lgkmcnt(0)
	v_cndmask_b32_e64 v6, v6, 0, vcc
	v_cmp_gt_u32_e32 vcc, 56, v25
	v_add_u32_e32 v3, v3, v7
	v_cndmask_b32_e64 v7, 0, 1, vcc
	v_lshlrev_b32_e32 v7, 3, v7
	v_add_lshl_u32 v31, v7, v17, 2
	ds_bpermute_b32 v7, v31, v3
	v_add_u32_e32 v2, v2, v6
	ds_bpermute_b32 v6, v31, v2
	v_add_u32_e32 v32, 8, v25
	v_cmp_eq_u32_e32 vcc, 0, v2
	s_waitcnt lgkmcnt(1)
	v_cndmask_b32_e32 v7, 0, v7, vcc
	v_cmp_gt_u32_e32 vcc, v32, v5
	v_cndmask_b32_e64 v7, v7, 0, vcc
	s_waitcnt lgkmcnt(0)
	v_cndmask_b32_e64 v6, v6, 0, vcc
	v_cmp_gt_u32_e32 vcc, 48, v25
	v_add_u32_e32 v3, v3, v7
	;; [unrolled: 16-line block ×3, first 2 shown]
	v_cndmask_b32_e64 v7, 0, 1, vcc
	v_lshlrev_b32_e32 v7, 5, v7
	v_add_lshl_u32 v35, v7, v17, 2
	ds_bpermute_b32 v7, v35, v3
	v_add_u32_e32 v2, v2, v6
	ds_bpermute_b32 v6, v35, v2
	v_add_u32_e32 v36, 32, v25
	v_cmp_eq_u32_e32 vcc, 0, v2
	s_waitcnt lgkmcnt(1)
	v_cndmask_b32_e32 v7, 0, v7, vcc
	v_cmp_gt_u32_e32 vcc, v36, v5
	v_cndmask_b32_e64 v5, v7, 0, vcc
	v_add_u32_e32 v3, v5, v3
	s_waitcnt lgkmcnt(0)
	v_cndmask_b32_e64 v5, v6, 0, vcc
	v_add_u32_e32 v2, v5, v2
	v_mov_b32_e32 v17, 0
	s_branch .LBB582_71
.LBB582_70:                             ;   in Loop: Header=BB582_71 Depth=1
	s_or_b64 exec, exec, s[28:29]
	v_cmp_eq_u16_sdwa s[28:29], v4, v24 src0_sel:BYTE_0 src1_sel:DWORD
	v_and_b32_e32 v5, s29, v19
	v_or_b32_e32 v5, 0x80000000, v5
	v_and_b32_e32 v20, s28, v18
	v_ffbl_b32_e32 v5, v5
	v_add_u32_e32 v5, 32, v5
	v_ffbl_b32_e32 v20, v20
	v_min_u32_e32 v5, v20, v5
	ds_bpermute_b32 v20, v26, v3
	v_cmp_eq_u32_e32 vcc, 0, v2
	v_cmp_lt_u32_e64 s[28:29], v25, v5
	ds_bpermute_b32 v21, v26, v2
	s_and_b64 vcc, s[28:29], vcc
	s_waitcnt lgkmcnt(1)
	v_cndmask_b32_e32 v20, 0, v20, vcc
	v_add_u32_e32 v3, v20, v3
	ds_bpermute_b32 v20, v27, v3
	s_waitcnt lgkmcnt(1)
	v_cndmask_b32_e64 v21, 0, v21, s[28:29]
	v_add_u32_e32 v2, v21, v2
	v_cmp_eq_u32_e32 vcc, 0, v2
	ds_bpermute_b32 v21, v27, v2
	s_waitcnt lgkmcnt(1)
	v_cndmask_b32_e32 v20, 0, v20, vcc
	v_cmp_gt_u32_e32 vcc, v28, v5
	v_cndmask_b32_e64 v20, v20, 0, vcc
	v_add_u32_e32 v3, v20, v3
	ds_bpermute_b32 v20, v29, v3
	s_waitcnt lgkmcnt(1)
	v_cndmask_b32_e64 v21, v21, 0, vcc
	v_add_u32_e32 v2, v2, v21
	v_cmp_eq_u32_e32 vcc, 0, v2
	ds_bpermute_b32 v21, v29, v2
	s_waitcnt lgkmcnt(1)
	v_cndmask_b32_e32 v20, 0, v20, vcc
	v_cmp_gt_u32_e32 vcc, v30, v5
	v_cndmask_b32_e64 v20, v20, 0, vcc
	v_add_u32_e32 v3, v3, v20
	ds_bpermute_b32 v20, v31, v3
	s_waitcnt lgkmcnt(1)
	v_cndmask_b32_e64 v21, v21, 0, vcc
	v_add_u32_e32 v2, v2, v21
	ds_bpermute_b32 v21, v31, v2
	v_cmp_eq_u32_e32 vcc, 0, v2
	s_waitcnt lgkmcnt(1)
	v_cndmask_b32_e32 v20, 0, v20, vcc
	v_cmp_gt_u32_e32 vcc, v32, v5
	v_cndmask_b32_e64 v20, v20, 0, vcc
	v_add_u32_e32 v3, v3, v20
	ds_bpermute_b32 v20, v33, v3
	s_waitcnt lgkmcnt(1)
	v_cndmask_b32_e64 v21, v21, 0, vcc
	v_add_u32_e32 v2, v2, v21
	ds_bpermute_b32 v21, v33, v2
	v_cmp_eq_u32_e32 vcc, 0, v2
	;; [unrolled: 11-line block ×3, first 2 shown]
	s_waitcnt lgkmcnt(1)
	v_cndmask_b32_e32 v20, 0, v20, vcc
	v_cmp_gt_u32_e32 vcc, v36, v5
	v_cndmask_b32_e64 v5, v20, 0, vcc
	v_add_u32_e32 v3, v5, v3
	s_waitcnt lgkmcnt(0)
	v_cndmask_b32_e64 v5, v21, 0, vcc
	v_cmp_eq_u32_e32 vcc, 0, v6
	v_cndmask_b32_e32 v3, 0, v3, vcc
	v_subrev_u32_e32 v16, 64, v16
	v_add3_u32 v2, v2, v6, v5
	v_add_u32_e32 v3, v3, v7
.LBB582_71:                             ; =>This Loop Header: Depth=1
                                        ;     Child Loop BB582_74 Depth 2
	v_cmp_ne_u16_sdwa s[28:29], v4, v24 src0_sel:BYTE_0 src1_sel:DWORD
	v_mov_b32_e32 v7, v3
	v_cndmask_b32_e64 v3, 0, 1, s[28:29]
	;;#ASMSTART
	;;#ASMEND
	v_cmp_ne_u32_e32 vcc, 0, v3
	s_cmp_lg_u64 vcc, exec
	v_mov_b32_e32 v6, v2
	s_cbranch_scc1 .LBB582_76
; %bb.72:                               ;   in Loop: Header=BB582_71 Depth=1
	v_lshlrev_b64 v[2:3], 4, v[16:17]
	v_mov_b32_e32 v4, s37
	v_add_co_u32_e32 v20, vcc, s36, v2
	v_addc_co_u32_e32 v21, vcc, v4, v3, vcc
	;;#ASMSTART
	global_load_dwordx4 v[2:5], v[20:21] off glc	
s_waitcnt vmcnt(0)
	;;#ASMEND
	v_and_b32_e32 v5, 0xff, v3
	v_and_b32_e32 v37, 0xff00, v3
	v_or3_b32 v5, 0, v5, v37
	v_or3_b32 v2, v2, 0, 0
	v_and_b32_e32 v37, 0xff000000, v3
	v_and_b32_e32 v3, 0xff0000, v3
	v_or3_b32 v3, v5, v3, v37
	v_or3_b32 v2, v2, 0, 0
	v_cmp_eq_u16_sdwa s[52:53], v4, v17 src0_sel:BYTE_0 src1_sel:DWORD
	s_and_saveexec_b64 s[28:29], s[52:53]
	s_cbranch_execz .LBB582_70
; %bb.73:                               ;   in Loop: Header=BB582_71 Depth=1
	s_mov_b64 s[52:53], 0
.LBB582_74:                             ;   Parent Loop BB582_71 Depth=1
                                        ; =>  This Inner Loop Header: Depth=2
	;;#ASMSTART
	global_load_dwordx4 v[2:5], v[20:21] off glc	
s_waitcnt vmcnt(0)
	;;#ASMEND
	v_cmp_ne_u16_sdwa s[56:57], v4, v17 src0_sel:BYTE_0 src1_sel:DWORD
	s_or_b64 s[52:53], s[56:57], s[52:53]
	s_andn2_b64 exec, exec, s[52:53]
	s_cbranch_execnz .LBB582_74
; %bb.75:                               ;   in Loop: Header=BB582_71 Depth=1
	s_or_b64 exec, exec, s[52:53]
	s_branch .LBB582_70
.LBB582_76:                             ;   in Loop: Header=BB582_71 Depth=1
                                        ; implicit-def: $vgpr3
                                        ; implicit-def: $vgpr2
                                        ; implicit-def: $vgpr4
	s_cbranch_execz .LBB582_71
; %bb.77:
	s_and_saveexec_b64 s[28:29], s[24:25]
	s_cbranch_execz .LBB582_79
; %bb.78:
	s_cmp_eq_u32 s7, 0
	s_cselect_b64 vcc, -1, 0
	s_mov_b32 s53, 0
	v_cndmask_b32_e32 v2, 0, v7, vcc
	s_add_i32 s52, s6, 64
	v_add_u32_e32 v2, s54, v2
	s_lshl_b64 s[52:53], s[52:53], 4
	s_add_u32 s52, s36, s52
	v_and_b32_e32 v3, 0xff000000, v2
	v_and_b32_e32 v4, 0xff0000, v2
	s_addc_u32 s53, s37, s53
	v_or_b32_e32 v3, v4, v3
	v_and_b32_e32 v4, 0xff00, v2
	v_and_b32_e32 v2, 0xff, v2
	v_add_u32_e32 v16, s7, v6
	v_mov_b32_e32 v19, 0
	v_or3_b32 v17, v3, v4, v2
	v_mov_b32_e32 v18, 2
	v_pk_mov_b32 v[2:3], s[52:53], s[52:53] op_sel:[0,1]
	;;#ASMSTART
	global_store_dwordx4 v[2:3], v[16:19] off	
s_waitcnt vmcnt(0)
	;;#ASMEND
	v_mov_b32_e32 v4, s7
	v_mov_b32_e32 v5, s54
	ds_write_b128 v19, v[4:7] offset:768
.LBB582_79:
	s_or_b64 exec, exec, s[28:29]
	v_cmp_eq_u32_e32 vcc, 0, v0
	s_and_b64 exec, exec, vcc
	s_cbranch_execz .LBB582_81
; %bb.80:
	v_mov_b32_e32 v2, 0
	ds_write_b64 v2, v[6:7] offset:800
.LBB582_81:
	s_or_b64 exec, exec, s[50:51]
	v_mov_b32_e32 v4, 0
	s_waitcnt lgkmcnt(0)
	s_barrier
	ds_read_b64 v[2:3], v4 offset:800
	v_cndmask_b32_e64 v6, v22, v14, s[24:25]
	v_cmp_eq_u32_e32 vcc, 0, v6
	v_cndmask_b32_e64 v5, v23, v15, s[24:25]
	s_waitcnt lgkmcnt(0)
	v_cndmask_b32_e32 v7, 0, v3, vcc
	v_add_u32_e32 v5, v7, v5
	v_cmp_eq_u32_e32 vcc, 0, v0
	v_cndmask_b32_e32 v41, v5, v3, vcc
	v_cndmask_b32_e64 v3, v6, 0, vcc
	v_cmp_eq_u32_e32 vcc, 0, v57
	v_add_u32_e32 v40, v2, v3
	v_cndmask_b32_e32 v2, 0, v41, vcc
	v_add_u32_e32 v39, v2, v42
	v_cndmask_b32_e64 v2, 0, v39, s[22:23]
	v_add_u32_e32 v37, v2, v42
	v_cndmask_b32_e64 v2, 0, v37, s[20:21]
	;; [unrolled: 2-line block ×7, first 2 shown]
	v_add_u32_e32 v25, v2, v42
	v_add_u32_e32 v38, v40, v57
	v_cndmask_b32_e64 v2, 0, v25, s[8:9]
	v_add_u32_e32 v36, v38, v56
	v_add_u32_e32 v23, v2, v42
	v_add_u32_e32 v34, v36, v55
	v_cndmask_b32_e64 v2, 0, v23, s[26:27]
	v_add_u32_e32 v32, v34, v54
	;; [unrolled: 4-line block ×3, first 2 shown]
	v_add_u32_e32 v19, v2, v42
	s_barrier
	ds_read_b128 v[2:5], v4 offset:768
	v_add_u32_e32 v26, v28, v51
	v_add_u32_e32 v24, v26, v50
	;; [unrolled: 1-line block ×4, first 2 shown]
	v_cndmask_b32_e64 v6, 0, v19, s[2:3]
	v_add_u32_e32 v18, v20, v47
	v_add_u32_e32 v15, v6, v42
	s_waitcnt lgkmcnt(0)
	v_cmp_eq_u32_e32 vcc, 0, v2
	v_add_u32_e32 v14, v18, v46
	v_cndmask_b32_e64 v6, 0, v15, s[0:1]
	v_cndmask_b32_e32 v5, 0, v5, vcc
	v_add_u32_e32 v16, v14, v45
	v_add_u32_e32 v17, v6, v42
	;; [unrolled: 1-line block ×3, first 2 shown]
	s_branch .LBB582_94
.LBB582_82:
                                        ; implicit-def: $vgpr2
                                        ; implicit-def: $vgpr6
                                        ; implicit-def: $vgpr16_vgpr17
                                        ; implicit-def: $vgpr14_vgpr15
                                        ; implicit-def: $vgpr18_vgpr19
                                        ; implicit-def: $vgpr20_vgpr21
                                        ; implicit-def: $vgpr40_vgpr41
                                        ; implicit-def: $vgpr38_vgpr39
                                        ; implicit-def: $vgpr36_vgpr37
                                        ; implicit-def: $vgpr34_vgpr35
                                        ; implicit-def: $vgpr32_vgpr33
                                        ; implicit-def: $vgpr30_vgpr31
                                        ; implicit-def: $vgpr28_vgpr29
                                        ; implicit-def: $vgpr26_vgpr27
                                        ; implicit-def: $vgpr24_vgpr25
                                        ; implicit-def: $vgpr22_vgpr23
	s_cbranch_execz .LBB582_94
; %bb.83:
	s_and_b64 s[0:1], s[38:39], exec
	s_cselect_b32 s1, 0, s49
	s_cselect_b32 s0, 0, s48
	s_cmp_eq_u64 s[0:1], 0
	v_mov_b32_e32 v6, v42
	s_cbranch_scc1 .LBB582_85
; %bb.84:
	v_mov_b32_e32 v2, 0
	global_load_dword v6, v2, s[0:1]
.LBB582_85:
	v_cmp_eq_u32_e64 s[0:1], 0, v56
	v_cndmask_b32_e64 v2, 0, v42, s[0:1]
	v_add_u32_e32 v2, v2, v42
	v_cmp_eq_u32_e64 s[2:3], 0, v55
	v_cndmask_b32_e64 v2, 0, v2, s[2:3]
	v_add_u32_e32 v2, v2, v42
	;; [unrolled: 3-line block ×10, first 2 shown]
	v_cmp_eq_u32_e64 s[20:21], 0, v46
	v_cndmask_b32_e64 v2, 0, v2, s[20:21]
	v_add3_u32 v3, v60, v53, v52
	v_add_u32_e32 v2, v2, v42
	v_cmp_eq_u32_e32 vcc, 0, v45
	v_add3_u32 v3, v3, v51, v50
	v_cndmask_b32_e32 v2, 0, v2, vcc
	v_add3_u32 v3, v3, v49, v48
	v_add_u32_e32 v2, v2, v42
	v_cmp_eq_u32_e64 s[22:23], 0, v44
	v_add3_u32 v3, v3, v47, v46
	v_cndmask_b32_e64 v2, 0, v2, s[22:23]
	v_add3_u32 v3, v3, v45, v44
	v_add_u32_e32 v2, v2, v43
	v_mbcnt_hi_u32_b32 v7, -1, v59
	v_and_b32_e32 v4, 15, v7
	v_mov_b32_dpp v14, v2 row_shr:1 row_mask:0xf bank_mask:0xf
	v_cmp_eq_u32_e64 s[22:23], 0, v3
	v_mov_b32_dpp v5, v3 row_shr:1 row_mask:0xf bank_mask:0xf
	v_cndmask_b32_e64 v14, 0, v14, s[22:23]
	v_cmp_eq_u32_e64 s[22:23], 0, v4
	v_cndmask_b32_e64 v5, v5, 0, s[22:23]
	v_add_u32_e32 v3, v5, v3
	v_cndmask_b32_e64 v5, v14, 0, s[22:23]
	v_add_u32_e32 v2, v5, v2
	v_cmp_eq_u32_e64 s[22:23], 0, v3
	v_mov_b32_dpp v5, v3 row_shr:2 row_mask:0xf bank_mask:0xf
	v_cmp_lt_u32_e64 s[24:25], 1, v4
	v_mov_b32_dpp v14, v2 row_shr:2 row_mask:0xf bank_mask:0xf
	v_cndmask_b32_e64 v5, 0, v5, s[24:25]
	s_and_b64 s[22:23], s[24:25], s[22:23]
	v_cndmask_b32_e64 v14, 0, v14, s[22:23]
	v_add_u32_e32 v3, v3, v5
	v_add_u32_e32 v2, v14, v2
	v_cmp_eq_u32_e64 s[22:23], 0, v3
	v_mov_b32_dpp v5, v3 row_shr:4 row_mask:0xf bank_mask:0xf
	v_cmp_lt_u32_e64 s[24:25], 3, v4
	v_mov_b32_dpp v14, v2 row_shr:4 row_mask:0xf bank_mask:0xf
	v_cndmask_b32_e64 v5, 0, v5, s[24:25]
	s_and_b64 s[22:23], s[24:25], s[22:23]
	v_cndmask_b32_e64 v14, 0, v14, s[22:23]
	v_add_u32_e32 v3, v5, v3
	v_add_u32_e32 v2, v2, v14
	v_cmp_eq_u32_e64 s[22:23], 0, v3
	v_cmp_lt_u32_e64 s[24:25], 7, v4
	v_mov_b32_dpp v5, v3 row_shr:8 row_mask:0xf bank_mask:0xf
	v_mov_b32_dpp v14, v2 row_shr:8 row_mask:0xf bank_mask:0xf
	s_and_b64 s[22:23], s[24:25], s[22:23]
	v_cndmask_b32_e64 v4, 0, v5, s[24:25]
	v_cndmask_b32_e64 v5, 0, v14, s[22:23]
	v_add_u32_e32 v2, v5, v2
	v_add_u32_e32 v3, v4, v3
	v_bfe_i32 v14, v7, 4, 1
	v_mov_b32_dpp v5, v2 row_bcast:15 row_mask:0xf bank_mask:0xf
	v_mov_b32_dpp v4, v3 row_bcast:15 row_mask:0xf bank_mask:0xf
	v_cmp_eq_u32_e64 s[22:23], 0, v3
	v_cndmask_b32_e64 v5, 0, v5, s[22:23]
	v_and_b32_e32 v4, v14, v4
	v_add_u32_e32 v3, v4, v3
	v_and_b32_e32 v4, v14, v5
	v_add_u32_e32 v4, v4, v2
	v_mov_b32_dpp v2, v3 row_bcast:31 row_mask:0xf bank_mask:0xf
	v_cmp_eq_u32_e64 s[22:23], 0, v3
	v_cmp_lt_u32_e64 s[24:25], 31, v7
	v_mov_b32_dpp v5, v4 row_bcast:31 row_mask:0xf bank_mask:0xf
	v_cndmask_b32_e64 v2, 0, v2, s[24:25]
	s_and_b64 s[22:23], s[24:25], s[22:23]
	v_add_u32_e32 v2, v2, v3
	v_cndmask_b32_e64 v3, 0, v5, s[22:23]
	v_add_u32_e32 v3, v3, v4
	v_and_b32_e32 v4, 0xc0, v0
	v_min_u32_e32 v4, 0x80, v4
	v_or_b32_e32 v4, 63, v4
	v_cmp_eq_u32_e64 s[22:23], v4, v0
	v_lshlrev_b32_e32 v5, 3, v58
	s_and_saveexec_b64 s[24:25], s[22:23]
	s_cbranch_execz .LBB582_87
; %bb.86:
	ds_write_b64 v5, v[2:3] offset:784
.LBB582_87:
	s_or_b64 exec, exec, s[24:25]
	v_cmp_gt_u32_e64 s[22:23], 3, v0
	s_waitcnt lgkmcnt(0)
	s_barrier
	s_and_saveexec_b64 s[26:27], s[22:23]
	s_cbranch_execz .LBB582_89
; %bb.88:
	v_lshlrev_b32_e32 v4, 3, v0
	ds_read_b64 v[14:15], v4 offset:784
	v_and_b32_e32 v16, 3, v7
	v_cmp_lt_u32_e64 s[24:25], 1, v16
	s_waitcnt lgkmcnt(0)
	v_mov_b32_dpp v18, v15 row_shr:1 row_mask:0xf bank_mask:0xf
	v_cmp_eq_u32_e64 s[22:23], 0, v14
	v_mov_b32_dpp v17, v14 row_shr:1 row_mask:0xf bank_mask:0xf
	v_cndmask_b32_e64 v18, 0, v18, s[22:23]
	v_cmp_eq_u32_e64 s[22:23], 0, v16
	v_cndmask_b32_e64 v17, v17, 0, s[22:23]
	v_add_u32_e32 v14, v17, v14
	v_cndmask_b32_e64 v17, v18, 0, s[22:23]
	v_add_u32_e32 v15, v17, v15
	v_cmp_eq_u32_e64 s[22:23], 0, v14
	v_mov_b32_dpp v17, v14 row_shr:2 row_mask:0xf bank_mask:0xf
	v_mov_b32_dpp v18, v15 row_shr:2 row_mask:0xf bank_mask:0xf
	v_cndmask_b32_e64 v16, 0, v17, s[24:25]
	s_and_b64 s[22:23], s[24:25], s[22:23]
	v_add_u32_e32 v14, v16, v14
	v_cndmask_b32_e64 v16, 0, v18, s[22:23]
	v_add_u32_e32 v15, v16, v15
	ds_write_b64 v4, v[14:15] offset:784
.LBB582_89:
	s_or_b64 exec, exec, s[26:27]
	v_cmp_lt_u32_e64 s[22:23], 63, v0
	v_mov_b32_e32 v15, 0
	v_mov_b32_e32 v4, 0
	s_waitcnt vmcnt(0)
	v_mov_b32_e32 v14, v6
	s_waitcnt lgkmcnt(0)
	s_barrier
	s_and_saveexec_b64 s[24:25], s[22:23]
	s_cbranch_execz .LBB582_91
; %bb.90:
	ds_read_b64 v[4:5], v5 offset:776
	s_waitcnt lgkmcnt(0)
	v_cmp_eq_u32_e64 s[22:23], 0, v4
	v_cndmask_b32_e64 v14, 0, v6, s[22:23]
	v_add_u32_e32 v14, v14, v5
.LBB582_91:
	s_or_b64 exec, exec, s[24:25]
	v_cmp_eq_u32_e64 s[22:23], 0, v2
	v_add_u32_e32 v5, v4, v2
	v_cndmask_b32_e64 v2, 0, v14, s[22:23]
	v_add_u32_e32 v2, v2, v3
	v_add_u32_e32 v3, -1, v7
	v_and_b32_e32 v16, 64, v7
	v_cmp_lt_i32_e64 s[22:23], v3, v16
	v_cndmask_b32_e64 v3, v3, v7, s[22:23]
	v_lshlrev_b32_e32 v3, 2, v3
	ds_bpermute_b32 v5, v3, v5
	ds_bpermute_b32 v2, v3, v2
	v_cmp_eq_u32_e64 s[22:23], 0, v7
	v_cmp_eq_u32_e64 s[24:25], 0, v57
	s_waitcnt lgkmcnt(1)
	v_cndmask_b32_e64 v3, v5, v4, s[22:23]
	s_waitcnt lgkmcnt(0)
	v_cndmask_b32_e64 v2, v2, v14, s[22:23]
	v_cmp_eq_u32_e64 s[22:23], 0, v0
	v_cndmask_b32_e64 v41, v2, v6, s[22:23]
	v_cndmask_b32_e64 v2, 0, v41, s[24:25]
	v_add_u32_e32 v39, v2, v42
	v_cndmask_b32_e64 v2, 0, v39, s[0:1]
	v_add_u32_e32 v37, v2, v42
	;; [unrolled: 2-line block ×7, first 2 shown]
	v_cndmask_b32_e64 v2, 0, v27, s[12:13]
	v_cndmask_b32_e64 v40, v3, 0, s[22:23]
	v_add_u32_e32 v25, v2, v42
	v_add_u32_e32 v38, v40, v57
	v_cndmask_b32_e64 v2, 0, v25, s[14:15]
	v_add_u32_e32 v36, v38, v56
	v_add_u32_e32 v23, v2, v42
	v_add_u32_e32 v34, v36, v55
	v_cndmask_b32_e64 v2, 0, v23, s[16:17]
	v_add_u32_e32 v32, v34, v54
	v_add_u32_e32 v21, v2, v42
	v_add_u32_e32 v30, v32, v53
	v_cndmask_b32_e64 v2, 0, v21, s[18:19]
	v_add_u32_e32 v28, v30, v52
	v_add_u32_e32 v19, v2, v42
	ds_read_b64 v[2:3], v15 offset:800
	v_add_u32_e32 v26, v28, v51
	v_add_u32_e32 v24, v26, v50
	;; [unrolled: 1-line block ×3, first 2 shown]
	v_cndmask_b32_e64 v4, 0, v19, s[20:21]
	v_add_u32_e32 v20, v22, v48
	v_add_u32_e32 v15, v4, v42
	;; [unrolled: 1-line block ×3, first 2 shown]
	v_cndmask_b32_e32 v4, 0, v15, vcc
	s_waitcnt lgkmcnt(0)
	v_cmp_eq_u32_e32 vcc, 0, v2
	v_add_u32_e32 v14, v18, v46
	v_add_u32_e32 v17, v4, v42
	v_cndmask_b32_e32 v4, 0, v6, vcc
	v_add_u32_e32 v16, v14, v45
	v_add_u32_e32 v6, v4, v3
	s_and_saveexec_b64 s[0:1], s[22:23]
	s_cbranch_execz .LBB582_93
; %bb.92:
	s_add_u32 s2, s36, 0x400
	v_and_b32_e32 v3, 0xff000000, v6
	v_and_b32_e32 v4, 0xff0000, v6
	s_addc_u32 s3, s37, 0
	v_or_b32_e32 v3, v4, v3
	v_and_b32_e32 v4, 0xff00, v6
	v_and_b32_e32 v7, 0xff, v6
	v_mov_b32_e32 v5, 0
	v_or3_b32 v3, v3, v4, v7
	v_mov_b32_e32 v4, 2
	v_pk_mov_b32 v[42:43], s[2:3], s[2:3] op_sel:[0,1]
	;;#ASMSTART
	global_store_dwordx4 v[42:43], v[2:5] off	
s_waitcnt vmcnt(0)
	;;#ASMEND
.LBB582_93:
	s_or_b64 exec, exec, s[0:1]
	v_mov_b32_e32 v4, 0
.LBB582_94:
	s_and_b64 s[0:1], s[38:39], exec
	s_cselect_b32 s1, 0, s31
	s_cselect_b32 s0, 0, s30
	s_cmp_eq_u64 s[0:1], 0
	v_pk_mov_b32 v[42:43], 0, 0
	s_waitcnt lgkmcnt(0)
	s_barrier
	s_cbranch_scc1 .LBB582_96
; %bb.95:
	v_mov_b32_e32 v3, 0
	global_load_dwordx2 v[42:43], v3, s[0:1]
.LBB582_96:
	s_waitcnt vmcnt(0)
	v_lshlrev_b64 v[58:59], 1, v[42:43]
	v_mov_b32_e32 v3, s41
	v_add_co_u32_e32 v7, vcc, s40, v58
	v_mov_b32_e32 v5, 0
	v_addc_co_u32_e32 v60, vcc, v3, v59, vcc
	v_lshlrev_b64 v[58:59], 1, v[4:5]
	v_add_co_u32_e32 v3, vcc, v7, v58
	v_addc_co_u32_e32 v7, vcc, v60, v59, vcc
	v_cmp_eq_u32_e32 vcc, 0, v57
	v_cndmask_b32_e64 v58, 1, 2, vcc
	v_cmp_eq_u32_e32 vcc, 0, v56
	v_cndmask_b32_e64 v59, 1, 2, vcc
	v_cmp_eq_u32_e32 vcc, 0, v55
	v_and_b32_e32 v58, v59, v58
	v_cndmask_b32_e64 v59, 1, 2, vcc
	v_cmp_eq_u32_e32 vcc, 0, v54
	v_and_b32_e32 v58, v58, v59
	;; [unrolled: 3-line block ×12, first 2 shown]
	v_cndmask_b32_e64 v59, 1, 2, vcc
	s_movk_i32 s28, 0xc0
	v_and_b32_e32 v58, v58, v59
	v_cmp_gt_u32_e32 vcc, s28, v2
	v_cmp_ne_u32_e64 s[26:27], 0, v57
	v_cmp_ne_u32_e64 s[24:25], 0, v56
	;; [unrolled: 1-line block ×14, first 2 shown]
	s_mov_b64 s[30:31], -1
	v_cmp_gt_i16_e64 s[28:29], 2, v58
	s_cbranch_vccz .LBB582_103
; %bb.97:
	s_and_saveexec_b64 s[30:31], s[28:29]
	s_cbranch_execz .LBB582_102
; %bb.98:
	v_cmp_ne_u16_e32 vcc, 1, v58
	s_mov_b64 s[36:37], 0
	s_and_saveexec_b64 s[28:29], vcc
	s_xor_b64 s[28:29], exec, s[28:29]
	s_cbranch_execnz .LBB582_135
; %bb.99:
	s_andn2_saveexec_b64 s[28:29], s[28:29]
	s_cbranch_execnz .LBB582_150
.LBB582_100:
	s_or_b64 exec, exec, s[28:29]
	s_and_b64 exec, exec, s[36:37]
	s_cbranch_execz .LBB582_102
.LBB582_101:
	v_sub_u32_e32 v60, v16, v4
	v_mov_b32_e32 v61, 0
	v_lshlrev_b64 v[60:61], 1, v[60:61]
	v_add_co_u32_e32 v60, vcc, v3, v60
	v_addc_co_u32_e32 v61, vcc, v7, v61, vcc
	global_store_short_d16_hi v[60:61], v1, off
.LBB582_102:
	s_or_b64 exec, exec, s[30:31]
	s_mov_b64 s[30:31], 0
.LBB582_103:
	s_and_b64 vcc, exec, s[30:31]
	s_cbranch_vccz .LBB582_113
; %bb.104:
	v_cmp_gt_i16_e32 vcc, 2, v58
	s_and_saveexec_b64 s[28:29], vcc
	s_cbranch_execz .LBB582_109
; %bb.105:
	v_cmp_ne_u16_e32 vcc, 1, v58
	s_mov_b64 s[36:37], 0
	s_and_saveexec_b64 s[30:31], vcc
	s_xor_b64 s[30:31], exec, s[30:31]
	s_cbranch_execnz .LBB582_151
; %bb.106:
	s_andn2_saveexec_b64 s[0:1], s[30:31]
	s_cbranch_execnz .LBB582_166
.LBB582_107:
	s_or_b64 exec, exec, s[0:1]
	s_and_b64 exec, exec, s[36:37]
	s_cbranch_execz .LBB582_109
.LBB582_108:
	v_sub_u32_e32 v8, v16, v4
	v_lshlrev_b32_e32 v8, 1, v8
	ds_write_b16_d16_hi v8, v1
.LBB582_109:
	s_or_b64 exec, exec, s[28:29]
	v_cmp_lt_u32_e32 vcc, v0, v2
	s_waitcnt lgkmcnt(0)
	s_barrier
	s_and_saveexec_b64 s[0:1], vcc
	s_cbranch_execz .LBB582_112
; %bb.110:
	v_lshlrev_b32_e32 v1, 1, v0
	s_mov_b64 s[2:3], 0
	v_mov_b32_e32 v9, 0
	v_mov_b32_e32 v8, v0
.LBB582_111:                            ; =>This Inner Loop Header: Depth=1
	ds_read_u16 v12, v1
	v_lshlrev_b64 v[10:11], 1, v[8:9]
	v_add_co_u32_e32 v10, vcc, v3, v10
	v_add_u32_e32 v8, 0xc0, v8
	v_addc_co_u32_e32 v11, vcc, v7, v11, vcc
	v_cmp_ge_u32_e32 vcc, v8, v2
	v_add_u32_e32 v1, 0x180, v1
	s_or_b64 s[2:3], vcc, s[2:3]
	s_waitcnt lgkmcnt(0)
	global_store_short v[10:11], v12, off
	s_andn2_b64 exec, exec, s[2:3]
	s_cbranch_execnz .LBB582_111
.LBB582_112:
	s_or_b64 exec, exec, s[0:1]
.LBB582_113:
	s_cmpk_lg_i32 s33, 0xa80
	s_cselect_b64 s[0:1], -1, 0
	v_cndmask_b32_e64 v11, 0, 1, s[44:45]
	s_and_b64 s[0:1], s[34:35], s[0:1]
	v_cmp_eq_u32_e32 vcc, 0, v0
	v_sub_u32_e32 v1, v2, v11
	v_cndmask_b32_e64 v3, 0, 1, s[0:1]
	s_and_b64 s[0:1], vcc, s[44:45]
	v_add_u32_e32 v1, v1, v3
	v_cndmask_b32_e64 v3, v57, 0, s[0:1]
	s_lshr_b32 s0, s33, 1
	s_mul_hi_u32 s0, s0, 0x92492493
	s_lshr_b32 s0, s0, 2
	v_mad_i32_i24 v7, v0, -14, s33
	v_cmp_eq_u32_e32 vcc, s0, v0
	v_cmp_ne_u32_e64 s[0:1], 0, v7
	v_cndmask_b32_e64 v8, 1, v3, s[0:1]
	v_cmp_ne_u32_e64 s[0:1], 1, v7
	v_cndmask_b32_e64 v9, 1, v56, s[0:1]
	;; [unrolled: 2-line block ×13, first 2 shown]
	v_cmp_ne_u32_e64 s[0:1], 13, v7
	s_and_b64 vcc, s[34:35], vcc
	v_cndmask_b32_e64 v7, 1, v44, s[0:1]
	v_cndmask_b32_e32 v13, v53, v13, vcc
	v_cndmask_b32_e32 v12, v54, v12, vcc
	;; [unrolled: 1-line block ×5, first 2 shown]
	v_lshlrev_b64 v[8:9], 3, v[42:43]
	v_cndmask_b32_e32 v44, v44, v7, vcc
	v_cndmask_b32_e32 v45, v45, v64, vcc
	;; [unrolled: 1-line block ×9, first 2 shown]
	v_mov_b32_e32 v3, s43
	v_add_co_u32_e32 v7, vcc, s42, v8
	v_addc_co_u32_e32 v3, vcc, v3, v9, vcc
	v_lshlrev_b64 v[8:9], 3, v[4:5]
	v_add_co_u32_e32 v5, vcc, v7, v8
	v_addc_co_u32_e32 v10, vcc, v3, v9, vcc
	v_lshlrev_b32_e32 v3, 3, v11
	v_add_co_u32_e32 v3, vcc, v3, v5
	v_addc_co_u32_e32 v7, vcc, 0, v10, vcc
	v_add_co_u32_e32 v3, vcc, -8, v3
	v_addc_co_u32_e32 v7, vcc, -1, v7, vcc
	v_cmp_eq_u32_e32 vcc, 0, v55
	v_cndmask_b32_e64 v9, 1, 2, vcc
	v_cmp_eq_u32_e32 vcc, 0, v54
	v_add_u32_e32 v8, v4, v11
	v_cndmask_b32_e64 v11, 1, 2, vcc
	v_cmp_eq_u32_e32 vcc, 0, v53
	v_and_b32_e32 v9, v11, v9
	v_cndmask_b32_e64 v11, 1, 2, vcc
	v_cmp_eq_u32_e32 vcc, 0, v12
	v_and_b32_e32 v9, v9, v11
	;; [unrolled: 3-line block ×12, first 2 shown]
	v_cndmask_b32_e64 v11, 1, 2, vcc
	s_movk_i32 s28, 0xc0
	v_and_b32_e32 v9, v9, v11
	v_cmp_gt_u32_e32 vcc, s28, v1
	v_cmp_ne_u32_e64 s[26:27], 0, v55
	v_cmp_ne_u32_e64 s[24:25], 0, v54
	;; [unrolled: 1-line block ×14, first 2 shown]
	s_mov_b64 s[30:31], -1
	v_cmp_gt_i16_e64 s[28:29], 2, v9
	s_barrier
	s_cbranch_vccz .LBB582_120
; %bb.114:
	s_and_saveexec_b64 s[30:31], s[28:29]
	s_cbranch_execz .LBB582_119
; %bb.115:
	v_cmp_ne_u16_e32 vcc, 1, v9
	s_mov_b64 s[36:37], 0
	s_and_saveexec_b64 s[28:29], vcc
	s_xor_b64 s[28:29], exec, s[28:29]
	s_cbranch_execnz .LBB582_167
; %bb.116:
	s_andn2_saveexec_b64 s[28:29], s[28:29]
	s_cbranch_execnz .LBB582_182
.LBB582_117:
	s_or_b64 exec, exec, s[28:29]
	s_and_b64 exec, exec, s[36:37]
	s_cbranch_execz .LBB582_119
.LBB582_118:
	v_mov_b32_e32 v13, 0
	v_sub_u32_e32 v44, v16, v8
	v_mov_b32_e32 v45, v13
	v_lshlrev_b64 v[44:45], 3, v[44:45]
	v_add_co_u32_e32 v44, vcc, v3, v44
	v_mov_b32_e32 v12, v17
	v_addc_co_u32_e32 v45, vcc, v7, v45, vcc
	global_store_dwordx2 v[44:45], v[12:13], off
.LBB582_119:
	s_or_b64 exec, exec, s[30:31]
	s_mov_b64 s[30:31], 0
.LBB582_120:
	s_and_b64 vcc, exec, s[30:31]
	s_cbranch_vccz .LBB582_130
; %bb.121:
	v_cmp_gt_i16_e32 vcc, 2, v9
	s_and_saveexec_b64 s[28:29], vcc
	s_cbranch_execz .LBB582_126
; %bb.122:
	v_cmp_ne_u16_e32 vcc, 1, v9
	s_mov_b64 s[36:37], 0
	s_and_saveexec_b64 s[30:31], vcc
	s_xor_b64 s[30:31], exec, s[30:31]
	s_cbranch_execnz .LBB582_183
; %bb.123:
	s_andn2_saveexec_b64 s[0:1], s[30:31]
	s_cbranch_execnz .LBB582_198
.LBB582_124:
	s_or_b64 exec, exec, s[0:1]
	s_and_b64 exec, exec, s[36:37]
	s_cbranch_execz .LBB582_126
.LBB582_125:
	v_sub_u32_e32 v8, v16, v8
	v_lshlrev_b32_e32 v8, 2, v8
	ds_write_b32 v8, v17
.LBB582_126:
	s_or_b64 exec, exec, s[28:29]
	v_cmp_lt_u32_e32 vcc, v0, v1
	s_waitcnt lgkmcnt(0)
	s_barrier
	s_and_saveexec_b64 s[0:1], vcc
	s_cbranch_execz .LBB582_129
; %bb.127:
	v_lshlrev_b32_e32 v11, 2, v0
	s_mov_b64 s[2:3], 0
	v_mov_b32_e32 v9, 0
	v_mov_b32_e32 v8, v0
.LBB582_128:                            ; =>This Inner Loop Header: Depth=1
	ds_read_b32 v12, v11
	v_lshlrev_b64 v[14:15], 3, v[8:9]
	v_add_co_u32_e32 v14, vcc, v3, v14
	v_add_u32_e32 v8, 0xc0, v8
	v_addc_co_u32_e32 v15, vcc, v7, v15, vcc
	v_cmp_ge_u32_e32 vcc, v8, v1
	v_mov_b32_e32 v13, v9
	v_add_u32_e32 v11, 0x300, v11
	s_or_b64 s[2:3], vcc, s[2:3]
	s_waitcnt lgkmcnt(0)
	global_store_dwordx2 v[14:15], v[12:13], off
	s_andn2_b64 exec, exec, s[2:3]
	s_cbranch_execnz .LBB582_128
.LBB582_129:
	s_or_b64 exec, exec, s[0:1]
.LBB582_130:
	s_movk_i32 s0, 0xbf
	v_cmp_eq_u32_e32 vcc, s0, v0
	s_and_b64 s[0:1], vcc, s[34:35]
	s_and_saveexec_b64 s[2:3], s[0:1]
	s_cbranch_execz .LBB582_133
; %bb.131:
	v_add_co_u32_e32 v0, vcc, v2, v4
	v_addc_co_u32_e64 v1, s[0:1], 0, 0, vcc
	v_add_co_u32_e32 v0, vcc, v0, v42
	v_mov_b32_e32 v3, 0
	v_addc_co_u32_e32 v1, vcc, v1, v43, vcc
	s_cmpk_lg_i32 s33, 0xa80
	global_store_dwordx2 v3, v[0:1], s[46:47]
	s_cbranch_scc1 .LBB582_133
; %bb.132:
	v_lshlrev_b64 v[0:1], 3, v[2:3]
	v_add_co_u32_e32 v0, vcc, v5, v0
	v_mov_b32_e32 v7, v3
	v_addc_co_u32_e32 v1, vcc, v10, v1, vcc
	global_store_dwordx2 v[0:1], v[6:7], off offset:-8
.LBB582_133:
	s_endpgm
.LBB582_134:
	s_or_b64 exec, exec, s[2:3]
	v_mov_b32_e32 v57, s7
	s_and_saveexec_b64 s[2:3], s[10:11]
	s_cbranch_execnz .LBB582_54
	s_branch .LBB582_55
.LBB582_135:
	s_and_saveexec_b64 s[36:37], s[26:27]
	s_cbranch_execnz .LBB582_199
; %bb.136:
	s_or_b64 exec, exec, s[36:37]
	s_and_saveexec_b64 s[36:37], s[24:25]
	s_cbranch_execnz .LBB582_200
.LBB582_137:
	s_or_b64 exec, exec, s[36:37]
	s_and_saveexec_b64 s[36:37], s[22:23]
	s_cbranch_execnz .LBB582_201
.LBB582_138:
	s_or_b64 exec, exec, s[36:37]
	s_and_saveexec_b64 s[36:37], s[20:21]
	s_cbranch_execnz .LBB582_202
.LBB582_139:
	s_or_b64 exec, exec, s[36:37]
	s_and_saveexec_b64 s[36:37], s[18:19]
	s_cbranch_execnz .LBB582_203
.LBB582_140:
	s_or_b64 exec, exec, s[36:37]
	s_and_saveexec_b64 s[36:37], s[16:17]
	s_cbranch_execnz .LBB582_204
.LBB582_141:
	s_or_b64 exec, exec, s[36:37]
	s_and_saveexec_b64 s[36:37], s[14:15]
	s_cbranch_execnz .LBB582_205
.LBB582_142:
	s_or_b64 exec, exec, s[36:37]
	s_and_saveexec_b64 s[36:37], s[12:13]
	s_cbranch_execnz .LBB582_206
.LBB582_143:
	s_or_b64 exec, exec, s[36:37]
	s_and_saveexec_b64 s[36:37], s[10:11]
	s_cbranch_execnz .LBB582_207
.LBB582_144:
	s_or_b64 exec, exec, s[36:37]
	s_and_saveexec_b64 s[36:37], s[8:9]
	s_cbranch_execnz .LBB582_208
.LBB582_145:
	s_or_b64 exec, exec, s[36:37]
	s_and_saveexec_b64 s[36:37], s[6:7]
	s_cbranch_execnz .LBB582_209
.LBB582_146:
	s_or_b64 exec, exec, s[36:37]
	s_and_saveexec_b64 s[36:37], s[4:5]
	s_cbranch_execnz .LBB582_210
.LBB582_147:
	s_or_b64 exec, exec, s[36:37]
	s_and_saveexec_b64 s[36:37], s[2:3]
	s_cbranch_execz .LBB582_149
.LBB582_148:
	v_sub_u32_e32 v60, v14, v4
	v_mov_b32_e32 v61, 0
	v_lshlrev_b64 v[60:61], 1, v[60:61]
	v_add_co_u32_e32 v60, vcc, v3, v60
	v_addc_co_u32_e32 v61, vcc, v7, v61, vcc
	global_store_short v[60:61], v1, off
.LBB582_149:
	s_or_b64 exec, exec, s[36:37]
	s_and_b64 s[36:37], s[0:1], exec
	s_andn2_saveexec_b64 s[28:29], s[28:29]
	s_cbranch_execz .LBB582_100
.LBB582_150:
	v_sub_u32_e32 v60, v40, v4
	v_mov_b32_e32 v61, 0
	v_lshlrev_b64 v[62:63], 1, v[60:61]
	v_add_co_u32_e32 v62, vcc, v3, v62
	v_addc_co_u32_e32 v63, vcc, v7, v63, vcc
	v_sub_u32_e32 v60, v38, v4
	global_store_short v[62:63], v12, off
	v_lshlrev_b64 v[62:63], 1, v[60:61]
	v_add_co_u32_e32 v62, vcc, v3, v62
	v_addc_co_u32_e32 v63, vcc, v7, v63, vcc
	v_sub_u32_e32 v60, v36, v4
	global_store_short_d16_hi v[62:63], v12, off
	v_lshlrev_b64 v[62:63], 1, v[60:61]
	v_add_co_u32_e32 v62, vcc, v3, v62
	v_addc_co_u32_e32 v63, vcc, v7, v63, vcc
	v_sub_u32_e32 v60, v34, v4
	global_store_short v[62:63], v13, off
	v_lshlrev_b64 v[62:63], 1, v[60:61]
	v_add_co_u32_e32 v62, vcc, v3, v62
	v_addc_co_u32_e32 v63, vcc, v7, v63, vcc
	v_sub_u32_e32 v60, v32, v4
	global_store_short_d16_hi v[62:63], v13, off
	;; [unrolled: 10-line block ×5, first 2 shown]
	v_lshlrev_b64 v[62:63], 1, v[60:61]
	v_add_co_u32_e32 v62, vcc, v3, v62
	v_addc_co_u32_e32 v63, vcc, v7, v63, vcc
	v_sub_u32_e32 v60, v18, v4
	global_store_short v[62:63], v9, off
	v_lshlrev_b64 v[62:63], 1, v[60:61]
	v_add_co_u32_e32 v62, vcc, v3, v62
	v_sub_u32_e32 v60, v14, v4
	v_addc_co_u32_e32 v63, vcc, v7, v63, vcc
	v_lshlrev_b64 v[60:61], 1, v[60:61]
	v_add_co_u32_e32 v60, vcc, v3, v60
	v_addc_co_u32_e32 v61, vcc, v7, v61, vcc
	s_or_b64 s[36:37], s[36:37], exec
	global_store_short_d16_hi v[62:63], v9, off
	global_store_short v[60:61], v1, off
	s_or_b64 exec, exec, s[28:29]
	s_and_b64 exec, exec, s[36:37]
	s_cbranch_execnz .LBB582_101
	s_branch .LBB582_102
.LBB582_151:
	s_and_saveexec_b64 s[36:37], s[26:27]
	s_cbranch_execnz .LBB582_211
; %bb.152:
	s_or_b64 exec, exec, s[36:37]
	s_and_saveexec_b64 s[26:27], s[24:25]
	s_cbranch_execnz .LBB582_212
.LBB582_153:
	s_or_b64 exec, exec, s[26:27]
	s_and_saveexec_b64 s[24:25], s[22:23]
	s_cbranch_execnz .LBB582_213
.LBB582_154:
	s_or_b64 exec, exec, s[24:25]
	s_and_saveexec_b64 s[22:23], s[20:21]
	s_cbranch_execnz .LBB582_214
.LBB582_155:
	s_or_b64 exec, exec, s[22:23]
	s_and_saveexec_b64 s[20:21], s[18:19]
	s_cbranch_execnz .LBB582_215
.LBB582_156:
	s_or_b64 exec, exec, s[20:21]
	s_and_saveexec_b64 s[18:19], s[16:17]
	s_cbranch_execnz .LBB582_216
.LBB582_157:
	s_or_b64 exec, exec, s[18:19]
	s_and_saveexec_b64 s[16:17], s[14:15]
	s_cbranch_execnz .LBB582_217
.LBB582_158:
	s_or_b64 exec, exec, s[16:17]
	s_and_saveexec_b64 s[14:15], s[12:13]
	s_cbranch_execnz .LBB582_218
.LBB582_159:
	s_or_b64 exec, exec, s[14:15]
	s_and_saveexec_b64 s[12:13], s[10:11]
	s_cbranch_execnz .LBB582_219
.LBB582_160:
	s_or_b64 exec, exec, s[12:13]
	s_and_saveexec_b64 s[10:11], s[8:9]
	s_cbranch_execnz .LBB582_220
.LBB582_161:
	s_or_b64 exec, exec, s[10:11]
	s_and_saveexec_b64 s[8:9], s[6:7]
	s_cbranch_execnz .LBB582_221
.LBB582_162:
	s_or_b64 exec, exec, s[8:9]
	s_and_saveexec_b64 s[6:7], s[4:5]
	s_cbranch_execnz .LBB582_222
.LBB582_163:
	s_or_b64 exec, exec, s[6:7]
	s_and_saveexec_b64 s[4:5], s[2:3]
	s_cbranch_execz .LBB582_165
.LBB582_164:
	v_sub_u32_e32 v8, v14, v4
	v_lshlrev_b32_e32 v8, 1, v8
	ds_write_b16 v8, v1
.LBB582_165:
	s_or_b64 exec, exec, s[4:5]
	s_and_b64 s[36:37], s[0:1], exec
                                        ; implicit-def: $vgpr12
                                        ; implicit-def: $vgpr10
                                        ; implicit-def: $vgpr8
	s_andn2_saveexec_b64 s[0:1], s[30:31]
	s_cbranch_execz .LBB582_107
.LBB582_166:
	v_sub_u32_e32 v58, v40, v4
	v_lshlrev_b32_e32 v58, 1, v58
	ds_write_b16 v58, v12
	v_sub_u32_e32 v58, v38, v4
	v_lshlrev_b32_e32 v58, 1, v58
	ds_write_b16_d16_hi v58, v12
	v_sub_u32_e32 v12, v36, v4
	v_lshlrev_b32_e32 v12, 1, v12
	ds_write_b16 v12, v13
	v_sub_u32_e32 v12, v34, v4
	v_lshlrev_b32_e32 v12, 1, v12
	ds_write_b16_d16_hi v12, v13
	;; [unrolled: 6-line block ×6, first 2 shown]
	v_sub_u32_e32 v8, v14, v4
	v_lshlrev_b32_e32 v8, 1, v8
	s_or_b64 s[36:37], s[36:37], exec
	ds_write_b16 v8, v1
	s_or_b64 exec, exec, s[0:1]
	s_and_b64 exec, exec, s[36:37]
	s_cbranch_execnz .LBB582_108
	s_branch .LBB582_109
.LBB582_167:
	s_and_saveexec_b64 s[36:37], s[26:27]
	s_cbranch_execnz .LBB582_223
; %bb.168:
	s_or_b64 exec, exec, s[36:37]
	s_and_saveexec_b64 s[36:37], s[24:25]
	s_cbranch_execnz .LBB582_224
.LBB582_169:
	s_or_b64 exec, exec, s[36:37]
	s_and_saveexec_b64 s[36:37], s[22:23]
	s_cbranch_execnz .LBB582_225
.LBB582_170:
	s_or_b64 exec, exec, s[36:37]
	s_and_saveexec_b64 s[36:37], s[20:21]
	s_cbranch_execnz .LBB582_226
.LBB582_171:
	s_or_b64 exec, exec, s[36:37]
	s_and_saveexec_b64 s[36:37], s[18:19]
	s_cbranch_execnz .LBB582_227
.LBB582_172:
	s_or_b64 exec, exec, s[36:37]
	s_and_saveexec_b64 s[36:37], s[16:17]
	s_cbranch_execnz .LBB582_228
.LBB582_173:
	s_or_b64 exec, exec, s[36:37]
	s_and_saveexec_b64 s[36:37], s[14:15]
	s_cbranch_execnz .LBB582_229
.LBB582_174:
	s_or_b64 exec, exec, s[36:37]
	s_and_saveexec_b64 s[36:37], s[12:13]
	s_cbranch_execnz .LBB582_230
.LBB582_175:
	s_or_b64 exec, exec, s[36:37]
	s_and_saveexec_b64 s[36:37], s[10:11]
	s_cbranch_execnz .LBB582_231
.LBB582_176:
	s_or_b64 exec, exec, s[36:37]
	s_and_saveexec_b64 s[36:37], s[8:9]
	s_cbranch_execnz .LBB582_232
.LBB582_177:
	s_or_b64 exec, exec, s[36:37]
	s_and_saveexec_b64 s[36:37], s[6:7]
	s_cbranch_execnz .LBB582_233
.LBB582_178:
	s_or_b64 exec, exec, s[36:37]
	s_and_saveexec_b64 s[36:37], s[4:5]
	s_cbranch_execnz .LBB582_234
.LBB582_179:
	s_or_b64 exec, exec, s[36:37]
	s_and_saveexec_b64 s[36:37], s[2:3]
	s_cbranch_execz .LBB582_181
.LBB582_180:
	v_sub_u32_e32 v12, v14, v8
	v_mov_b32_e32 v13, 0
	v_lshlrev_b64 v[44:45], 3, v[12:13]
	v_add_co_u32_e32 v44, vcc, v3, v44
	v_addc_co_u32_e32 v45, vcc, v7, v45, vcc
	v_mov_b32_e32 v12, v15
	global_store_dwordx2 v[44:45], v[12:13], off
.LBB582_181:
	s_or_b64 exec, exec, s[36:37]
	s_and_b64 s[36:37], s[0:1], exec
	s_andn2_saveexec_b64 s[28:29], s[28:29]
	s_cbranch_execz .LBB582_117
.LBB582_182:
	v_mov_b32_e32 v13, 0
	v_sub_u32_e32 v44, v40, v8
	v_mov_b32_e32 v45, v13
	v_lshlrev_b64 v[44:45], 3, v[44:45]
	v_add_co_u32_e32 v44, vcc, v3, v44
	v_mov_b32_e32 v12, v41
	v_addc_co_u32_e32 v45, vcc, v7, v45, vcc
	global_store_dwordx2 v[44:45], v[12:13], off
	v_sub_u32_e32 v44, v38, v8
	v_mov_b32_e32 v45, v13
	v_lshlrev_b64 v[44:45], 3, v[44:45]
	v_add_co_u32_e32 v44, vcc, v3, v44
	v_mov_b32_e32 v12, v39
	v_addc_co_u32_e32 v45, vcc, v7, v45, vcc
	global_store_dwordx2 v[44:45], v[12:13], off
	;; [unrolled: 7-line block ×12, first 2 shown]
	v_sub_u32_e32 v44, v14, v8
	v_mov_b32_e32 v45, v13
	v_lshlrev_b64 v[44:45], 3, v[44:45]
	v_add_co_u32_e32 v44, vcc, v3, v44
	v_mov_b32_e32 v12, v15
	v_addc_co_u32_e32 v45, vcc, v7, v45, vcc
	s_or_b64 s[36:37], s[36:37], exec
	global_store_dwordx2 v[44:45], v[12:13], off
	s_or_b64 exec, exec, s[28:29]
	s_and_b64 exec, exec, s[36:37]
	s_cbranch_execnz .LBB582_118
	s_branch .LBB582_119
.LBB582_183:
	s_and_saveexec_b64 s[36:37], s[26:27]
	s_cbranch_execnz .LBB582_235
; %bb.184:
	s_or_b64 exec, exec, s[36:37]
	s_and_saveexec_b64 s[26:27], s[24:25]
	s_cbranch_execnz .LBB582_236
.LBB582_185:
	s_or_b64 exec, exec, s[26:27]
	s_and_saveexec_b64 s[24:25], s[22:23]
	s_cbranch_execnz .LBB582_237
.LBB582_186:
	s_or_b64 exec, exec, s[24:25]
	s_and_saveexec_b64 s[22:23], s[20:21]
	s_cbranch_execnz .LBB582_238
.LBB582_187:
	s_or_b64 exec, exec, s[22:23]
	s_and_saveexec_b64 s[20:21], s[18:19]
	s_cbranch_execnz .LBB582_239
.LBB582_188:
	s_or_b64 exec, exec, s[20:21]
	s_and_saveexec_b64 s[18:19], s[16:17]
	s_cbranch_execnz .LBB582_240
.LBB582_189:
	s_or_b64 exec, exec, s[18:19]
	s_and_saveexec_b64 s[16:17], s[14:15]
	s_cbranch_execnz .LBB582_241
.LBB582_190:
	s_or_b64 exec, exec, s[16:17]
	s_and_saveexec_b64 s[14:15], s[12:13]
	s_cbranch_execnz .LBB582_242
.LBB582_191:
	s_or_b64 exec, exec, s[14:15]
	s_and_saveexec_b64 s[12:13], s[10:11]
	s_cbranch_execnz .LBB582_243
.LBB582_192:
	s_or_b64 exec, exec, s[12:13]
	s_and_saveexec_b64 s[10:11], s[8:9]
	s_cbranch_execnz .LBB582_244
.LBB582_193:
	s_or_b64 exec, exec, s[10:11]
	s_and_saveexec_b64 s[8:9], s[6:7]
	s_cbranch_execnz .LBB582_245
.LBB582_194:
	s_or_b64 exec, exec, s[8:9]
	s_and_saveexec_b64 s[6:7], s[4:5]
	s_cbranch_execnz .LBB582_246
.LBB582_195:
	s_or_b64 exec, exec, s[6:7]
	s_and_saveexec_b64 s[4:5], s[2:3]
	s_cbranch_execz .LBB582_197
.LBB582_196:
	v_sub_u32_e32 v9, v14, v8
	v_lshlrev_b32_e32 v9, 2, v9
	ds_write_b32 v9, v15
.LBB582_197:
	s_or_b64 exec, exec, s[4:5]
	s_and_b64 s[36:37], s[0:1], exec
                                        ; implicit-def: $vgpr14_vgpr15
                                        ; implicit-def: $vgpr18_vgpr19
                                        ; implicit-def: $vgpr20_vgpr21
                                        ; implicit-def: $vgpr40_vgpr41
                                        ; implicit-def: $vgpr38_vgpr39
                                        ; implicit-def: $vgpr36_vgpr37
                                        ; implicit-def: $vgpr34_vgpr35
                                        ; implicit-def: $vgpr32_vgpr33
                                        ; implicit-def: $vgpr30_vgpr31
                                        ; implicit-def: $vgpr28_vgpr29
                                        ; implicit-def: $vgpr26_vgpr27
                                        ; implicit-def: $vgpr24_vgpr25
                                        ; implicit-def: $vgpr22_vgpr23
	s_andn2_saveexec_b64 s[0:1], s[30:31]
	s_cbranch_execz .LBB582_124
.LBB582_198:
	v_sub_u32_e32 v9, v40, v8
	v_lshlrev_b32_e32 v9, 2, v9
	ds_write_b32 v9, v41
	v_sub_u32_e32 v9, v38, v8
	v_lshlrev_b32_e32 v9, 2, v9
	ds_write_b32 v9, v39
	;; [unrolled: 3-line block ×12, first 2 shown]
	v_sub_u32_e32 v9, v14, v8
	v_lshlrev_b32_e32 v9, 2, v9
	s_or_b64 s[36:37], s[36:37], exec
	ds_write_b32 v9, v15
	s_or_b64 exec, exec, s[0:1]
	s_and_b64 exec, exec, s[36:37]
	s_cbranch_execnz .LBB582_125
	s_branch .LBB582_126
.LBB582_199:
	v_sub_u32_e32 v60, v40, v4
	v_mov_b32_e32 v61, 0
	v_lshlrev_b64 v[60:61], 1, v[60:61]
	v_add_co_u32_e32 v60, vcc, v3, v60
	v_addc_co_u32_e32 v61, vcc, v7, v61, vcc
	global_store_short v[60:61], v12, off
	s_or_b64 exec, exec, s[36:37]
	s_and_saveexec_b64 s[36:37], s[24:25]
	s_cbranch_execz .LBB582_137
.LBB582_200:
	v_sub_u32_e32 v60, v38, v4
	v_mov_b32_e32 v61, 0
	v_lshlrev_b64 v[60:61], 1, v[60:61]
	v_add_co_u32_e32 v60, vcc, v3, v60
	v_addc_co_u32_e32 v61, vcc, v7, v61, vcc
	global_store_short_d16_hi v[60:61], v12, off
	s_or_b64 exec, exec, s[36:37]
	s_and_saveexec_b64 s[36:37], s[22:23]
	s_cbranch_execz .LBB582_138
.LBB582_201:
	v_sub_u32_e32 v60, v36, v4
	v_mov_b32_e32 v61, 0
	v_lshlrev_b64 v[60:61], 1, v[60:61]
	v_add_co_u32_e32 v60, vcc, v3, v60
	v_addc_co_u32_e32 v61, vcc, v7, v61, vcc
	global_store_short v[60:61], v13, off
	s_or_b64 exec, exec, s[36:37]
	s_and_saveexec_b64 s[36:37], s[20:21]
	s_cbranch_execz .LBB582_139
.LBB582_202:
	v_sub_u32_e32 v60, v34, v4
	v_mov_b32_e32 v61, 0
	v_lshlrev_b64 v[60:61], 1, v[60:61]
	v_add_co_u32_e32 v60, vcc, v3, v60
	v_addc_co_u32_e32 v61, vcc, v7, v61, vcc
	global_store_short_d16_hi v[60:61], v13, off
	s_or_b64 exec, exec, s[36:37]
	s_and_saveexec_b64 s[36:37], s[18:19]
	s_cbranch_execz .LBB582_140
.LBB582_203:
	v_sub_u32_e32 v60, v32, v4
	v_mov_b32_e32 v61, 0
	v_lshlrev_b64 v[60:61], 1, v[60:61]
	v_add_co_u32_e32 v60, vcc, v3, v60
	v_addc_co_u32_e32 v61, vcc, v7, v61, vcc
	global_store_short v[60:61], v10, off
	s_or_b64 exec, exec, s[36:37]
	s_and_saveexec_b64 s[36:37], s[16:17]
	s_cbranch_execz .LBB582_141
.LBB582_204:
	v_sub_u32_e32 v60, v30, v4
	v_mov_b32_e32 v61, 0
	v_lshlrev_b64 v[60:61], 1, v[60:61]
	v_add_co_u32_e32 v60, vcc, v3, v60
	v_addc_co_u32_e32 v61, vcc, v7, v61, vcc
	global_store_short_d16_hi v[60:61], v10, off
	s_or_b64 exec, exec, s[36:37]
	s_and_saveexec_b64 s[36:37], s[14:15]
	s_cbranch_execz .LBB582_142
.LBB582_205:
	v_sub_u32_e32 v60, v28, v4
	v_mov_b32_e32 v61, 0
	v_lshlrev_b64 v[60:61], 1, v[60:61]
	v_add_co_u32_e32 v60, vcc, v3, v60
	v_addc_co_u32_e32 v61, vcc, v7, v61, vcc
	global_store_short v[60:61], v11, off
	s_or_b64 exec, exec, s[36:37]
	s_and_saveexec_b64 s[36:37], s[12:13]
	s_cbranch_execz .LBB582_143
.LBB582_206:
	v_sub_u32_e32 v60, v26, v4
	v_mov_b32_e32 v61, 0
	v_lshlrev_b64 v[60:61], 1, v[60:61]
	v_add_co_u32_e32 v60, vcc, v3, v60
	v_addc_co_u32_e32 v61, vcc, v7, v61, vcc
	global_store_short_d16_hi v[60:61], v11, off
	s_or_b64 exec, exec, s[36:37]
	s_and_saveexec_b64 s[36:37], s[10:11]
	s_cbranch_execz .LBB582_144
.LBB582_207:
	v_sub_u32_e32 v60, v24, v4
	v_mov_b32_e32 v61, 0
	v_lshlrev_b64 v[60:61], 1, v[60:61]
	v_add_co_u32_e32 v60, vcc, v3, v60
	v_addc_co_u32_e32 v61, vcc, v7, v61, vcc
	global_store_short v[60:61], v8, off
	s_or_b64 exec, exec, s[36:37]
	s_and_saveexec_b64 s[36:37], s[8:9]
	s_cbranch_execz .LBB582_145
.LBB582_208:
	v_sub_u32_e32 v60, v22, v4
	v_mov_b32_e32 v61, 0
	v_lshlrev_b64 v[60:61], 1, v[60:61]
	v_add_co_u32_e32 v60, vcc, v3, v60
	v_addc_co_u32_e32 v61, vcc, v7, v61, vcc
	global_store_short_d16_hi v[60:61], v8, off
	s_or_b64 exec, exec, s[36:37]
	s_and_saveexec_b64 s[36:37], s[6:7]
	s_cbranch_execz .LBB582_146
.LBB582_209:
	v_sub_u32_e32 v60, v20, v4
	v_mov_b32_e32 v61, 0
	v_lshlrev_b64 v[60:61], 1, v[60:61]
	v_add_co_u32_e32 v60, vcc, v3, v60
	v_addc_co_u32_e32 v61, vcc, v7, v61, vcc
	global_store_short v[60:61], v9, off
	s_or_b64 exec, exec, s[36:37]
	s_and_saveexec_b64 s[36:37], s[4:5]
	s_cbranch_execz .LBB582_147
.LBB582_210:
	v_sub_u32_e32 v60, v18, v4
	v_mov_b32_e32 v61, 0
	v_lshlrev_b64 v[60:61], 1, v[60:61]
	v_add_co_u32_e32 v60, vcc, v3, v60
	v_addc_co_u32_e32 v61, vcc, v7, v61, vcc
	global_store_short_d16_hi v[60:61], v9, off
	s_or_b64 exec, exec, s[36:37]
	s_and_saveexec_b64 s[36:37], s[2:3]
	s_cbranch_execnz .LBB582_148
	s_branch .LBB582_149
.LBB582_211:
	v_sub_u32_e32 v58, v40, v4
	v_lshlrev_b32_e32 v58, 1, v58
	ds_write_b16 v58, v12
	s_or_b64 exec, exec, s[36:37]
	s_and_saveexec_b64 s[26:27], s[24:25]
	s_cbranch_execz .LBB582_153
.LBB582_212:
	v_sub_u32_e32 v58, v38, v4
	v_lshlrev_b32_e32 v58, 1, v58
	ds_write_b16_d16_hi v58, v12
	s_or_b64 exec, exec, s[26:27]
	s_and_saveexec_b64 s[24:25], s[22:23]
	s_cbranch_execz .LBB582_154
.LBB582_213:
	v_sub_u32_e32 v12, v36, v4
	v_lshlrev_b32_e32 v12, 1, v12
	ds_write_b16 v12, v13
	s_or_b64 exec, exec, s[24:25]
	s_and_saveexec_b64 s[22:23], s[20:21]
	s_cbranch_execz .LBB582_155
.LBB582_214:
	v_sub_u32_e32 v12, v34, v4
	v_lshlrev_b32_e32 v12, 1, v12
	ds_write_b16_d16_hi v12, v13
	s_or_b64 exec, exec, s[22:23]
	s_and_saveexec_b64 s[20:21], s[18:19]
	s_cbranch_execz .LBB582_156
.LBB582_215:
	v_sub_u32_e32 v12, v32, v4
	v_lshlrev_b32_e32 v12, 1, v12
	ds_write_b16 v12, v10
	s_or_b64 exec, exec, s[20:21]
	s_and_saveexec_b64 s[18:19], s[16:17]
	s_cbranch_execz .LBB582_157
.LBB582_216:
	v_sub_u32_e32 v12, v30, v4
	v_lshlrev_b32_e32 v12, 1, v12
	ds_write_b16_d16_hi v12, v10
	s_or_b64 exec, exec, s[18:19]
	s_and_saveexec_b64 s[16:17], s[14:15]
	s_cbranch_execz .LBB582_158
.LBB582_217:
	v_sub_u32_e32 v10, v28, v4
	v_lshlrev_b32_e32 v10, 1, v10
	ds_write_b16 v10, v11
	s_or_b64 exec, exec, s[16:17]
	s_and_saveexec_b64 s[14:15], s[12:13]
	s_cbranch_execz .LBB582_159
.LBB582_218:
	v_sub_u32_e32 v10, v26, v4
	v_lshlrev_b32_e32 v10, 1, v10
	ds_write_b16_d16_hi v10, v11
	s_or_b64 exec, exec, s[14:15]
	s_and_saveexec_b64 s[12:13], s[10:11]
	s_cbranch_execz .LBB582_160
.LBB582_219:
	v_sub_u32_e32 v10, v24, v4
	v_lshlrev_b32_e32 v10, 1, v10
	ds_write_b16 v10, v8
	s_or_b64 exec, exec, s[12:13]
	s_and_saveexec_b64 s[10:11], s[8:9]
	s_cbranch_execz .LBB582_161
.LBB582_220:
	v_sub_u32_e32 v10, v22, v4
	v_lshlrev_b32_e32 v10, 1, v10
	ds_write_b16_d16_hi v10, v8
	s_or_b64 exec, exec, s[10:11]
	s_and_saveexec_b64 s[8:9], s[6:7]
	s_cbranch_execz .LBB582_162
.LBB582_221:
	v_sub_u32_e32 v8, v20, v4
	v_lshlrev_b32_e32 v8, 1, v8
	ds_write_b16 v8, v9
	s_or_b64 exec, exec, s[8:9]
	s_and_saveexec_b64 s[6:7], s[4:5]
	s_cbranch_execz .LBB582_163
.LBB582_222:
	v_sub_u32_e32 v8, v18, v4
	v_lshlrev_b32_e32 v8, 1, v8
	ds_write_b16_d16_hi v8, v9
	s_or_b64 exec, exec, s[6:7]
	s_and_saveexec_b64 s[4:5], s[2:3]
	s_cbranch_execnz .LBB582_164
	s_branch .LBB582_165
.LBB582_223:
	v_sub_u32_e32 v12, v40, v8
	v_mov_b32_e32 v13, 0
	v_lshlrev_b64 v[44:45], 3, v[12:13]
	v_add_co_u32_e32 v44, vcc, v3, v44
	v_addc_co_u32_e32 v45, vcc, v7, v45, vcc
	v_mov_b32_e32 v12, v41
	global_store_dwordx2 v[44:45], v[12:13], off
	s_or_b64 exec, exec, s[36:37]
	s_and_saveexec_b64 s[36:37], s[24:25]
	s_cbranch_execz .LBB582_169
.LBB582_224:
	v_sub_u32_e32 v12, v38, v8
	v_mov_b32_e32 v13, 0
	v_lshlrev_b64 v[44:45], 3, v[12:13]
	v_add_co_u32_e32 v44, vcc, v3, v44
	v_addc_co_u32_e32 v45, vcc, v7, v45, vcc
	v_mov_b32_e32 v12, v39
	global_store_dwordx2 v[44:45], v[12:13], off
	s_or_b64 exec, exec, s[36:37]
	s_and_saveexec_b64 s[36:37], s[22:23]
	s_cbranch_execz .LBB582_170
.LBB582_225:
	v_sub_u32_e32 v12, v36, v8
	v_mov_b32_e32 v13, 0
	v_lshlrev_b64 v[44:45], 3, v[12:13]
	v_add_co_u32_e32 v44, vcc, v3, v44
	v_addc_co_u32_e32 v45, vcc, v7, v45, vcc
	v_mov_b32_e32 v12, v37
	global_store_dwordx2 v[44:45], v[12:13], off
	s_or_b64 exec, exec, s[36:37]
	s_and_saveexec_b64 s[36:37], s[20:21]
	s_cbranch_execz .LBB582_171
.LBB582_226:
	v_sub_u32_e32 v12, v34, v8
	v_mov_b32_e32 v13, 0
	v_lshlrev_b64 v[44:45], 3, v[12:13]
	v_add_co_u32_e32 v44, vcc, v3, v44
	v_addc_co_u32_e32 v45, vcc, v7, v45, vcc
	v_mov_b32_e32 v12, v35
	global_store_dwordx2 v[44:45], v[12:13], off
	s_or_b64 exec, exec, s[36:37]
	s_and_saveexec_b64 s[36:37], s[18:19]
	s_cbranch_execz .LBB582_172
.LBB582_227:
	v_sub_u32_e32 v12, v32, v8
	v_mov_b32_e32 v13, 0
	v_lshlrev_b64 v[44:45], 3, v[12:13]
	v_add_co_u32_e32 v44, vcc, v3, v44
	v_addc_co_u32_e32 v45, vcc, v7, v45, vcc
	v_mov_b32_e32 v12, v33
	global_store_dwordx2 v[44:45], v[12:13], off
	s_or_b64 exec, exec, s[36:37]
	s_and_saveexec_b64 s[36:37], s[16:17]
	s_cbranch_execz .LBB582_173
.LBB582_228:
	v_sub_u32_e32 v12, v30, v8
	v_mov_b32_e32 v13, 0
	v_lshlrev_b64 v[44:45], 3, v[12:13]
	v_add_co_u32_e32 v44, vcc, v3, v44
	v_addc_co_u32_e32 v45, vcc, v7, v45, vcc
	v_mov_b32_e32 v12, v31
	global_store_dwordx2 v[44:45], v[12:13], off
	s_or_b64 exec, exec, s[36:37]
	s_and_saveexec_b64 s[36:37], s[14:15]
	s_cbranch_execz .LBB582_174
.LBB582_229:
	v_sub_u32_e32 v12, v28, v8
	v_mov_b32_e32 v13, 0
	v_lshlrev_b64 v[44:45], 3, v[12:13]
	v_add_co_u32_e32 v44, vcc, v3, v44
	v_addc_co_u32_e32 v45, vcc, v7, v45, vcc
	v_mov_b32_e32 v12, v29
	global_store_dwordx2 v[44:45], v[12:13], off
	s_or_b64 exec, exec, s[36:37]
	s_and_saveexec_b64 s[36:37], s[12:13]
	s_cbranch_execz .LBB582_175
.LBB582_230:
	v_sub_u32_e32 v12, v26, v8
	v_mov_b32_e32 v13, 0
	v_lshlrev_b64 v[44:45], 3, v[12:13]
	v_add_co_u32_e32 v44, vcc, v3, v44
	v_addc_co_u32_e32 v45, vcc, v7, v45, vcc
	v_mov_b32_e32 v12, v27
	global_store_dwordx2 v[44:45], v[12:13], off
	s_or_b64 exec, exec, s[36:37]
	s_and_saveexec_b64 s[36:37], s[10:11]
	s_cbranch_execz .LBB582_176
.LBB582_231:
	v_sub_u32_e32 v12, v24, v8
	v_mov_b32_e32 v13, 0
	v_lshlrev_b64 v[44:45], 3, v[12:13]
	v_add_co_u32_e32 v44, vcc, v3, v44
	v_addc_co_u32_e32 v45, vcc, v7, v45, vcc
	v_mov_b32_e32 v12, v25
	global_store_dwordx2 v[44:45], v[12:13], off
	s_or_b64 exec, exec, s[36:37]
	s_and_saveexec_b64 s[36:37], s[8:9]
	s_cbranch_execz .LBB582_177
.LBB582_232:
	v_sub_u32_e32 v12, v22, v8
	v_mov_b32_e32 v13, 0
	v_lshlrev_b64 v[44:45], 3, v[12:13]
	v_add_co_u32_e32 v44, vcc, v3, v44
	v_addc_co_u32_e32 v45, vcc, v7, v45, vcc
	v_mov_b32_e32 v12, v23
	global_store_dwordx2 v[44:45], v[12:13], off
	s_or_b64 exec, exec, s[36:37]
	s_and_saveexec_b64 s[36:37], s[6:7]
	s_cbranch_execz .LBB582_178
.LBB582_233:
	v_sub_u32_e32 v12, v20, v8
	v_mov_b32_e32 v13, 0
	v_lshlrev_b64 v[44:45], 3, v[12:13]
	v_add_co_u32_e32 v44, vcc, v3, v44
	v_addc_co_u32_e32 v45, vcc, v7, v45, vcc
	v_mov_b32_e32 v12, v21
	global_store_dwordx2 v[44:45], v[12:13], off
	s_or_b64 exec, exec, s[36:37]
	s_and_saveexec_b64 s[36:37], s[4:5]
	s_cbranch_execz .LBB582_179
.LBB582_234:
	v_sub_u32_e32 v12, v18, v8
	v_mov_b32_e32 v13, 0
	v_lshlrev_b64 v[44:45], 3, v[12:13]
	v_add_co_u32_e32 v44, vcc, v3, v44
	v_addc_co_u32_e32 v45, vcc, v7, v45, vcc
	v_mov_b32_e32 v12, v19
	global_store_dwordx2 v[44:45], v[12:13], off
	s_or_b64 exec, exec, s[36:37]
	s_and_saveexec_b64 s[36:37], s[2:3]
	s_cbranch_execnz .LBB582_180
	s_branch .LBB582_181
.LBB582_235:
	v_sub_u32_e32 v9, v40, v8
	v_lshlrev_b32_e32 v9, 2, v9
	ds_write_b32 v9, v41
	s_or_b64 exec, exec, s[36:37]
	s_and_saveexec_b64 s[26:27], s[24:25]
	s_cbranch_execz .LBB582_185
.LBB582_236:
	v_sub_u32_e32 v9, v38, v8
	v_lshlrev_b32_e32 v9, 2, v9
	ds_write_b32 v9, v39
	s_or_b64 exec, exec, s[26:27]
	s_and_saveexec_b64 s[24:25], s[22:23]
	s_cbranch_execz .LBB582_186
.LBB582_237:
	v_sub_u32_e32 v9, v36, v8
	v_lshlrev_b32_e32 v9, 2, v9
	ds_write_b32 v9, v37
	s_or_b64 exec, exec, s[24:25]
	s_and_saveexec_b64 s[22:23], s[20:21]
	s_cbranch_execz .LBB582_187
.LBB582_238:
	v_sub_u32_e32 v9, v34, v8
	v_lshlrev_b32_e32 v9, 2, v9
	ds_write_b32 v9, v35
	s_or_b64 exec, exec, s[22:23]
	s_and_saveexec_b64 s[20:21], s[18:19]
	s_cbranch_execz .LBB582_188
.LBB582_239:
	v_sub_u32_e32 v9, v32, v8
	v_lshlrev_b32_e32 v9, 2, v9
	ds_write_b32 v9, v33
	s_or_b64 exec, exec, s[20:21]
	s_and_saveexec_b64 s[18:19], s[16:17]
	s_cbranch_execz .LBB582_189
.LBB582_240:
	v_sub_u32_e32 v9, v30, v8
	v_lshlrev_b32_e32 v9, 2, v9
	ds_write_b32 v9, v31
	s_or_b64 exec, exec, s[18:19]
	s_and_saveexec_b64 s[16:17], s[14:15]
	s_cbranch_execz .LBB582_190
.LBB582_241:
	v_sub_u32_e32 v9, v28, v8
	v_lshlrev_b32_e32 v9, 2, v9
	ds_write_b32 v9, v29
	s_or_b64 exec, exec, s[16:17]
	s_and_saveexec_b64 s[14:15], s[12:13]
	s_cbranch_execz .LBB582_191
.LBB582_242:
	v_sub_u32_e32 v9, v26, v8
	v_lshlrev_b32_e32 v9, 2, v9
	ds_write_b32 v9, v27
	s_or_b64 exec, exec, s[14:15]
	s_and_saveexec_b64 s[12:13], s[10:11]
	s_cbranch_execz .LBB582_192
.LBB582_243:
	v_sub_u32_e32 v9, v24, v8
	v_lshlrev_b32_e32 v9, 2, v9
	ds_write_b32 v9, v25
	s_or_b64 exec, exec, s[12:13]
	s_and_saveexec_b64 s[10:11], s[8:9]
	s_cbranch_execz .LBB582_193
.LBB582_244:
	v_sub_u32_e32 v9, v22, v8
	v_lshlrev_b32_e32 v9, 2, v9
	ds_write_b32 v9, v23
	s_or_b64 exec, exec, s[10:11]
	s_and_saveexec_b64 s[8:9], s[6:7]
	s_cbranch_execz .LBB582_194
.LBB582_245:
	v_sub_u32_e32 v9, v20, v8
	v_lshlrev_b32_e32 v9, 2, v9
	ds_write_b32 v9, v21
	s_or_b64 exec, exec, s[8:9]
	s_and_saveexec_b64 s[6:7], s[4:5]
	s_cbranch_execz .LBB582_195
.LBB582_246:
	v_sub_u32_e32 v9, v18, v8
	v_lshlrev_b32_e32 v9, 2, v9
	ds_write_b32 v9, v19
	s_or_b64 exec, exec, s[6:7]
	s_and_saveexec_b64 s[4:5], s[2:3]
	s_cbranch_execnz .LBB582_196
	s_branch .LBB582_197
	.section	.rodata,"a",@progbits
	.p2align	6, 0x0
	.amdhsa_kernel _ZN7rocprim17ROCPRIM_400000_NS6detail17trampoline_kernelINS0_14default_configENS1_33run_length_encode_config_selectorIsjNS0_4plusIjEEEEZZNS1_33reduce_by_key_impl_wrapped_configILNS1_25lookback_scan_determinismE0ES3_S7_PKsNS0_17constant_iteratorIjlEEPsPlSF_S6_NS0_8equal_toIsEEEE10hipError_tPvRmT2_T3_mT4_T5_T6_T7_T8_P12ihipStream_tbENKUlT_T0_E_clISt17integral_constantIbLb0EESZ_EEDaSU_SV_EUlSU_E_NS1_11comp_targetILNS1_3genE4ELNS1_11target_archE910ELNS1_3gpuE8ELNS1_3repE0EEENS1_30default_config_static_selectorELNS0_4arch9wavefront6targetE1EEEvT1_
		.amdhsa_group_segment_fixed_size 10752
		.amdhsa_private_segment_fixed_size 0
		.amdhsa_kernarg_size 128
		.amdhsa_user_sgpr_count 6
		.amdhsa_user_sgpr_private_segment_buffer 1
		.amdhsa_user_sgpr_dispatch_ptr 0
		.amdhsa_user_sgpr_queue_ptr 0
		.amdhsa_user_sgpr_kernarg_segment_ptr 1
		.amdhsa_user_sgpr_dispatch_id 0
		.amdhsa_user_sgpr_flat_scratch_init 0
		.amdhsa_user_sgpr_kernarg_preload_length 0
		.amdhsa_user_sgpr_kernarg_preload_offset 0
		.amdhsa_user_sgpr_private_segment_size 0
		.amdhsa_uses_dynamic_stack 0
		.amdhsa_system_sgpr_private_segment_wavefront_offset 0
		.amdhsa_system_sgpr_workgroup_id_x 1
		.amdhsa_system_sgpr_workgroup_id_y 0
		.amdhsa_system_sgpr_workgroup_id_z 0
		.amdhsa_system_sgpr_workgroup_info 0
		.amdhsa_system_vgpr_workitem_id 0
		.amdhsa_next_free_vgpr 65
		.amdhsa_next_free_sgpr 62
		.amdhsa_accum_offset 68
		.amdhsa_reserve_vcc 1
		.amdhsa_reserve_flat_scratch 0
		.amdhsa_float_round_mode_32 0
		.amdhsa_float_round_mode_16_64 0
		.amdhsa_float_denorm_mode_32 3
		.amdhsa_float_denorm_mode_16_64 3
		.amdhsa_dx10_clamp 1
		.amdhsa_ieee_mode 1
		.amdhsa_fp16_overflow 0
		.amdhsa_tg_split 0
		.amdhsa_exception_fp_ieee_invalid_op 0
		.amdhsa_exception_fp_denorm_src 0
		.amdhsa_exception_fp_ieee_div_zero 0
		.amdhsa_exception_fp_ieee_overflow 0
		.amdhsa_exception_fp_ieee_underflow 0
		.amdhsa_exception_fp_ieee_inexact 0
		.amdhsa_exception_int_div_zero 0
	.end_amdhsa_kernel
	.section	.text._ZN7rocprim17ROCPRIM_400000_NS6detail17trampoline_kernelINS0_14default_configENS1_33run_length_encode_config_selectorIsjNS0_4plusIjEEEEZZNS1_33reduce_by_key_impl_wrapped_configILNS1_25lookback_scan_determinismE0ES3_S7_PKsNS0_17constant_iteratorIjlEEPsPlSF_S6_NS0_8equal_toIsEEEE10hipError_tPvRmT2_T3_mT4_T5_T6_T7_T8_P12ihipStream_tbENKUlT_T0_E_clISt17integral_constantIbLb0EESZ_EEDaSU_SV_EUlSU_E_NS1_11comp_targetILNS1_3genE4ELNS1_11target_archE910ELNS1_3gpuE8ELNS1_3repE0EEENS1_30default_config_static_selectorELNS0_4arch9wavefront6targetE1EEEvT1_,"axG",@progbits,_ZN7rocprim17ROCPRIM_400000_NS6detail17trampoline_kernelINS0_14default_configENS1_33run_length_encode_config_selectorIsjNS0_4plusIjEEEEZZNS1_33reduce_by_key_impl_wrapped_configILNS1_25lookback_scan_determinismE0ES3_S7_PKsNS0_17constant_iteratorIjlEEPsPlSF_S6_NS0_8equal_toIsEEEE10hipError_tPvRmT2_T3_mT4_T5_T6_T7_T8_P12ihipStream_tbENKUlT_T0_E_clISt17integral_constantIbLb0EESZ_EEDaSU_SV_EUlSU_E_NS1_11comp_targetILNS1_3genE4ELNS1_11target_archE910ELNS1_3gpuE8ELNS1_3repE0EEENS1_30default_config_static_selectorELNS0_4arch9wavefront6targetE1EEEvT1_,comdat
.Lfunc_end582:
	.size	_ZN7rocprim17ROCPRIM_400000_NS6detail17trampoline_kernelINS0_14default_configENS1_33run_length_encode_config_selectorIsjNS0_4plusIjEEEEZZNS1_33reduce_by_key_impl_wrapped_configILNS1_25lookback_scan_determinismE0ES3_S7_PKsNS0_17constant_iteratorIjlEEPsPlSF_S6_NS0_8equal_toIsEEEE10hipError_tPvRmT2_T3_mT4_T5_T6_T7_T8_P12ihipStream_tbENKUlT_T0_E_clISt17integral_constantIbLb0EESZ_EEDaSU_SV_EUlSU_E_NS1_11comp_targetILNS1_3genE4ELNS1_11target_archE910ELNS1_3gpuE8ELNS1_3repE0EEENS1_30default_config_static_selectorELNS0_4arch9wavefront6targetE1EEEvT1_, .Lfunc_end582-_ZN7rocprim17ROCPRIM_400000_NS6detail17trampoline_kernelINS0_14default_configENS1_33run_length_encode_config_selectorIsjNS0_4plusIjEEEEZZNS1_33reduce_by_key_impl_wrapped_configILNS1_25lookback_scan_determinismE0ES3_S7_PKsNS0_17constant_iteratorIjlEEPsPlSF_S6_NS0_8equal_toIsEEEE10hipError_tPvRmT2_T3_mT4_T5_T6_T7_T8_P12ihipStream_tbENKUlT_T0_E_clISt17integral_constantIbLb0EESZ_EEDaSU_SV_EUlSU_E_NS1_11comp_targetILNS1_3genE4ELNS1_11target_archE910ELNS1_3gpuE8ELNS1_3repE0EEENS1_30default_config_static_selectorELNS0_4arch9wavefront6targetE1EEEvT1_
                                        ; -- End function
	.section	.AMDGPU.csdata,"",@progbits
; Kernel info:
; codeLenInByte = 13300
; NumSgprs: 66
; NumVgprs: 65
; NumAgprs: 0
; TotalNumVgprs: 65
; ScratchSize: 0
; MemoryBound: 0
; FloatMode: 240
; IeeeMode: 1
; LDSByteSize: 10752 bytes/workgroup (compile time only)
; SGPRBlocks: 8
; VGPRBlocks: 8
; NumSGPRsForWavesPerEU: 66
; NumVGPRsForWavesPerEU: 65
; AccumOffset: 68
; Occupancy: 5
; WaveLimiterHint : 1
; COMPUTE_PGM_RSRC2:SCRATCH_EN: 0
; COMPUTE_PGM_RSRC2:USER_SGPR: 6
; COMPUTE_PGM_RSRC2:TRAP_HANDLER: 0
; COMPUTE_PGM_RSRC2:TGID_X_EN: 1
; COMPUTE_PGM_RSRC2:TGID_Y_EN: 0
; COMPUTE_PGM_RSRC2:TGID_Z_EN: 0
; COMPUTE_PGM_RSRC2:TIDIG_COMP_CNT: 0
; COMPUTE_PGM_RSRC3_GFX90A:ACCUM_OFFSET: 16
; COMPUTE_PGM_RSRC3_GFX90A:TG_SPLIT: 0
	.section	.text._ZN7rocprim17ROCPRIM_400000_NS6detail17trampoline_kernelINS0_14default_configENS1_33run_length_encode_config_selectorIsjNS0_4plusIjEEEEZZNS1_33reduce_by_key_impl_wrapped_configILNS1_25lookback_scan_determinismE0ES3_S7_PKsNS0_17constant_iteratorIjlEEPsPlSF_S6_NS0_8equal_toIsEEEE10hipError_tPvRmT2_T3_mT4_T5_T6_T7_T8_P12ihipStream_tbENKUlT_T0_E_clISt17integral_constantIbLb0EESZ_EEDaSU_SV_EUlSU_E_NS1_11comp_targetILNS1_3genE3ELNS1_11target_archE908ELNS1_3gpuE7ELNS1_3repE0EEENS1_30default_config_static_selectorELNS0_4arch9wavefront6targetE1EEEvT1_,"axG",@progbits,_ZN7rocprim17ROCPRIM_400000_NS6detail17trampoline_kernelINS0_14default_configENS1_33run_length_encode_config_selectorIsjNS0_4plusIjEEEEZZNS1_33reduce_by_key_impl_wrapped_configILNS1_25lookback_scan_determinismE0ES3_S7_PKsNS0_17constant_iteratorIjlEEPsPlSF_S6_NS0_8equal_toIsEEEE10hipError_tPvRmT2_T3_mT4_T5_T6_T7_T8_P12ihipStream_tbENKUlT_T0_E_clISt17integral_constantIbLb0EESZ_EEDaSU_SV_EUlSU_E_NS1_11comp_targetILNS1_3genE3ELNS1_11target_archE908ELNS1_3gpuE7ELNS1_3repE0EEENS1_30default_config_static_selectorELNS0_4arch9wavefront6targetE1EEEvT1_,comdat
	.protected	_ZN7rocprim17ROCPRIM_400000_NS6detail17trampoline_kernelINS0_14default_configENS1_33run_length_encode_config_selectorIsjNS0_4plusIjEEEEZZNS1_33reduce_by_key_impl_wrapped_configILNS1_25lookback_scan_determinismE0ES3_S7_PKsNS0_17constant_iteratorIjlEEPsPlSF_S6_NS0_8equal_toIsEEEE10hipError_tPvRmT2_T3_mT4_T5_T6_T7_T8_P12ihipStream_tbENKUlT_T0_E_clISt17integral_constantIbLb0EESZ_EEDaSU_SV_EUlSU_E_NS1_11comp_targetILNS1_3genE3ELNS1_11target_archE908ELNS1_3gpuE7ELNS1_3repE0EEENS1_30default_config_static_selectorELNS0_4arch9wavefront6targetE1EEEvT1_ ; -- Begin function _ZN7rocprim17ROCPRIM_400000_NS6detail17trampoline_kernelINS0_14default_configENS1_33run_length_encode_config_selectorIsjNS0_4plusIjEEEEZZNS1_33reduce_by_key_impl_wrapped_configILNS1_25lookback_scan_determinismE0ES3_S7_PKsNS0_17constant_iteratorIjlEEPsPlSF_S6_NS0_8equal_toIsEEEE10hipError_tPvRmT2_T3_mT4_T5_T6_T7_T8_P12ihipStream_tbENKUlT_T0_E_clISt17integral_constantIbLb0EESZ_EEDaSU_SV_EUlSU_E_NS1_11comp_targetILNS1_3genE3ELNS1_11target_archE908ELNS1_3gpuE7ELNS1_3repE0EEENS1_30default_config_static_selectorELNS0_4arch9wavefront6targetE1EEEvT1_
	.globl	_ZN7rocprim17ROCPRIM_400000_NS6detail17trampoline_kernelINS0_14default_configENS1_33run_length_encode_config_selectorIsjNS0_4plusIjEEEEZZNS1_33reduce_by_key_impl_wrapped_configILNS1_25lookback_scan_determinismE0ES3_S7_PKsNS0_17constant_iteratorIjlEEPsPlSF_S6_NS0_8equal_toIsEEEE10hipError_tPvRmT2_T3_mT4_T5_T6_T7_T8_P12ihipStream_tbENKUlT_T0_E_clISt17integral_constantIbLb0EESZ_EEDaSU_SV_EUlSU_E_NS1_11comp_targetILNS1_3genE3ELNS1_11target_archE908ELNS1_3gpuE7ELNS1_3repE0EEENS1_30default_config_static_selectorELNS0_4arch9wavefront6targetE1EEEvT1_
	.p2align	8
	.type	_ZN7rocprim17ROCPRIM_400000_NS6detail17trampoline_kernelINS0_14default_configENS1_33run_length_encode_config_selectorIsjNS0_4plusIjEEEEZZNS1_33reduce_by_key_impl_wrapped_configILNS1_25lookback_scan_determinismE0ES3_S7_PKsNS0_17constant_iteratorIjlEEPsPlSF_S6_NS0_8equal_toIsEEEE10hipError_tPvRmT2_T3_mT4_T5_T6_T7_T8_P12ihipStream_tbENKUlT_T0_E_clISt17integral_constantIbLb0EESZ_EEDaSU_SV_EUlSU_E_NS1_11comp_targetILNS1_3genE3ELNS1_11target_archE908ELNS1_3gpuE7ELNS1_3repE0EEENS1_30default_config_static_selectorELNS0_4arch9wavefront6targetE1EEEvT1_,@function
_ZN7rocprim17ROCPRIM_400000_NS6detail17trampoline_kernelINS0_14default_configENS1_33run_length_encode_config_selectorIsjNS0_4plusIjEEEEZZNS1_33reduce_by_key_impl_wrapped_configILNS1_25lookback_scan_determinismE0ES3_S7_PKsNS0_17constant_iteratorIjlEEPsPlSF_S6_NS0_8equal_toIsEEEE10hipError_tPvRmT2_T3_mT4_T5_T6_T7_T8_P12ihipStream_tbENKUlT_T0_E_clISt17integral_constantIbLb0EESZ_EEDaSU_SV_EUlSU_E_NS1_11comp_targetILNS1_3genE3ELNS1_11target_archE908ELNS1_3gpuE7ELNS1_3repE0EEENS1_30default_config_static_selectorELNS0_4arch9wavefront6targetE1EEEvT1_: ; @_ZN7rocprim17ROCPRIM_400000_NS6detail17trampoline_kernelINS0_14default_configENS1_33run_length_encode_config_selectorIsjNS0_4plusIjEEEEZZNS1_33reduce_by_key_impl_wrapped_configILNS1_25lookback_scan_determinismE0ES3_S7_PKsNS0_17constant_iteratorIjlEEPsPlSF_S6_NS0_8equal_toIsEEEE10hipError_tPvRmT2_T3_mT4_T5_T6_T7_T8_P12ihipStream_tbENKUlT_T0_E_clISt17integral_constantIbLb0EESZ_EEDaSU_SV_EUlSU_E_NS1_11comp_targetILNS1_3genE3ELNS1_11target_archE908ELNS1_3gpuE7ELNS1_3repE0EEENS1_30default_config_static_selectorELNS0_4arch9wavefront6targetE1EEEvT1_
; %bb.0:
	.section	.rodata,"a",@progbits
	.p2align	6, 0x0
	.amdhsa_kernel _ZN7rocprim17ROCPRIM_400000_NS6detail17trampoline_kernelINS0_14default_configENS1_33run_length_encode_config_selectorIsjNS0_4plusIjEEEEZZNS1_33reduce_by_key_impl_wrapped_configILNS1_25lookback_scan_determinismE0ES3_S7_PKsNS0_17constant_iteratorIjlEEPsPlSF_S6_NS0_8equal_toIsEEEE10hipError_tPvRmT2_T3_mT4_T5_T6_T7_T8_P12ihipStream_tbENKUlT_T0_E_clISt17integral_constantIbLb0EESZ_EEDaSU_SV_EUlSU_E_NS1_11comp_targetILNS1_3genE3ELNS1_11target_archE908ELNS1_3gpuE7ELNS1_3repE0EEENS1_30default_config_static_selectorELNS0_4arch9wavefront6targetE1EEEvT1_
		.amdhsa_group_segment_fixed_size 0
		.amdhsa_private_segment_fixed_size 0
		.amdhsa_kernarg_size 128
		.amdhsa_user_sgpr_count 6
		.amdhsa_user_sgpr_private_segment_buffer 1
		.amdhsa_user_sgpr_dispatch_ptr 0
		.amdhsa_user_sgpr_queue_ptr 0
		.amdhsa_user_sgpr_kernarg_segment_ptr 1
		.amdhsa_user_sgpr_dispatch_id 0
		.amdhsa_user_sgpr_flat_scratch_init 0
		.amdhsa_user_sgpr_kernarg_preload_length 0
		.amdhsa_user_sgpr_kernarg_preload_offset 0
		.amdhsa_user_sgpr_private_segment_size 0
		.amdhsa_uses_dynamic_stack 0
		.amdhsa_system_sgpr_private_segment_wavefront_offset 0
		.amdhsa_system_sgpr_workgroup_id_x 1
		.amdhsa_system_sgpr_workgroup_id_y 0
		.amdhsa_system_sgpr_workgroup_id_z 0
		.amdhsa_system_sgpr_workgroup_info 0
		.amdhsa_system_vgpr_workitem_id 0
		.amdhsa_next_free_vgpr 1
		.amdhsa_next_free_sgpr 0
		.amdhsa_accum_offset 4
		.amdhsa_reserve_vcc 0
		.amdhsa_reserve_flat_scratch 0
		.amdhsa_float_round_mode_32 0
		.amdhsa_float_round_mode_16_64 0
		.amdhsa_float_denorm_mode_32 3
		.amdhsa_float_denorm_mode_16_64 3
		.amdhsa_dx10_clamp 1
		.amdhsa_ieee_mode 1
		.amdhsa_fp16_overflow 0
		.amdhsa_tg_split 0
		.amdhsa_exception_fp_ieee_invalid_op 0
		.amdhsa_exception_fp_denorm_src 0
		.amdhsa_exception_fp_ieee_div_zero 0
		.amdhsa_exception_fp_ieee_overflow 0
		.amdhsa_exception_fp_ieee_underflow 0
		.amdhsa_exception_fp_ieee_inexact 0
		.amdhsa_exception_int_div_zero 0
	.end_amdhsa_kernel
	.section	.text._ZN7rocprim17ROCPRIM_400000_NS6detail17trampoline_kernelINS0_14default_configENS1_33run_length_encode_config_selectorIsjNS0_4plusIjEEEEZZNS1_33reduce_by_key_impl_wrapped_configILNS1_25lookback_scan_determinismE0ES3_S7_PKsNS0_17constant_iteratorIjlEEPsPlSF_S6_NS0_8equal_toIsEEEE10hipError_tPvRmT2_T3_mT4_T5_T6_T7_T8_P12ihipStream_tbENKUlT_T0_E_clISt17integral_constantIbLb0EESZ_EEDaSU_SV_EUlSU_E_NS1_11comp_targetILNS1_3genE3ELNS1_11target_archE908ELNS1_3gpuE7ELNS1_3repE0EEENS1_30default_config_static_selectorELNS0_4arch9wavefront6targetE1EEEvT1_,"axG",@progbits,_ZN7rocprim17ROCPRIM_400000_NS6detail17trampoline_kernelINS0_14default_configENS1_33run_length_encode_config_selectorIsjNS0_4plusIjEEEEZZNS1_33reduce_by_key_impl_wrapped_configILNS1_25lookback_scan_determinismE0ES3_S7_PKsNS0_17constant_iteratorIjlEEPsPlSF_S6_NS0_8equal_toIsEEEE10hipError_tPvRmT2_T3_mT4_T5_T6_T7_T8_P12ihipStream_tbENKUlT_T0_E_clISt17integral_constantIbLb0EESZ_EEDaSU_SV_EUlSU_E_NS1_11comp_targetILNS1_3genE3ELNS1_11target_archE908ELNS1_3gpuE7ELNS1_3repE0EEENS1_30default_config_static_selectorELNS0_4arch9wavefront6targetE1EEEvT1_,comdat
.Lfunc_end583:
	.size	_ZN7rocprim17ROCPRIM_400000_NS6detail17trampoline_kernelINS0_14default_configENS1_33run_length_encode_config_selectorIsjNS0_4plusIjEEEEZZNS1_33reduce_by_key_impl_wrapped_configILNS1_25lookback_scan_determinismE0ES3_S7_PKsNS0_17constant_iteratorIjlEEPsPlSF_S6_NS0_8equal_toIsEEEE10hipError_tPvRmT2_T3_mT4_T5_T6_T7_T8_P12ihipStream_tbENKUlT_T0_E_clISt17integral_constantIbLb0EESZ_EEDaSU_SV_EUlSU_E_NS1_11comp_targetILNS1_3genE3ELNS1_11target_archE908ELNS1_3gpuE7ELNS1_3repE0EEENS1_30default_config_static_selectorELNS0_4arch9wavefront6targetE1EEEvT1_, .Lfunc_end583-_ZN7rocprim17ROCPRIM_400000_NS6detail17trampoline_kernelINS0_14default_configENS1_33run_length_encode_config_selectorIsjNS0_4plusIjEEEEZZNS1_33reduce_by_key_impl_wrapped_configILNS1_25lookback_scan_determinismE0ES3_S7_PKsNS0_17constant_iteratorIjlEEPsPlSF_S6_NS0_8equal_toIsEEEE10hipError_tPvRmT2_T3_mT4_T5_T6_T7_T8_P12ihipStream_tbENKUlT_T0_E_clISt17integral_constantIbLb0EESZ_EEDaSU_SV_EUlSU_E_NS1_11comp_targetILNS1_3genE3ELNS1_11target_archE908ELNS1_3gpuE7ELNS1_3repE0EEENS1_30default_config_static_selectorELNS0_4arch9wavefront6targetE1EEEvT1_
                                        ; -- End function
	.section	.AMDGPU.csdata,"",@progbits
; Kernel info:
; codeLenInByte = 0
; NumSgprs: 4
; NumVgprs: 0
; NumAgprs: 0
; TotalNumVgprs: 0
; ScratchSize: 0
; MemoryBound: 0
; FloatMode: 240
; IeeeMode: 1
; LDSByteSize: 0 bytes/workgroup (compile time only)
; SGPRBlocks: 0
; VGPRBlocks: 0
; NumSGPRsForWavesPerEU: 4
; NumVGPRsForWavesPerEU: 1
; AccumOffset: 4
; Occupancy: 8
; WaveLimiterHint : 0
; COMPUTE_PGM_RSRC2:SCRATCH_EN: 0
; COMPUTE_PGM_RSRC2:USER_SGPR: 6
; COMPUTE_PGM_RSRC2:TRAP_HANDLER: 0
; COMPUTE_PGM_RSRC2:TGID_X_EN: 1
; COMPUTE_PGM_RSRC2:TGID_Y_EN: 0
; COMPUTE_PGM_RSRC2:TGID_Z_EN: 0
; COMPUTE_PGM_RSRC2:TIDIG_COMP_CNT: 0
; COMPUTE_PGM_RSRC3_GFX90A:ACCUM_OFFSET: 0
; COMPUTE_PGM_RSRC3_GFX90A:TG_SPLIT: 0
	.section	.text._ZN7rocprim17ROCPRIM_400000_NS6detail17trampoline_kernelINS0_14default_configENS1_33run_length_encode_config_selectorIsjNS0_4plusIjEEEEZZNS1_33reduce_by_key_impl_wrapped_configILNS1_25lookback_scan_determinismE0ES3_S7_PKsNS0_17constant_iteratorIjlEEPsPlSF_S6_NS0_8equal_toIsEEEE10hipError_tPvRmT2_T3_mT4_T5_T6_T7_T8_P12ihipStream_tbENKUlT_T0_E_clISt17integral_constantIbLb0EESZ_EEDaSU_SV_EUlSU_E_NS1_11comp_targetILNS1_3genE2ELNS1_11target_archE906ELNS1_3gpuE6ELNS1_3repE0EEENS1_30default_config_static_selectorELNS0_4arch9wavefront6targetE1EEEvT1_,"axG",@progbits,_ZN7rocprim17ROCPRIM_400000_NS6detail17trampoline_kernelINS0_14default_configENS1_33run_length_encode_config_selectorIsjNS0_4plusIjEEEEZZNS1_33reduce_by_key_impl_wrapped_configILNS1_25lookback_scan_determinismE0ES3_S7_PKsNS0_17constant_iteratorIjlEEPsPlSF_S6_NS0_8equal_toIsEEEE10hipError_tPvRmT2_T3_mT4_T5_T6_T7_T8_P12ihipStream_tbENKUlT_T0_E_clISt17integral_constantIbLb0EESZ_EEDaSU_SV_EUlSU_E_NS1_11comp_targetILNS1_3genE2ELNS1_11target_archE906ELNS1_3gpuE6ELNS1_3repE0EEENS1_30default_config_static_selectorELNS0_4arch9wavefront6targetE1EEEvT1_,comdat
	.protected	_ZN7rocprim17ROCPRIM_400000_NS6detail17trampoline_kernelINS0_14default_configENS1_33run_length_encode_config_selectorIsjNS0_4plusIjEEEEZZNS1_33reduce_by_key_impl_wrapped_configILNS1_25lookback_scan_determinismE0ES3_S7_PKsNS0_17constant_iteratorIjlEEPsPlSF_S6_NS0_8equal_toIsEEEE10hipError_tPvRmT2_T3_mT4_T5_T6_T7_T8_P12ihipStream_tbENKUlT_T0_E_clISt17integral_constantIbLb0EESZ_EEDaSU_SV_EUlSU_E_NS1_11comp_targetILNS1_3genE2ELNS1_11target_archE906ELNS1_3gpuE6ELNS1_3repE0EEENS1_30default_config_static_selectorELNS0_4arch9wavefront6targetE1EEEvT1_ ; -- Begin function _ZN7rocprim17ROCPRIM_400000_NS6detail17trampoline_kernelINS0_14default_configENS1_33run_length_encode_config_selectorIsjNS0_4plusIjEEEEZZNS1_33reduce_by_key_impl_wrapped_configILNS1_25lookback_scan_determinismE0ES3_S7_PKsNS0_17constant_iteratorIjlEEPsPlSF_S6_NS0_8equal_toIsEEEE10hipError_tPvRmT2_T3_mT4_T5_T6_T7_T8_P12ihipStream_tbENKUlT_T0_E_clISt17integral_constantIbLb0EESZ_EEDaSU_SV_EUlSU_E_NS1_11comp_targetILNS1_3genE2ELNS1_11target_archE906ELNS1_3gpuE6ELNS1_3repE0EEENS1_30default_config_static_selectorELNS0_4arch9wavefront6targetE1EEEvT1_
	.globl	_ZN7rocprim17ROCPRIM_400000_NS6detail17trampoline_kernelINS0_14default_configENS1_33run_length_encode_config_selectorIsjNS0_4plusIjEEEEZZNS1_33reduce_by_key_impl_wrapped_configILNS1_25lookback_scan_determinismE0ES3_S7_PKsNS0_17constant_iteratorIjlEEPsPlSF_S6_NS0_8equal_toIsEEEE10hipError_tPvRmT2_T3_mT4_T5_T6_T7_T8_P12ihipStream_tbENKUlT_T0_E_clISt17integral_constantIbLb0EESZ_EEDaSU_SV_EUlSU_E_NS1_11comp_targetILNS1_3genE2ELNS1_11target_archE906ELNS1_3gpuE6ELNS1_3repE0EEENS1_30default_config_static_selectorELNS0_4arch9wavefront6targetE1EEEvT1_
	.p2align	8
	.type	_ZN7rocprim17ROCPRIM_400000_NS6detail17trampoline_kernelINS0_14default_configENS1_33run_length_encode_config_selectorIsjNS0_4plusIjEEEEZZNS1_33reduce_by_key_impl_wrapped_configILNS1_25lookback_scan_determinismE0ES3_S7_PKsNS0_17constant_iteratorIjlEEPsPlSF_S6_NS0_8equal_toIsEEEE10hipError_tPvRmT2_T3_mT4_T5_T6_T7_T8_P12ihipStream_tbENKUlT_T0_E_clISt17integral_constantIbLb0EESZ_EEDaSU_SV_EUlSU_E_NS1_11comp_targetILNS1_3genE2ELNS1_11target_archE906ELNS1_3gpuE6ELNS1_3repE0EEENS1_30default_config_static_selectorELNS0_4arch9wavefront6targetE1EEEvT1_,@function
_ZN7rocprim17ROCPRIM_400000_NS6detail17trampoline_kernelINS0_14default_configENS1_33run_length_encode_config_selectorIsjNS0_4plusIjEEEEZZNS1_33reduce_by_key_impl_wrapped_configILNS1_25lookback_scan_determinismE0ES3_S7_PKsNS0_17constant_iteratorIjlEEPsPlSF_S6_NS0_8equal_toIsEEEE10hipError_tPvRmT2_T3_mT4_T5_T6_T7_T8_P12ihipStream_tbENKUlT_T0_E_clISt17integral_constantIbLb0EESZ_EEDaSU_SV_EUlSU_E_NS1_11comp_targetILNS1_3genE2ELNS1_11target_archE906ELNS1_3gpuE6ELNS1_3repE0EEENS1_30default_config_static_selectorELNS0_4arch9wavefront6targetE1EEEvT1_: ; @_ZN7rocprim17ROCPRIM_400000_NS6detail17trampoline_kernelINS0_14default_configENS1_33run_length_encode_config_selectorIsjNS0_4plusIjEEEEZZNS1_33reduce_by_key_impl_wrapped_configILNS1_25lookback_scan_determinismE0ES3_S7_PKsNS0_17constant_iteratorIjlEEPsPlSF_S6_NS0_8equal_toIsEEEE10hipError_tPvRmT2_T3_mT4_T5_T6_T7_T8_P12ihipStream_tbENKUlT_T0_E_clISt17integral_constantIbLb0EESZ_EEDaSU_SV_EUlSU_E_NS1_11comp_targetILNS1_3genE2ELNS1_11target_archE906ELNS1_3gpuE6ELNS1_3repE0EEENS1_30default_config_static_selectorELNS0_4arch9wavefront6targetE1EEEvT1_
; %bb.0:
	.section	.rodata,"a",@progbits
	.p2align	6, 0x0
	.amdhsa_kernel _ZN7rocprim17ROCPRIM_400000_NS6detail17trampoline_kernelINS0_14default_configENS1_33run_length_encode_config_selectorIsjNS0_4plusIjEEEEZZNS1_33reduce_by_key_impl_wrapped_configILNS1_25lookback_scan_determinismE0ES3_S7_PKsNS0_17constant_iteratorIjlEEPsPlSF_S6_NS0_8equal_toIsEEEE10hipError_tPvRmT2_T3_mT4_T5_T6_T7_T8_P12ihipStream_tbENKUlT_T0_E_clISt17integral_constantIbLb0EESZ_EEDaSU_SV_EUlSU_E_NS1_11comp_targetILNS1_3genE2ELNS1_11target_archE906ELNS1_3gpuE6ELNS1_3repE0EEENS1_30default_config_static_selectorELNS0_4arch9wavefront6targetE1EEEvT1_
		.amdhsa_group_segment_fixed_size 0
		.amdhsa_private_segment_fixed_size 0
		.amdhsa_kernarg_size 128
		.amdhsa_user_sgpr_count 6
		.amdhsa_user_sgpr_private_segment_buffer 1
		.amdhsa_user_sgpr_dispatch_ptr 0
		.amdhsa_user_sgpr_queue_ptr 0
		.amdhsa_user_sgpr_kernarg_segment_ptr 1
		.amdhsa_user_sgpr_dispatch_id 0
		.amdhsa_user_sgpr_flat_scratch_init 0
		.amdhsa_user_sgpr_kernarg_preload_length 0
		.amdhsa_user_sgpr_kernarg_preload_offset 0
		.amdhsa_user_sgpr_private_segment_size 0
		.amdhsa_uses_dynamic_stack 0
		.amdhsa_system_sgpr_private_segment_wavefront_offset 0
		.amdhsa_system_sgpr_workgroup_id_x 1
		.amdhsa_system_sgpr_workgroup_id_y 0
		.amdhsa_system_sgpr_workgroup_id_z 0
		.amdhsa_system_sgpr_workgroup_info 0
		.amdhsa_system_vgpr_workitem_id 0
		.amdhsa_next_free_vgpr 1
		.amdhsa_next_free_sgpr 0
		.amdhsa_accum_offset 4
		.amdhsa_reserve_vcc 0
		.amdhsa_reserve_flat_scratch 0
		.amdhsa_float_round_mode_32 0
		.amdhsa_float_round_mode_16_64 0
		.amdhsa_float_denorm_mode_32 3
		.amdhsa_float_denorm_mode_16_64 3
		.amdhsa_dx10_clamp 1
		.amdhsa_ieee_mode 1
		.amdhsa_fp16_overflow 0
		.amdhsa_tg_split 0
		.amdhsa_exception_fp_ieee_invalid_op 0
		.amdhsa_exception_fp_denorm_src 0
		.amdhsa_exception_fp_ieee_div_zero 0
		.amdhsa_exception_fp_ieee_overflow 0
		.amdhsa_exception_fp_ieee_underflow 0
		.amdhsa_exception_fp_ieee_inexact 0
		.amdhsa_exception_int_div_zero 0
	.end_amdhsa_kernel
	.section	.text._ZN7rocprim17ROCPRIM_400000_NS6detail17trampoline_kernelINS0_14default_configENS1_33run_length_encode_config_selectorIsjNS0_4plusIjEEEEZZNS1_33reduce_by_key_impl_wrapped_configILNS1_25lookback_scan_determinismE0ES3_S7_PKsNS0_17constant_iteratorIjlEEPsPlSF_S6_NS0_8equal_toIsEEEE10hipError_tPvRmT2_T3_mT4_T5_T6_T7_T8_P12ihipStream_tbENKUlT_T0_E_clISt17integral_constantIbLb0EESZ_EEDaSU_SV_EUlSU_E_NS1_11comp_targetILNS1_3genE2ELNS1_11target_archE906ELNS1_3gpuE6ELNS1_3repE0EEENS1_30default_config_static_selectorELNS0_4arch9wavefront6targetE1EEEvT1_,"axG",@progbits,_ZN7rocprim17ROCPRIM_400000_NS6detail17trampoline_kernelINS0_14default_configENS1_33run_length_encode_config_selectorIsjNS0_4plusIjEEEEZZNS1_33reduce_by_key_impl_wrapped_configILNS1_25lookback_scan_determinismE0ES3_S7_PKsNS0_17constant_iteratorIjlEEPsPlSF_S6_NS0_8equal_toIsEEEE10hipError_tPvRmT2_T3_mT4_T5_T6_T7_T8_P12ihipStream_tbENKUlT_T0_E_clISt17integral_constantIbLb0EESZ_EEDaSU_SV_EUlSU_E_NS1_11comp_targetILNS1_3genE2ELNS1_11target_archE906ELNS1_3gpuE6ELNS1_3repE0EEENS1_30default_config_static_selectorELNS0_4arch9wavefront6targetE1EEEvT1_,comdat
.Lfunc_end584:
	.size	_ZN7rocprim17ROCPRIM_400000_NS6detail17trampoline_kernelINS0_14default_configENS1_33run_length_encode_config_selectorIsjNS0_4plusIjEEEEZZNS1_33reduce_by_key_impl_wrapped_configILNS1_25lookback_scan_determinismE0ES3_S7_PKsNS0_17constant_iteratorIjlEEPsPlSF_S6_NS0_8equal_toIsEEEE10hipError_tPvRmT2_T3_mT4_T5_T6_T7_T8_P12ihipStream_tbENKUlT_T0_E_clISt17integral_constantIbLb0EESZ_EEDaSU_SV_EUlSU_E_NS1_11comp_targetILNS1_3genE2ELNS1_11target_archE906ELNS1_3gpuE6ELNS1_3repE0EEENS1_30default_config_static_selectorELNS0_4arch9wavefront6targetE1EEEvT1_, .Lfunc_end584-_ZN7rocprim17ROCPRIM_400000_NS6detail17trampoline_kernelINS0_14default_configENS1_33run_length_encode_config_selectorIsjNS0_4plusIjEEEEZZNS1_33reduce_by_key_impl_wrapped_configILNS1_25lookback_scan_determinismE0ES3_S7_PKsNS0_17constant_iteratorIjlEEPsPlSF_S6_NS0_8equal_toIsEEEE10hipError_tPvRmT2_T3_mT4_T5_T6_T7_T8_P12ihipStream_tbENKUlT_T0_E_clISt17integral_constantIbLb0EESZ_EEDaSU_SV_EUlSU_E_NS1_11comp_targetILNS1_3genE2ELNS1_11target_archE906ELNS1_3gpuE6ELNS1_3repE0EEENS1_30default_config_static_selectorELNS0_4arch9wavefront6targetE1EEEvT1_
                                        ; -- End function
	.section	.AMDGPU.csdata,"",@progbits
; Kernel info:
; codeLenInByte = 0
; NumSgprs: 4
; NumVgprs: 0
; NumAgprs: 0
; TotalNumVgprs: 0
; ScratchSize: 0
; MemoryBound: 0
; FloatMode: 240
; IeeeMode: 1
; LDSByteSize: 0 bytes/workgroup (compile time only)
; SGPRBlocks: 0
; VGPRBlocks: 0
; NumSGPRsForWavesPerEU: 4
; NumVGPRsForWavesPerEU: 1
; AccumOffset: 4
; Occupancy: 8
; WaveLimiterHint : 0
; COMPUTE_PGM_RSRC2:SCRATCH_EN: 0
; COMPUTE_PGM_RSRC2:USER_SGPR: 6
; COMPUTE_PGM_RSRC2:TRAP_HANDLER: 0
; COMPUTE_PGM_RSRC2:TGID_X_EN: 1
; COMPUTE_PGM_RSRC2:TGID_Y_EN: 0
; COMPUTE_PGM_RSRC2:TGID_Z_EN: 0
; COMPUTE_PGM_RSRC2:TIDIG_COMP_CNT: 0
; COMPUTE_PGM_RSRC3_GFX90A:ACCUM_OFFSET: 0
; COMPUTE_PGM_RSRC3_GFX90A:TG_SPLIT: 0
	.section	.text._ZN7rocprim17ROCPRIM_400000_NS6detail17trampoline_kernelINS0_14default_configENS1_33run_length_encode_config_selectorIsjNS0_4plusIjEEEEZZNS1_33reduce_by_key_impl_wrapped_configILNS1_25lookback_scan_determinismE0ES3_S7_PKsNS0_17constant_iteratorIjlEEPsPlSF_S6_NS0_8equal_toIsEEEE10hipError_tPvRmT2_T3_mT4_T5_T6_T7_T8_P12ihipStream_tbENKUlT_T0_E_clISt17integral_constantIbLb0EESZ_EEDaSU_SV_EUlSU_E_NS1_11comp_targetILNS1_3genE10ELNS1_11target_archE1201ELNS1_3gpuE5ELNS1_3repE0EEENS1_30default_config_static_selectorELNS0_4arch9wavefront6targetE1EEEvT1_,"axG",@progbits,_ZN7rocprim17ROCPRIM_400000_NS6detail17trampoline_kernelINS0_14default_configENS1_33run_length_encode_config_selectorIsjNS0_4plusIjEEEEZZNS1_33reduce_by_key_impl_wrapped_configILNS1_25lookback_scan_determinismE0ES3_S7_PKsNS0_17constant_iteratorIjlEEPsPlSF_S6_NS0_8equal_toIsEEEE10hipError_tPvRmT2_T3_mT4_T5_T6_T7_T8_P12ihipStream_tbENKUlT_T0_E_clISt17integral_constantIbLb0EESZ_EEDaSU_SV_EUlSU_E_NS1_11comp_targetILNS1_3genE10ELNS1_11target_archE1201ELNS1_3gpuE5ELNS1_3repE0EEENS1_30default_config_static_selectorELNS0_4arch9wavefront6targetE1EEEvT1_,comdat
	.protected	_ZN7rocprim17ROCPRIM_400000_NS6detail17trampoline_kernelINS0_14default_configENS1_33run_length_encode_config_selectorIsjNS0_4plusIjEEEEZZNS1_33reduce_by_key_impl_wrapped_configILNS1_25lookback_scan_determinismE0ES3_S7_PKsNS0_17constant_iteratorIjlEEPsPlSF_S6_NS0_8equal_toIsEEEE10hipError_tPvRmT2_T3_mT4_T5_T6_T7_T8_P12ihipStream_tbENKUlT_T0_E_clISt17integral_constantIbLb0EESZ_EEDaSU_SV_EUlSU_E_NS1_11comp_targetILNS1_3genE10ELNS1_11target_archE1201ELNS1_3gpuE5ELNS1_3repE0EEENS1_30default_config_static_selectorELNS0_4arch9wavefront6targetE1EEEvT1_ ; -- Begin function _ZN7rocprim17ROCPRIM_400000_NS6detail17trampoline_kernelINS0_14default_configENS1_33run_length_encode_config_selectorIsjNS0_4plusIjEEEEZZNS1_33reduce_by_key_impl_wrapped_configILNS1_25lookback_scan_determinismE0ES3_S7_PKsNS0_17constant_iteratorIjlEEPsPlSF_S6_NS0_8equal_toIsEEEE10hipError_tPvRmT2_T3_mT4_T5_T6_T7_T8_P12ihipStream_tbENKUlT_T0_E_clISt17integral_constantIbLb0EESZ_EEDaSU_SV_EUlSU_E_NS1_11comp_targetILNS1_3genE10ELNS1_11target_archE1201ELNS1_3gpuE5ELNS1_3repE0EEENS1_30default_config_static_selectorELNS0_4arch9wavefront6targetE1EEEvT1_
	.globl	_ZN7rocprim17ROCPRIM_400000_NS6detail17trampoline_kernelINS0_14default_configENS1_33run_length_encode_config_selectorIsjNS0_4plusIjEEEEZZNS1_33reduce_by_key_impl_wrapped_configILNS1_25lookback_scan_determinismE0ES3_S7_PKsNS0_17constant_iteratorIjlEEPsPlSF_S6_NS0_8equal_toIsEEEE10hipError_tPvRmT2_T3_mT4_T5_T6_T7_T8_P12ihipStream_tbENKUlT_T0_E_clISt17integral_constantIbLb0EESZ_EEDaSU_SV_EUlSU_E_NS1_11comp_targetILNS1_3genE10ELNS1_11target_archE1201ELNS1_3gpuE5ELNS1_3repE0EEENS1_30default_config_static_selectorELNS0_4arch9wavefront6targetE1EEEvT1_
	.p2align	8
	.type	_ZN7rocprim17ROCPRIM_400000_NS6detail17trampoline_kernelINS0_14default_configENS1_33run_length_encode_config_selectorIsjNS0_4plusIjEEEEZZNS1_33reduce_by_key_impl_wrapped_configILNS1_25lookback_scan_determinismE0ES3_S7_PKsNS0_17constant_iteratorIjlEEPsPlSF_S6_NS0_8equal_toIsEEEE10hipError_tPvRmT2_T3_mT4_T5_T6_T7_T8_P12ihipStream_tbENKUlT_T0_E_clISt17integral_constantIbLb0EESZ_EEDaSU_SV_EUlSU_E_NS1_11comp_targetILNS1_3genE10ELNS1_11target_archE1201ELNS1_3gpuE5ELNS1_3repE0EEENS1_30default_config_static_selectorELNS0_4arch9wavefront6targetE1EEEvT1_,@function
_ZN7rocprim17ROCPRIM_400000_NS6detail17trampoline_kernelINS0_14default_configENS1_33run_length_encode_config_selectorIsjNS0_4plusIjEEEEZZNS1_33reduce_by_key_impl_wrapped_configILNS1_25lookback_scan_determinismE0ES3_S7_PKsNS0_17constant_iteratorIjlEEPsPlSF_S6_NS0_8equal_toIsEEEE10hipError_tPvRmT2_T3_mT4_T5_T6_T7_T8_P12ihipStream_tbENKUlT_T0_E_clISt17integral_constantIbLb0EESZ_EEDaSU_SV_EUlSU_E_NS1_11comp_targetILNS1_3genE10ELNS1_11target_archE1201ELNS1_3gpuE5ELNS1_3repE0EEENS1_30default_config_static_selectorELNS0_4arch9wavefront6targetE1EEEvT1_: ; @_ZN7rocprim17ROCPRIM_400000_NS6detail17trampoline_kernelINS0_14default_configENS1_33run_length_encode_config_selectorIsjNS0_4plusIjEEEEZZNS1_33reduce_by_key_impl_wrapped_configILNS1_25lookback_scan_determinismE0ES3_S7_PKsNS0_17constant_iteratorIjlEEPsPlSF_S6_NS0_8equal_toIsEEEE10hipError_tPvRmT2_T3_mT4_T5_T6_T7_T8_P12ihipStream_tbENKUlT_T0_E_clISt17integral_constantIbLb0EESZ_EEDaSU_SV_EUlSU_E_NS1_11comp_targetILNS1_3genE10ELNS1_11target_archE1201ELNS1_3gpuE5ELNS1_3repE0EEENS1_30default_config_static_selectorELNS0_4arch9wavefront6targetE1EEEvT1_
; %bb.0:
	.section	.rodata,"a",@progbits
	.p2align	6, 0x0
	.amdhsa_kernel _ZN7rocprim17ROCPRIM_400000_NS6detail17trampoline_kernelINS0_14default_configENS1_33run_length_encode_config_selectorIsjNS0_4plusIjEEEEZZNS1_33reduce_by_key_impl_wrapped_configILNS1_25lookback_scan_determinismE0ES3_S7_PKsNS0_17constant_iteratorIjlEEPsPlSF_S6_NS0_8equal_toIsEEEE10hipError_tPvRmT2_T3_mT4_T5_T6_T7_T8_P12ihipStream_tbENKUlT_T0_E_clISt17integral_constantIbLb0EESZ_EEDaSU_SV_EUlSU_E_NS1_11comp_targetILNS1_3genE10ELNS1_11target_archE1201ELNS1_3gpuE5ELNS1_3repE0EEENS1_30default_config_static_selectorELNS0_4arch9wavefront6targetE1EEEvT1_
		.amdhsa_group_segment_fixed_size 0
		.amdhsa_private_segment_fixed_size 0
		.amdhsa_kernarg_size 128
		.amdhsa_user_sgpr_count 6
		.amdhsa_user_sgpr_private_segment_buffer 1
		.amdhsa_user_sgpr_dispatch_ptr 0
		.amdhsa_user_sgpr_queue_ptr 0
		.amdhsa_user_sgpr_kernarg_segment_ptr 1
		.amdhsa_user_sgpr_dispatch_id 0
		.amdhsa_user_sgpr_flat_scratch_init 0
		.amdhsa_user_sgpr_kernarg_preload_length 0
		.amdhsa_user_sgpr_kernarg_preload_offset 0
		.amdhsa_user_sgpr_private_segment_size 0
		.amdhsa_uses_dynamic_stack 0
		.amdhsa_system_sgpr_private_segment_wavefront_offset 0
		.amdhsa_system_sgpr_workgroup_id_x 1
		.amdhsa_system_sgpr_workgroup_id_y 0
		.amdhsa_system_sgpr_workgroup_id_z 0
		.amdhsa_system_sgpr_workgroup_info 0
		.amdhsa_system_vgpr_workitem_id 0
		.amdhsa_next_free_vgpr 1
		.amdhsa_next_free_sgpr 0
		.amdhsa_accum_offset 4
		.amdhsa_reserve_vcc 0
		.amdhsa_reserve_flat_scratch 0
		.amdhsa_float_round_mode_32 0
		.amdhsa_float_round_mode_16_64 0
		.amdhsa_float_denorm_mode_32 3
		.amdhsa_float_denorm_mode_16_64 3
		.amdhsa_dx10_clamp 1
		.amdhsa_ieee_mode 1
		.amdhsa_fp16_overflow 0
		.amdhsa_tg_split 0
		.amdhsa_exception_fp_ieee_invalid_op 0
		.amdhsa_exception_fp_denorm_src 0
		.amdhsa_exception_fp_ieee_div_zero 0
		.amdhsa_exception_fp_ieee_overflow 0
		.amdhsa_exception_fp_ieee_underflow 0
		.amdhsa_exception_fp_ieee_inexact 0
		.amdhsa_exception_int_div_zero 0
	.end_amdhsa_kernel
	.section	.text._ZN7rocprim17ROCPRIM_400000_NS6detail17trampoline_kernelINS0_14default_configENS1_33run_length_encode_config_selectorIsjNS0_4plusIjEEEEZZNS1_33reduce_by_key_impl_wrapped_configILNS1_25lookback_scan_determinismE0ES3_S7_PKsNS0_17constant_iteratorIjlEEPsPlSF_S6_NS0_8equal_toIsEEEE10hipError_tPvRmT2_T3_mT4_T5_T6_T7_T8_P12ihipStream_tbENKUlT_T0_E_clISt17integral_constantIbLb0EESZ_EEDaSU_SV_EUlSU_E_NS1_11comp_targetILNS1_3genE10ELNS1_11target_archE1201ELNS1_3gpuE5ELNS1_3repE0EEENS1_30default_config_static_selectorELNS0_4arch9wavefront6targetE1EEEvT1_,"axG",@progbits,_ZN7rocprim17ROCPRIM_400000_NS6detail17trampoline_kernelINS0_14default_configENS1_33run_length_encode_config_selectorIsjNS0_4plusIjEEEEZZNS1_33reduce_by_key_impl_wrapped_configILNS1_25lookback_scan_determinismE0ES3_S7_PKsNS0_17constant_iteratorIjlEEPsPlSF_S6_NS0_8equal_toIsEEEE10hipError_tPvRmT2_T3_mT4_T5_T6_T7_T8_P12ihipStream_tbENKUlT_T0_E_clISt17integral_constantIbLb0EESZ_EEDaSU_SV_EUlSU_E_NS1_11comp_targetILNS1_3genE10ELNS1_11target_archE1201ELNS1_3gpuE5ELNS1_3repE0EEENS1_30default_config_static_selectorELNS0_4arch9wavefront6targetE1EEEvT1_,comdat
.Lfunc_end585:
	.size	_ZN7rocprim17ROCPRIM_400000_NS6detail17trampoline_kernelINS0_14default_configENS1_33run_length_encode_config_selectorIsjNS0_4plusIjEEEEZZNS1_33reduce_by_key_impl_wrapped_configILNS1_25lookback_scan_determinismE0ES3_S7_PKsNS0_17constant_iteratorIjlEEPsPlSF_S6_NS0_8equal_toIsEEEE10hipError_tPvRmT2_T3_mT4_T5_T6_T7_T8_P12ihipStream_tbENKUlT_T0_E_clISt17integral_constantIbLb0EESZ_EEDaSU_SV_EUlSU_E_NS1_11comp_targetILNS1_3genE10ELNS1_11target_archE1201ELNS1_3gpuE5ELNS1_3repE0EEENS1_30default_config_static_selectorELNS0_4arch9wavefront6targetE1EEEvT1_, .Lfunc_end585-_ZN7rocprim17ROCPRIM_400000_NS6detail17trampoline_kernelINS0_14default_configENS1_33run_length_encode_config_selectorIsjNS0_4plusIjEEEEZZNS1_33reduce_by_key_impl_wrapped_configILNS1_25lookback_scan_determinismE0ES3_S7_PKsNS0_17constant_iteratorIjlEEPsPlSF_S6_NS0_8equal_toIsEEEE10hipError_tPvRmT2_T3_mT4_T5_T6_T7_T8_P12ihipStream_tbENKUlT_T0_E_clISt17integral_constantIbLb0EESZ_EEDaSU_SV_EUlSU_E_NS1_11comp_targetILNS1_3genE10ELNS1_11target_archE1201ELNS1_3gpuE5ELNS1_3repE0EEENS1_30default_config_static_selectorELNS0_4arch9wavefront6targetE1EEEvT1_
                                        ; -- End function
	.section	.AMDGPU.csdata,"",@progbits
; Kernel info:
; codeLenInByte = 0
; NumSgprs: 4
; NumVgprs: 0
; NumAgprs: 0
; TotalNumVgprs: 0
; ScratchSize: 0
; MemoryBound: 0
; FloatMode: 240
; IeeeMode: 1
; LDSByteSize: 0 bytes/workgroup (compile time only)
; SGPRBlocks: 0
; VGPRBlocks: 0
; NumSGPRsForWavesPerEU: 4
; NumVGPRsForWavesPerEU: 1
; AccumOffset: 4
; Occupancy: 8
; WaveLimiterHint : 0
; COMPUTE_PGM_RSRC2:SCRATCH_EN: 0
; COMPUTE_PGM_RSRC2:USER_SGPR: 6
; COMPUTE_PGM_RSRC2:TRAP_HANDLER: 0
; COMPUTE_PGM_RSRC2:TGID_X_EN: 1
; COMPUTE_PGM_RSRC2:TGID_Y_EN: 0
; COMPUTE_PGM_RSRC2:TGID_Z_EN: 0
; COMPUTE_PGM_RSRC2:TIDIG_COMP_CNT: 0
; COMPUTE_PGM_RSRC3_GFX90A:ACCUM_OFFSET: 0
; COMPUTE_PGM_RSRC3_GFX90A:TG_SPLIT: 0
	.section	.text._ZN7rocprim17ROCPRIM_400000_NS6detail17trampoline_kernelINS0_14default_configENS1_33run_length_encode_config_selectorIsjNS0_4plusIjEEEEZZNS1_33reduce_by_key_impl_wrapped_configILNS1_25lookback_scan_determinismE0ES3_S7_PKsNS0_17constant_iteratorIjlEEPsPlSF_S6_NS0_8equal_toIsEEEE10hipError_tPvRmT2_T3_mT4_T5_T6_T7_T8_P12ihipStream_tbENKUlT_T0_E_clISt17integral_constantIbLb0EESZ_EEDaSU_SV_EUlSU_E_NS1_11comp_targetILNS1_3genE10ELNS1_11target_archE1200ELNS1_3gpuE4ELNS1_3repE0EEENS1_30default_config_static_selectorELNS0_4arch9wavefront6targetE1EEEvT1_,"axG",@progbits,_ZN7rocprim17ROCPRIM_400000_NS6detail17trampoline_kernelINS0_14default_configENS1_33run_length_encode_config_selectorIsjNS0_4plusIjEEEEZZNS1_33reduce_by_key_impl_wrapped_configILNS1_25lookback_scan_determinismE0ES3_S7_PKsNS0_17constant_iteratorIjlEEPsPlSF_S6_NS0_8equal_toIsEEEE10hipError_tPvRmT2_T3_mT4_T5_T6_T7_T8_P12ihipStream_tbENKUlT_T0_E_clISt17integral_constantIbLb0EESZ_EEDaSU_SV_EUlSU_E_NS1_11comp_targetILNS1_3genE10ELNS1_11target_archE1200ELNS1_3gpuE4ELNS1_3repE0EEENS1_30default_config_static_selectorELNS0_4arch9wavefront6targetE1EEEvT1_,comdat
	.protected	_ZN7rocprim17ROCPRIM_400000_NS6detail17trampoline_kernelINS0_14default_configENS1_33run_length_encode_config_selectorIsjNS0_4plusIjEEEEZZNS1_33reduce_by_key_impl_wrapped_configILNS1_25lookback_scan_determinismE0ES3_S7_PKsNS0_17constant_iteratorIjlEEPsPlSF_S6_NS0_8equal_toIsEEEE10hipError_tPvRmT2_T3_mT4_T5_T6_T7_T8_P12ihipStream_tbENKUlT_T0_E_clISt17integral_constantIbLb0EESZ_EEDaSU_SV_EUlSU_E_NS1_11comp_targetILNS1_3genE10ELNS1_11target_archE1200ELNS1_3gpuE4ELNS1_3repE0EEENS1_30default_config_static_selectorELNS0_4arch9wavefront6targetE1EEEvT1_ ; -- Begin function _ZN7rocprim17ROCPRIM_400000_NS6detail17trampoline_kernelINS0_14default_configENS1_33run_length_encode_config_selectorIsjNS0_4plusIjEEEEZZNS1_33reduce_by_key_impl_wrapped_configILNS1_25lookback_scan_determinismE0ES3_S7_PKsNS0_17constant_iteratorIjlEEPsPlSF_S6_NS0_8equal_toIsEEEE10hipError_tPvRmT2_T3_mT4_T5_T6_T7_T8_P12ihipStream_tbENKUlT_T0_E_clISt17integral_constantIbLb0EESZ_EEDaSU_SV_EUlSU_E_NS1_11comp_targetILNS1_3genE10ELNS1_11target_archE1200ELNS1_3gpuE4ELNS1_3repE0EEENS1_30default_config_static_selectorELNS0_4arch9wavefront6targetE1EEEvT1_
	.globl	_ZN7rocprim17ROCPRIM_400000_NS6detail17trampoline_kernelINS0_14default_configENS1_33run_length_encode_config_selectorIsjNS0_4plusIjEEEEZZNS1_33reduce_by_key_impl_wrapped_configILNS1_25lookback_scan_determinismE0ES3_S7_PKsNS0_17constant_iteratorIjlEEPsPlSF_S6_NS0_8equal_toIsEEEE10hipError_tPvRmT2_T3_mT4_T5_T6_T7_T8_P12ihipStream_tbENKUlT_T0_E_clISt17integral_constantIbLb0EESZ_EEDaSU_SV_EUlSU_E_NS1_11comp_targetILNS1_3genE10ELNS1_11target_archE1200ELNS1_3gpuE4ELNS1_3repE0EEENS1_30default_config_static_selectorELNS0_4arch9wavefront6targetE1EEEvT1_
	.p2align	8
	.type	_ZN7rocprim17ROCPRIM_400000_NS6detail17trampoline_kernelINS0_14default_configENS1_33run_length_encode_config_selectorIsjNS0_4plusIjEEEEZZNS1_33reduce_by_key_impl_wrapped_configILNS1_25lookback_scan_determinismE0ES3_S7_PKsNS0_17constant_iteratorIjlEEPsPlSF_S6_NS0_8equal_toIsEEEE10hipError_tPvRmT2_T3_mT4_T5_T6_T7_T8_P12ihipStream_tbENKUlT_T0_E_clISt17integral_constantIbLb0EESZ_EEDaSU_SV_EUlSU_E_NS1_11comp_targetILNS1_3genE10ELNS1_11target_archE1200ELNS1_3gpuE4ELNS1_3repE0EEENS1_30default_config_static_selectorELNS0_4arch9wavefront6targetE1EEEvT1_,@function
_ZN7rocprim17ROCPRIM_400000_NS6detail17trampoline_kernelINS0_14default_configENS1_33run_length_encode_config_selectorIsjNS0_4plusIjEEEEZZNS1_33reduce_by_key_impl_wrapped_configILNS1_25lookback_scan_determinismE0ES3_S7_PKsNS0_17constant_iteratorIjlEEPsPlSF_S6_NS0_8equal_toIsEEEE10hipError_tPvRmT2_T3_mT4_T5_T6_T7_T8_P12ihipStream_tbENKUlT_T0_E_clISt17integral_constantIbLb0EESZ_EEDaSU_SV_EUlSU_E_NS1_11comp_targetILNS1_3genE10ELNS1_11target_archE1200ELNS1_3gpuE4ELNS1_3repE0EEENS1_30default_config_static_selectorELNS0_4arch9wavefront6targetE1EEEvT1_: ; @_ZN7rocprim17ROCPRIM_400000_NS6detail17trampoline_kernelINS0_14default_configENS1_33run_length_encode_config_selectorIsjNS0_4plusIjEEEEZZNS1_33reduce_by_key_impl_wrapped_configILNS1_25lookback_scan_determinismE0ES3_S7_PKsNS0_17constant_iteratorIjlEEPsPlSF_S6_NS0_8equal_toIsEEEE10hipError_tPvRmT2_T3_mT4_T5_T6_T7_T8_P12ihipStream_tbENKUlT_T0_E_clISt17integral_constantIbLb0EESZ_EEDaSU_SV_EUlSU_E_NS1_11comp_targetILNS1_3genE10ELNS1_11target_archE1200ELNS1_3gpuE4ELNS1_3repE0EEENS1_30default_config_static_selectorELNS0_4arch9wavefront6targetE1EEEvT1_
; %bb.0:
	.section	.rodata,"a",@progbits
	.p2align	6, 0x0
	.amdhsa_kernel _ZN7rocprim17ROCPRIM_400000_NS6detail17trampoline_kernelINS0_14default_configENS1_33run_length_encode_config_selectorIsjNS0_4plusIjEEEEZZNS1_33reduce_by_key_impl_wrapped_configILNS1_25lookback_scan_determinismE0ES3_S7_PKsNS0_17constant_iteratorIjlEEPsPlSF_S6_NS0_8equal_toIsEEEE10hipError_tPvRmT2_T3_mT4_T5_T6_T7_T8_P12ihipStream_tbENKUlT_T0_E_clISt17integral_constantIbLb0EESZ_EEDaSU_SV_EUlSU_E_NS1_11comp_targetILNS1_3genE10ELNS1_11target_archE1200ELNS1_3gpuE4ELNS1_3repE0EEENS1_30default_config_static_selectorELNS0_4arch9wavefront6targetE1EEEvT1_
		.amdhsa_group_segment_fixed_size 0
		.amdhsa_private_segment_fixed_size 0
		.amdhsa_kernarg_size 128
		.amdhsa_user_sgpr_count 6
		.amdhsa_user_sgpr_private_segment_buffer 1
		.amdhsa_user_sgpr_dispatch_ptr 0
		.amdhsa_user_sgpr_queue_ptr 0
		.amdhsa_user_sgpr_kernarg_segment_ptr 1
		.amdhsa_user_sgpr_dispatch_id 0
		.amdhsa_user_sgpr_flat_scratch_init 0
		.amdhsa_user_sgpr_kernarg_preload_length 0
		.amdhsa_user_sgpr_kernarg_preload_offset 0
		.amdhsa_user_sgpr_private_segment_size 0
		.amdhsa_uses_dynamic_stack 0
		.amdhsa_system_sgpr_private_segment_wavefront_offset 0
		.amdhsa_system_sgpr_workgroup_id_x 1
		.amdhsa_system_sgpr_workgroup_id_y 0
		.amdhsa_system_sgpr_workgroup_id_z 0
		.amdhsa_system_sgpr_workgroup_info 0
		.amdhsa_system_vgpr_workitem_id 0
		.amdhsa_next_free_vgpr 1
		.amdhsa_next_free_sgpr 0
		.amdhsa_accum_offset 4
		.amdhsa_reserve_vcc 0
		.amdhsa_reserve_flat_scratch 0
		.amdhsa_float_round_mode_32 0
		.amdhsa_float_round_mode_16_64 0
		.amdhsa_float_denorm_mode_32 3
		.amdhsa_float_denorm_mode_16_64 3
		.amdhsa_dx10_clamp 1
		.amdhsa_ieee_mode 1
		.amdhsa_fp16_overflow 0
		.amdhsa_tg_split 0
		.amdhsa_exception_fp_ieee_invalid_op 0
		.amdhsa_exception_fp_denorm_src 0
		.amdhsa_exception_fp_ieee_div_zero 0
		.amdhsa_exception_fp_ieee_overflow 0
		.amdhsa_exception_fp_ieee_underflow 0
		.amdhsa_exception_fp_ieee_inexact 0
		.amdhsa_exception_int_div_zero 0
	.end_amdhsa_kernel
	.section	.text._ZN7rocprim17ROCPRIM_400000_NS6detail17trampoline_kernelINS0_14default_configENS1_33run_length_encode_config_selectorIsjNS0_4plusIjEEEEZZNS1_33reduce_by_key_impl_wrapped_configILNS1_25lookback_scan_determinismE0ES3_S7_PKsNS0_17constant_iteratorIjlEEPsPlSF_S6_NS0_8equal_toIsEEEE10hipError_tPvRmT2_T3_mT4_T5_T6_T7_T8_P12ihipStream_tbENKUlT_T0_E_clISt17integral_constantIbLb0EESZ_EEDaSU_SV_EUlSU_E_NS1_11comp_targetILNS1_3genE10ELNS1_11target_archE1200ELNS1_3gpuE4ELNS1_3repE0EEENS1_30default_config_static_selectorELNS0_4arch9wavefront6targetE1EEEvT1_,"axG",@progbits,_ZN7rocprim17ROCPRIM_400000_NS6detail17trampoline_kernelINS0_14default_configENS1_33run_length_encode_config_selectorIsjNS0_4plusIjEEEEZZNS1_33reduce_by_key_impl_wrapped_configILNS1_25lookback_scan_determinismE0ES3_S7_PKsNS0_17constant_iteratorIjlEEPsPlSF_S6_NS0_8equal_toIsEEEE10hipError_tPvRmT2_T3_mT4_T5_T6_T7_T8_P12ihipStream_tbENKUlT_T0_E_clISt17integral_constantIbLb0EESZ_EEDaSU_SV_EUlSU_E_NS1_11comp_targetILNS1_3genE10ELNS1_11target_archE1200ELNS1_3gpuE4ELNS1_3repE0EEENS1_30default_config_static_selectorELNS0_4arch9wavefront6targetE1EEEvT1_,comdat
.Lfunc_end586:
	.size	_ZN7rocprim17ROCPRIM_400000_NS6detail17trampoline_kernelINS0_14default_configENS1_33run_length_encode_config_selectorIsjNS0_4plusIjEEEEZZNS1_33reduce_by_key_impl_wrapped_configILNS1_25lookback_scan_determinismE0ES3_S7_PKsNS0_17constant_iteratorIjlEEPsPlSF_S6_NS0_8equal_toIsEEEE10hipError_tPvRmT2_T3_mT4_T5_T6_T7_T8_P12ihipStream_tbENKUlT_T0_E_clISt17integral_constantIbLb0EESZ_EEDaSU_SV_EUlSU_E_NS1_11comp_targetILNS1_3genE10ELNS1_11target_archE1200ELNS1_3gpuE4ELNS1_3repE0EEENS1_30default_config_static_selectorELNS0_4arch9wavefront6targetE1EEEvT1_, .Lfunc_end586-_ZN7rocprim17ROCPRIM_400000_NS6detail17trampoline_kernelINS0_14default_configENS1_33run_length_encode_config_selectorIsjNS0_4plusIjEEEEZZNS1_33reduce_by_key_impl_wrapped_configILNS1_25lookback_scan_determinismE0ES3_S7_PKsNS0_17constant_iteratorIjlEEPsPlSF_S6_NS0_8equal_toIsEEEE10hipError_tPvRmT2_T3_mT4_T5_T6_T7_T8_P12ihipStream_tbENKUlT_T0_E_clISt17integral_constantIbLb0EESZ_EEDaSU_SV_EUlSU_E_NS1_11comp_targetILNS1_3genE10ELNS1_11target_archE1200ELNS1_3gpuE4ELNS1_3repE0EEENS1_30default_config_static_selectorELNS0_4arch9wavefront6targetE1EEEvT1_
                                        ; -- End function
	.section	.AMDGPU.csdata,"",@progbits
; Kernel info:
; codeLenInByte = 0
; NumSgprs: 4
; NumVgprs: 0
; NumAgprs: 0
; TotalNumVgprs: 0
; ScratchSize: 0
; MemoryBound: 0
; FloatMode: 240
; IeeeMode: 1
; LDSByteSize: 0 bytes/workgroup (compile time only)
; SGPRBlocks: 0
; VGPRBlocks: 0
; NumSGPRsForWavesPerEU: 4
; NumVGPRsForWavesPerEU: 1
; AccumOffset: 4
; Occupancy: 8
; WaveLimiterHint : 0
; COMPUTE_PGM_RSRC2:SCRATCH_EN: 0
; COMPUTE_PGM_RSRC2:USER_SGPR: 6
; COMPUTE_PGM_RSRC2:TRAP_HANDLER: 0
; COMPUTE_PGM_RSRC2:TGID_X_EN: 1
; COMPUTE_PGM_RSRC2:TGID_Y_EN: 0
; COMPUTE_PGM_RSRC2:TGID_Z_EN: 0
; COMPUTE_PGM_RSRC2:TIDIG_COMP_CNT: 0
; COMPUTE_PGM_RSRC3_GFX90A:ACCUM_OFFSET: 0
; COMPUTE_PGM_RSRC3_GFX90A:TG_SPLIT: 0
	.section	.text._ZN7rocprim17ROCPRIM_400000_NS6detail17trampoline_kernelINS0_14default_configENS1_33run_length_encode_config_selectorIsjNS0_4plusIjEEEEZZNS1_33reduce_by_key_impl_wrapped_configILNS1_25lookback_scan_determinismE0ES3_S7_PKsNS0_17constant_iteratorIjlEEPsPlSF_S6_NS0_8equal_toIsEEEE10hipError_tPvRmT2_T3_mT4_T5_T6_T7_T8_P12ihipStream_tbENKUlT_T0_E_clISt17integral_constantIbLb0EESZ_EEDaSU_SV_EUlSU_E_NS1_11comp_targetILNS1_3genE9ELNS1_11target_archE1100ELNS1_3gpuE3ELNS1_3repE0EEENS1_30default_config_static_selectorELNS0_4arch9wavefront6targetE1EEEvT1_,"axG",@progbits,_ZN7rocprim17ROCPRIM_400000_NS6detail17trampoline_kernelINS0_14default_configENS1_33run_length_encode_config_selectorIsjNS0_4plusIjEEEEZZNS1_33reduce_by_key_impl_wrapped_configILNS1_25lookback_scan_determinismE0ES3_S7_PKsNS0_17constant_iteratorIjlEEPsPlSF_S6_NS0_8equal_toIsEEEE10hipError_tPvRmT2_T3_mT4_T5_T6_T7_T8_P12ihipStream_tbENKUlT_T0_E_clISt17integral_constantIbLb0EESZ_EEDaSU_SV_EUlSU_E_NS1_11comp_targetILNS1_3genE9ELNS1_11target_archE1100ELNS1_3gpuE3ELNS1_3repE0EEENS1_30default_config_static_selectorELNS0_4arch9wavefront6targetE1EEEvT1_,comdat
	.protected	_ZN7rocprim17ROCPRIM_400000_NS6detail17trampoline_kernelINS0_14default_configENS1_33run_length_encode_config_selectorIsjNS0_4plusIjEEEEZZNS1_33reduce_by_key_impl_wrapped_configILNS1_25lookback_scan_determinismE0ES3_S7_PKsNS0_17constant_iteratorIjlEEPsPlSF_S6_NS0_8equal_toIsEEEE10hipError_tPvRmT2_T3_mT4_T5_T6_T7_T8_P12ihipStream_tbENKUlT_T0_E_clISt17integral_constantIbLb0EESZ_EEDaSU_SV_EUlSU_E_NS1_11comp_targetILNS1_3genE9ELNS1_11target_archE1100ELNS1_3gpuE3ELNS1_3repE0EEENS1_30default_config_static_selectorELNS0_4arch9wavefront6targetE1EEEvT1_ ; -- Begin function _ZN7rocprim17ROCPRIM_400000_NS6detail17trampoline_kernelINS0_14default_configENS1_33run_length_encode_config_selectorIsjNS0_4plusIjEEEEZZNS1_33reduce_by_key_impl_wrapped_configILNS1_25lookback_scan_determinismE0ES3_S7_PKsNS0_17constant_iteratorIjlEEPsPlSF_S6_NS0_8equal_toIsEEEE10hipError_tPvRmT2_T3_mT4_T5_T6_T7_T8_P12ihipStream_tbENKUlT_T0_E_clISt17integral_constantIbLb0EESZ_EEDaSU_SV_EUlSU_E_NS1_11comp_targetILNS1_3genE9ELNS1_11target_archE1100ELNS1_3gpuE3ELNS1_3repE0EEENS1_30default_config_static_selectorELNS0_4arch9wavefront6targetE1EEEvT1_
	.globl	_ZN7rocprim17ROCPRIM_400000_NS6detail17trampoline_kernelINS0_14default_configENS1_33run_length_encode_config_selectorIsjNS0_4plusIjEEEEZZNS1_33reduce_by_key_impl_wrapped_configILNS1_25lookback_scan_determinismE0ES3_S7_PKsNS0_17constant_iteratorIjlEEPsPlSF_S6_NS0_8equal_toIsEEEE10hipError_tPvRmT2_T3_mT4_T5_T6_T7_T8_P12ihipStream_tbENKUlT_T0_E_clISt17integral_constantIbLb0EESZ_EEDaSU_SV_EUlSU_E_NS1_11comp_targetILNS1_3genE9ELNS1_11target_archE1100ELNS1_3gpuE3ELNS1_3repE0EEENS1_30default_config_static_selectorELNS0_4arch9wavefront6targetE1EEEvT1_
	.p2align	8
	.type	_ZN7rocprim17ROCPRIM_400000_NS6detail17trampoline_kernelINS0_14default_configENS1_33run_length_encode_config_selectorIsjNS0_4plusIjEEEEZZNS1_33reduce_by_key_impl_wrapped_configILNS1_25lookback_scan_determinismE0ES3_S7_PKsNS0_17constant_iteratorIjlEEPsPlSF_S6_NS0_8equal_toIsEEEE10hipError_tPvRmT2_T3_mT4_T5_T6_T7_T8_P12ihipStream_tbENKUlT_T0_E_clISt17integral_constantIbLb0EESZ_EEDaSU_SV_EUlSU_E_NS1_11comp_targetILNS1_3genE9ELNS1_11target_archE1100ELNS1_3gpuE3ELNS1_3repE0EEENS1_30default_config_static_selectorELNS0_4arch9wavefront6targetE1EEEvT1_,@function
_ZN7rocprim17ROCPRIM_400000_NS6detail17trampoline_kernelINS0_14default_configENS1_33run_length_encode_config_selectorIsjNS0_4plusIjEEEEZZNS1_33reduce_by_key_impl_wrapped_configILNS1_25lookback_scan_determinismE0ES3_S7_PKsNS0_17constant_iteratorIjlEEPsPlSF_S6_NS0_8equal_toIsEEEE10hipError_tPvRmT2_T3_mT4_T5_T6_T7_T8_P12ihipStream_tbENKUlT_T0_E_clISt17integral_constantIbLb0EESZ_EEDaSU_SV_EUlSU_E_NS1_11comp_targetILNS1_3genE9ELNS1_11target_archE1100ELNS1_3gpuE3ELNS1_3repE0EEENS1_30default_config_static_selectorELNS0_4arch9wavefront6targetE1EEEvT1_: ; @_ZN7rocprim17ROCPRIM_400000_NS6detail17trampoline_kernelINS0_14default_configENS1_33run_length_encode_config_selectorIsjNS0_4plusIjEEEEZZNS1_33reduce_by_key_impl_wrapped_configILNS1_25lookback_scan_determinismE0ES3_S7_PKsNS0_17constant_iteratorIjlEEPsPlSF_S6_NS0_8equal_toIsEEEE10hipError_tPvRmT2_T3_mT4_T5_T6_T7_T8_P12ihipStream_tbENKUlT_T0_E_clISt17integral_constantIbLb0EESZ_EEDaSU_SV_EUlSU_E_NS1_11comp_targetILNS1_3genE9ELNS1_11target_archE1100ELNS1_3gpuE3ELNS1_3repE0EEENS1_30default_config_static_selectorELNS0_4arch9wavefront6targetE1EEEvT1_
; %bb.0:
	.section	.rodata,"a",@progbits
	.p2align	6, 0x0
	.amdhsa_kernel _ZN7rocprim17ROCPRIM_400000_NS6detail17trampoline_kernelINS0_14default_configENS1_33run_length_encode_config_selectorIsjNS0_4plusIjEEEEZZNS1_33reduce_by_key_impl_wrapped_configILNS1_25lookback_scan_determinismE0ES3_S7_PKsNS0_17constant_iteratorIjlEEPsPlSF_S6_NS0_8equal_toIsEEEE10hipError_tPvRmT2_T3_mT4_T5_T6_T7_T8_P12ihipStream_tbENKUlT_T0_E_clISt17integral_constantIbLb0EESZ_EEDaSU_SV_EUlSU_E_NS1_11comp_targetILNS1_3genE9ELNS1_11target_archE1100ELNS1_3gpuE3ELNS1_3repE0EEENS1_30default_config_static_selectorELNS0_4arch9wavefront6targetE1EEEvT1_
		.amdhsa_group_segment_fixed_size 0
		.amdhsa_private_segment_fixed_size 0
		.amdhsa_kernarg_size 128
		.amdhsa_user_sgpr_count 6
		.amdhsa_user_sgpr_private_segment_buffer 1
		.amdhsa_user_sgpr_dispatch_ptr 0
		.amdhsa_user_sgpr_queue_ptr 0
		.amdhsa_user_sgpr_kernarg_segment_ptr 1
		.amdhsa_user_sgpr_dispatch_id 0
		.amdhsa_user_sgpr_flat_scratch_init 0
		.amdhsa_user_sgpr_kernarg_preload_length 0
		.amdhsa_user_sgpr_kernarg_preload_offset 0
		.amdhsa_user_sgpr_private_segment_size 0
		.amdhsa_uses_dynamic_stack 0
		.amdhsa_system_sgpr_private_segment_wavefront_offset 0
		.amdhsa_system_sgpr_workgroup_id_x 1
		.amdhsa_system_sgpr_workgroup_id_y 0
		.amdhsa_system_sgpr_workgroup_id_z 0
		.amdhsa_system_sgpr_workgroup_info 0
		.amdhsa_system_vgpr_workitem_id 0
		.amdhsa_next_free_vgpr 1
		.amdhsa_next_free_sgpr 0
		.amdhsa_accum_offset 4
		.amdhsa_reserve_vcc 0
		.amdhsa_reserve_flat_scratch 0
		.amdhsa_float_round_mode_32 0
		.amdhsa_float_round_mode_16_64 0
		.amdhsa_float_denorm_mode_32 3
		.amdhsa_float_denorm_mode_16_64 3
		.amdhsa_dx10_clamp 1
		.amdhsa_ieee_mode 1
		.amdhsa_fp16_overflow 0
		.amdhsa_tg_split 0
		.amdhsa_exception_fp_ieee_invalid_op 0
		.amdhsa_exception_fp_denorm_src 0
		.amdhsa_exception_fp_ieee_div_zero 0
		.amdhsa_exception_fp_ieee_overflow 0
		.amdhsa_exception_fp_ieee_underflow 0
		.amdhsa_exception_fp_ieee_inexact 0
		.amdhsa_exception_int_div_zero 0
	.end_amdhsa_kernel
	.section	.text._ZN7rocprim17ROCPRIM_400000_NS6detail17trampoline_kernelINS0_14default_configENS1_33run_length_encode_config_selectorIsjNS0_4plusIjEEEEZZNS1_33reduce_by_key_impl_wrapped_configILNS1_25lookback_scan_determinismE0ES3_S7_PKsNS0_17constant_iteratorIjlEEPsPlSF_S6_NS0_8equal_toIsEEEE10hipError_tPvRmT2_T3_mT4_T5_T6_T7_T8_P12ihipStream_tbENKUlT_T0_E_clISt17integral_constantIbLb0EESZ_EEDaSU_SV_EUlSU_E_NS1_11comp_targetILNS1_3genE9ELNS1_11target_archE1100ELNS1_3gpuE3ELNS1_3repE0EEENS1_30default_config_static_selectorELNS0_4arch9wavefront6targetE1EEEvT1_,"axG",@progbits,_ZN7rocprim17ROCPRIM_400000_NS6detail17trampoline_kernelINS0_14default_configENS1_33run_length_encode_config_selectorIsjNS0_4plusIjEEEEZZNS1_33reduce_by_key_impl_wrapped_configILNS1_25lookback_scan_determinismE0ES3_S7_PKsNS0_17constant_iteratorIjlEEPsPlSF_S6_NS0_8equal_toIsEEEE10hipError_tPvRmT2_T3_mT4_T5_T6_T7_T8_P12ihipStream_tbENKUlT_T0_E_clISt17integral_constantIbLb0EESZ_EEDaSU_SV_EUlSU_E_NS1_11comp_targetILNS1_3genE9ELNS1_11target_archE1100ELNS1_3gpuE3ELNS1_3repE0EEENS1_30default_config_static_selectorELNS0_4arch9wavefront6targetE1EEEvT1_,comdat
.Lfunc_end587:
	.size	_ZN7rocprim17ROCPRIM_400000_NS6detail17trampoline_kernelINS0_14default_configENS1_33run_length_encode_config_selectorIsjNS0_4plusIjEEEEZZNS1_33reduce_by_key_impl_wrapped_configILNS1_25lookback_scan_determinismE0ES3_S7_PKsNS0_17constant_iteratorIjlEEPsPlSF_S6_NS0_8equal_toIsEEEE10hipError_tPvRmT2_T3_mT4_T5_T6_T7_T8_P12ihipStream_tbENKUlT_T0_E_clISt17integral_constantIbLb0EESZ_EEDaSU_SV_EUlSU_E_NS1_11comp_targetILNS1_3genE9ELNS1_11target_archE1100ELNS1_3gpuE3ELNS1_3repE0EEENS1_30default_config_static_selectorELNS0_4arch9wavefront6targetE1EEEvT1_, .Lfunc_end587-_ZN7rocprim17ROCPRIM_400000_NS6detail17trampoline_kernelINS0_14default_configENS1_33run_length_encode_config_selectorIsjNS0_4plusIjEEEEZZNS1_33reduce_by_key_impl_wrapped_configILNS1_25lookback_scan_determinismE0ES3_S7_PKsNS0_17constant_iteratorIjlEEPsPlSF_S6_NS0_8equal_toIsEEEE10hipError_tPvRmT2_T3_mT4_T5_T6_T7_T8_P12ihipStream_tbENKUlT_T0_E_clISt17integral_constantIbLb0EESZ_EEDaSU_SV_EUlSU_E_NS1_11comp_targetILNS1_3genE9ELNS1_11target_archE1100ELNS1_3gpuE3ELNS1_3repE0EEENS1_30default_config_static_selectorELNS0_4arch9wavefront6targetE1EEEvT1_
                                        ; -- End function
	.section	.AMDGPU.csdata,"",@progbits
; Kernel info:
; codeLenInByte = 0
; NumSgprs: 4
; NumVgprs: 0
; NumAgprs: 0
; TotalNumVgprs: 0
; ScratchSize: 0
; MemoryBound: 0
; FloatMode: 240
; IeeeMode: 1
; LDSByteSize: 0 bytes/workgroup (compile time only)
; SGPRBlocks: 0
; VGPRBlocks: 0
; NumSGPRsForWavesPerEU: 4
; NumVGPRsForWavesPerEU: 1
; AccumOffset: 4
; Occupancy: 8
; WaveLimiterHint : 0
; COMPUTE_PGM_RSRC2:SCRATCH_EN: 0
; COMPUTE_PGM_RSRC2:USER_SGPR: 6
; COMPUTE_PGM_RSRC2:TRAP_HANDLER: 0
; COMPUTE_PGM_RSRC2:TGID_X_EN: 1
; COMPUTE_PGM_RSRC2:TGID_Y_EN: 0
; COMPUTE_PGM_RSRC2:TGID_Z_EN: 0
; COMPUTE_PGM_RSRC2:TIDIG_COMP_CNT: 0
; COMPUTE_PGM_RSRC3_GFX90A:ACCUM_OFFSET: 0
; COMPUTE_PGM_RSRC3_GFX90A:TG_SPLIT: 0
	.section	.text._ZN7rocprim17ROCPRIM_400000_NS6detail17trampoline_kernelINS0_14default_configENS1_33run_length_encode_config_selectorIsjNS0_4plusIjEEEEZZNS1_33reduce_by_key_impl_wrapped_configILNS1_25lookback_scan_determinismE0ES3_S7_PKsNS0_17constant_iteratorIjlEEPsPlSF_S6_NS0_8equal_toIsEEEE10hipError_tPvRmT2_T3_mT4_T5_T6_T7_T8_P12ihipStream_tbENKUlT_T0_E_clISt17integral_constantIbLb0EESZ_EEDaSU_SV_EUlSU_E_NS1_11comp_targetILNS1_3genE8ELNS1_11target_archE1030ELNS1_3gpuE2ELNS1_3repE0EEENS1_30default_config_static_selectorELNS0_4arch9wavefront6targetE1EEEvT1_,"axG",@progbits,_ZN7rocprim17ROCPRIM_400000_NS6detail17trampoline_kernelINS0_14default_configENS1_33run_length_encode_config_selectorIsjNS0_4plusIjEEEEZZNS1_33reduce_by_key_impl_wrapped_configILNS1_25lookback_scan_determinismE0ES3_S7_PKsNS0_17constant_iteratorIjlEEPsPlSF_S6_NS0_8equal_toIsEEEE10hipError_tPvRmT2_T3_mT4_T5_T6_T7_T8_P12ihipStream_tbENKUlT_T0_E_clISt17integral_constantIbLb0EESZ_EEDaSU_SV_EUlSU_E_NS1_11comp_targetILNS1_3genE8ELNS1_11target_archE1030ELNS1_3gpuE2ELNS1_3repE0EEENS1_30default_config_static_selectorELNS0_4arch9wavefront6targetE1EEEvT1_,comdat
	.protected	_ZN7rocprim17ROCPRIM_400000_NS6detail17trampoline_kernelINS0_14default_configENS1_33run_length_encode_config_selectorIsjNS0_4plusIjEEEEZZNS1_33reduce_by_key_impl_wrapped_configILNS1_25lookback_scan_determinismE0ES3_S7_PKsNS0_17constant_iteratorIjlEEPsPlSF_S6_NS0_8equal_toIsEEEE10hipError_tPvRmT2_T3_mT4_T5_T6_T7_T8_P12ihipStream_tbENKUlT_T0_E_clISt17integral_constantIbLb0EESZ_EEDaSU_SV_EUlSU_E_NS1_11comp_targetILNS1_3genE8ELNS1_11target_archE1030ELNS1_3gpuE2ELNS1_3repE0EEENS1_30default_config_static_selectorELNS0_4arch9wavefront6targetE1EEEvT1_ ; -- Begin function _ZN7rocprim17ROCPRIM_400000_NS6detail17trampoline_kernelINS0_14default_configENS1_33run_length_encode_config_selectorIsjNS0_4plusIjEEEEZZNS1_33reduce_by_key_impl_wrapped_configILNS1_25lookback_scan_determinismE0ES3_S7_PKsNS0_17constant_iteratorIjlEEPsPlSF_S6_NS0_8equal_toIsEEEE10hipError_tPvRmT2_T3_mT4_T5_T6_T7_T8_P12ihipStream_tbENKUlT_T0_E_clISt17integral_constantIbLb0EESZ_EEDaSU_SV_EUlSU_E_NS1_11comp_targetILNS1_3genE8ELNS1_11target_archE1030ELNS1_3gpuE2ELNS1_3repE0EEENS1_30default_config_static_selectorELNS0_4arch9wavefront6targetE1EEEvT1_
	.globl	_ZN7rocprim17ROCPRIM_400000_NS6detail17trampoline_kernelINS0_14default_configENS1_33run_length_encode_config_selectorIsjNS0_4plusIjEEEEZZNS1_33reduce_by_key_impl_wrapped_configILNS1_25lookback_scan_determinismE0ES3_S7_PKsNS0_17constant_iteratorIjlEEPsPlSF_S6_NS0_8equal_toIsEEEE10hipError_tPvRmT2_T3_mT4_T5_T6_T7_T8_P12ihipStream_tbENKUlT_T0_E_clISt17integral_constantIbLb0EESZ_EEDaSU_SV_EUlSU_E_NS1_11comp_targetILNS1_3genE8ELNS1_11target_archE1030ELNS1_3gpuE2ELNS1_3repE0EEENS1_30default_config_static_selectorELNS0_4arch9wavefront6targetE1EEEvT1_
	.p2align	8
	.type	_ZN7rocprim17ROCPRIM_400000_NS6detail17trampoline_kernelINS0_14default_configENS1_33run_length_encode_config_selectorIsjNS0_4plusIjEEEEZZNS1_33reduce_by_key_impl_wrapped_configILNS1_25lookback_scan_determinismE0ES3_S7_PKsNS0_17constant_iteratorIjlEEPsPlSF_S6_NS0_8equal_toIsEEEE10hipError_tPvRmT2_T3_mT4_T5_T6_T7_T8_P12ihipStream_tbENKUlT_T0_E_clISt17integral_constantIbLb0EESZ_EEDaSU_SV_EUlSU_E_NS1_11comp_targetILNS1_3genE8ELNS1_11target_archE1030ELNS1_3gpuE2ELNS1_3repE0EEENS1_30default_config_static_selectorELNS0_4arch9wavefront6targetE1EEEvT1_,@function
_ZN7rocprim17ROCPRIM_400000_NS6detail17trampoline_kernelINS0_14default_configENS1_33run_length_encode_config_selectorIsjNS0_4plusIjEEEEZZNS1_33reduce_by_key_impl_wrapped_configILNS1_25lookback_scan_determinismE0ES3_S7_PKsNS0_17constant_iteratorIjlEEPsPlSF_S6_NS0_8equal_toIsEEEE10hipError_tPvRmT2_T3_mT4_T5_T6_T7_T8_P12ihipStream_tbENKUlT_T0_E_clISt17integral_constantIbLb0EESZ_EEDaSU_SV_EUlSU_E_NS1_11comp_targetILNS1_3genE8ELNS1_11target_archE1030ELNS1_3gpuE2ELNS1_3repE0EEENS1_30default_config_static_selectorELNS0_4arch9wavefront6targetE1EEEvT1_: ; @_ZN7rocprim17ROCPRIM_400000_NS6detail17trampoline_kernelINS0_14default_configENS1_33run_length_encode_config_selectorIsjNS0_4plusIjEEEEZZNS1_33reduce_by_key_impl_wrapped_configILNS1_25lookback_scan_determinismE0ES3_S7_PKsNS0_17constant_iteratorIjlEEPsPlSF_S6_NS0_8equal_toIsEEEE10hipError_tPvRmT2_T3_mT4_T5_T6_T7_T8_P12ihipStream_tbENKUlT_T0_E_clISt17integral_constantIbLb0EESZ_EEDaSU_SV_EUlSU_E_NS1_11comp_targetILNS1_3genE8ELNS1_11target_archE1030ELNS1_3gpuE2ELNS1_3repE0EEENS1_30default_config_static_selectorELNS0_4arch9wavefront6targetE1EEEvT1_
; %bb.0:
	.section	.rodata,"a",@progbits
	.p2align	6, 0x0
	.amdhsa_kernel _ZN7rocprim17ROCPRIM_400000_NS6detail17trampoline_kernelINS0_14default_configENS1_33run_length_encode_config_selectorIsjNS0_4plusIjEEEEZZNS1_33reduce_by_key_impl_wrapped_configILNS1_25lookback_scan_determinismE0ES3_S7_PKsNS0_17constant_iteratorIjlEEPsPlSF_S6_NS0_8equal_toIsEEEE10hipError_tPvRmT2_T3_mT4_T5_T6_T7_T8_P12ihipStream_tbENKUlT_T0_E_clISt17integral_constantIbLb0EESZ_EEDaSU_SV_EUlSU_E_NS1_11comp_targetILNS1_3genE8ELNS1_11target_archE1030ELNS1_3gpuE2ELNS1_3repE0EEENS1_30default_config_static_selectorELNS0_4arch9wavefront6targetE1EEEvT1_
		.amdhsa_group_segment_fixed_size 0
		.amdhsa_private_segment_fixed_size 0
		.amdhsa_kernarg_size 128
		.amdhsa_user_sgpr_count 6
		.amdhsa_user_sgpr_private_segment_buffer 1
		.amdhsa_user_sgpr_dispatch_ptr 0
		.amdhsa_user_sgpr_queue_ptr 0
		.amdhsa_user_sgpr_kernarg_segment_ptr 1
		.amdhsa_user_sgpr_dispatch_id 0
		.amdhsa_user_sgpr_flat_scratch_init 0
		.amdhsa_user_sgpr_kernarg_preload_length 0
		.amdhsa_user_sgpr_kernarg_preload_offset 0
		.amdhsa_user_sgpr_private_segment_size 0
		.amdhsa_uses_dynamic_stack 0
		.amdhsa_system_sgpr_private_segment_wavefront_offset 0
		.amdhsa_system_sgpr_workgroup_id_x 1
		.amdhsa_system_sgpr_workgroup_id_y 0
		.amdhsa_system_sgpr_workgroup_id_z 0
		.amdhsa_system_sgpr_workgroup_info 0
		.amdhsa_system_vgpr_workitem_id 0
		.amdhsa_next_free_vgpr 1
		.amdhsa_next_free_sgpr 0
		.amdhsa_accum_offset 4
		.amdhsa_reserve_vcc 0
		.amdhsa_reserve_flat_scratch 0
		.amdhsa_float_round_mode_32 0
		.amdhsa_float_round_mode_16_64 0
		.amdhsa_float_denorm_mode_32 3
		.amdhsa_float_denorm_mode_16_64 3
		.amdhsa_dx10_clamp 1
		.amdhsa_ieee_mode 1
		.amdhsa_fp16_overflow 0
		.amdhsa_tg_split 0
		.amdhsa_exception_fp_ieee_invalid_op 0
		.amdhsa_exception_fp_denorm_src 0
		.amdhsa_exception_fp_ieee_div_zero 0
		.amdhsa_exception_fp_ieee_overflow 0
		.amdhsa_exception_fp_ieee_underflow 0
		.amdhsa_exception_fp_ieee_inexact 0
		.amdhsa_exception_int_div_zero 0
	.end_amdhsa_kernel
	.section	.text._ZN7rocprim17ROCPRIM_400000_NS6detail17trampoline_kernelINS0_14default_configENS1_33run_length_encode_config_selectorIsjNS0_4plusIjEEEEZZNS1_33reduce_by_key_impl_wrapped_configILNS1_25lookback_scan_determinismE0ES3_S7_PKsNS0_17constant_iteratorIjlEEPsPlSF_S6_NS0_8equal_toIsEEEE10hipError_tPvRmT2_T3_mT4_T5_T6_T7_T8_P12ihipStream_tbENKUlT_T0_E_clISt17integral_constantIbLb0EESZ_EEDaSU_SV_EUlSU_E_NS1_11comp_targetILNS1_3genE8ELNS1_11target_archE1030ELNS1_3gpuE2ELNS1_3repE0EEENS1_30default_config_static_selectorELNS0_4arch9wavefront6targetE1EEEvT1_,"axG",@progbits,_ZN7rocprim17ROCPRIM_400000_NS6detail17trampoline_kernelINS0_14default_configENS1_33run_length_encode_config_selectorIsjNS0_4plusIjEEEEZZNS1_33reduce_by_key_impl_wrapped_configILNS1_25lookback_scan_determinismE0ES3_S7_PKsNS0_17constant_iteratorIjlEEPsPlSF_S6_NS0_8equal_toIsEEEE10hipError_tPvRmT2_T3_mT4_T5_T6_T7_T8_P12ihipStream_tbENKUlT_T0_E_clISt17integral_constantIbLb0EESZ_EEDaSU_SV_EUlSU_E_NS1_11comp_targetILNS1_3genE8ELNS1_11target_archE1030ELNS1_3gpuE2ELNS1_3repE0EEENS1_30default_config_static_selectorELNS0_4arch9wavefront6targetE1EEEvT1_,comdat
.Lfunc_end588:
	.size	_ZN7rocprim17ROCPRIM_400000_NS6detail17trampoline_kernelINS0_14default_configENS1_33run_length_encode_config_selectorIsjNS0_4plusIjEEEEZZNS1_33reduce_by_key_impl_wrapped_configILNS1_25lookback_scan_determinismE0ES3_S7_PKsNS0_17constant_iteratorIjlEEPsPlSF_S6_NS0_8equal_toIsEEEE10hipError_tPvRmT2_T3_mT4_T5_T6_T7_T8_P12ihipStream_tbENKUlT_T0_E_clISt17integral_constantIbLb0EESZ_EEDaSU_SV_EUlSU_E_NS1_11comp_targetILNS1_3genE8ELNS1_11target_archE1030ELNS1_3gpuE2ELNS1_3repE0EEENS1_30default_config_static_selectorELNS0_4arch9wavefront6targetE1EEEvT1_, .Lfunc_end588-_ZN7rocprim17ROCPRIM_400000_NS6detail17trampoline_kernelINS0_14default_configENS1_33run_length_encode_config_selectorIsjNS0_4plusIjEEEEZZNS1_33reduce_by_key_impl_wrapped_configILNS1_25lookback_scan_determinismE0ES3_S7_PKsNS0_17constant_iteratorIjlEEPsPlSF_S6_NS0_8equal_toIsEEEE10hipError_tPvRmT2_T3_mT4_T5_T6_T7_T8_P12ihipStream_tbENKUlT_T0_E_clISt17integral_constantIbLb0EESZ_EEDaSU_SV_EUlSU_E_NS1_11comp_targetILNS1_3genE8ELNS1_11target_archE1030ELNS1_3gpuE2ELNS1_3repE0EEENS1_30default_config_static_selectorELNS0_4arch9wavefront6targetE1EEEvT1_
                                        ; -- End function
	.section	.AMDGPU.csdata,"",@progbits
; Kernel info:
; codeLenInByte = 0
; NumSgprs: 4
; NumVgprs: 0
; NumAgprs: 0
; TotalNumVgprs: 0
; ScratchSize: 0
; MemoryBound: 0
; FloatMode: 240
; IeeeMode: 1
; LDSByteSize: 0 bytes/workgroup (compile time only)
; SGPRBlocks: 0
; VGPRBlocks: 0
; NumSGPRsForWavesPerEU: 4
; NumVGPRsForWavesPerEU: 1
; AccumOffset: 4
; Occupancy: 8
; WaveLimiterHint : 0
; COMPUTE_PGM_RSRC2:SCRATCH_EN: 0
; COMPUTE_PGM_RSRC2:USER_SGPR: 6
; COMPUTE_PGM_RSRC2:TRAP_HANDLER: 0
; COMPUTE_PGM_RSRC2:TGID_X_EN: 1
; COMPUTE_PGM_RSRC2:TGID_Y_EN: 0
; COMPUTE_PGM_RSRC2:TGID_Z_EN: 0
; COMPUTE_PGM_RSRC2:TIDIG_COMP_CNT: 0
; COMPUTE_PGM_RSRC3_GFX90A:ACCUM_OFFSET: 0
; COMPUTE_PGM_RSRC3_GFX90A:TG_SPLIT: 0
	.section	.text._ZN7rocprim17ROCPRIM_400000_NS6detail17trampoline_kernelINS0_14default_configENS1_33run_length_encode_config_selectorIsjNS0_4plusIjEEEEZZNS1_33reduce_by_key_impl_wrapped_configILNS1_25lookback_scan_determinismE0ES3_S7_PKsNS0_17constant_iteratorIjlEEPsPlSF_S6_NS0_8equal_toIsEEEE10hipError_tPvRmT2_T3_mT4_T5_T6_T7_T8_P12ihipStream_tbENKUlT_T0_E_clISt17integral_constantIbLb1EESZ_EEDaSU_SV_EUlSU_E_NS1_11comp_targetILNS1_3genE0ELNS1_11target_archE4294967295ELNS1_3gpuE0ELNS1_3repE0EEENS1_30default_config_static_selectorELNS0_4arch9wavefront6targetE1EEEvT1_,"axG",@progbits,_ZN7rocprim17ROCPRIM_400000_NS6detail17trampoline_kernelINS0_14default_configENS1_33run_length_encode_config_selectorIsjNS0_4plusIjEEEEZZNS1_33reduce_by_key_impl_wrapped_configILNS1_25lookback_scan_determinismE0ES3_S7_PKsNS0_17constant_iteratorIjlEEPsPlSF_S6_NS0_8equal_toIsEEEE10hipError_tPvRmT2_T3_mT4_T5_T6_T7_T8_P12ihipStream_tbENKUlT_T0_E_clISt17integral_constantIbLb1EESZ_EEDaSU_SV_EUlSU_E_NS1_11comp_targetILNS1_3genE0ELNS1_11target_archE4294967295ELNS1_3gpuE0ELNS1_3repE0EEENS1_30default_config_static_selectorELNS0_4arch9wavefront6targetE1EEEvT1_,comdat
	.protected	_ZN7rocprim17ROCPRIM_400000_NS6detail17trampoline_kernelINS0_14default_configENS1_33run_length_encode_config_selectorIsjNS0_4plusIjEEEEZZNS1_33reduce_by_key_impl_wrapped_configILNS1_25lookback_scan_determinismE0ES3_S7_PKsNS0_17constant_iteratorIjlEEPsPlSF_S6_NS0_8equal_toIsEEEE10hipError_tPvRmT2_T3_mT4_T5_T6_T7_T8_P12ihipStream_tbENKUlT_T0_E_clISt17integral_constantIbLb1EESZ_EEDaSU_SV_EUlSU_E_NS1_11comp_targetILNS1_3genE0ELNS1_11target_archE4294967295ELNS1_3gpuE0ELNS1_3repE0EEENS1_30default_config_static_selectorELNS0_4arch9wavefront6targetE1EEEvT1_ ; -- Begin function _ZN7rocprim17ROCPRIM_400000_NS6detail17trampoline_kernelINS0_14default_configENS1_33run_length_encode_config_selectorIsjNS0_4plusIjEEEEZZNS1_33reduce_by_key_impl_wrapped_configILNS1_25lookback_scan_determinismE0ES3_S7_PKsNS0_17constant_iteratorIjlEEPsPlSF_S6_NS0_8equal_toIsEEEE10hipError_tPvRmT2_T3_mT4_T5_T6_T7_T8_P12ihipStream_tbENKUlT_T0_E_clISt17integral_constantIbLb1EESZ_EEDaSU_SV_EUlSU_E_NS1_11comp_targetILNS1_3genE0ELNS1_11target_archE4294967295ELNS1_3gpuE0ELNS1_3repE0EEENS1_30default_config_static_selectorELNS0_4arch9wavefront6targetE1EEEvT1_
	.globl	_ZN7rocprim17ROCPRIM_400000_NS6detail17trampoline_kernelINS0_14default_configENS1_33run_length_encode_config_selectorIsjNS0_4plusIjEEEEZZNS1_33reduce_by_key_impl_wrapped_configILNS1_25lookback_scan_determinismE0ES3_S7_PKsNS0_17constant_iteratorIjlEEPsPlSF_S6_NS0_8equal_toIsEEEE10hipError_tPvRmT2_T3_mT4_T5_T6_T7_T8_P12ihipStream_tbENKUlT_T0_E_clISt17integral_constantIbLb1EESZ_EEDaSU_SV_EUlSU_E_NS1_11comp_targetILNS1_3genE0ELNS1_11target_archE4294967295ELNS1_3gpuE0ELNS1_3repE0EEENS1_30default_config_static_selectorELNS0_4arch9wavefront6targetE1EEEvT1_
	.p2align	8
	.type	_ZN7rocprim17ROCPRIM_400000_NS6detail17trampoline_kernelINS0_14default_configENS1_33run_length_encode_config_selectorIsjNS0_4plusIjEEEEZZNS1_33reduce_by_key_impl_wrapped_configILNS1_25lookback_scan_determinismE0ES3_S7_PKsNS0_17constant_iteratorIjlEEPsPlSF_S6_NS0_8equal_toIsEEEE10hipError_tPvRmT2_T3_mT4_T5_T6_T7_T8_P12ihipStream_tbENKUlT_T0_E_clISt17integral_constantIbLb1EESZ_EEDaSU_SV_EUlSU_E_NS1_11comp_targetILNS1_3genE0ELNS1_11target_archE4294967295ELNS1_3gpuE0ELNS1_3repE0EEENS1_30default_config_static_selectorELNS0_4arch9wavefront6targetE1EEEvT1_,@function
_ZN7rocprim17ROCPRIM_400000_NS6detail17trampoline_kernelINS0_14default_configENS1_33run_length_encode_config_selectorIsjNS0_4plusIjEEEEZZNS1_33reduce_by_key_impl_wrapped_configILNS1_25lookback_scan_determinismE0ES3_S7_PKsNS0_17constant_iteratorIjlEEPsPlSF_S6_NS0_8equal_toIsEEEE10hipError_tPvRmT2_T3_mT4_T5_T6_T7_T8_P12ihipStream_tbENKUlT_T0_E_clISt17integral_constantIbLb1EESZ_EEDaSU_SV_EUlSU_E_NS1_11comp_targetILNS1_3genE0ELNS1_11target_archE4294967295ELNS1_3gpuE0ELNS1_3repE0EEENS1_30default_config_static_selectorELNS0_4arch9wavefront6targetE1EEEvT1_: ; @_ZN7rocprim17ROCPRIM_400000_NS6detail17trampoline_kernelINS0_14default_configENS1_33run_length_encode_config_selectorIsjNS0_4plusIjEEEEZZNS1_33reduce_by_key_impl_wrapped_configILNS1_25lookback_scan_determinismE0ES3_S7_PKsNS0_17constant_iteratorIjlEEPsPlSF_S6_NS0_8equal_toIsEEEE10hipError_tPvRmT2_T3_mT4_T5_T6_T7_T8_P12ihipStream_tbENKUlT_T0_E_clISt17integral_constantIbLb1EESZ_EEDaSU_SV_EUlSU_E_NS1_11comp_targetILNS1_3genE0ELNS1_11target_archE4294967295ELNS1_3gpuE0ELNS1_3repE0EEENS1_30default_config_static_selectorELNS0_4arch9wavefront6targetE1EEEvT1_
; %bb.0:
	.section	.rodata,"a",@progbits
	.p2align	6, 0x0
	.amdhsa_kernel _ZN7rocprim17ROCPRIM_400000_NS6detail17trampoline_kernelINS0_14default_configENS1_33run_length_encode_config_selectorIsjNS0_4plusIjEEEEZZNS1_33reduce_by_key_impl_wrapped_configILNS1_25lookback_scan_determinismE0ES3_S7_PKsNS0_17constant_iteratorIjlEEPsPlSF_S6_NS0_8equal_toIsEEEE10hipError_tPvRmT2_T3_mT4_T5_T6_T7_T8_P12ihipStream_tbENKUlT_T0_E_clISt17integral_constantIbLb1EESZ_EEDaSU_SV_EUlSU_E_NS1_11comp_targetILNS1_3genE0ELNS1_11target_archE4294967295ELNS1_3gpuE0ELNS1_3repE0EEENS1_30default_config_static_selectorELNS0_4arch9wavefront6targetE1EEEvT1_
		.amdhsa_group_segment_fixed_size 0
		.amdhsa_private_segment_fixed_size 0
		.amdhsa_kernarg_size 128
		.amdhsa_user_sgpr_count 6
		.amdhsa_user_sgpr_private_segment_buffer 1
		.amdhsa_user_sgpr_dispatch_ptr 0
		.amdhsa_user_sgpr_queue_ptr 0
		.amdhsa_user_sgpr_kernarg_segment_ptr 1
		.amdhsa_user_sgpr_dispatch_id 0
		.amdhsa_user_sgpr_flat_scratch_init 0
		.amdhsa_user_sgpr_kernarg_preload_length 0
		.amdhsa_user_sgpr_kernarg_preload_offset 0
		.amdhsa_user_sgpr_private_segment_size 0
		.amdhsa_uses_dynamic_stack 0
		.amdhsa_system_sgpr_private_segment_wavefront_offset 0
		.amdhsa_system_sgpr_workgroup_id_x 1
		.amdhsa_system_sgpr_workgroup_id_y 0
		.amdhsa_system_sgpr_workgroup_id_z 0
		.amdhsa_system_sgpr_workgroup_info 0
		.amdhsa_system_vgpr_workitem_id 0
		.amdhsa_next_free_vgpr 1
		.amdhsa_next_free_sgpr 0
		.amdhsa_accum_offset 4
		.amdhsa_reserve_vcc 0
		.amdhsa_reserve_flat_scratch 0
		.amdhsa_float_round_mode_32 0
		.amdhsa_float_round_mode_16_64 0
		.amdhsa_float_denorm_mode_32 3
		.amdhsa_float_denorm_mode_16_64 3
		.amdhsa_dx10_clamp 1
		.amdhsa_ieee_mode 1
		.amdhsa_fp16_overflow 0
		.amdhsa_tg_split 0
		.amdhsa_exception_fp_ieee_invalid_op 0
		.amdhsa_exception_fp_denorm_src 0
		.amdhsa_exception_fp_ieee_div_zero 0
		.amdhsa_exception_fp_ieee_overflow 0
		.amdhsa_exception_fp_ieee_underflow 0
		.amdhsa_exception_fp_ieee_inexact 0
		.amdhsa_exception_int_div_zero 0
	.end_amdhsa_kernel
	.section	.text._ZN7rocprim17ROCPRIM_400000_NS6detail17trampoline_kernelINS0_14default_configENS1_33run_length_encode_config_selectorIsjNS0_4plusIjEEEEZZNS1_33reduce_by_key_impl_wrapped_configILNS1_25lookback_scan_determinismE0ES3_S7_PKsNS0_17constant_iteratorIjlEEPsPlSF_S6_NS0_8equal_toIsEEEE10hipError_tPvRmT2_T3_mT4_T5_T6_T7_T8_P12ihipStream_tbENKUlT_T0_E_clISt17integral_constantIbLb1EESZ_EEDaSU_SV_EUlSU_E_NS1_11comp_targetILNS1_3genE0ELNS1_11target_archE4294967295ELNS1_3gpuE0ELNS1_3repE0EEENS1_30default_config_static_selectorELNS0_4arch9wavefront6targetE1EEEvT1_,"axG",@progbits,_ZN7rocprim17ROCPRIM_400000_NS6detail17trampoline_kernelINS0_14default_configENS1_33run_length_encode_config_selectorIsjNS0_4plusIjEEEEZZNS1_33reduce_by_key_impl_wrapped_configILNS1_25lookback_scan_determinismE0ES3_S7_PKsNS0_17constant_iteratorIjlEEPsPlSF_S6_NS0_8equal_toIsEEEE10hipError_tPvRmT2_T3_mT4_T5_T6_T7_T8_P12ihipStream_tbENKUlT_T0_E_clISt17integral_constantIbLb1EESZ_EEDaSU_SV_EUlSU_E_NS1_11comp_targetILNS1_3genE0ELNS1_11target_archE4294967295ELNS1_3gpuE0ELNS1_3repE0EEENS1_30default_config_static_selectorELNS0_4arch9wavefront6targetE1EEEvT1_,comdat
.Lfunc_end589:
	.size	_ZN7rocprim17ROCPRIM_400000_NS6detail17trampoline_kernelINS0_14default_configENS1_33run_length_encode_config_selectorIsjNS0_4plusIjEEEEZZNS1_33reduce_by_key_impl_wrapped_configILNS1_25lookback_scan_determinismE0ES3_S7_PKsNS0_17constant_iteratorIjlEEPsPlSF_S6_NS0_8equal_toIsEEEE10hipError_tPvRmT2_T3_mT4_T5_T6_T7_T8_P12ihipStream_tbENKUlT_T0_E_clISt17integral_constantIbLb1EESZ_EEDaSU_SV_EUlSU_E_NS1_11comp_targetILNS1_3genE0ELNS1_11target_archE4294967295ELNS1_3gpuE0ELNS1_3repE0EEENS1_30default_config_static_selectorELNS0_4arch9wavefront6targetE1EEEvT1_, .Lfunc_end589-_ZN7rocprim17ROCPRIM_400000_NS6detail17trampoline_kernelINS0_14default_configENS1_33run_length_encode_config_selectorIsjNS0_4plusIjEEEEZZNS1_33reduce_by_key_impl_wrapped_configILNS1_25lookback_scan_determinismE0ES3_S7_PKsNS0_17constant_iteratorIjlEEPsPlSF_S6_NS0_8equal_toIsEEEE10hipError_tPvRmT2_T3_mT4_T5_T6_T7_T8_P12ihipStream_tbENKUlT_T0_E_clISt17integral_constantIbLb1EESZ_EEDaSU_SV_EUlSU_E_NS1_11comp_targetILNS1_3genE0ELNS1_11target_archE4294967295ELNS1_3gpuE0ELNS1_3repE0EEENS1_30default_config_static_selectorELNS0_4arch9wavefront6targetE1EEEvT1_
                                        ; -- End function
	.section	.AMDGPU.csdata,"",@progbits
; Kernel info:
; codeLenInByte = 0
; NumSgprs: 4
; NumVgprs: 0
; NumAgprs: 0
; TotalNumVgprs: 0
; ScratchSize: 0
; MemoryBound: 0
; FloatMode: 240
; IeeeMode: 1
; LDSByteSize: 0 bytes/workgroup (compile time only)
; SGPRBlocks: 0
; VGPRBlocks: 0
; NumSGPRsForWavesPerEU: 4
; NumVGPRsForWavesPerEU: 1
; AccumOffset: 4
; Occupancy: 8
; WaveLimiterHint : 0
; COMPUTE_PGM_RSRC2:SCRATCH_EN: 0
; COMPUTE_PGM_RSRC2:USER_SGPR: 6
; COMPUTE_PGM_RSRC2:TRAP_HANDLER: 0
; COMPUTE_PGM_RSRC2:TGID_X_EN: 1
; COMPUTE_PGM_RSRC2:TGID_Y_EN: 0
; COMPUTE_PGM_RSRC2:TGID_Z_EN: 0
; COMPUTE_PGM_RSRC2:TIDIG_COMP_CNT: 0
; COMPUTE_PGM_RSRC3_GFX90A:ACCUM_OFFSET: 0
; COMPUTE_PGM_RSRC3_GFX90A:TG_SPLIT: 0
	.section	.text._ZN7rocprim17ROCPRIM_400000_NS6detail17trampoline_kernelINS0_14default_configENS1_33run_length_encode_config_selectorIsjNS0_4plusIjEEEEZZNS1_33reduce_by_key_impl_wrapped_configILNS1_25lookback_scan_determinismE0ES3_S7_PKsNS0_17constant_iteratorIjlEEPsPlSF_S6_NS0_8equal_toIsEEEE10hipError_tPvRmT2_T3_mT4_T5_T6_T7_T8_P12ihipStream_tbENKUlT_T0_E_clISt17integral_constantIbLb1EESZ_EEDaSU_SV_EUlSU_E_NS1_11comp_targetILNS1_3genE5ELNS1_11target_archE942ELNS1_3gpuE9ELNS1_3repE0EEENS1_30default_config_static_selectorELNS0_4arch9wavefront6targetE1EEEvT1_,"axG",@progbits,_ZN7rocprim17ROCPRIM_400000_NS6detail17trampoline_kernelINS0_14default_configENS1_33run_length_encode_config_selectorIsjNS0_4plusIjEEEEZZNS1_33reduce_by_key_impl_wrapped_configILNS1_25lookback_scan_determinismE0ES3_S7_PKsNS0_17constant_iteratorIjlEEPsPlSF_S6_NS0_8equal_toIsEEEE10hipError_tPvRmT2_T3_mT4_T5_T6_T7_T8_P12ihipStream_tbENKUlT_T0_E_clISt17integral_constantIbLb1EESZ_EEDaSU_SV_EUlSU_E_NS1_11comp_targetILNS1_3genE5ELNS1_11target_archE942ELNS1_3gpuE9ELNS1_3repE0EEENS1_30default_config_static_selectorELNS0_4arch9wavefront6targetE1EEEvT1_,comdat
	.protected	_ZN7rocprim17ROCPRIM_400000_NS6detail17trampoline_kernelINS0_14default_configENS1_33run_length_encode_config_selectorIsjNS0_4plusIjEEEEZZNS1_33reduce_by_key_impl_wrapped_configILNS1_25lookback_scan_determinismE0ES3_S7_PKsNS0_17constant_iteratorIjlEEPsPlSF_S6_NS0_8equal_toIsEEEE10hipError_tPvRmT2_T3_mT4_T5_T6_T7_T8_P12ihipStream_tbENKUlT_T0_E_clISt17integral_constantIbLb1EESZ_EEDaSU_SV_EUlSU_E_NS1_11comp_targetILNS1_3genE5ELNS1_11target_archE942ELNS1_3gpuE9ELNS1_3repE0EEENS1_30default_config_static_selectorELNS0_4arch9wavefront6targetE1EEEvT1_ ; -- Begin function _ZN7rocprim17ROCPRIM_400000_NS6detail17trampoline_kernelINS0_14default_configENS1_33run_length_encode_config_selectorIsjNS0_4plusIjEEEEZZNS1_33reduce_by_key_impl_wrapped_configILNS1_25lookback_scan_determinismE0ES3_S7_PKsNS0_17constant_iteratorIjlEEPsPlSF_S6_NS0_8equal_toIsEEEE10hipError_tPvRmT2_T3_mT4_T5_T6_T7_T8_P12ihipStream_tbENKUlT_T0_E_clISt17integral_constantIbLb1EESZ_EEDaSU_SV_EUlSU_E_NS1_11comp_targetILNS1_3genE5ELNS1_11target_archE942ELNS1_3gpuE9ELNS1_3repE0EEENS1_30default_config_static_selectorELNS0_4arch9wavefront6targetE1EEEvT1_
	.globl	_ZN7rocprim17ROCPRIM_400000_NS6detail17trampoline_kernelINS0_14default_configENS1_33run_length_encode_config_selectorIsjNS0_4plusIjEEEEZZNS1_33reduce_by_key_impl_wrapped_configILNS1_25lookback_scan_determinismE0ES3_S7_PKsNS0_17constant_iteratorIjlEEPsPlSF_S6_NS0_8equal_toIsEEEE10hipError_tPvRmT2_T3_mT4_T5_T6_T7_T8_P12ihipStream_tbENKUlT_T0_E_clISt17integral_constantIbLb1EESZ_EEDaSU_SV_EUlSU_E_NS1_11comp_targetILNS1_3genE5ELNS1_11target_archE942ELNS1_3gpuE9ELNS1_3repE0EEENS1_30default_config_static_selectorELNS0_4arch9wavefront6targetE1EEEvT1_
	.p2align	8
	.type	_ZN7rocprim17ROCPRIM_400000_NS6detail17trampoline_kernelINS0_14default_configENS1_33run_length_encode_config_selectorIsjNS0_4plusIjEEEEZZNS1_33reduce_by_key_impl_wrapped_configILNS1_25lookback_scan_determinismE0ES3_S7_PKsNS0_17constant_iteratorIjlEEPsPlSF_S6_NS0_8equal_toIsEEEE10hipError_tPvRmT2_T3_mT4_T5_T6_T7_T8_P12ihipStream_tbENKUlT_T0_E_clISt17integral_constantIbLb1EESZ_EEDaSU_SV_EUlSU_E_NS1_11comp_targetILNS1_3genE5ELNS1_11target_archE942ELNS1_3gpuE9ELNS1_3repE0EEENS1_30default_config_static_selectorELNS0_4arch9wavefront6targetE1EEEvT1_,@function
_ZN7rocprim17ROCPRIM_400000_NS6detail17trampoline_kernelINS0_14default_configENS1_33run_length_encode_config_selectorIsjNS0_4plusIjEEEEZZNS1_33reduce_by_key_impl_wrapped_configILNS1_25lookback_scan_determinismE0ES3_S7_PKsNS0_17constant_iteratorIjlEEPsPlSF_S6_NS0_8equal_toIsEEEE10hipError_tPvRmT2_T3_mT4_T5_T6_T7_T8_P12ihipStream_tbENKUlT_T0_E_clISt17integral_constantIbLb1EESZ_EEDaSU_SV_EUlSU_E_NS1_11comp_targetILNS1_3genE5ELNS1_11target_archE942ELNS1_3gpuE9ELNS1_3repE0EEENS1_30default_config_static_selectorELNS0_4arch9wavefront6targetE1EEEvT1_: ; @_ZN7rocprim17ROCPRIM_400000_NS6detail17trampoline_kernelINS0_14default_configENS1_33run_length_encode_config_selectorIsjNS0_4plusIjEEEEZZNS1_33reduce_by_key_impl_wrapped_configILNS1_25lookback_scan_determinismE0ES3_S7_PKsNS0_17constant_iteratorIjlEEPsPlSF_S6_NS0_8equal_toIsEEEE10hipError_tPvRmT2_T3_mT4_T5_T6_T7_T8_P12ihipStream_tbENKUlT_T0_E_clISt17integral_constantIbLb1EESZ_EEDaSU_SV_EUlSU_E_NS1_11comp_targetILNS1_3genE5ELNS1_11target_archE942ELNS1_3gpuE9ELNS1_3repE0EEENS1_30default_config_static_selectorELNS0_4arch9wavefront6targetE1EEEvT1_
; %bb.0:
	.section	.rodata,"a",@progbits
	.p2align	6, 0x0
	.amdhsa_kernel _ZN7rocprim17ROCPRIM_400000_NS6detail17trampoline_kernelINS0_14default_configENS1_33run_length_encode_config_selectorIsjNS0_4plusIjEEEEZZNS1_33reduce_by_key_impl_wrapped_configILNS1_25lookback_scan_determinismE0ES3_S7_PKsNS0_17constant_iteratorIjlEEPsPlSF_S6_NS0_8equal_toIsEEEE10hipError_tPvRmT2_T3_mT4_T5_T6_T7_T8_P12ihipStream_tbENKUlT_T0_E_clISt17integral_constantIbLb1EESZ_EEDaSU_SV_EUlSU_E_NS1_11comp_targetILNS1_3genE5ELNS1_11target_archE942ELNS1_3gpuE9ELNS1_3repE0EEENS1_30default_config_static_selectorELNS0_4arch9wavefront6targetE1EEEvT1_
		.amdhsa_group_segment_fixed_size 0
		.amdhsa_private_segment_fixed_size 0
		.amdhsa_kernarg_size 128
		.amdhsa_user_sgpr_count 6
		.amdhsa_user_sgpr_private_segment_buffer 1
		.amdhsa_user_sgpr_dispatch_ptr 0
		.amdhsa_user_sgpr_queue_ptr 0
		.amdhsa_user_sgpr_kernarg_segment_ptr 1
		.amdhsa_user_sgpr_dispatch_id 0
		.amdhsa_user_sgpr_flat_scratch_init 0
		.amdhsa_user_sgpr_kernarg_preload_length 0
		.amdhsa_user_sgpr_kernarg_preload_offset 0
		.amdhsa_user_sgpr_private_segment_size 0
		.amdhsa_uses_dynamic_stack 0
		.amdhsa_system_sgpr_private_segment_wavefront_offset 0
		.amdhsa_system_sgpr_workgroup_id_x 1
		.amdhsa_system_sgpr_workgroup_id_y 0
		.amdhsa_system_sgpr_workgroup_id_z 0
		.amdhsa_system_sgpr_workgroup_info 0
		.amdhsa_system_vgpr_workitem_id 0
		.amdhsa_next_free_vgpr 1
		.amdhsa_next_free_sgpr 0
		.amdhsa_accum_offset 4
		.amdhsa_reserve_vcc 0
		.amdhsa_reserve_flat_scratch 0
		.amdhsa_float_round_mode_32 0
		.amdhsa_float_round_mode_16_64 0
		.amdhsa_float_denorm_mode_32 3
		.amdhsa_float_denorm_mode_16_64 3
		.amdhsa_dx10_clamp 1
		.amdhsa_ieee_mode 1
		.amdhsa_fp16_overflow 0
		.amdhsa_tg_split 0
		.amdhsa_exception_fp_ieee_invalid_op 0
		.amdhsa_exception_fp_denorm_src 0
		.amdhsa_exception_fp_ieee_div_zero 0
		.amdhsa_exception_fp_ieee_overflow 0
		.amdhsa_exception_fp_ieee_underflow 0
		.amdhsa_exception_fp_ieee_inexact 0
		.amdhsa_exception_int_div_zero 0
	.end_amdhsa_kernel
	.section	.text._ZN7rocprim17ROCPRIM_400000_NS6detail17trampoline_kernelINS0_14default_configENS1_33run_length_encode_config_selectorIsjNS0_4plusIjEEEEZZNS1_33reduce_by_key_impl_wrapped_configILNS1_25lookback_scan_determinismE0ES3_S7_PKsNS0_17constant_iteratorIjlEEPsPlSF_S6_NS0_8equal_toIsEEEE10hipError_tPvRmT2_T3_mT4_T5_T6_T7_T8_P12ihipStream_tbENKUlT_T0_E_clISt17integral_constantIbLb1EESZ_EEDaSU_SV_EUlSU_E_NS1_11comp_targetILNS1_3genE5ELNS1_11target_archE942ELNS1_3gpuE9ELNS1_3repE0EEENS1_30default_config_static_selectorELNS0_4arch9wavefront6targetE1EEEvT1_,"axG",@progbits,_ZN7rocprim17ROCPRIM_400000_NS6detail17trampoline_kernelINS0_14default_configENS1_33run_length_encode_config_selectorIsjNS0_4plusIjEEEEZZNS1_33reduce_by_key_impl_wrapped_configILNS1_25lookback_scan_determinismE0ES3_S7_PKsNS0_17constant_iteratorIjlEEPsPlSF_S6_NS0_8equal_toIsEEEE10hipError_tPvRmT2_T3_mT4_T5_T6_T7_T8_P12ihipStream_tbENKUlT_T0_E_clISt17integral_constantIbLb1EESZ_EEDaSU_SV_EUlSU_E_NS1_11comp_targetILNS1_3genE5ELNS1_11target_archE942ELNS1_3gpuE9ELNS1_3repE0EEENS1_30default_config_static_selectorELNS0_4arch9wavefront6targetE1EEEvT1_,comdat
.Lfunc_end590:
	.size	_ZN7rocprim17ROCPRIM_400000_NS6detail17trampoline_kernelINS0_14default_configENS1_33run_length_encode_config_selectorIsjNS0_4plusIjEEEEZZNS1_33reduce_by_key_impl_wrapped_configILNS1_25lookback_scan_determinismE0ES3_S7_PKsNS0_17constant_iteratorIjlEEPsPlSF_S6_NS0_8equal_toIsEEEE10hipError_tPvRmT2_T3_mT4_T5_T6_T7_T8_P12ihipStream_tbENKUlT_T0_E_clISt17integral_constantIbLb1EESZ_EEDaSU_SV_EUlSU_E_NS1_11comp_targetILNS1_3genE5ELNS1_11target_archE942ELNS1_3gpuE9ELNS1_3repE0EEENS1_30default_config_static_selectorELNS0_4arch9wavefront6targetE1EEEvT1_, .Lfunc_end590-_ZN7rocprim17ROCPRIM_400000_NS6detail17trampoline_kernelINS0_14default_configENS1_33run_length_encode_config_selectorIsjNS0_4plusIjEEEEZZNS1_33reduce_by_key_impl_wrapped_configILNS1_25lookback_scan_determinismE0ES3_S7_PKsNS0_17constant_iteratorIjlEEPsPlSF_S6_NS0_8equal_toIsEEEE10hipError_tPvRmT2_T3_mT4_T5_T6_T7_T8_P12ihipStream_tbENKUlT_T0_E_clISt17integral_constantIbLb1EESZ_EEDaSU_SV_EUlSU_E_NS1_11comp_targetILNS1_3genE5ELNS1_11target_archE942ELNS1_3gpuE9ELNS1_3repE0EEENS1_30default_config_static_selectorELNS0_4arch9wavefront6targetE1EEEvT1_
                                        ; -- End function
	.section	.AMDGPU.csdata,"",@progbits
; Kernel info:
; codeLenInByte = 0
; NumSgprs: 4
; NumVgprs: 0
; NumAgprs: 0
; TotalNumVgprs: 0
; ScratchSize: 0
; MemoryBound: 0
; FloatMode: 240
; IeeeMode: 1
; LDSByteSize: 0 bytes/workgroup (compile time only)
; SGPRBlocks: 0
; VGPRBlocks: 0
; NumSGPRsForWavesPerEU: 4
; NumVGPRsForWavesPerEU: 1
; AccumOffset: 4
; Occupancy: 8
; WaveLimiterHint : 0
; COMPUTE_PGM_RSRC2:SCRATCH_EN: 0
; COMPUTE_PGM_RSRC2:USER_SGPR: 6
; COMPUTE_PGM_RSRC2:TRAP_HANDLER: 0
; COMPUTE_PGM_RSRC2:TGID_X_EN: 1
; COMPUTE_PGM_RSRC2:TGID_Y_EN: 0
; COMPUTE_PGM_RSRC2:TGID_Z_EN: 0
; COMPUTE_PGM_RSRC2:TIDIG_COMP_CNT: 0
; COMPUTE_PGM_RSRC3_GFX90A:ACCUM_OFFSET: 0
; COMPUTE_PGM_RSRC3_GFX90A:TG_SPLIT: 0
	.section	.text._ZN7rocprim17ROCPRIM_400000_NS6detail17trampoline_kernelINS0_14default_configENS1_33run_length_encode_config_selectorIsjNS0_4plusIjEEEEZZNS1_33reduce_by_key_impl_wrapped_configILNS1_25lookback_scan_determinismE0ES3_S7_PKsNS0_17constant_iteratorIjlEEPsPlSF_S6_NS0_8equal_toIsEEEE10hipError_tPvRmT2_T3_mT4_T5_T6_T7_T8_P12ihipStream_tbENKUlT_T0_E_clISt17integral_constantIbLb1EESZ_EEDaSU_SV_EUlSU_E_NS1_11comp_targetILNS1_3genE4ELNS1_11target_archE910ELNS1_3gpuE8ELNS1_3repE0EEENS1_30default_config_static_selectorELNS0_4arch9wavefront6targetE1EEEvT1_,"axG",@progbits,_ZN7rocprim17ROCPRIM_400000_NS6detail17trampoline_kernelINS0_14default_configENS1_33run_length_encode_config_selectorIsjNS0_4plusIjEEEEZZNS1_33reduce_by_key_impl_wrapped_configILNS1_25lookback_scan_determinismE0ES3_S7_PKsNS0_17constant_iteratorIjlEEPsPlSF_S6_NS0_8equal_toIsEEEE10hipError_tPvRmT2_T3_mT4_T5_T6_T7_T8_P12ihipStream_tbENKUlT_T0_E_clISt17integral_constantIbLb1EESZ_EEDaSU_SV_EUlSU_E_NS1_11comp_targetILNS1_3genE4ELNS1_11target_archE910ELNS1_3gpuE8ELNS1_3repE0EEENS1_30default_config_static_selectorELNS0_4arch9wavefront6targetE1EEEvT1_,comdat
	.protected	_ZN7rocprim17ROCPRIM_400000_NS6detail17trampoline_kernelINS0_14default_configENS1_33run_length_encode_config_selectorIsjNS0_4plusIjEEEEZZNS1_33reduce_by_key_impl_wrapped_configILNS1_25lookback_scan_determinismE0ES3_S7_PKsNS0_17constant_iteratorIjlEEPsPlSF_S6_NS0_8equal_toIsEEEE10hipError_tPvRmT2_T3_mT4_T5_T6_T7_T8_P12ihipStream_tbENKUlT_T0_E_clISt17integral_constantIbLb1EESZ_EEDaSU_SV_EUlSU_E_NS1_11comp_targetILNS1_3genE4ELNS1_11target_archE910ELNS1_3gpuE8ELNS1_3repE0EEENS1_30default_config_static_selectorELNS0_4arch9wavefront6targetE1EEEvT1_ ; -- Begin function _ZN7rocprim17ROCPRIM_400000_NS6detail17trampoline_kernelINS0_14default_configENS1_33run_length_encode_config_selectorIsjNS0_4plusIjEEEEZZNS1_33reduce_by_key_impl_wrapped_configILNS1_25lookback_scan_determinismE0ES3_S7_PKsNS0_17constant_iteratorIjlEEPsPlSF_S6_NS0_8equal_toIsEEEE10hipError_tPvRmT2_T3_mT4_T5_T6_T7_T8_P12ihipStream_tbENKUlT_T0_E_clISt17integral_constantIbLb1EESZ_EEDaSU_SV_EUlSU_E_NS1_11comp_targetILNS1_3genE4ELNS1_11target_archE910ELNS1_3gpuE8ELNS1_3repE0EEENS1_30default_config_static_selectorELNS0_4arch9wavefront6targetE1EEEvT1_
	.globl	_ZN7rocprim17ROCPRIM_400000_NS6detail17trampoline_kernelINS0_14default_configENS1_33run_length_encode_config_selectorIsjNS0_4plusIjEEEEZZNS1_33reduce_by_key_impl_wrapped_configILNS1_25lookback_scan_determinismE0ES3_S7_PKsNS0_17constant_iteratorIjlEEPsPlSF_S6_NS0_8equal_toIsEEEE10hipError_tPvRmT2_T3_mT4_T5_T6_T7_T8_P12ihipStream_tbENKUlT_T0_E_clISt17integral_constantIbLb1EESZ_EEDaSU_SV_EUlSU_E_NS1_11comp_targetILNS1_3genE4ELNS1_11target_archE910ELNS1_3gpuE8ELNS1_3repE0EEENS1_30default_config_static_selectorELNS0_4arch9wavefront6targetE1EEEvT1_
	.p2align	8
	.type	_ZN7rocprim17ROCPRIM_400000_NS6detail17trampoline_kernelINS0_14default_configENS1_33run_length_encode_config_selectorIsjNS0_4plusIjEEEEZZNS1_33reduce_by_key_impl_wrapped_configILNS1_25lookback_scan_determinismE0ES3_S7_PKsNS0_17constant_iteratorIjlEEPsPlSF_S6_NS0_8equal_toIsEEEE10hipError_tPvRmT2_T3_mT4_T5_T6_T7_T8_P12ihipStream_tbENKUlT_T0_E_clISt17integral_constantIbLb1EESZ_EEDaSU_SV_EUlSU_E_NS1_11comp_targetILNS1_3genE4ELNS1_11target_archE910ELNS1_3gpuE8ELNS1_3repE0EEENS1_30default_config_static_selectorELNS0_4arch9wavefront6targetE1EEEvT1_,@function
_ZN7rocprim17ROCPRIM_400000_NS6detail17trampoline_kernelINS0_14default_configENS1_33run_length_encode_config_selectorIsjNS0_4plusIjEEEEZZNS1_33reduce_by_key_impl_wrapped_configILNS1_25lookback_scan_determinismE0ES3_S7_PKsNS0_17constant_iteratorIjlEEPsPlSF_S6_NS0_8equal_toIsEEEE10hipError_tPvRmT2_T3_mT4_T5_T6_T7_T8_P12ihipStream_tbENKUlT_T0_E_clISt17integral_constantIbLb1EESZ_EEDaSU_SV_EUlSU_E_NS1_11comp_targetILNS1_3genE4ELNS1_11target_archE910ELNS1_3gpuE8ELNS1_3repE0EEENS1_30default_config_static_selectorELNS0_4arch9wavefront6targetE1EEEvT1_: ; @_ZN7rocprim17ROCPRIM_400000_NS6detail17trampoline_kernelINS0_14default_configENS1_33run_length_encode_config_selectorIsjNS0_4plusIjEEEEZZNS1_33reduce_by_key_impl_wrapped_configILNS1_25lookback_scan_determinismE0ES3_S7_PKsNS0_17constant_iteratorIjlEEPsPlSF_S6_NS0_8equal_toIsEEEE10hipError_tPvRmT2_T3_mT4_T5_T6_T7_T8_P12ihipStream_tbENKUlT_T0_E_clISt17integral_constantIbLb1EESZ_EEDaSU_SV_EUlSU_E_NS1_11comp_targetILNS1_3genE4ELNS1_11target_archE910ELNS1_3gpuE8ELNS1_3repE0EEENS1_30default_config_static_selectorELNS0_4arch9wavefront6targetE1EEEvT1_
; %bb.0:
	s_load_dword s12, s[4:5], 0x10
	s_load_dwordx4 s[44:47], s[4:5], 0x20
	s_load_dwordx2 s[34:35], s[4:5], 0x30
	s_load_dwordx2 s[48:49], s[4:5], 0x70
	s_load_dwordx4 s[28:31], s[4:5], 0x60
	s_load_dwordx8 s[36:43], s[4:5], 0x40
	v_cmp_ne_u32_e64 s[2:3], 0, v0
	v_cmp_eq_u32_e64 s[0:1], 0, v0
	s_and_saveexec_b64 s[6:7], s[0:1]
	s_cbranch_execz .LBB591_4
; %bb.1:
	s_mov_b64 s[10:11], exec
	v_mbcnt_lo_u32_b32 v1, s10, 0
	v_mbcnt_hi_u32_b32 v1, s11, v1
	v_cmp_eq_u32_e32 vcc, 0, v1
                                        ; implicit-def: $vgpr2
	s_and_saveexec_b64 s[8:9], vcc
	s_cbranch_execz .LBB591_3
; %bb.2:
	s_load_dwordx2 s[14:15], s[4:5], 0x78
	s_bcnt1_i32_b64 s10, s[10:11]
	v_mov_b32_e32 v2, 0
	v_mov_b32_e32 v3, s10
	s_waitcnt lgkmcnt(0)
	global_atomic_add v2, v2, v3, s[14:15] glc
.LBB591_3:
	s_or_b64 exec, exec, s[8:9]
	s_waitcnt vmcnt(0)
	v_readfirstlane_b32 s8, v2
	v_add_u32_e32 v1, s8, v1
	v_mov_b32_e32 v2, 0
	ds_write_b32 v2, v1
.LBB591_4:
	s_or_b64 exec, exec, s[6:7]
	s_load_dwordx4 s[4:7], s[4:5], 0x0
	v_mov_b32_e32 v3, 0
	s_waitcnt lgkmcnt(0)
	s_barrier
	ds_read_b32 v1, v3
	s_mul_i32 s8, s40, s39
	s_mul_hi_u32 s9, s40, s38
	s_add_i32 s8, s9, s8
	s_mul_i32 s9, s41, s38
	s_add_i32 s8, s8, s9
	s_lshl_b64 s[6:7], s[6:7], 1
	s_add_u32 s4, s4, s6
	s_movk_i32 s6, 0xa80
	s_waitcnt lgkmcnt(0)
	v_mul_lo_u32 v2, v1, s6
	s_mul_i32 s9, s40, s38
	s_addc_u32 s5, s5, s7
	v_readfirstlane_b32 s56, v1
	v_lshlrev_b64 v[2:3], 1, v[2:3]
	v_add_co_u32_e32 v2, vcc, s4, v2
	s_add_u32 s4, s9, s56
	v_mov_b32_e32 v1, s5
	s_addc_u32 s5, s8, 0
	s_add_u32 s6, s42, -1
	s_addc_u32 s7, s43, -1
	s_cmp_eq_u64 s[4:5], s[6:7]
	v_addc_co_u32_e32 v3, vcc, v1, v3, vcc
	s_cselect_b64 s[40:41], -1, 0
	s_cmp_lg_u64 s[4:5], s[6:7]
	s_mov_b64 s[10:11], -1
	s_cselect_b64 s[8:9], -1, 0
	s_mul_i32 s33, s6, 0xfffff580
	s_and_b64 vcc, exec, s[40:41]
	s_barrier
	s_cbranch_vccnz .LBB591_6
; %bb.5:
	v_lshlrev_b32_e32 v1, 1, v0
	v_add_co_u32_e32 v4, vcc, v2, v1
	v_addc_co_u32_e32 v5, vcc, 0, v3, vcc
	s_movk_i32 s10, 0x1000
	v_readfirstlane_b32 s6, v2
	v_readfirstlane_b32 s7, v3
	v_add_co_u32_e32 v4, vcc, s10, v4
	s_nop 3
	global_load_ushort v6, v1, s[6:7]
	global_load_ushort v7, v1, s[6:7] offset:384
	global_load_ushort v8, v1, s[6:7] offset:768
	;; [unrolled: 1-line block ×7, first 2 shown]
	v_addc_co_u32_e32 v5, vcc, 0, v5, vcc
	global_load_ushort v14, v1, s[6:7] offset:3072
	global_load_ushort v15, v1, s[6:7] offset:3456
	;; [unrolled: 1-line block ×3, first 2 shown]
	global_load_ushort v17, v[4:5], off offset:128
	global_load_ushort v18, v[4:5], off offset:512
	;; [unrolled: 1-line block ×3, first 2 shown]
	v_mad_u32_u24 v4, v0, 26, v1
	s_mov_b64 s[6:7], -1
	s_waitcnt vmcnt(13)
	ds_write_b16 v1, v6
	s_waitcnt vmcnt(12)
	ds_write_b16 v1, v7 offset:384
	s_waitcnt vmcnt(11)
	ds_write_b16 v1, v8 offset:768
	;; [unrolled: 2-line block ×13, first 2 shown]
	s_waitcnt lgkmcnt(0)
	s_barrier
	ds_read2_b32 v[12:13], v4 offset1:1
	ds_read2_b32 v[10:11], v4 offset0:2 offset1:3
	ds_read2_b32 v[8:9], v4 offset0:4 offset1:5
	ds_read_b32 v1, v4 offset:24
	s_add_i32 s33, s33, s28
	s_cbranch_execz .LBB591_7
	s_branch .LBB591_36
.LBB591_6:
	s_mov_b64 s[6:7], 0
                                        ; implicit-def: $vgpr12
                                        ; implicit-def: $vgpr10
                                        ; implicit-def: $vgpr8
                                        ; implicit-def: $vgpr1
	s_add_i32 s33, s33, s28
	s_andn2_b64 vcc, exec, s[10:11]
	s_cbranch_vccnz .LBB591_36
.LBB591_7:
	v_cmp_gt_u32_e32 vcc, s33, v0
                                        ; implicit-def: $vgpr1
	s_and_saveexec_b64 s[6:7], vcc
	s_cbranch_execz .LBB591_9
; %bb.8:
	s_waitcnt lgkmcnt(0)
	v_lshlrev_b32_e32 v1, 1, v0
	v_readfirstlane_b32 s10, v2
	v_readfirstlane_b32 s11, v3
	s_nop 4
	global_load_ushort v1, v1, s[10:11]
.LBB591_9:
	s_or_b64 exec, exec, s[6:7]
	v_add_u32_e32 v4, 0xc0, v0
	v_cmp_gt_u32_e32 vcc, s33, v4
                                        ; implicit-def: $vgpr4
	s_and_saveexec_b64 s[6:7], vcc
	s_cbranch_execz .LBB591_11
; %bb.10:
	v_lshlrev_b32_e32 v4, 1, v0
	v_readfirstlane_b32 s10, v2
	v_readfirstlane_b32 s11, v3
	s_nop 4
	global_load_ushort v4, v4, s[10:11] offset:384
.LBB591_11:
	s_or_b64 exec, exec, s[6:7]
	v_add_u32_e32 v5, 0x180, v0
	v_cmp_gt_u32_e32 vcc, s33, v5
                                        ; implicit-def: $vgpr5
	s_and_saveexec_b64 s[6:7], vcc
	s_cbranch_execz .LBB591_13
; %bb.12:
	v_lshlrev_b32_e32 v5, 1, v0
	v_readfirstlane_b32 s10, v2
	v_readfirstlane_b32 s11, v3
	s_nop 4
	global_load_ushort v5, v5, s[10:11] offset:768
.LBB591_13:
	s_or_b64 exec, exec, s[6:7]
	v_add_u32_e32 v6, 0x240, v0
	v_cmp_gt_u32_e32 vcc, s33, v6
                                        ; implicit-def: $vgpr6
	s_and_saveexec_b64 s[6:7], vcc
	s_cbranch_execz .LBB591_15
; %bb.14:
	v_lshlrev_b32_e32 v6, 1, v0
	v_readfirstlane_b32 s10, v2
	v_readfirstlane_b32 s11, v3
	s_nop 4
	global_load_ushort v6, v6, s[10:11] offset:1152
.LBB591_15:
	s_or_b64 exec, exec, s[6:7]
	v_or_b32_e32 v7, 0x300, v0
	v_cmp_gt_u32_e32 vcc, s33, v7
                                        ; implicit-def: $vgpr7
	s_and_saveexec_b64 s[6:7], vcc
	s_cbranch_execz .LBB591_17
; %bb.16:
	v_lshlrev_b32_e32 v7, 1, v0
	v_readfirstlane_b32 s10, v2
	v_readfirstlane_b32 s11, v3
	s_nop 4
	global_load_ushort v7, v7, s[10:11] offset:1536
.LBB591_17:
	s_or_b64 exec, exec, s[6:7]
	s_waitcnt lgkmcnt(1)
	v_add_u32_e32 v8, 0x3c0, v0
	v_cmp_gt_u32_e32 vcc, s33, v8
                                        ; implicit-def: $vgpr8
	s_and_saveexec_b64 s[6:7], vcc
	s_cbranch_execz .LBB591_19
; %bb.18:
	v_lshlrev_b32_e32 v8, 1, v0
	v_readfirstlane_b32 s10, v2
	v_readfirstlane_b32 s11, v3
	s_nop 4
	global_load_ushort v8, v8, s[10:11] offset:1920
.LBB591_19:
	s_or_b64 exec, exec, s[6:7]
	v_add_u32_e32 v9, 0x480, v0
	v_cmp_gt_u32_e32 vcc, s33, v9
                                        ; implicit-def: $vgpr9
	s_and_saveexec_b64 s[6:7], vcc
	s_cbranch_execz .LBB591_21
; %bb.20:
	v_lshlrev_b32_e32 v9, 1, v0
	v_readfirstlane_b32 s10, v2
	v_readfirstlane_b32 s11, v3
	s_nop 4
	global_load_ushort v9, v9, s[10:11] offset:2304
.LBB591_21:
	s_or_b64 exec, exec, s[6:7]
	v_add_u32_e32 v10, 0x540, v0
	v_cmp_gt_u32_e32 vcc, s33, v10
                                        ; implicit-def: $vgpr10
	s_and_saveexec_b64 s[6:7], vcc
	s_cbranch_execz .LBB591_23
; %bb.22:
	v_lshlrev_b32_e32 v10, 1, v0
	v_readfirstlane_b32 s10, v2
	v_readfirstlane_b32 s11, v3
	s_nop 4
	global_load_ushort v10, v10, s[10:11] offset:2688
.LBB591_23:
	s_or_b64 exec, exec, s[6:7]
	v_or_b32_e32 v11, 0x600, v0
	v_cmp_gt_u32_e32 vcc, s33, v11
                                        ; implicit-def: $vgpr11
	s_and_saveexec_b64 s[6:7], vcc
	s_cbranch_execz .LBB591_25
; %bb.24:
	v_lshlrev_b32_e32 v11, 1, v0
	v_readfirstlane_b32 s10, v2
	v_readfirstlane_b32 s11, v3
	s_nop 4
	global_load_ushort v11, v11, s[10:11] offset:3072
.LBB591_25:
	s_or_b64 exec, exec, s[6:7]
	v_add_u32_e32 v12, 0x6c0, v0
	v_cmp_gt_u32_e32 vcc, s33, v12
                                        ; implicit-def: $vgpr12
	s_and_saveexec_b64 s[6:7], vcc
	s_cbranch_execz .LBB591_27
; %bb.26:
	v_lshlrev_b32_e32 v12, 1, v0
	v_readfirstlane_b32 s10, v2
	v_readfirstlane_b32 s11, v3
	s_nop 4
	global_load_ushort v12, v12, s[10:11] offset:3456
.LBB591_27:
	s_or_b64 exec, exec, s[6:7]
	v_add_u32_e32 v13, 0x780, v0
	v_cmp_gt_u32_e32 vcc, s33, v13
                                        ; implicit-def: $vgpr13
	s_and_saveexec_b64 s[6:7], vcc
	s_cbranch_execz .LBB591_29
; %bb.28:
	v_lshlrev_b32_e32 v13, 1, v0
	v_readfirstlane_b32 s10, v2
	v_readfirstlane_b32 s11, v3
	s_nop 4
	global_load_ushort v13, v13, s[10:11] offset:3840
.LBB591_29:
	s_or_b64 exec, exec, s[6:7]
	v_add_u32_e32 v15, 0x840, v0
	v_cmp_gt_u32_e32 vcc, s33, v15
                                        ; implicit-def: $vgpr14
	s_and_saveexec_b64 s[6:7], vcc
	s_cbranch_execz .LBB591_31
; %bb.30:
	v_lshlrev_b32_e32 v14, 1, v15
	v_readfirstlane_b32 s10, v2
	v_readfirstlane_b32 s11, v3
	s_nop 4
	global_load_ushort v14, v14, s[10:11]
.LBB591_31:
	s_or_b64 exec, exec, s[6:7]
	v_or_b32_e32 v16, 0x900, v0
	v_cmp_gt_u32_e32 vcc, s33, v16
                                        ; implicit-def: $vgpr15
	s_and_saveexec_b64 s[6:7], vcc
	s_cbranch_execz .LBB591_33
; %bb.32:
	v_lshlrev_b32_e32 v15, 1, v16
	v_readfirstlane_b32 s10, v2
	v_readfirstlane_b32 s11, v3
	s_nop 4
	global_load_ushort v15, v15, s[10:11]
.LBB591_33:
	s_or_b64 exec, exec, s[6:7]
	v_add_u32_e32 v17, 0x9c0, v0
	v_cmp_gt_u32_e32 vcc, s33, v17
                                        ; implicit-def: $vgpr16
	s_and_saveexec_b64 s[6:7], vcc
	s_cbranch_execz .LBB591_35
; %bb.34:
	v_lshlrev_b32_e32 v16, 1, v17
	v_readfirstlane_b32 s10, v2
	v_readfirstlane_b32 s11, v3
	s_nop 4
	global_load_ushort v16, v16, s[10:11]
.LBB591_35:
	s_or_b64 exec, exec, s[6:7]
	v_lshlrev_b32_e32 v17, 1, v0
	s_waitcnt vmcnt(0) lgkmcnt(0)
	ds_write_b16 v17, v1
	ds_write_b16 v17, v4 offset:384
	ds_write_b16 v17, v5 offset:768
	;; [unrolled: 1-line block ×13, first 2 shown]
	v_mad_u32_u24 v1, v0, 26, v17
	s_waitcnt lgkmcnt(0)
	s_barrier
	ds_read2_b32 v[12:13], v1 offset1:1
	ds_read2_b32 v[10:11], v1 offset0:2 offset1:3
	ds_read2_b32 v[8:9], v1 offset0:4 offset1:5
	ds_read_b32 v1, v1 offset:24
	v_mad_u32_u24 v4, v0, 14, 13
	v_cmp_gt_u32_e64 s[6:7], s33, v4
.LBB591_36:
	v_mov_b32_e32 v42, s12
                                        ; implicit-def: $vgpr43
	s_and_saveexec_b64 s[10:11], s[6:7]
; %bb.37:
	v_mov_b32_e32 v43, s12
; %bb.38:
	s_or_b64 exec, exec, s[10:11]
	s_cmp_eq_u64 s[4:5], 0
	s_cselect_b64 s[42:43], -1, 0
	s_cmp_lg_u64 s[4:5], 0
	s_mov_b64 s[6:7], 0
	s_cselect_b64 s[10:11], -1, 0
	s_and_b64 vcc, exec, s[8:9]
	s_waitcnt lgkmcnt(0)
	s_barrier
	s_cbranch_vccz .LBB591_44
; %bb.39:
	s_and_b64 vcc, exec, s[10:11]
	s_cbranch_vccz .LBB591_45
; %bb.40:
	global_load_ushort v4, v[2:3], off offset:-2
	v_lshrrev_b32_e32 v6, 16, v1
	v_lshlrev_b32_e32 v5, 1, v0
	v_cmp_ne_u16_e32 vcc, v1, v6
	v_cmp_ne_u16_sdwa s[6:7], v9, v1 src0_sel:WORD_1 src1_sel:DWORD
	v_cmp_ne_u16_sdwa s[8:9], v9, v9 src0_sel:DWORD src1_sel:WORD_1
	v_cmp_ne_u16_sdwa s[12:13], v8, v9 src0_sel:WORD_1 src1_sel:DWORD
	v_cmp_ne_u16_sdwa s[14:15], v8, v8 src0_sel:DWORD src1_sel:WORD_1
	;; [unrolled: 2-line block ×6, first 2 shown]
	ds_write_b16 v5, v6
	s_waitcnt lgkmcnt(0)
	s_barrier
	s_and_saveexec_b64 s[54:55], s[2:3]
	s_cbranch_execz .LBB591_42
; %bb.41:
	s_waitcnt vmcnt(0)
	v_add_u32_e32 v4, -2, v5
	ds_read_u16 v4, v4
.LBB591_42:
	s_or_b64 exec, exec, s[54:55]
	v_cndmask_b32_e64 v44, 0, 1, vcc
	v_cndmask_b32_e64 v45, 0, 1, s[6:7]
	v_cndmask_b32_e64 v46, 0, 1, s[8:9]
	v_cndmask_b32_e64 v47, 0, 1, s[12:13]
	v_cndmask_b32_e64 v48, 0, 1, s[14:15]
	v_cndmask_b32_e64 v49, 0, 1, s[16:17]
	v_cndmask_b32_e64 v50, 0, 1, s[18:19]
	v_cndmask_b32_e64 v51, 0, 1, s[20:21]
	v_cndmask_b32_e64 v52, 0, 1, s[22:23]
	v_cndmask_b32_e64 v53, 0, 1, s[24:25]
	v_cndmask_b32_e64 v54, 0, 1, s[26:27]
	v_cndmask_b32_e64 v55, 0, 1, s[50:51]
	v_cndmask_b32_e64 v56, 0, 1, s[52:53]
	s_waitcnt vmcnt(0) lgkmcnt(0)
	v_cmp_ne_u16_e64 s[8:9], v4, v12
	s_mov_b64 s[6:7], -1
.LBB591_43:
                                        ; implicit-def: $sgpr14
	s_branch .LBB591_57
.LBB591_44:
                                        ; implicit-def: $sgpr8_sgpr9
                                        ; implicit-def: $vgpr44
                                        ; implicit-def: $vgpr45
                                        ; implicit-def: $vgpr46
                                        ; implicit-def: $vgpr47
                                        ; implicit-def: $vgpr48
                                        ; implicit-def: $vgpr49
                                        ; implicit-def: $vgpr50
                                        ; implicit-def: $vgpr51
                                        ; implicit-def: $vgpr52
                                        ; implicit-def: $vgpr53
                                        ; implicit-def: $vgpr54
                                        ; implicit-def: $vgpr55
                                        ; implicit-def: $vgpr56
                                        ; implicit-def: $sgpr14
	s_cbranch_execnz .LBB591_49
	s_branch .LBB591_57
.LBB591_45:
                                        ; implicit-def: $sgpr8_sgpr9
                                        ; implicit-def: $vgpr44
                                        ; implicit-def: $vgpr45
                                        ; implicit-def: $vgpr46
                                        ; implicit-def: $vgpr47
                                        ; implicit-def: $vgpr48
                                        ; implicit-def: $vgpr49
                                        ; implicit-def: $vgpr50
                                        ; implicit-def: $vgpr51
                                        ; implicit-def: $vgpr52
                                        ; implicit-def: $vgpr53
                                        ; implicit-def: $vgpr54
                                        ; implicit-def: $vgpr55
                                        ; implicit-def: $vgpr56
	s_cbranch_execz .LBB591_43
; %bb.46:
	v_cmp_ne_u16_sdwa s[8:9], v9, v1 src0_sel:WORD_1 src1_sel:DWORD
	v_cndmask_b32_e64 v45, 0, 1, s[8:9]
	v_cmp_ne_u16_sdwa s[8:9], v9, v9 src0_sel:DWORD src1_sel:WORD_1
	v_cndmask_b32_e64 v46, 0, 1, s[8:9]
	v_cmp_ne_u16_sdwa s[8:9], v8, v9 src0_sel:WORD_1 src1_sel:DWORD
	v_cndmask_b32_e64 v47, 0, 1, s[8:9]
	v_cmp_ne_u16_sdwa s[8:9], v8, v8 src0_sel:DWORD src1_sel:WORD_1
	v_cndmask_b32_e64 v48, 0, 1, s[8:9]
	;; [unrolled: 4-line block ×4, first 2 shown]
	v_cmp_ne_u16_sdwa s[8:9], v13, v10 src0_sel:WORD_1 src1_sel:DWORD
	v_cndmask_b32_e64 v53, 0, 1, s[8:9]
	v_cmp_ne_u16_sdwa s[8:9], v13, v13 src0_sel:DWORD src1_sel:WORD_1
	v_lshrrev_b32_e32 v5, 16, v1
	v_cndmask_b32_e64 v54, 0, 1, s[8:9]
	v_cmp_ne_u16_sdwa s[8:9], v12, v13 src0_sel:WORD_1 src1_sel:DWORD
	v_cmp_ne_u16_e32 vcc, v1, v5
	v_cndmask_b32_e64 v55, 0, 1, s[8:9]
	v_cmp_ne_u16_sdwa s[8:9], v12, v12 src0_sel:DWORD src1_sel:WORD_1
	s_mov_b32 s14, 1
	v_lshlrev_b32_e32 v4, 1, v0
	v_cndmask_b32_e64 v44, 0, 1, vcc
	v_cndmask_b32_e64 v56, 0, 1, s[8:9]
	ds_write_b16 v4, v5
	s_waitcnt lgkmcnt(0)
	s_barrier
	s_waitcnt lgkmcnt(0)
                                        ; implicit-def: $sgpr8_sgpr9
	s_and_saveexec_b64 s[12:13], s[2:3]
	s_xor_b64 s[12:13], exec, s[12:13]
	s_cbranch_execz .LBB591_48
; %bb.47:
	v_add_u32_e32 v4, -2, v4
	ds_read_u16 v4, v4
	s_or_b64 s[6:7], s[6:7], exec
	s_waitcnt lgkmcnt(0)
	v_cmp_ne_u16_e32 vcc, v4, v12
	s_and_b64 s[8:9], vcc, exec
.LBB591_48:
	s_or_b64 exec, exec, s[12:13]
	s_branch .LBB591_57
.LBB591_49:
	s_mul_hi_u32 s8, s4, 0xfffff580
	s_mulk_i32 s5, 0xf580
	s_sub_i32 s8, s8, s4
	s_add_i32 s8, s8, s5
	s_mulk_i32 s4, 0xf580
	s_add_u32 s12, s4, s28
	s_addc_u32 s13, s8, s29
	s_and_b64 vcc, exec, s[10:11]
	s_cbranch_vccz .LBB591_54
; %bb.50:
	global_load_ushort v6, v[2:3], off offset:-2
	v_lshrrev_b32_e32 v7, 16, v1
	v_mad_u32_u24 v4, v0, 14, 13
	v_mov_b32_e32 v5, 0
	v_cmp_gt_u64_e32 vcc, s[12:13], v[4:5]
	v_cmp_ne_u16_e64 s[4:5], v1, v7
	v_mad_u32_u24 v4, v0, 14, 12
	s_and_b64 s[4:5], vcc, s[4:5]
	v_cmp_gt_u64_e32 vcc, s[12:13], v[4:5]
	v_cmp_ne_u16_sdwa s[6:7], v9, v1 src0_sel:WORD_1 src1_sel:DWORD
	v_mad_u32_u24 v4, v0, 14, 11
	s_and_b64 s[6:7], vcc, s[6:7]
	v_cmp_gt_u64_e32 vcc, s[12:13], v[4:5]
	v_cmp_ne_u16_sdwa s[8:9], v9, v9 src0_sel:DWORD src1_sel:WORD_1
	v_mad_u32_u24 v4, v0, 14, 10
	s_and_b64 s[8:9], vcc, s[8:9]
	v_cmp_gt_u64_e32 vcc, s[12:13], v[4:5]
	v_cmp_ne_u16_sdwa s[10:11], v8, v9 src0_sel:WORD_1 src1_sel:DWORD
	v_mad_u32_u24 v4, v0, 14, 9
	s_and_b64 s[10:11], vcc, s[10:11]
	v_cmp_gt_u64_e32 vcc, s[12:13], v[4:5]
	v_cmp_ne_u16_sdwa s[14:15], v8, v8 src0_sel:DWORD src1_sel:WORD_1
	;; [unrolled: 8-line block ×4, first 2 shown]
	v_mad_u32_u24 v4, v0, 14, 4
	s_and_b64 s[22:23], vcc, s[22:23]
	v_cmp_gt_u64_e32 vcc, s[12:13], v[4:5]
	v_cmp_ne_u16_sdwa s[24:25], v13, v10 src0_sel:WORD_1 src1_sel:DWORD
	v_mad_u32_u24 v4, v0, 14, 3
	v_mul_u32_u24_e32 v2, 14, v0
	s_and_b64 s[24:25], vcc, s[24:25]
	v_cmp_gt_u64_e32 vcc, s[12:13], v[4:5]
	v_cmp_ne_u16_sdwa s[26:27], v13, v13 src0_sel:DWORD src1_sel:WORD_1
	v_mad_u32_u24 v4, v0, 14, 2
	s_and_b64 s[26:27], vcc, s[26:27]
	v_cmp_gt_u64_e32 vcc, s[12:13], v[4:5]
	v_cmp_ne_u16_sdwa s[28:29], v12, v13 src0_sel:WORD_1 src1_sel:DWORD
	v_or_b32_e32 v4, 1, v2
	s_and_b64 s[28:29], vcc, s[28:29]
	v_cmp_gt_u64_e32 vcc, s[12:13], v[4:5]
	v_cmp_ne_u16_sdwa s[50:51], v12, v12 src0_sel:DWORD src1_sel:WORD_1
	v_lshlrev_b32_e32 v3, 1, v0
	s_and_b64 s[50:51], vcc, s[50:51]
	ds_write_b16 v3, v7
	s_waitcnt lgkmcnt(0)
	s_barrier
	s_and_saveexec_b64 s[52:53], s[2:3]
	s_cbranch_execz .LBB591_52
; %bb.51:
	v_add_u32_e32 v3, -2, v3
	s_waitcnt vmcnt(0)
	ds_read_u16 v6, v3
.LBB591_52:
	s_or_b64 exec, exec, s[52:53]
	v_mov_b32_e32 v3, v5
	v_cndmask_b32_e64 v44, 0, 1, s[4:5]
	v_cmp_gt_u64_e32 vcc, s[12:13], v[2:3]
	s_waitcnt vmcnt(0) lgkmcnt(0)
	v_cmp_ne_u16_e64 s[4:5], v6, v12
	v_cndmask_b32_e64 v45, 0, 1, s[6:7]
	v_cndmask_b32_e64 v46, 0, 1, s[8:9]
	;; [unrolled: 1-line block ×12, first 2 shown]
	s_and_b64 s[8:9], vcc, s[4:5]
	s_mov_b64 s[6:7], -1
.LBB591_53:
                                        ; implicit-def: $sgpr14
	v_mov_b32_e32 v57, s14
	s_and_saveexec_b64 s[2:3], s[6:7]
	s_cbranch_execnz .LBB591_58
	s_branch .LBB591_59
.LBB591_54:
                                        ; implicit-def: $sgpr8_sgpr9
                                        ; implicit-def: $vgpr44
                                        ; implicit-def: $vgpr45
                                        ; implicit-def: $vgpr46
                                        ; implicit-def: $vgpr47
                                        ; implicit-def: $vgpr48
                                        ; implicit-def: $vgpr49
                                        ; implicit-def: $vgpr50
                                        ; implicit-def: $vgpr51
                                        ; implicit-def: $vgpr52
                                        ; implicit-def: $vgpr53
                                        ; implicit-def: $vgpr54
                                        ; implicit-def: $vgpr55
                                        ; implicit-def: $vgpr56
	s_cbranch_execz .LBB591_53
; %bb.55:
	v_lshrrev_b32_e32 v6, 16, v1
	v_mad_u32_u24 v4, v0, 14, 13
	v_mov_b32_e32 v5, 0
	v_cmp_gt_u64_e32 vcc, s[12:13], v[4:5]
	v_cmp_ne_u16_e64 s[4:5], v1, v6
	s_and_b64 s[4:5], vcc, s[4:5]
	v_mad_u32_u24 v4, v0, 14, 12
	v_cndmask_b32_e64 v44, 0, 1, s[4:5]
	v_cmp_gt_u64_e32 vcc, s[12:13], v[4:5]
	v_cmp_ne_u16_sdwa s[4:5], v9, v1 src0_sel:WORD_1 src1_sel:DWORD
	s_and_b64 s[4:5], vcc, s[4:5]
	v_mad_u32_u24 v4, v0, 14, 11
	v_cndmask_b32_e64 v45, 0, 1, s[4:5]
	v_cmp_gt_u64_e32 vcc, s[12:13], v[4:5]
	v_cmp_ne_u16_sdwa s[4:5], v9, v9 src0_sel:DWORD src1_sel:WORD_1
	s_and_b64 s[4:5], vcc, s[4:5]
	v_mad_u32_u24 v4, v0, 14, 10
	v_cndmask_b32_e64 v46, 0, 1, s[4:5]
	v_cmp_gt_u64_e32 vcc, s[12:13], v[4:5]
	v_cmp_ne_u16_sdwa s[4:5], v8, v9 src0_sel:WORD_1 src1_sel:DWORD
	s_and_b64 s[4:5], vcc, s[4:5]
	v_mad_u32_u24 v4, v0, 14, 9
	v_cndmask_b32_e64 v47, 0, 1, s[4:5]
	v_cmp_gt_u64_e32 vcc, s[12:13], v[4:5]
	v_cmp_ne_u16_sdwa s[4:5], v8, v8 src0_sel:DWORD src1_sel:WORD_1
	;; [unrolled: 10-line block ×5, first 2 shown]
	s_and_b64 s[4:5], vcc, s[4:5]
	v_mad_u32_u24 v4, v0, 14, 2
	v_mul_u32_u24_e32 v2, 14, v0
	v_cndmask_b32_e64 v54, 0, 1, s[4:5]
	v_cmp_gt_u64_e32 vcc, s[12:13], v[4:5]
	v_cmp_ne_u16_sdwa s[4:5], v12, v13 src0_sel:WORD_1 src1_sel:DWORD
	s_and_b64 s[4:5], vcc, s[4:5]
	v_or_b32_e32 v4, 1, v2
	v_cndmask_b32_e64 v55, 0, 1, s[4:5]
	v_cmp_gt_u64_e32 vcc, s[12:13], v[4:5]
	v_cmp_ne_u16_sdwa s[4:5], v12, v12 src0_sel:DWORD src1_sel:WORD_1
	s_and_b64 s[4:5], vcc, s[4:5]
	s_mov_b32 s14, 1
	v_lshlrev_b32_e32 v3, 1, v0
	v_cndmask_b32_e64 v56, 0, 1, s[4:5]
	ds_write_b16 v3, v6
	s_waitcnt lgkmcnt(0)
	s_barrier
	s_waitcnt lgkmcnt(0)
                                        ; implicit-def: $sgpr8_sgpr9
	s_and_saveexec_b64 s[4:5], s[2:3]
	s_cbranch_execz .LBB591_142
; %bb.56:
	v_add_u32_e32 v3, -2, v3
	ds_read_u16 v4, v3
	v_mov_b32_e32 v3, v5
	v_cmp_gt_u64_e32 vcc, s[12:13], v[2:3]
	s_or_b64 s[6:7], s[6:7], exec
	s_waitcnt lgkmcnt(0)
	v_cmp_ne_u16_e64 s[2:3], v4, v12
	s_and_b64 s[2:3], vcc, s[2:3]
	s_and_b64 s[8:9], s[2:3], exec
	s_or_b64 exec, exec, s[4:5]
.LBB591_57:
	v_mov_b32_e32 v57, s14
	s_and_saveexec_b64 s[2:3], s[6:7]
.LBB591_58:
	v_cndmask_b32_e64 v57, 0, 1, s[8:9]
.LBB591_59:
	s_or_b64 exec, exec, s[2:3]
	s_cmp_eq_u64 s[38:39], 0
	v_add_u32_e32 v2, v56, v57
	s_cselect_b64 s[38:39], -1, 0
	s_cmp_lg_u32 s56, 0
	v_cmp_eq_u32_e64 s[24:25], 0, v56
	v_cmp_eq_u32_e64 s[22:23], 0, v55
	v_add3_u32 v60, v2, v55, v54
	v_cmp_eq_u32_e64 s[20:21], 0, v54
	v_cmp_eq_u32_e64 s[18:19], 0, v53
	;; [unrolled: 1-line block ×10, first 2 shown]
	v_cmp_eq_u32_e32 vcc, 0, v44
	v_mbcnt_lo_u32_b32 v59, -1, 0
	v_lshrrev_b32_e32 v58, 6, v0
	s_cbranch_scc0 .LBB591_90
; %bb.60:
	v_cndmask_b32_e64 v2, 0, v42, s[24:25]
	v_add_u32_e32 v2, v2, v42
	v_cndmask_b32_e64 v2, 0, v2, s[22:23]
	v_add_u32_e32 v2, v2, v42
	;; [unrolled: 2-line block ×10, first 2 shown]
	v_cndmask_b32_e64 v2, 0, v2, s[4:5]
	v_add3_u32 v3, v60, v53, v52
	v_add_u32_e32 v2, v2, v42
	v_add3_u32 v3, v3, v51, v50
	v_cndmask_b32_e64 v2, 0, v2, s[2:3]
	v_add3_u32 v3, v3, v49, v48
	v_add_u32_e32 v2, v2, v42
	v_add3_u32 v3, v3, v47, v46
	v_cndmask_b32_e32 v2, 0, v2, vcc
	v_add3_u32 v3, v3, v45, v44
	v_add_u32_e32 v2, v2, v43
	v_mbcnt_hi_u32_b32 v17, -1, v59
	v_and_b32_e32 v4, 15, v17
	v_mov_b32_dpp v6, v2 row_shr:1 row_mask:0xf bank_mask:0xf
	v_cmp_eq_u32_e32 vcc, 0, v3
	v_mov_b32_dpp v5, v3 row_shr:1 row_mask:0xf bank_mask:0xf
	v_cndmask_b32_e32 v6, 0, v6, vcc
	v_cmp_eq_u32_e32 vcc, 0, v4
	v_cndmask_b32_e64 v5, v5, 0, vcc
	v_add_u32_e32 v3, v5, v3
	v_cndmask_b32_e64 v5, v6, 0, vcc
	v_add_u32_e32 v2, v5, v2
	v_cmp_eq_u32_e32 vcc, 0, v3
	v_mov_b32_dpp v5, v3 row_shr:2 row_mask:0xf bank_mask:0xf
	v_cmp_lt_u32_e64 s[26:27], 1, v4
	v_mov_b32_dpp v6, v2 row_shr:2 row_mask:0xf bank_mask:0xf
	v_cndmask_b32_e64 v5, 0, v5, s[26:27]
	s_and_b64 vcc, s[26:27], vcc
	v_cndmask_b32_e32 v6, 0, v6, vcc
	v_add_u32_e32 v3, v3, v5
	v_add_u32_e32 v2, v6, v2
	v_cmp_eq_u32_e32 vcc, 0, v3
	v_mov_b32_dpp v5, v3 row_shr:4 row_mask:0xf bank_mask:0xf
	v_cmp_lt_u32_e64 s[26:27], 3, v4
	v_mov_b32_dpp v6, v2 row_shr:4 row_mask:0xf bank_mask:0xf
	v_cndmask_b32_e64 v5, 0, v5, s[26:27]
	s_and_b64 vcc, s[26:27], vcc
	v_cndmask_b32_e32 v6, 0, v6, vcc
	v_add_u32_e32 v3, v5, v3
	v_add_u32_e32 v2, v2, v6
	v_cmp_eq_u32_e32 vcc, 0, v3
	v_cmp_lt_u32_e64 s[26:27], 7, v4
	v_mov_b32_dpp v5, v3 row_shr:8 row_mask:0xf bank_mask:0xf
	v_mov_b32_dpp v6, v2 row_shr:8 row_mask:0xf bank_mask:0xf
	s_and_b64 vcc, s[26:27], vcc
	v_cndmask_b32_e64 v4, 0, v5, s[26:27]
	v_cndmask_b32_e32 v5, 0, v6, vcc
	v_add_u32_e32 v2, v5, v2
	v_add_u32_e32 v3, v4, v3
	v_bfe_i32 v6, v17, 4, 1
	v_mov_b32_dpp v5, v2 row_bcast:15 row_mask:0xf bank_mask:0xf
	v_mov_b32_dpp v4, v3 row_bcast:15 row_mask:0xf bank_mask:0xf
	v_cmp_eq_u32_e32 vcc, 0, v3
	v_cndmask_b32_e32 v5, 0, v5, vcc
	v_and_b32_e32 v4, v6, v4
	v_add_u32_e32 v3, v4, v3
	v_and_b32_e32 v4, v6, v5
	v_add_u32_e32 v4, v4, v2
	v_mov_b32_dpp v2, v3 row_bcast:31 row_mask:0xf bank_mask:0xf
	v_cmp_eq_u32_e32 vcc, 0, v3
	v_cmp_lt_u32_e64 s[26:27], 31, v17
	v_mov_b32_dpp v5, v4 row_bcast:31 row_mask:0xf bank_mask:0xf
	v_cndmask_b32_e64 v2, 0, v2, s[26:27]
	s_and_b64 vcc, s[26:27], vcc
	v_add_u32_e32 v2, v2, v3
	v_cndmask_b32_e32 v3, 0, v5, vcc
	v_add_u32_e32 v3, v3, v4
	v_and_b32_e32 v4, 0xc0, v0
	v_min_u32_e32 v4, 0x80, v4
	v_or_b32_e32 v4, 63, v4
	v_cmp_eq_u32_e32 vcc, v4, v0
	v_lshlrev_b32_e32 v4, 3, v58
	s_and_saveexec_b64 s[26:27], vcc
	s_cbranch_execz .LBB591_62
; %bb.61:
	ds_write_b64 v4, v[2:3] offset:784
.LBB591_62:
	s_or_b64 exec, exec, s[26:27]
	v_cmp_gt_u32_e32 vcc, 3, v0
	s_waitcnt lgkmcnt(0)
	s_barrier
	s_and_saveexec_b64 s[28:29], vcc
	s_cbranch_execz .LBB591_64
; %bb.63:
	v_lshlrev_b32_e32 v5, 3, v0
	ds_read_b64 v[6:7], v5 offset:784
	v_and_b32_e32 v14, 3, v17
	v_cmp_lt_u32_e64 s[26:27], 1, v14
	s_waitcnt lgkmcnt(0)
	v_mov_b32_dpp v16, v7 row_shr:1 row_mask:0xf bank_mask:0xf
	v_cmp_eq_u32_e32 vcc, 0, v6
	v_mov_b32_dpp v15, v6 row_shr:1 row_mask:0xf bank_mask:0xf
	v_cndmask_b32_e32 v16, 0, v16, vcc
	v_cmp_eq_u32_e32 vcc, 0, v14
	v_cndmask_b32_e64 v15, v15, 0, vcc
	v_add_u32_e32 v6, v15, v6
	v_cndmask_b32_e64 v15, v16, 0, vcc
	v_add_u32_e32 v7, v15, v7
	v_cmp_eq_u32_e32 vcc, 0, v6
	v_mov_b32_dpp v15, v6 row_shr:2 row_mask:0xf bank_mask:0xf
	v_mov_b32_dpp v16, v7 row_shr:2 row_mask:0xf bank_mask:0xf
	v_cndmask_b32_e64 v14, 0, v15, s[26:27]
	s_and_b64 vcc, s[26:27], vcc
	v_add_u32_e32 v6, v14, v6
	v_cndmask_b32_e32 v14, 0, v16, vcc
	v_add_u32_e32 v7, v14, v7
	ds_write_b64 v5, v[6:7] offset:784
.LBB591_64:
	s_or_b64 exec, exec, s[28:29]
	v_cmp_gt_u32_e32 vcc, 64, v0
	v_cmp_lt_u32_e64 s[26:27], 63, v0
	v_mov_b32_e32 v14, 0
	v_mov_b32_e32 v15, 0
	s_waitcnt lgkmcnt(0)
	s_barrier
	s_and_saveexec_b64 s[28:29], s[26:27]
	s_cbranch_execz .LBB591_66
; %bb.65:
	ds_read_b64 v[14:15], v4 offset:776
	v_cmp_eq_u32_e64 s[26:27], 0, v2
	s_waitcnt lgkmcnt(0)
	v_add_u32_e32 v4, v14, v2
	v_cndmask_b32_e64 v2, 0, v15, s[26:27]
	v_add_u32_e32 v3, v2, v3
	v_mov_b32_e32 v2, v4
.LBB591_66:
	s_or_b64 exec, exec, s[28:29]
	v_add_u32_e32 v4, -1, v17
	v_and_b32_e32 v5, 64, v17
	v_cmp_lt_i32_e64 s[26:27], v4, v5
	v_cndmask_b32_e64 v4, v4, v17, s[26:27]
	v_lshlrev_b32_e32 v4, 2, v4
	ds_bpermute_b32 v22, v4, v2
	ds_bpermute_b32 v23, v4, v3
	v_cmp_eq_u32_e64 s[26:27], 0, v17
	s_and_saveexec_b64 s[50:51], vcc
	s_cbranch_execz .LBB591_89
; %bb.67:
	v_mov_b32_e32 v7, 0
	ds_read_b64 v[2:3], v7 offset:800
	s_waitcnt lgkmcnt(0)
	v_readfirstlane_b32 s54, v2
	v_readfirstlane_b32 s55, v3
	s_and_saveexec_b64 s[28:29], s[26:27]
	s_cbranch_execz .LBB591_69
; %bb.68:
	s_add_i32 s52, s56, 64
	s_mov_b32 s53, 0
	s_lshl_b64 s[58:59], s[52:53], 4
	s_add_u32 s58, s36, s58
	s_addc_u32 s59, s37, s59
	s_and_b32 s61, s55, 0xff000000
	s_mov_b32 s60, s53
	s_and_b32 s63, s55, 0xff0000
	s_mov_b32 s62, s53
	s_or_b64 s[60:61], s[62:63], s[60:61]
	s_and_b32 s63, s55, 0xff00
	s_or_b64 s[60:61], s[60:61], s[62:63]
	s_and_b32 s63, s55, 0xff
	s_or_b64 s[52:53], s[60:61], s[62:63]
	v_mov_b32_e32 v4, s54
	v_mov_b32_e32 v5, s53
	;; [unrolled: 1-line block ×3, first 2 shown]
	v_pk_mov_b32 v[2:3], s[58:59], s[58:59] op_sel:[0,1]
	;;#ASMSTART
	global_store_dwordx4 v[2:3], v[4:7] off	
s_waitcnt vmcnt(0)
	;;#ASMEND
.LBB591_69:
	s_or_b64 exec, exec, s[28:29]
	v_xad_u32 v16, v17, -1, s56
	v_add_u32_e32 v6, 64, v16
	v_lshlrev_b64 v[2:3], 4, v[6:7]
	v_mov_b32_e32 v4, s37
	v_add_co_u32_e32 v18, vcc, s36, v2
	v_addc_co_u32_e32 v19, vcc, v4, v3, vcc
	;;#ASMSTART
	global_load_dwordx4 v[2:5], v[18:19] off glc	
s_waitcnt vmcnt(0)
	;;#ASMEND
	v_and_b32_e32 v5, 0xff, v3
	v_and_b32_e32 v6, 0xff00, v3
	v_or3_b32 v5, 0, v5, v6
	v_or3_b32 v2, v2, 0, 0
	v_and_b32_e32 v6, 0xff000000, v3
	v_and_b32_e32 v3, 0xff0000, v3
	v_or3_b32 v3, v5, v3, v6
	v_or3_b32 v2, v2, 0, 0
	v_cmp_eq_u16_sdwa s[52:53], v4, v7 src0_sel:BYTE_0 src1_sel:DWORD
	s_and_saveexec_b64 s[28:29], s[52:53]
	s_cbranch_execz .LBB591_75
; %bb.70:
	s_mov_b32 s57, 1
	s_mov_b64 s[52:53], 0
	v_mov_b32_e32 v6, 0
.LBB591_71:                             ; =>This Loop Header: Depth=1
                                        ;     Child Loop BB591_72 Depth 2
	s_max_u32 s58, s57, 1
.LBB591_72:                             ;   Parent Loop BB591_71 Depth=1
                                        ; =>  This Inner Loop Header: Depth=2
	s_add_i32 s58, s58, -1
	s_cmp_eq_u32 s58, 0
	s_sleep 1
	s_cbranch_scc0 .LBB591_72
; %bb.73:                               ;   in Loop: Header=BB591_71 Depth=1
	s_cmp_lt_u32 s57, 32
	s_cselect_b64 s[58:59], -1, 0
	s_cmp_lg_u64 s[58:59], 0
	s_addc_u32 s57, s57, 0
	;;#ASMSTART
	global_load_dwordx4 v[2:5], v[18:19] off glc	
s_waitcnt vmcnt(0)
	;;#ASMEND
	v_cmp_ne_u16_sdwa s[58:59], v4, v6 src0_sel:BYTE_0 src1_sel:DWORD
	s_or_b64 s[52:53], s[58:59], s[52:53]
	s_andn2_b64 exec, exec, s[52:53]
	s_cbranch_execnz .LBB591_71
; %bb.74:
	s_or_b64 exec, exec, s[52:53]
.LBB591_75:
	s_or_b64 exec, exec, s[28:29]
	v_mov_b32_e32 v24, 2
	v_cmp_eq_u16_sdwa s[28:29], v4, v24 src0_sel:BYTE_0 src1_sel:DWORD
	v_lshlrev_b64 v[18:19], v17, -1
	v_and_b32_e32 v5, s29, v19
	v_and_b32_e32 v25, 63, v17
	v_or_b32_e32 v5, 0x80000000, v5
	v_cmp_ne_u32_e32 vcc, 63, v25
	v_and_b32_e32 v6, s28, v18
	v_ffbl_b32_e32 v5, v5
	v_addc_co_u32_e32 v7, vcc, 0, v17, vcc
	v_add_u32_e32 v5, 32, v5
	v_ffbl_b32_e32 v6, v6
	v_lshlrev_b32_e32 v26, 2, v7
	v_min_u32_e32 v5, v6, v5
	ds_bpermute_b32 v6, v26, v3
	v_cmp_eq_u32_e32 vcc, 0, v2
	v_cmp_lt_u32_e64 s[28:29], v25, v5
	ds_bpermute_b32 v7, v26, v2
	s_and_b64 vcc, s[28:29], vcc
	s_waitcnt lgkmcnt(1)
	v_cndmask_b32_e32 v6, 0, v6, vcc
	v_cmp_gt_u32_e32 vcc, 62, v25
	v_add_u32_e32 v3, v6, v3
	v_cndmask_b32_e64 v6, 0, 1, vcc
	v_lshlrev_b32_e32 v6, 1, v6
	v_add_lshl_u32 v27, v6, v17, 2
	s_waitcnt lgkmcnt(0)
	v_cndmask_b32_e64 v7, 0, v7, s[28:29]
	ds_bpermute_b32 v6, v27, v3
	v_add_u32_e32 v2, v7, v2
	ds_bpermute_b32 v7, v27, v2
	v_add_u32_e32 v28, 2, v25
	v_cmp_eq_u32_e32 vcc, 0, v2
	s_waitcnt lgkmcnt(1)
	v_cndmask_b32_e32 v6, 0, v6, vcc
	v_cmp_gt_u32_e32 vcc, v28, v5
	v_cndmask_b32_e64 v6, v6, 0, vcc
	v_add_u32_e32 v3, v6, v3
	s_waitcnt lgkmcnt(0)
	v_cndmask_b32_e64 v6, v7, 0, vcc
	v_cmp_gt_u32_e32 vcc, 60, v25
	v_cndmask_b32_e64 v7, 0, 1, vcc
	v_lshlrev_b32_e32 v7, 2, v7
	v_add_lshl_u32 v29, v7, v17, 2
	ds_bpermute_b32 v7, v29, v3
	v_add_u32_e32 v2, v2, v6
	ds_bpermute_b32 v6, v29, v2
	v_add_u32_e32 v30, 4, v25
	v_cmp_eq_u32_e32 vcc, 0, v2
	s_waitcnt lgkmcnt(1)
	v_cndmask_b32_e32 v7, 0, v7, vcc
	v_cmp_gt_u32_e32 vcc, v30, v5
	v_cndmask_b32_e64 v7, v7, 0, vcc
	s_waitcnt lgkmcnt(0)
	v_cndmask_b32_e64 v6, v6, 0, vcc
	v_cmp_gt_u32_e32 vcc, 56, v25
	v_add_u32_e32 v3, v3, v7
	v_cndmask_b32_e64 v7, 0, 1, vcc
	v_lshlrev_b32_e32 v7, 3, v7
	v_add_lshl_u32 v31, v7, v17, 2
	ds_bpermute_b32 v7, v31, v3
	v_add_u32_e32 v2, v2, v6
	ds_bpermute_b32 v6, v31, v2
	v_add_u32_e32 v32, 8, v25
	v_cmp_eq_u32_e32 vcc, 0, v2
	s_waitcnt lgkmcnt(1)
	v_cndmask_b32_e32 v7, 0, v7, vcc
	v_cmp_gt_u32_e32 vcc, v32, v5
	v_cndmask_b32_e64 v7, v7, 0, vcc
	s_waitcnt lgkmcnt(0)
	v_cndmask_b32_e64 v6, v6, 0, vcc
	v_cmp_gt_u32_e32 vcc, 48, v25
	v_add_u32_e32 v3, v3, v7
	;; [unrolled: 16-line block ×3, first 2 shown]
	v_cndmask_b32_e64 v7, 0, 1, vcc
	v_lshlrev_b32_e32 v7, 5, v7
	v_add_lshl_u32 v35, v7, v17, 2
	ds_bpermute_b32 v7, v35, v3
	v_add_u32_e32 v2, v2, v6
	ds_bpermute_b32 v6, v35, v2
	v_add_u32_e32 v36, 32, v25
	v_cmp_eq_u32_e32 vcc, 0, v2
	s_waitcnt lgkmcnt(1)
	v_cndmask_b32_e32 v7, 0, v7, vcc
	v_cmp_gt_u32_e32 vcc, v36, v5
	v_cndmask_b32_e64 v5, v7, 0, vcc
	v_add_u32_e32 v3, v5, v3
	s_waitcnt lgkmcnt(0)
	v_cndmask_b32_e64 v5, v6, 0, vcc
	v_add_u32_e32 v2, v5, v2
	v_mov_b32_e32 v17, 0
	s_branch .LBB591_77
.LBB591_76:                             ;   in Loop: Header=BB591_77 Depth=1
	s_or_b64 exec, exec, s[28:29]
	v_cmp_eq_u16_sdwa s[28:29], v4, v24 src0_sel:BYTE_0 src1_sel:DWORD
	v_and_b32_e32 v5, s29, v19
	v_or_b32_e32 v5, 0x80000000, v5
	v_and_b32_e32 v20, s28, v18
	v_ffbl_b32_e32 v5, v5
	v_add_u32_e32 v5, 32, v5
	v_ffbl_b32_e32 v20, v20
	v_min_u32_e32 v5, v20, v5
	ds_bpermute_b32 v20, v26, v3
	v_cmp_eq_u32_e32 vcc, 0, v2
	v_cmp_lt_u32_e64 s[28:29], v25, v5
	ds_bpermute_b32 v21, v26, v2
	s_and_b64 vcc, s[28:29], vcc
	s_waitcnt lgkmcnt(1)
	v_cndmask_b32_e32 v20, 0, v20, vcc
	v_add_u32_e32 v3, v20, v3
	ds_bpermute_b32 v20, v27, v3
	s_waitcnt lgkmcnt(1)
	v_cndmask_b32_e64 v21, 0, v21, s[28:29]
	v_add_u32_e32 v2, v21, v2
	v_cmp_eq_u32_e32 vcc, 0, v2
	ds_bpermute_b32 v21, v27, v2
	s_waitcnt lgkmcnt(1)
	v_cndmask_b32_e32 v20, 0, v20, vcc
	v_cmp_gt_u32_e32 vcc, v28, v5
	v_cndmask_b32_e64 v20, v20, 0, vcc
	v_add_u32_e32 v3, v20, v3
	ds_bpermute_b32 v20, v29, v3
	s_waitcnt lgkmcnt(1)
	v_cndmask_b32_e64 v21, v21, 0, vcc
	v_add_u32_e32 v2, v2, v21
	v_cmp_eq_u32_e32 vcc, 0, v2
	ds_bpermute_b32 v21, v29, v2
	s_waitcnt lgkmcnt(1)
	v_cndmask_b32_e32 v20, 0, v20, vcc
	v_cmp_gt_u32_e32 vcc, v30, v5
	v_cndmask_b32_e64 v20, v20, 0, vcc
	v_add_u32_e32 v3, v3, v20
	ds_bpermute_b32 v20, v31, v3
	s_waitcnt lgkmcnt(1)
	v_cndmask_b32_e64 v21, v21, 0, vcc
	v_add_u32_e32 v2, v2, v21
	ds_bpermute_b32 v21, v31, v2
	v_cmp_eq_u32_e32 vcc, 0, v2
	s_waitcnt lgkmcnt(1)
	v_cndmask_b32_e32 v20, 0, v20, vcc
	v_cmp_gt_u32_e32 vcc, v32, v5
	v_cndmask_b32_e64 v20, v20, 0, vcc
	v_add_u32_e32 v3, v3, v20
	ds_bpermute_b32 v20, v33, v3
	s_waitcnt lgkmcnt(1)
	v_cndmask_b32_e64 v21, v21, 0, vcc
	v_add_u32_e32 v2, v2, v21
	ds_bpermute_b32 v21, v33, v2
	v_cmp_eq_u32_e32 vcc, 0, v2
	;; [unrolled: 11-line block ×3, first 2 shown]
	s_waitcnt lgkmcnt(1)
	v_cndmask_b32_e32 v20, 0, v20, vcc
	v_cmp_gt_u32_e32 vcc, v36, v5
	v_cndmask_b32_e64 v5, v20, 0, vcc
	v_add_u32_e32 v3, v5, v3
	s_waitcnt lgkmcnt(0)
	v_cndmask_b32_e64 v5, v21, 0, vcc
	v_cmp_eq_u32_e32 vcc, 0, v6
	v_cndmask_b32_e32 v3, 0, v3, vcc
	v_subrev_u32_e32 v16, 64, v16
	v_add3_u32 v2, v2, v6, v5
	v_add_u32_e32 v3, v3, v7
.LBB591_77:                             ; =>This Loop Header: Depth=1
                                        ;     Child Loop BB591_80 Depth 2
                                        ;       Child Loop BB591_81 Depth 3
	v_cmp_ne_u16_sdwa s[28:29], v4, v24 src0_sel:BYTE_0 src1_sel:DWORD
	v_mov_b32_e32 v7, v3
	v_cndmask_b32_e64 v3, 0, 1, s[28:29]
	;;#ASMSTART
	;;#ASMEND
	v_cmp_ne_u32_e32 vcc, 0, v3
	s_cmp_lg_u64 vcc, exec
	v_mov_b32_e32 v6, v2
	s_cbranch_scc1 .LBB591_84
; %bb.78:                               ;   in Loop: Header=BB591_77 Depth=1
	v_lshlrev_b64 v[2:3], 4, v[16:17]
	v_mov_b32_e32 v4, s37
	v_add_co_u32_e32 v20, vcc, s36, v2
	v_addc_co_u32_e32 v21, vcc, v4, v3, vcc
	;;#ASMSTART
	global_load_dwordx4 v[2:5], v[20:21] off glc	
s_waitcnt vmcnt(0)
	;;#ASMEND
	v_and_b32_e32 v5, 0xff, v3
	v_and_b32_e32 v37, 0xff00, v3
	v_or3_b32 v5, 0, v5, v37
	v_or3_b32 v2, v2, 0, 0
	v_and_b32_e32 v37, 0xff000000, v3
	v_and_b32_e32 v3, 0xff0000, v3
	v_or3_b32 v3, v5, v3, v37
	v_or3_b32 v2, v2, 0, 0
	v_cmp_eq_u16_sdwa s[52:53], v4, v17 src0_sel:BYTE_0 src1_sel:DWORD
	s_and_saveexec_b64 s[28:29], s[52:53]
	s_cbranch_execz .LBB591_76
; %bb.79:                               ;   in Loop: Header=BB591_77 Depth=1
	s_mov_b32 s57, 1
	s_mov_b64 s[52:53], 0
.LBB591_80:                             ;   Parent Loop BB591_77 Depth=1
                                        ; =>  This Loop Header: Depth=2
                                        ;       Child Loop BB591_81 Depth 3
	s_max_u32 s58, s57, 1
.LBB591_81:                             ;   Parent Loop BB591_77 Depth=1
                                        ;     Parent Loop BB591_80 Depth=2
                                        ; =>    This Inner Loop Header: Depth=3
	s_add_i32 s58, s58, -1
	s_cmp_eq_u32 s58, 0
	s_sleep 1
	s_cbranch_scc0 .LBB591_81
; %bb.82:                               ;   in Loop: Header=BB591_80 Depth=2
	s_cmp_lt_u32 s57, 32
	s_cselect_b64 s[58:59], -1, 0
	s_cmp_lg_u64 s[58:59], 0
	s_addc_u32 s57, s57, 0
	;;#ASMSTART
	global_load_dwordx4 v[2:5], v[20:21] off glc	
s_waitcnt vmcnt(0)
	;;#ASMEND
	v_cmp_ne_u16_sdwa s[58:59], v4, v17 src0_sel:BYTE_0 src1_sel:DWORD
	s_or_b64 s[52:53], s[58:59], s[52:53]
	s_andn2_b64 exec, exec, s[52:53]
	s_cbranch_execnz .LBB591_80
; %bb.83:                               ;   in Loop: Header=BB591_77 Depth=1
	s_or_b64 exec, exec, s[52:53]
	s_branch .LBB591_76
.LBB591_84:                             ;   in Loop: Header=BB591_77 Depth=1
                                        ; implicit-def: $vgpr3
                                        ; implicit-def: $vgpr2
                                        ; implicit-def: $vgpr4
	s_cbranch_execz .LBB591_77
; %bb.85:
	s_and_saveexec_b64 s[28:29], s[26:27]
	s_cbranch_execz .LBB591_87
; %bb.86:
	s_cmp_eq_u32 s54, 0
	s_cselect_b64 vcc, -1, 0
	s_mov_b32 s53, 0
	v_cndmask_b32_e32 v2, 0, v7, vcc
	s_add_i32 s52, s56, 64
	v_add_u32_e32 v2, s55, v2
	s_lshl_b64 s[52:53], s[52:53], 4
	s_add_u32 s52, s36, s52
	v_and_b32_e32 v3, 0xff000000, v2
	v_and_b32_e32 v4, 0xff0000, v2
	s_addc_u32 s53, s37, s53
	v_or_b32_e32 v3, v4, v3
	v_and_b32_e32 v4, 0xff00, v2
	v_and_b32_e32 v2, 0xff, v2
	v_add_u32_e32 v16, s54, v6
	v_mov_b32_e32 v19, 0
	v_or3_b32 v17, v3, v4, v2
	v_mov_b32_e32 v18, 2
	v_pk_mov_b32 v[2:3], s[52:53], s[52:53] op_sel:[0,1]
	;;#ASMSTART
	global_store_dwordx4 v[2:3], v[16:19] off	
s_waitcnt vmcnt(0)
	;;#ASMEND
	v_mov_b32_e32 v4, s54
	v_mov_b32_e32 v5, s55
	ds_write_b128 v19, v[4:7] offset:768
.LBB591_87:
	s_or_b64 exec, exec, s[28:29]
	s_and_b64 exec, exec, s[0:1]
	s_cbranch_execz .LBB591_89
; %bb.88:
	v_mov_b32_e32 v2, 0
	ds_write_b64 v2, v[6:7] offset:800
.LBB591_89:
	s_or_b64 exec, exec, s[50:51]
	v_mov_b32_e32 v4, 0
	s_waitcnt lgkmcnt(0)
	s_barrier
	ds_read_b64 v[2:3], v4 offset:800
	v_cndmask_b32_e64 v6, v22, v14, s[26:27]
	v_cmp_eq_u32_e32 vcc, 0, v6
	v_cndmask_b32_e64 v5, v23, v15, s[26:27]
	s_waitcnt lgkmcnt(0)
	v_cndmask_b32_e32 v7, 0, v3, vcc
	v_add_u32_e32 v5, v7, v5
	v_cndmask_b32_e64 v41, v5, v3, s[0:1]
	v_cndmask_b32_e64 v3, v6, 0, s[0:1]
	v_cmp_eq_u32_e32 vcc, 0, v57
	v_add_u32_e32 v40, v2, v3
	v_cndmask_b32_e32 v2, 0, v41, vcc
	v_add_u32_e32 v39, v2, v42
	v_cndmask_b32_e64 v2, 0, v39, s[24:25]
	v_add_u32_e32 v37, v2, v42
	v_cndmask_b32_e64 v2, 0, v37, s[22:23]
	;; [unrolled: 2-line block ×7, first 2 shown]
	v_add_u32_e32 v25, v2, v42
	v_add_u32_e32 v38, v40, v57
	v_cndmask_b32_e64 v2, 0, v25, s[10:11]
	v_add_u32_e32 v36, v38, v56
	v_add_u32_e32 v23, v2, v42
	v_add_u32_e32 v34, v36, v55
	v_cndmask_b32_e64 v2, 0, v23, s[8:9]
	v_add_u32_e32 v32, v34, v54
	;; [unrolled: 4-line block ×3, first 2 shown]
	v_add_u32_e32 v19, v2, v42
	s_barrier
	ds_read_b128 v[2:5], v4 offset:768
	v_add_u32_e32 v26, v28, v51
	v_add_u32_e32 v24, v26, v50
	;; [unrolled: 1-line block ×4, first 2 shown]
	v_cndmask_b32_e64 v6, 0, v19, s[4:5]
	v_add_u32_e32 v18, v20, v47
	v_add_u32_e32 v15, v6, v42
	s_waitcnt lgkmcnt(0)
	v_cmp_eq_u32_e32 vcc, 0, v2
	v_add_u32_e32 v14, v18, v46
	v_cndmask_b32_e64 v6, 0, v15, s[2:3]
	v_cndmask_b32_e32 v5, 0, v5, vcc
	v_add_u32_e32 v16, v14, v45
	v_add_u32_e32 v17, v6, v42
	;; [unrolled: 1-line block ×3, first 2 shown]
	s_branch .LBB591_102
.LBB591_90:
                                        ; implicit-def: $vgpr2
                                        ; implicit-def: $vgpr6
                                        ; implicit-def: $vgpr16_vgpr17
                                        ; implicit-def: $vgpr14_vgpr15
                                        ; implicit-def: $vgpr18_vgpr19
                                        ; implicit-def: $vgpr20_vgpr21
                                        ; implicit-def: $vgpr40_vgpr41
                                        ; implicit-def: $vgpr38_vgpr39
                                        ; implicit-def: $vgpr36_vgpr37
                                        ; implicit-def: $vgpr34_vgpr35
                                        ; implicit-def: $vgpr32_vgpr33
                                        ; implicit-def: $vgpr30_vgpr31
                                        ; implicit-def: $vgpr28_vgpr29
                                        ; implicit-def: $vgpr26_vgpr27
                                        ; implicit-def: $vgpr24_vgpr25
                                        ; implicit-def: $vgpr22_vgpr23
	s_cbranch_execz .LBB591_102
; %bb.91:
	s_and_b64 s[2:3], s[38:39], exec
	s_cselect_b32 s3, 0, s49
	s_cselect_b32 s2, 0, s48
	s_cmp_eq_u64 s[2:3], 0
	v_mov_b32_e32 v6, v42
	s_cbranch_scc1 .LBB591_93
; %bb.92:
	v_mov_b32_e32 v2, 0
	global_load_dword v6, v2, s[2:3]
.LBB591_93:
	v_cmp_eq_u32_e64 s[2:3], 0, v56
	v_cndmask_b32_e64 v2, 0, v42, s[2:3]
	v_add_u32_e32 v2, v2, v42
	v_cmp_eq_u32_e64 s[4:5], 0, v55
	v_cndmask_b32_e64 v2, 0, v2, s[4:5]
	v_add_u32_e32 v2, v2, v42
	;; [unrolled: 3-line block ×10, first 2 shown]
	v_cmp_eq_u32_e64 s[22:23], 0, v46
	v_cndmask_b32_e64 v2, 0, v2, s[22:23]
	v_add3_u32 v3, v60, v53, v52
	v_add_u32_e32 v2, v2, v42
	v_cmp_eq_u32_e32 vcc, 0, v45
	v_add3_u32 v3, v3, v51, v50
	v_cndmask_b32_e32 v2, 0, v2, vcc
	v_add3_u32 v3, v3, v49, v48
	v_add_u32_e32 v2, v2, v42
	v_cmp_eq_u32_e64 s[24:25], 0, v44
	v_add3_u32 v3, v3, v47, v46
	v_cndmask_b32_e64 v2, 0, v2, s[24:25]
	v_add3_u32 v3, v3, v45, v44
	v_add_u32_e32 v2, v2, v43
	v_mbcnt_hi_u32_b32 v7, -1, v59
	v_and_b32_e32 v4, 15, v7
	v_mov_b32_dpp v14, v2 row_shr:1 row_mask:0xf bank_mask:0xf
	v_cmp_eq_u32_e64 s[24:25], 0, v3
	v_mov_b32_dpp v5, v3 row_shr:1 row_mask:0xf bank_mask:0xf
	v_cndmask_b32_e64 v14, 0, v14, s[24:25]
	v_cmp_eq_u32_e64 s[24:25], 0, v4
	v_cndmask_b32_e64 v5, v5, 0, s[24:25]
	v_add_u32_e32 v3, v5, v3
	v_cndmask_b32_e64 v5, v14, 0, s[24:25]
	v_add_u32_e32 v2, v5, v2
	v_cmp_eq_u32_e64 s[24:25], 0, v3
	v_mov_b32_dpp v5, v3 row_shr:2 row_mask:0xf bank_mask:0xf
	v_cmp_lt_u32_e64 s[26:27], 1, v4
	v_mov_b32_dpp v14, v2 row_shr:2 row_mask:0xf bank_mask:0xf
	v_cndmask_b32_e64 v5, 0, v5, s[26:27]
	s_and_b64 s[24:25], s[26:27], s[24:25]
	v_cndmask_b32_e64 v14, 0, v14, s[24:25]
	v_add_u32_e32 v3, v3, v5
	v_add_u32_e32 v2, v14, v2
	v_cmp_eq_u32_e64 s[24:25], 0, v3
	v_mov_b32_dpp v5, v3 row_shr:4 row_mask:0xf bank_mask:0xf
	v_cmp_lt_u32_e64 s[26:27], 3, v4
	v_mov_b32_dpp v14, v2 row_shr:4 row_mask:0xf bank_mask:0xf
	v_cndmask_b32_e64 v5, 0, v5, s[26:27]
	s_and_b64 s[24:25], s[26:27], s[24:25]
	v_cndmask_b32_e64 v14, 0, v14, s[24:25]
	v_add_u32_e32 v3, v5, v3
	v_add_u32_e32 v2, v2, v14
	v_cmp_eq_u32_e64 s[24:25], 0, v3
	v_cmp_lt_u32_e64 s[26:27], 7, v4
	v_mov_b32_dpp v5, v3 row_shr:8 row_mask:0xf bank_mask:0xf
	v_mov_b32_dpp v14, v2 row_shr:8 row_mask:0xf bank_mask:0xf
	s_and_b64 s[24:25], s[26:27], s[24:25]
	v_cndmask_b32_e64 v4, 0, v5, s[26:27]
	v_cndmask_b32_e64 v5, 0, v14, s[24:25]
	v_add_u32_e32 v2, v5, v2
	v_add_u32_e32 v3, v4, v3
	v_bfe_i32 v14, v7, 4, 1
	v_mov_b32_dpp v5, v2 row_bcast:15 row_mask:0xf bank_mask:0xf
	v_mov_b32_dpp v4, v3 row_bcast:15 row_mask:0xf bank_mask:0xf
	v_cmp_eq_u32_e64 s[24:25], 0, v3
	v_cndmask_b32_e64 v5, 0, v5, s[24:25]
	v_and_b32_e32 v4, v14, v4
	v_add_u32_e32 v3, v4, v3
	v_and_b32_e32 v4, v14, v5
	v_add_u32_e32 v4, v4, v2
	v_mov_b32_dpp v2, v3 row_bcast:31 row_mask:0xf bank_mask:0xf
	v_cmp_eq_u32_e64 s[24:25], 0, v3
	v_cmp_lt_u32_e64 s[26:27], 31, v7
	v_mov_b32_dpp v5, v4 row_bcast:31 row_mask:0xf bank_mask:0xf
	v_cndmask_b32_e64 v2, 0, v2, s[26:27]
	s_and_b64 s[24:25], s[26:27], s[24:25]
	v_add_u32_e32 v2, v2, v3
	v_cndmask_b32_e64 v3, 0, v5, s[24:25]
	v_add_u32_e32 v3, v3, v4
	v_and_b32_e32 v4, 0xc0, v0
	v_min_u32_e32 v4, 0x80, v4
	v_or_b32_e32 v4, 63, v4
	v_cmp_eq_u32_e64 s[24:25], v4, v0
	s_and_saveexec_b64 s[26:27], s[24:25]
	s_cbranch_execz .LBB591_95
; %bb.94:
	v_lshlrev_b32_e32 v4, 3, v58
	ds_write_b64 v4, v[2:3] offset:784
.LBB591_95:
	s_or_b64 exec, exec, s[26:27]
	v_cmp_gt_u32_e64 s[24:25], 3, v0
	s_waitcnt lgkmcnt(0)
	s_barrier
	s_and_saveexec_b64 s[28:29], s[24:25]
	s_cbranch_execz .LBB591_97
; %bb.96:
	v_lshlrev_b32_e32 v14, 3, v0
	ds_read_b64 v[4:5], v14 offset:784
	v_and_b32_e32 v15, 3, v7
	v_cmp_lt_u32_e64 s[26:27], 1, v15
	s_waitcnt lgkmcnt(0)
	v_mov_b32_dpp v17, v5 row_shr:1 row_mask:0xf bank_mask:0xf
	v_cmp_eq_u32_e64 s[24:25], 0, v4
	v_mov_b32_dpp v16, v4 row_shr:1 row_mask:0xf bank_mask:0xf
	v_cndmask_b32_e64 v17, 0, v17, s[24:25]
	v_cmp_eq_u32_e64 s[24:25], 0, v15
	v_cndmask_b32_e64 v16, v16, 0, s[24:25]
	v_add_u32_e32 v4, v16, v4
	v_cndmask_b32_e64 v16, v17, 0, s[24:25]
	v_add_u32_e32 v5, v16, v5
	v_cmp_eq_u32_e64 s[24:25], 0, v4
	v_mov_b32_dpp v16, v4 row_shr:2 row_mask:0xf bank_mask:0xf
	v_mov_b32_dpp v17, v5 row_shr:2 row_mask:0xf bank_mask:0xf
	v_cndmask_b32_e64 v15, 0, v16, s[26:27]
	s_and_b64 s[24:25], s[26:27], s[24:25]
	v_add_u32_e32 v4, v15, v4
	v_cndmask_b32_e64 v15, 0, v17, s[24:25]
	v_add_u32_e32 v5, v15, v5
	ds_write_b64 v14, v[4:5] offset:784
.LBB591_97:
	s_or_b64 exec, exec, s[28:29]
	v_cmp_lt_u32_e64 s[24:25], 63, v0
	v_mov_b32_e32 v15, 0
	v_mov_b32_e32 v4, 0
	s_waitcnt vmcnt(0)
	v_mov_b32_e32 v5, v6
	s_waitcnt lgkmcnt(0)
	s_barrier
	s_and_saveexec_b64 s[26:27], s[24:25]
	s_cbranch_execz .LBB591_99
; %bb.98:
	v_lshlrev_b32_e32 v4, 3, v58
	ds_read_b64 v[4:5], v4 offset:776
	s_waitcnt lgkmcnt(0)
	v_cmp_eq_u32_e64 s[24:25], 0, v4
	v_cndmask_b32_e64 v14, 0, v6, s[24:25]
	v_add_u32_e32 v5, v14, v5
.LBB591_99:
	s_or_b64 exec, exec, s[26:27]
	v_cmp_eq_u32_e64 s[24:25], 0, v2
	v_add_u32_e32 v14, v4, v2
	v_cndmask_b32_e64 v2, 0, v5, s[24:25]
	v_add_u32_e32 v2, v2, v3
	v_add_u32_e32 v3, -1, v7
	v_and_b32_e32 v16, 64, v7
	v_cmp_lt_i32_e64 s[24:25], v3, v16
	v_cndmask_b32_e64 v3, v3, v7, s[24:25]
	v_lshlrev_b32_e32 v3, 2, v3
	ds_bpermute_b32 v2, v3, v2
	ds_bpermute_b32 v14, v3, v14
	v_cmp_eq_u32_e64 s[24:25], 0, v7
	s_waitcnt lgkmcnt(1)
	v_cndmask_b32_e64 v2, v2, v5, s[24:25]
	s_waitcnt lgkmcnt(0)
	v_cndmask_b32_e64 v3, v14, v4, s[24:25]
	v_cndmask_b32_e64 v41, v2, v6, s[0:1]
	v_cmp_eq_u32_e64 s[24:25], 0, v57
	v_cndmask_b32_e64 v2, 0, v41, s[24:25]
	v_add_u32_e32 v39, v2, v42
	v_cndmask_b32_e64 v2, 0, v39, s[2:3]
	v_add_u32_e32 v37, v2, v42
	;; [unrolled: 2-line block ×7, first 2 shown]
	v_cndmask_b32_e64 v2, 0, v27, s[14:15]
	v_cndmask_b32_e64 v40, v3, 0, s[0:1]
	v_add_u32_e32 v25, v2, v42
	v_add_u32_e32 v38, v40, v57
	v_cndmask_b32_e64 v2, 0, v25, s[16:17]
	v_add_u32_e32 v36, v38, v56
	v_add_u32_e32 v23, v2, v42
	v_add_u32_e32 v34, v36, v55
	v_cndmask_b32_e64 v2, 0, v23, s[18:19]
	v_add_u32_e32 v32, v34, v54
	;; [unrolled: 4-line block ×3, first 2 shown]
	v_add_u32_e32 v19, v2, v42
	ds_read_b64 v[2:3], v15 offset:800
	v_add_u32_e32 v26, v28, v51
	v_add_u32_e32 v24, v26, v50
	;; [unrolled: 1-line block ×3, first 2 shown]
	v_cndmask_b32_e64 v4, 0, v19, s[22:23]
	v_add_u32_e32 v20, v22, v48
	v_add_u32_e32 v15, v4, v42
	v_add_u32_e32 v18, v20, v47
	v_cndmask_b32_e32 v4, 0, v15, vcc
	s_waitcnt lgkmcnt(0)
	v_cmp_eq_u32_e32 vcc, 0, v2
	v_add_u32_e32 v14, v18, v46
	v_add_u32_e32 v17, v4, v42
	v_cndmask_b32_e32 v4, 0, v6, vcc
	v_add_u32_e32 v16, v14, v45
	v_add_u32_e32 v6, v4, v3
	s_and_saveexec_b64 s[2:3], s[0:1]
	s_cbranch_execz .LBB591_101
; %bb.100:
	s_add_u32 s4, s36, 0x400
	v_and_b32_e32 v3, 0xff000000, v6
	v_and_b32_e32 v4, 0xff0000, v6
	s_addc_u32 s5, s37, 0
	v_or_b32_e32 v3, v4, v3
	v_and_b32_e32 v4, 0xff00, v6
	v_and_b32_e32 v7, 0xff, v6
	v_mov_b32_e32 v5, 0
	v_or3_b32 v3, v3, v4, v7
	v_mov_b32_e32 v4, 2
	v_pk_mov_b32 v[42:43], s[4:5], s[4:5] op_sel:[0,1]
	;;#ASMSTART
	global_store_dwordx4 v[42:43], v[2:5] off	
s_waitcnt vmcnt(0)
	;;#ASMEND
.LBB591_101:
	s_or_b64 exec, exec, s[2:3]
	v_mov_b32_e32 v4, 0
.LBB591_102:
	s_and_b64 s[2:3], s[38:39], exec
	s_cselect_b32 s3, 0, s31
	s_cselect_b32 s2, 0, s30
	s_cmp_eq_u64 s[2:3], 0
	v_pk_mov_b32 v[42:43], 0, 0
	s_barrier
	s_cbranch_scc1 .LBB591_104
; %bb.103:
	v_mov_b32_e32 v3, 0
	global_load_dwordx2 v[42:43], v3, s[2:3]
.LBB591_104:
	s_waitcnt vmcnt(0)
	v_lshlrev_b64 v[58:59], 1, v[42:43]
	v_mov_b32_e32 v3, s45
	v_add_co_u32_e32 v7, vcc, s44, v58
	v_mov_b32_e32 v5, 0
	v_addc_co_u32_e32 v60, vcc, v3, v59, vcc
	v_lshlrev_b64 v[58:59], 1, v[4:5]
	v_add_co_u32_e32 v3, vcc, v7, v58
	v_addc_co_u32_e32 v7, vcc, v60, v59, vcc
	v_cmp_eq_u32_e32 vcc, 0, v57
	v_cndmask_b32_e64 v58, 1, 2, vcc
	v_cmp_eq_u32_e32 vcc, 0, v56
	v_cndmask_b32_e64 v59, 1, 2, vcc
	v_cmp_eq_u32_e32 vcc, 0, v55
	v_and_b32_e32 v58, v59, v58
	v_cndmask_b32_e64 v59, 1, 2, vcc
	v_cmp_eq_u32_e32 vcc, 0, v54
	v_and_b32_e32 v58, v58, v59
	;; [unrolled: 3-line block ×12, first 2 shown]
	v_cndmask_b32_e64 v59, 1, 2, vcc
	s_movk_i32 s30, 0xc0
	v_and_b32_e32 v58, v58, v59
	v_cmp_gt_u32_e32 vcc, s30, v2
	v_cmp_ne_u32_e64 s[28:29], 0, v57
	v_cmp_ne_u32_e64 s[26:27], 0, v56
	;; [unrolled: 1-line block ×14, first 2 shown]
	s_mov_b64 s[36:37], -1
	v_cmp_gt_i16_e64 s[30:31], 2, v58
	s_cbranch_vccz .LBB591_111
; %bb.105:
	s_and_saveexec_b64 s[36:37], s[30:31]
	s_cbranch_execz .LBB591_110
; %bb.106:
	v_cmp_ne_u16_e32 vcc, 1, v58
	s_mov_b64 s[38:39], 0
	s_and_saveexec_b64 s[30:31], vcc
	s_xor_b64 s[30:31], exec, s[30:31]
	s_cbranch_execnz .LBB591_143
; %bb.107:
	s_andn2_saveexec_b64 s[30:31], s[30:31]
	s_cbranch_execnz .LBB591_158
.LBB591_108:
	s_or_b64 exec, exec, s[30:31]
	s_and_b64 exec, exec, s[38:39]
	s_cbranch_execz .LBB591_110
.LBB591_109:
	v_sub_u32_e32 v60, v16, v4
	v_mov_b32_e32 v61, 0
	v_lshlrev_b64 v[60:61], 1, v[60:61]
	v_add_co_u32_e32 v60, vcc, v3, v60
	v_addc_co_u32_e32 v61, vcc, v7, v61, vcc
	global_store_short_d16_hi v[60:61], v1, off
.LBB591_110:
	s_or_b64 exec, exec, s[36:37]
	s_mov_b64 s[36:37], 0
.LBB591_111:
	s_and_b64 vcc, exec, s[36:37]
	s_cbranch_vccz .LBB591_121
; %bb.112:
	v_cmp_gt_i16_e32 vcc, 2, v58
	s_and_saveexec_b64 s[30:31], vcc
	s_cbranch_execz .LBB591_117
; %bb.113:
	v_cmp_ne_u16_e32 vcc, 1, v58
	s_mov_b64 s[38:39], 0
	s_and_saveexec_b64 s[36:37], vcc
	s_xor_b64 s[36:37], exec, s[36:37]
	s_cbranch_execnz .LBB591_159
; %bb.114:
	s_andn2_saveexec_b64 s[2:3], s[36:37]
	s_cbranch_execnz .LBB591_174
.LBB591_115:
	s_or_b64 exec, exec, s[2:3]
	s_and_b64 exec, exec, s[38:39]
	s_cbranch_execz .LBB591_117
.LBB591_116:
	v_sub_u32_e32 v8, v16, v4
	v_lshlrev_b32_e32 v8, 1, v8
	ds_write_b16_d16_hi v8, v1
.LBB591_117:
	s_or_b64 exec, exec, s[30:31]
	v_cmp_lt_u32_e32 vcc, v0, v2
	s_waitcnt lgkmcnt(0)
	s_barrier
	s_and_saveexec_b64 s[2:3], vcc
	s_cbranch_execz .LBB591_120
; %bb.118:
	v_lshlrev_b32_e32 v1, 1, v0
	s_mov_b64 s[4:5], 0
	v_mov_b32_e32 v9, 0
	v_mov_b32_e32 v8, v0
.LBB591_119:                            ; =>This Inner Loop Header: Depth=1
	ds_read_u16 v12, v1
	v_lshlrev_b64 v[10:11], 1, v[8:9]
	v_add_co_u32_e32 v10, vcc, v3, v10
	v_add_u32_e32 v8, 0xc0, v8
	v_addc_co_u32_e32 v11, vcc, v7, v11, vcc
	v_cmp_ge_u32_e32 vcc, v8, v2
	v_add_u32_e32 v1, 0x180, v1
	s_or_b64 s[4:5], vcc, s[4:5]
	s_waitcnt lgkmcnt(0)
	global_store_short v[10:11], v12, off
	s_andn2_b64 exec, exec, s[4:5]
	s_cbranch_execnz .LBB591_119
.LBB591_120:
	s_or_b64 exec, exec, s[2:3]
.LBB591_121:
	s_cmpk_lg_i32 s33, 0xa80
	s_cselect_b64 s[2:3], -1, 0
	v_cndmask_b32_e64 v11, 0, 1, s[42:43]
	s_and_b64 s[2:3], s[2:3], s[40:41]
	v_sub_u32_e32 v1, v2, v11
	v_cndmask_b32_e64 v3, 0, 1, s[2:3]
	s_and_b64 s[0:1], s[0:1], s[42:43]
	v_add_u32_e32 v1, v1, v3
	v_cndmask_b32_e64 v3, v57, 0, s[0:1]
	s_lshr_b32 s0, s33, 1
	s_mul_hi_u32 s0, s0, 0x92492493
	s_lshr_b32 s0, s0, 2
	v_mad_i32_i24 v7, v0, -14, s33
	v_cmp_eq_u32_e32 vcc, s0, v0
	v_cmp_ne_u32_e64 s[0:1], 0, v7
	v_cndmask_b32_e64 v8, 1, v3, s[0:1]
	v_cmp_ne_u32_e64 s[0:1], 1, v7
	v_cndmask_b32_e64 v9, 1, v56, s[0:1]
	;; [unrolled: 2-line block ×13, first 2 shown]
	v_cmp_ne_u32_e64 s[0:1], 13, v7
	s_and_b64 vcc, vcc, s[40:41]
	v_cndmask_b32_e64 v7, 1, v44, s[0:1]
	v_cndmask_b32_e32 v13, v53, v13, vcc
	v_cndmask_b32_e32 v12, v54, v12, vcc
	;; [unrolled: 1-line block ×5, first 2 shown]
	v_lshlrev_b64 v[8:9], 3, v[42:43]
	v_cndmask_b32_e32 v44, v44, v7, vcc
	v_cndmask_b32_e32 v45, v45, v64, vcc
	;; [unrolled: 1-line block ×9, first 2 shown]
	v_mov_b32_e32 v3, s47
	v_add_co_u32_e32 v7, vcc, s46, v8
	v_addc_co_u32_e32 v3, vcc, v3, v9, vcc
	v_lshlrev_b64 v[8:9], 3, v[4:5]
	v_add_co_u32_e32 v5, vcc, v7, v8
	v_addc_co_u32_e32 v10, vcc, v3, v9, vcc
	v_lshlrev_b32_e32 v3, 3, v11
	v_add_co_u32_e32 v3, vcc, v3, v5
	v_addc_co_u32_e32 v7, vcc, 0, v10, vcc
	v_add_co_u32_e32 v3, vcc, -8, v3
	v_addc_co_u32_e32 v7, vcc, -1, v7, vcc
	v_cmp_eq_u32_e32 vcc, 0, v55
	v_cndmask_b32_e64 v9, 1, 2, vcc
	v_cmp_eq_u32_e32 vcc, 0, v54
	v_add_u32_e32 v8, v4, v11
	v_cndmask_b32_e64 v11, 1, 2, vcc
	v_cmp_eq_u32_e32 vcc, 0, v53
	v_and_b32_e32 v9, v11, v9
	v_cndmask_b32_e64 v11, 1, 2, vcc
	v_cmp_eq_u32_e32 vcc, 0, v12
	v_and_b32_e32 v9, v9, v11
	;; [unrolled: 3-line block ×12, first 2 shown]
	v_cndmask_b32_e64 v11, 1, 2, vcc
	s_movk_i32 s28, 0xc0
	v_and_b32_e32 v9, v9, v11
	v_cmp_gt_u32_e32 vcc, s28, v1
	v_cmp_ne_u32_e64 s[26:27], 0, v55
	v_cmp_ne_u32_e64 s[24:25], 0, v54
	;; [unrolled: 1-line block ×14, first 2 shown]
	s_mov_b64 s[30:31], -1
	v_cmp_gt_i16_e64 s[28:29], 2, v9
	s_barrier
	s_cbranch_vccz .LBB591_128
; %bb.122:
	s_and_saveexec_b64 s[30:31], s[28:29]
	s_cbranch_execz .LBB591_127
; %bb.123:
	v_cmp_ne_u16_e32 vcc, 1, v9
	s_mov_b64 s[36:37], 0
	s_and_saveexec_b64 s[28:29], vcc
	s_xor_b64 s[28:29], exec, s[28:29]
	s_cbranch_execnz .LBB591_175
; %bb.124:
	s_andn2_saveexec_b64 s[28:29], s[28:29]
	s_cbranch_execnz .LBB591_190
.LBB591_125:
	s_or_b64 exec, exec, s[28:29]
	s_and_b64 exec, exec, s[36:37]
	s_cbranch_execz .LBB591_127
.LBB591_126:
	v_mov_b32_e32 v13, 0
	v_sub_u32_e32 v44, v16, v8
	v_mov_b32_e32 v45, v13
	v_lshlrev_b64 v[44:45], 3, v[44:45]
	v_add_co_u32_e32 v44, vcc, v3, v44
	v_mov_b32_e32 v12, v17
	v_addc_co_u32_e32 v45, vcc, v7, v45, vcc
	global_store_dwordx2 v[44:45], v[12:13], off
.LBB591_127:
	s_or_b64 exec, exec, s[30:31]
	s_mov_b64 s[30:31], 0
.LBB591_128:
	s_and_b64 vcc, exec, s[30:31]
	s_cbranch_vccz .LBB591_138
; %bb.129:
	v_cmp_gt_i16_e32 vcc, 2, v9
	s_and_saveexec_b64 s[28:29], vcc
	s_cbranch_execz .LBB591_134
; %bb.130:
	v_cmp_ne_u16_e32 vcc, 1, v9
	s_mov_b64 s[36:37], 0
	s_and_saveexec_b64 s[30:31], vcc
	s_xor_b64 s[30:31], exec, s[30:31]
	s_cbranch_execnz .LBB591_191
; %bb.131:
	s_andn2_saveexec_b64 s[0:1], s[30:31]
	s_cbranch_execnz .LBB591_206
.LBB591_132:
	s_or_b64 exec, exec, s[0:1]
	s_and_b64 exec, exec, s[36:37]
	s_cbranch_execz .LBB591_134
.LBB591_133:
	v_sub_u32_e32 v8, v16, v8
	v_lshlrev_b32_e32 v8, 2, v8
	ds_write_b32 v8, v17
.LBB591_134:
	s_or_b64 exec, exec, s[28:29]
	v_cmp_lt_u32_e32 vcc, v0, v1
	s_waitcnt lgkmcnt(0)
	s_barrier
	s_and_saveexec_b64 s[0:1], vcc
	s_cbranch_execz .LBB591_137
; %bb.135:
	v_lshlrev_b32_e32 v11, 2, v0
	s_mov_b64 s[2:3], 0
	v_mov_b32_e32 v9, 0
	v_mov_b32_e32 v8, v0
.LBB591_136:                            ; =>This Inner Loop Header: Depth=1
	ds_read_b32 v12, v11
	v_lshlrev_b64 v[14:15], 3, v[8:9]
	v_add_co_u32_e32 v14, vcc, v3, v14
	v_add_u32_e32 v8, 0xc0, v8
	v_addc_co_u32_e32 v15, vcc, v7, v15, vcc
	v_cmp_ge_u32_e32 vcc, v8, v1
	v_mov_b32_e32 v13, v9
	v_add_u32_e32 v11, 0x300, v11
	s_or_b64 s[2:3], vcc, s[2:3]
	s_waitcnt lgkmcnt(0)
	global_store_dwordx2 v[14:15], v[12:13], off
	s_andn2_b64 exec, exec, s[2:3]
	s_cbranch_execnz .LBB591_136
.LBB591_137:
	s_or_b64 exec, exec, s[0:1]
.LBB591_138:
	s_movk_i32 s0, 0xbf
	v_cmp_eq_u32_e32 vcc, s0, v0
	s_and_b64 s[0:1], vcc, s[40:41]
	s_and_saveexec_b64 s[2:3], s[0:1]
	s_cbranch_execz .LBB591_141
; %bb.139:
	v_add_co_u32_e32 v0, vcc, v2, v4
	v_addc_co_u32_e64 v1, s[0:1], 0, 0, vcc
	v_add_co_u32_e32 v0, vcc, v0, v42
	v_mov_b32_e32 v3, 0
	v_addc_co_u32_e32 v1, vcc, v1, v43, vcc
	s_cmpk_lg_i32 s33, 0xa80
	global_store_dwordx2 v3, v[0:1], s[34:35]
	s_cbranch_scc1 .LBB591_141
; %bb.140:
	v_lshlrev_b64 v[0:1], 3, v[2:3]
	v_add_co_u32_e32 v0, vcc, v5, v0
	v_mov_b32_e32 v7, v3
	v_addc_co_u32_e32 v1, vcc, v10, v1, vcc
	global_store_dwordx2 v[0:1], v[6:7], off offset:-8
.LBB591_141:
	s_endpgm
.LBB591_142:
	s_or_b64 exec, exec, s[4:5]
	v_mov_b32_e32 v57, s14
	s_and_saveexec_b64 s[2:3], s[6:7]
	s_cbranch_execnz .LBB591_58
	s_branch .LBB591_59
.LBB591_143:
	s_and_saveexec_b64 s[38:39], s[28:29]
	s_cbranch_execnz .LBB591_207
; %bb.144:
	s_or_b64 exec, exec, s[38:39]
	s_and_saveexec_b64 s[38:39], s[26:27]
	s_cbranch_execnz .LBB591_208
.LBB591_145:
	s_or_b64 exec, exec, s[38:39]
	s_and_saveexec_b64 s[38:39], s[24:25]
	s_cbranch_execnz .LBB591_209
.LBB591_146:
	s_or_b64 exec, exec, s[38:39]
	s_and_saveexec_b64 s[38:39], s[22:23]
	s_cbranch_execnz .LBB591_210
.LBB591_147:
	s_or_b64 exec, exec, s[38:39]
	s_and_saveexec_b64 s[38:39], s[20:21]
	s_cbranch_execnz .LBB591_211
.LBB591_148:
	s_or_b64 exec, exec, s[38:39]
	s_and_saveexec_b64 s[38:39], s[18:19]
	s_cbranch_execnz .LBB591_212
.LBB591_149:
	s_or_b64 exec, exec, s[38:39]
	s_and_saveexec_b64 s[38:39], s[16:17]
	s_cbranch_execnz .LBB591_213
.LBB591_150:
	s_or_b64 exec, exec, s[38:39]
	s_and_saveexec_b64 s[38:39], s[14:15]
	s_cbranch_execnz .LBB591_214
.LBB591_151:
	s_or_b64 exec, exec, s[38:39]
	s_and_saveexec_b64 s[38:39], s[12:13]
	s_cbranch_execnz .LBB591_215
.LBB591_152:
	s_or_b64 exec, exec, s[38:39]
	s_and_saveexec_b64 s[38:39], s[10:11]
	s_cbranch_execnz .LBB591_216
.LBB591_153:
	s_or_b64 exec, exec, s[38:39]
	s_and_saveexec_b64 s[38:39], s[8:9]
	s_cbranch_execnz .LBB591_217
.LBB591_154:
	s_or_b64 exec, exec, s[38:39]
	s_and_saveexec_b64 s[38:39], s[6:7]
	s_cbranch_execnz .LBB591_218
.LBB591_155:
	s_or_b64 exec, exec, s[38:39]
	s_and_saveexec_b64 s[38:39], s[4:5]
	s_cbranch_execz .LBB591_157
.LBB591_156:
	v_sub_u32_e32 v60, v14, v4
	v_mov_b32_e32 v61, 0
	v_lshlrev_b64 v[60:61], 1, v[60:61]
	v_add_co_u32_e32 v60, vcc, v3, v60
	v_addc_co_u32_e32 v61, vcc, v7, v61, vcc
	global_store_short v[60:61], v1, off
.LBB591_157:
	s_or_b64 exec, exec, s[38:39]
	s_and_b64 s[38:39], s[2:3], exec
	s_andn2_saveexec_b64 s[30:31], s[30:31]
	s_cbranch_execz .LBB591_108
.LBB591_158:
	v_sub_u32_e32 v60, v40, v4
	v_mov_b32_e32 v61, 0
	v_lshlrev_b64 v[62:63], 1, v[60:61]
	v_add_co_u32_e32 v62, vcc, v3, v62
	v_addc_co_u32_e32 v63, vcc, v7, v63, vcc
	v_sub_u32_e32 v60, v38, v4
	global_store_short v[62:63], v12, off
	v_lshlrev_b64 v[62:63], 1, v[60:61]
	v_add_co_u32_e32 v62, vcc, v3, v62
	v_addc_co_u32_e32 v63, vcc, v7, v63, vcc
	v_sub_u32_e32 v60, v36, v4
	global_store_short_d16_hi v[62:63], v12, off
	v_lshlrev_b64 v[62:63], 1, v[60:61]
	v_add_co_u32_e32 v62, vcc, v3, v62
	v_addc_co_u32_e32 v63, vcc, v7, v63, vcc
	v_sub_u32_e32 v60, v34, v4
	global_store_short v[62:63], v13, off
	v_lshlrev_b64 v[62:63], 1, v[60:61]
	v_add_co_u32_e32 v62, vcc, v3, v62
	v_addc_co_u32_e32 v63, vcc, v7, v63, vcc
	v_sub_u32_e32 v60, v32, v4
	global_store_short_d16_hi v[62:63], v13, off
	v_lshlrev_b64 v[62:63], 1, v[60:61]
	v_add_co_u32_e32 v62, vcc, v3, v62
	v_addc_co_u32_e32 v63, vcc, v7, v63, vcc
	v_sub_u32_e32 v60, v30, v4
	global_store_short v[62:63], v10, off
	v_lshlrev_b64 v[62:63], 1, v[60:61]
	v_add_co_u32_e32 v62, vcc, v3, v62
	v_addc_co_u32_e32 v63, vcc, v7, v63, vcc
	v_sub_u32_e32 v60, v28, v4
	global_store_short_d16_hi v[62:63], v10, off
	v_lshlrev_b64 v[62:63], 1, v[60:61]
	v_add_co_u32_e32 v62, vcc, v3, v62
	v_addc_co_u32_e32 v63, vcc, v7, v63, vcc
	v_sub_u32_e32 v60, v26, v4
	global_store_short v[62:63], v11, off
	v_lshlrev_b64 v[62:63], 1, v[60:61]
	v_add_co_u32_e32 v62, vcc, v3, v62
	v_addc_co_u32_e32 v63, vcc, v7, v63, vcc
	v_sub_u32_e32 v60, v24, v4
	global_store_short_d16_hi v[62:63], v11, off
	v_lshlrev_b64 v[62:63], 1, v[60:61]
	v_add_co_u32_e32 v62, vcc, v3, v62
	v_addc_co_u32_e32 v63, vcc, v7, v63, vcc
	v_sub_u32_e32 v60, v22, v4
	global_store_short v[62:63], v8, off
	v_lshlrev_b64 v[62:63], 1, v[60:61]
	v_add_co_u32_e32 v62, vcc, v3, v62
	v_addc_co_u32_e32 v63, vcc, v7, v63, vcc
	v_sub_u32_e32 v60, v20, v4
	global_store_short_d16_hi v[62:63], v8, off
	v_lshlrev_b64 v[62:63], 1, v[60:61]
	v_add_co_u32_e32 v62, vcc, v3, v62
	v_addc_co_u32_e32 v63, vcc, v7, v63, vcc
	v_sub_u32_e32 v60, v18, v4
	global_store_short v[62:63], v9, off
	v_lshlrev_b64 v[62:63], 1, v[60:61]
	v_add_co_u32_e32 v62, vcc, v3, v62
	v_sub_u32_e32 v60, v14, v4
	v_addc_co_u32_e32 v63, vcc, v7, v63, vcc
	v_lshlrev_b64 v[60:61], 1, v[60:61]
	v_add_co_u32_e32 v60, vcc, v3, v60
	v_addc_co_u32_e32 v61, vcc, v7, v61, vcc
	s_or_b64 s[38:39], s[38:39], exec
	global_store_short_d16_hi v[62:63], v9, off
	global_store_short v[60:61], v1, off
	s_or_b64 exec, exec, s[30:31]
	s_and_b64 exec, exec, s[38:39]
	s_cbranch_execnz .LBB591_109
	s_branch .LBB591_110
.LBB591_159:
	s_and_saveexec_b64 s[38:39], s[28:29]
	s_cbranch_execnz .LBB591_219
; %bb.160:
	s_or_b64 exec, exec, s[38:39]
	s_and_saveexec_b64 s[28:29], s[26:27]
	s_cbranch_execnz .LBB591_220
.LBB591_161:
	s_or_b64 exec, exec, s[28:29]
	s_and_saveexec_b64 s[26:27], s[24:25]
	s_cbranch_execnz .LBB591_221
.LBB591_162:
	s_or_b64 exec, exec, s[26:27]
	s_and_saveexec_b64 s[24:25], s[22:23]
	s_cbranch_execnz .LBB591_222
.LBB591_163:
	s_or_b64 exec, exec, s[24:25]
	s_and_saveexec_b64 s[22:23], s[20:21]
	s_cbranch_execnz .LBB591_223
.LBB591_164:
	s_or_b64 exec, exec, s[22:23]
	s_and_saveexec_b64 s[20:21], s[18:19]
	s_cbranch_execnz .LBB591_224
.LBB591_165:
	s_or_b64 exec, exec, s[20:21]
	s_and_saveexec_b64 s[18:19], s[16:17]
	s_cbranch_execnz .LBB591_225
.LBB591_166:
	s_or_b64 exec, exec, s[18:19]
	s_and_saveexec_b64 s[16:17], s[14:15]
	s_cbranch_execnz .LBB591_226
.LBB591_167:
	s_or_b64 exec, exec, s[16:17]
	s_and_saveexec_b64 s[14:15], s[12:13]
	s_cbranch_execnz .LBB591_227
.LBB591_168:
	s_or_b64 exec, exec, s[14:15]
	s_and_saveexec_b64 s[12:13], s[10:11]
	s_cbranch_execnz .LBB591_228
.LBB591_169:
	s_or_b64 exec, exec, s[12:13]
	s_and_saveexec_b64 s[10:11], s[8:9]
	s_cbranch_execnz .LBB591_229
.LBB591_170:
	s_or_b64 exec, exec, s[10:11]
	s_and_saveexec_b64 s[8:9], s[6:7]
	s_cbranch_execnz .LBB591_230
.LBB591_171:
	s_or_b64 exec, exec, s[8:9]
	s_and_saveexec_b64 s[6:7], s[4:5]
	s_cbranch_execz .LBB591_173
.LBB591_172:
	v_sub_u32_e32 v8, v14, v4
	v_lshlrev_b32_e32 v8, 1, v8
	ds_write_b16 v8, v1
.LBB591_173:
	s_or_b64 exec, exec, s[6:7]
	s_and_b64 s[38:39], s[2:3], exec
                                        ; implicit-def: $vgpr12
                                        ; implicit-def: $vgpr10
                                        ; implicit-def: $vgpr8
	s_andn2_saveexec_b64 s[2:3], s[36:37]
	s_cbranch_execz .LBB591_115
.LBB591_174:
	v_sub_u32_e32 v58, v40, v4
	v_lshlrev_b32_e32 v58, 1, v58
	ds_write_b16 v58, v12
	v_sub_u32_e32 v58, v38, v4
	v_lshlrev_b32_e32 v58, 1, v58
	ds_write_b16_d16_hi v58, v12
	v_sub_u32_e32 v12, v36, v4
	v_lshlrev_b32_e32 v12, 1, v12
	ds_write_b16 v12, v13
	v_sub_u32_e32 v12, v34, v4
	v_lshlrev_b32_e32 v12, 1, v12
	ds_write_b16_d16_hi v12, v13
	;; [unrolled: 6-line block ×6, first 2 shown]
	v_sub_u32_e32 v8, v14, v4
	v_lshlrev_b32_e32 v8, 1, v8
	s_or_b64 s[38:39], s[38:39], exec
	ds_write_b16 v8, v1
	s_or_b64 exec, exec, s[2:3]
	s_and_b64 exec, exec, s[38:39]
	s_cbranch_execnz .LBB591_116
	s_branch .LBB591_117
.LBB591_175:
	s_and_saveexec_b64 s[36:37], s[26:27]
	s_cbranch_execnz .LBB591_231
; %bb.176:
	s_or_b64 exec, exec, s[36:37]
	s_and_saveexec_b64 s[36:37], s[24:25]
	s_cbranch_execnz .LBB591_232
.LBB591_177:
	s_or_b64 exec, exec, s[36:37]
	s_and_saveexec_b64 s[36:37], s[22:23]
	s_cbranch_execnz .LBB591_233
.LBB591_178:
	s_or_b64 exec, exec, s[36:37]
	s_and_saveexec_b64 s[36:37], s[20:21]
	s_cbranch_execnz .LBB591_234
.LBB591_179:
	s_or_b64 exec, exec, s[36:37]
	s_and_saveexec_b64 s[36:37], s[18:19]
	s_cbranch_execnz .LBB591_235
.LBB591_180:
	s_or_b64 exec, exec, s[36:37]
	s_and_saveexec_b64 s[36:37], s[16:17]
	s_cbranch_execnz .LBB591_236
.LBB591_181:
	s_or_b64 exec, exec, s[36:37]
	s_and_saveexec_b64 s[36:37], s[14:15]
	s_cbranch_execnz .LBB591_237
.LBB591_182:
	s_or_b64 exec, exec, s[36:37]
	s_and_saveexec_b64 s[36:37], s[12:13]
	s_cbranch_execnz .LBB591_238
.LBB591_183:
	s_or_b64 exec, exec, s[36:37]
	s_and_saveexec_b64 s[36:37], s[10:11]
	s_cbranch_execnz .LBB591_239
.LBB591_184:
	s_or_b64 exec, exec, s[36:37]
	s_and_saveexec_b64 s[36:37], s[8:9]
	s_cbranch_execnz .LBB591_240
.LBB591_185:
	s_or_b64 exec, exec, s[36:37]
	s_and_saveexec_b64 s[36:37], s[6:7]
	s_cbranch_execnz .LBB591_241
.LBB591_186:
	s_or_b64 exec, exec, s[36:37]
	s_and_saveexec_b64 s[36:37], s[4:5]
	s_cbranch_execnz .LBB591_242
.LBB591_187:
	s_or_b64 exec, exec, s[36:37]
	s_and_saveexec_b64 s[36:37], s[2:3]
	s_cbranch_execz .LBB591_189
.LBB591_188:
	v_sub_u32_e32 v12, v14, v8
	v_mov_b32_e32 v13, 0
	v_lshlrev_b64 v[44:45], 3, v[12:13]
	v_add_co_u32_e32 v44, vcc, v3, v44
	v_addc_co_u32_e32 v45, vcc, v7, v45, vcc
	v_mov_b32_e32 v12, v15
	global_store_dwordx2 v[44:45], v[12:13], off
.LBB591_189:
	s_or_b64 exec, exec, s[36:37]
	s_and_b64 s[36:37], s[0:1], exec
	s_andn2_saveexec_b64 s[28:29], s[28:29]
	s_cbranch_execz .LBB591_125
.LBB591_190:
	v_mov_b32_e32 v13, 0
	v_sub_u32_e32 v44, v40, v8
	v_mov_b32_e32 v45, v13
	v_lshlrev_b64 v[44:45], 3, v[44:45]
	v_add_co_u32_e32 v44, vcc, v3, v44
	v_mov_b32_e32 v12, v41
	v_addc_co_u32_e32 v45, vcc, v7, v45, vcc
	global_store_dwordx2 v[44:45], v[12:13], off
	v_sub_u32_e32 v44, v38, v8
	v_mov_b32_e32 v45, v13
	v_lshlrev_b64 v[44:45], 3, v[44:45]
	v_add_co_u32_e32 v44, vcc, v3, v44
	v_mov_b32_e32 v12, v39
	v_addc_co_u32_e32 v45, vcc, v7, v45, vcc
	global_store_dwordx2 v[44:45], v[12:13], off
	;; [unrolled: 7-line block ×12, first 2 shown]
	v_sub_u32_e32 v44, v14, v8
	v_mov_b32_e32 v45, v13
	v_lshlrev_b64 v[44:45], 3, v[44:45]
	v_add_co_u32_e32 v44, vcc, v3, v44
	v_mov_b32_e32 v12, v15
	v_addc_co_u32_e32 v45, vcc, v7, v45, vcc
	s_or_b64 s[36:37], s[36:37], exec
	global_store_dwordx2 v[44:45], v[12:13], off
	s_or_b64 exec, exec, s[28:29]
	s_and_b64 exec, exec, s[36:37]
	s_cbranch_execnz .LBB591_126
	s_branch .LBB591_127
.LBB591_191:
	s_and_saveexec_b64 s[36:37], s[26:27]
	s_cbranch_execnz .LBB591_243
; %bb.192:
	s_or_b64 exec, exec, s[36:37]
	s_and_saveexec_b64 s[26:27], s[24:25]
	s_cbranch_execnz .LBB591_244
.LBB591_193:
	s_or_b64 exec, exec, s[26:27]
	s_and_saveexec_b64 s[24:25], s[22:23]
	s_cbranch_execnz .LBB591_245
.LBB591_194:
	s_or_b64 exec, exec, s[24:25]
	s_and_saveexec_b64 s[22:23], s[20:21]
	s_cbranch_execnz .LBB591_246
.LBB591_195:
	s_or_b64 exec, exec, s[22:23]
	s_and_saveexec_b64 s[20:21], s[18:19]
	s_cbranch_execnz .LBB591_247
.LBB591_196:
	s_or_b64 exec, exec, s[20:21]
	s_and_saveexec_b64 s[18:19], s[16:17]
	s_cbranch_execnz .LBB591_248
.LBB591_197:
	s_or_b64 exec, exec, s[18:19]
	s_and_saveexec_b64 s[16:17], s[14:15]
	s_cbranch_execnz .LBB591_249
.LBB591_198:
	s_or_b64 exec, exec, s[16:17]
	s_and_saveexec_b64 s[14:15], s[12:13]
	s_cbranch_execnz .LBB591_250
.LBB591_199:
	s_or_b64 exec, exec, s[14:15]
	s_and_saveexec_b64 s[12:13], s[10:11]
	s_cbranch_execnz .LBB591_251
.LBB591_200:
	s_or_b64 exec, exec, s[12:13]
	s_and_saveexec_b64 s[10:11], s[8:9]
	s_cbranch_execnz .LBB591_252
.LBB591_201:
	s_or_b64 exec, exec, s[10:11]
	s_and_saveexec_b64 s[8:9], s[6:7]
	s_cbranch_execnz .LBB591_253
.LBB591_202:
	s_or_b64 exec, exec, s[8:9]
	s_and_saveexec_b64 s[6:7], s[4:5]
	s_cbranch_execnz .LBB591_254
.LBB591_203:
	s_or_b64 exec, exec, s[6:7]
	s_and_saveexec_b64 s[4:5], s[2:3]
	s_cbranch_execz .LBB591_205
.LBB591_204:
	v_sub_u32_e32 v9, v14, v8
	v_lshlrev_b32_e32 v9, 2, v9
	ds_write_b32 v9, v15
.LBB591_205:
	s_or_b64 exec, exec, s[4:5]
	s_and_b64 s[36:37], s[0:1], exec
                                        ; implicit-def: $vgpr14_vgpr15
                                        ; implicit-def: $vgpr18_vgpr19
                                        ; implicit-def: $vgpr20_vgpr21
                                        ; implicit-def: $vgpr40_vgpr41
                                        ; implicit-def: $vgpr38_vgpr39
                                        ; implicit-def: $vgpr36_vgpr37
                                        ; implicit-def: $vgpr34_vgpr35
                                        ; implicit-def: $vgpr32_vgpr33
                                        ; implicit-def: $vgpr30_vgpr31
                                        ; implicit-def: $vgpr28_vgpr29
                                        ; implicit-def: $vgpr26_vgpr27
                                        ; implicit-def: $vgpr24_vgpr25
                                        ; implicit-def: $vgpr22_vgpr23
	s_andn2_saveexec_b64 s[0:1], s[30:31]
	s_cbranch_execz .LBB591_132
.LBB591_206:
	v_sub_u32_e32 v9, v40, v8
	v_lshlrev_b32_e32 v9, 2, v9
	ds_write_b32 v9, v41
	v_sub_u32_e32 v9, v38, v8
	v_lshlrev_b32_e32 v9, 2, v9
	ds_write_b32 v9, v39
	;; [unrolled: 3-line block ×12, first 2 shown]
	v_sub_u32_e32 v9, v14, v8
	v_lshlrev_b32_e32 v9, 2, v9
	s_or_b64 s[36:37], s[36:37], exec
	ds_write_b32 v9, v15
	s_or_b64 exec, exec, s[0:1]
	s_and_b64 exec, exec, s[36:37]
	s_cbranch_execnz .LBB591_133
	s_branch .LBB591_134
.LBB591_207:
	v_sub_u32_e32 v60, v40, v4
	v_mov_b32_e32 v61, 0
	v_lshlrev_b64 v[60:61], 1, v[60:61]
	v_add_co_u32_e32 v60, vcc, v3, v60
	v_addc_co_u32_e32 v61, vcc, v7, v61, vcc
	global_store_short v[60:61], v12, off
	s_or_b64 exec, exec, s[38:39]
	s_and_saveexec_b64 s[38:39], s[26:27]
	s_cbranch_execz .LBB591_145
.LBB591_208:
	v_sub_u32_e32 v60, v38, v4
	v_mov_b32_e32 v61, 0
	v_lshlrev_b64 v[60:61], 1, v[60:61]
	v_add_co_u32_e32 v60, vcc, v3, v60
	v_addc_co_u32_e32 v61, vcc, v7, v61, vcc
	global_store_short_d16_hi v[60:61], v12, off
	s_or_b64 exec, exec, s[38:39]
	s_and_saveexec_b64 s[38:39], s[24:25]
	s_cbranch_execz .LBB591_146
.LBB591_209:
	v_sub_u32_e32 v60, v36, v4
	v_mov_b32_e32 v61, 0
	v_lshlrev_b64 v[60:61], 1, v[60:61]
	v_add_co_u32_e32 v60, vcc, v3, v60
	v_addc_co_u32_e32 v61, vcc, v7, v61, vcc
	global_store_short v[60:61], v13, off
	s_or_b64 exec, exec, s[38:39]
	s_and_saveexec_b64 s[38:39], s[22:23]
	s_cbranch_execz .LBB591_147
.LBB591_210:
	v_sub_u32_e32 v60, v34, v4
	v_mov_b32_e32 v61, 0
	v_lshlrev_b64 v[60:61], 1, v[60:61]
	v_add_co_u32_e32 v60, vcc, v3, v60
	v_addc_co_u32_e32 v61, vcc, v7, v61, vcc
	global_store_short_d16_hi v[60:61], v13, off
	s_or_b64 exec, exec, s[38:39]
	s_and_saveexec_b64 s[38:39], s[20:21]
	s_cbranch_execz .LBB591_148
.LBB591_211:
	v_sub_u32_e32 v60, v32, v4
	v_mov_b32_e32 v61, 0
	v_lshlrev_b64 v[60:61], 1, v[60:61]
	v_add_co_u32_e32 v60, vcc, v3, v60
	v_addc_co_u32_e32 v61, vcc, v7, v61, vcc
	global_store_short v[60:61], v10, off
	s_or_b64 exec, exec, s[38:39]
	s_and_saveexec_b64 s[38:39], s[18:19]
	s_cbranch_execz .LBB591_149
.LBB591_212:
	v_sub_u32_e32 v60, v30, v4
	v_mov_b32_e32 v61, 0
	v_lshlrev_b64 v[60:61], 1, v[60:61]
	v_add_co_u32_e32 v60, vcc, v3, v60
	v_addc_co_u32_e32 v61, vcc, v7, v61, vcc
	global_store_short_d16_hi v[60:61], v10, off
	s_or_b64 exec, exec, s[38:39]
	s_and_saveexec_b64 s[38:39], s[16:17]
	s_cbranch_execz .LBB591_150
.LBB591_213:
	v_sub_u32_e32 v60, v28, v4
	v_mov_b32_e32 v61, 0
	v_lshlrev_b64 v[60:61], 1, v[60:61]
	v_add_co_u32_e32 v60, vcc, v3, v60
	v_addc_co_u32_e32 v61, vcc, v7, v61, vcc
	global_store_short v[60:61], v11, off
	s_or_b64 exec, exec, s[38:39]
	s_and_saveexec_b64 s[38:39], s[14:15]
	s_cbranch_execz .LBB591_151
.LBB591_214:
	v_sub_u32_e32 v60, v26, v4
	v_mov_b32_e32 v61, 0
	v_lshlrev_b64 v[60:61], 1, v[60:61]
	v_add_co_u32_e32 v60, vcc, v3, v60
	v_addc_co_u32_e32 v61, vcc, v7, v61, vcc
	global_store_short_d16_hi v[60:61], v11, off
	s_or_b64 exec, exec, s[38:39]
	s_and_saveexec_b64 s[38:39], s[12:13]
	s_cbranch_execz .LBB591_152
.LBB591_215:
	v_sub_u32_e32 v60, v24, v4
	v_mov_b32_e32 v61, 0
	v_lshlrev_b64 v[60:61], 1, v[60:61]
	v_add_co_u32_e32 v60, vcc, v3, v60
	v_addc_co_u32_e32 v61, vcc, v7, v61, vcc
	global_store_short v[60:61], v8, off
	s_or_b64 exec, exec, s[38:39]
	s_and_saveexec_b64 s[38:39], s[10:11]
	s_cbranch_execz .LBB591_153
.LBB591_216:
	v_sub_u32_e32 v60, v22, v4
	v_mov_b32_e32 v61, 0
	v_lshlrev_b64 v[60:61], 1, v[60:61]
	v_add_co_u32_e32 v60, vcc, v3, v60
	v_addc_co_u32_e32 v61, vcc, v7, v61, vcc
	global_store_short_d16_hi v[60:61], v8, off
	s_or_b64 exec, exec, s[38:39]
	s_and_saveexec_b64 s[38:39], s[8:9]
	s_cbranch_execz .LBB591_154
.LBB591_217:
	v_sub_u32_e32 v60, v20, v4
	v_mov_b32_e32 v61, 0
	v_lshlrev_b64 v[60:61], 1, v[60:61]
	v_add_co_u32_e32 v60, vcc, v3, v60
	v_addc_co_u32_e32 v61, vcc, v7, v61, vcc
	global_store_short v[60:61], v9, off
	s_or_b64 exec, exec, s[38:39]
	s_and_saveexec_b64 s[38:39], s[6:7]
	s_cbranch_execz .LBB591_155
.LBB591_218:
	v_sub_u32_e32 v60, v18, v4
	v_mov_b32_e32 v61, 0
	v_lshlrev_b64 v[60:61], 1, v[60:61]
	v_add_co_u32_e32 v60, vcc, v3, v60
	v_addc_co_u32_e32 v61, vcc, v7, v61, vcc
	global_store_short_d16_hi v[60:61], v9, off
	s_or_b64 exec, exec, s[38:39]
	s_and_saveexec_b64 s[38:39], s[4:5]
	s_cbranch_execnz .LBB591_156
	s_branch .LBB591_157
.LBB591_219:
	v_sub_u32_e32 v58, v40, v4
	v_lshlrev_b32_e32 v58, 1, v58
	ds_write_b16 v58, v12
	s_or_b64 exec, exec, s[38:39]
	s_and_saveexec_b64 s[28:29], s[26:27]
	s_cbranch_execz .LBB591_161
.LBB591_220:
	v_sub_u32_e32 v58, v38, v4
	v_lshlrev_b32_e32 v58, 1, v58
	ds_write_b16_d16_hi v58, v12
	s_or_b64 exec, exec, s[28:29]
	s_and_saveexec_b64 s[26:27], s[24:25]
	s_cbranch_execz .LBB591_162
.LBB591_221:
	v_sub_u32_e32 v12, v36, v4
	v_lshlrev_b32_e32 v12, 1, v12
	ds_write_b16 v12, v13
	s_or_b64 exec, exec, s[26:27]
	s_and_saveexec_b64 s[24:25], s[22:23]
	s_cbranch_execz .LBB591_163
.LBB591_222:
	v_sub_u32_e32 v12, v34, v4
	v_lshlrev_b32_e32 v12, 1, v12
	ds_write_b16_d16_hi v12, v13
	s_or_b64 exec, exec, s[24:25]
	s_and_saveexec_b64 s[22:23], s[20:21]
	s_cbranch_execz .LBB591_164
.LBB591_223:
	v_sub_u32_e32 v12, v32, v4
	v_lshlrev_b32_e32 v12, 1, v12
	ds_write_b16 v12, v10
	s_or_b64 exec, exec, s[22:23]
	s_and_saveexec_b64 s[20:21], s[18:19]
	s_cbranch_execz .LBB591_165
.LBB591_224:
	v_sub_u32_e32 v12, v30, v4
	v_lshlrev_b32_e32 v12, 1, v12
	ds_write_b16_d16_hi v12, v10
	s_or_b64 exec, exec, s[20:21]
	s_and_saveexec_b64 s[18:19], s[16:17]
	s_cbranch_execz .LBB591_166
.LBB591_225:
	v_sub_u32_e32 v10, v28, v4
	v_lshlrev_b32_e32 v10, 1, v10
	ds_write_b16 v10, v11
	s_or_b64 exec, exec, s[18:19]
	s_and_saveexec_b64 s[16:17], s[14:15]
	s_cbranch_execz .LBB591_167
.LBB591_226:
	v_sub_u32_e32 v10, v26, v4
	v_lshlrev_b32_e32 v10, 1, v10
	ds_write_b16_d16_hi v10, v11
	s_or_b64 exec, exec, s[16:17]
	s_and_saveexec_b64 s[14:15], s[12:13]
	s_cbranch_execz .LBB591_168
.LBB591_227:
	v_sub_u32_e32 v10, v24, v4
	v_lshlrev_b32_e32 v10, 1, v10
	ds_write_b16 v10, v8
	s_or_b64 exec, exec, s[14:15]
	s_and_saveexec_b64 s[12:13], s[10:11]
	s_cbranch_execz .LBB591_169
.LBB591_228:
	v_sub_u32_e32 v10, v22, v4
	v_lshlrev_b32_e32 v10, 1, v10
	ds_write_b16_d16_hi v10, v8
	s_or_b64 exec, exec, s[12:13]
	s_and_saveexec_b64 s[10:11], s[8:9]
	s_cbranch_execz .LBB591_170
.LBB591_229:
	v_sub_u32_e32 v8, v20, v4
	v_lshlrev_b32_e32 v8, 1, v8
	ds_write_b16 v8, v9
	s_or_b64 exec, exec, s[10:11]
	s_and_saveexec_b64 s[8:9], s[6:7]
	s_cbranch_execz .LBB591_171
.LBB591_230:
	v_sub_u32_e32 v8, v18, v4
	v_lshlrev_b32_e32 v8, 1, v8
	ds_write_b16_d16_hi v8, v9
	s_or_b64 exec, exec, s[8:9]
	s_and_saveexec_b64 s[6:7], s[4:5]
	s_cbranch_execnz .LBB591_172
	s_branch .LBB591_173
.LBB591_231:
	v_sub_u32_e32 v12, v40, v8
	v_mov_b32_e32 v13, 0
	v_lshlrev_b64 v[44:45], 3, v[12:13]
	v_add_co_u32_e32 v44, vcc, v3, v44
	v_addc_co_u32_e32 v45, vcc, v7, v45, vcc
	v_mov_b32_e32 v12, v41
	global_store_dwordx2 v[44:45], v[12:13], off
	s_or_b64 exec, exec, s[36:37]
	s_and_saveexec_b64 s[36:37], s[24:25]
	s_cbranch_execz .LBB591_177
.LBB591_232:
	v_sub_u32_e32 v12, v38, v8
	v_mov_b32_e32 v13, 0
	v_lshlrev_b64 v[44:45], 3, v[12:13]
	v_add_co_u32_e32 v44, vcc, v3, v44
	v_addc_co_u32_e32 v45, vcc, v7, v45, vcc
	v_mov_b32_e32 v12, v39
	global_store_dwordx2 v[44:45], v[12:13], off
	s_or_b64 exec, exec, s[36:37]
	s_and_saveexec_b64 s[36:37], s[22:23]
	s_cbranch_execz .LBB591_178
.LBB591_233:
	v_sub_u32_e32 v12, v36, v8
	v_mov_b32_e32 v13, 0
	v_lshlrev_b64 v[44:45], 3, v[12:13]
	v_add_co_u32_e32 v44, vcc, v3, v44
	v_addc_co_u32_e32 v45, vcc, v7, v45, vcc
	v_mov_b32_e32 v12, v37
	global_store_dwordx2 v[44:45], v[12:13], off
	s_or_b64 exec, exec, s[36:37]
	s_and_saveexec_b64 s[36:37], s[20:21]
	s_cbranch_execz .LBB591_179
.LBB591_234:
	v_sub_u32_e32 v12, v34, v8
	v_mov_b32_e32 v13, 0
	v_lshlrev_b64 v[44:45], 3, v[12:13]
	v_add_co_u32_e32 v44, vcc, v3, v44
	v_addc_co_u32_e32 v45, vcc, v7, v45, vcc
	v_mov_b32_e32 v12, v35
	global_store_dwordx2 v[44:45], v[12:13], off
	s_or_b64 exec, exec, s[36:37]
	s_and_saveexec_b64 s[36:37], s[18:19]
	s_cbranch_execz .LBB591_180
.LBB591_235:
	v_sub_u32_e32 v12, v32, v8
	v_mov_b32_e32 v13, 0
	v_lshlrev_b64 v[44:45], 3, v[12:13]
	v_add_co_u32_e32 v44, vcc, v3, v44
	v_addc_co_u32_e32 v45, vcc, v7, v45, vcc
	v_mov_b32_e32 v12, v33
	global_store_dwordx2 v[44:45], v[12:13], off
	s_or_b64 exec, exec, s[36:37]
	s_and_saveexec_b64 s[36:37], s[16:17]
	s_cbranch_execz .LBB591_181
.LBB591_236:
	v_sub_u32_e32 v12, v30, v8
	v_mov_b32_e32 v13, 0
	v_lshlrev_b64 v[44:45], 3, v[12:13]
	v_add_co_u32_e32 v44, vcc, v3, v44
	v_addc_co_u32_e32 v45, vcc, v7, v45, vcc
	v_mov_b32_e32 v12, v31
	global_store_dwordx2 v[44:45], v[12:13], off
	s_or_b64 exec, exec, s[36:37]
	s_and_saveexec_b64 s[36:37], s[14:15]
	s_cbranch_execz .LBB591_182
.LBB591_237:
	v_sub_u32_e32 v12, v28, v8
	v_mov_b32_e32 v13, 0
	v_lshlrev_b64 v[44:45], 3, v[12:13]
	v_add_co_u32_e32 v44, vcc, v3, v44
	v_addc_co_u32_e32 v45, vcc, v7, v45, vcc
	v_mov_b32_e32 v12, v29
	global_store_dwordx2 v[44:45], v[12:13], off
	s_or_b64 exec, exec, s[36:37]
	s_and_saveexec_b64 s[36:37], s[12:13]
	s_cbranch_execz .LBB591_183
.LBB591_238:
	v_sub_u32_e32 v12, v26, v8
	v_mov_b32_e32 v13, 0
	v_lshlrev_b64 v[44:45], 3, v[12:13]
	v_add_co_u32_e32 v44, vcc, v3, v44
	v_addc_co_u32_e32 v45, vcc, v7, v45, vcc
	v_mov_b32_e32 v12, v27
	global_store_dwordx2 v[44:45], v[12:13], off
	s_or_b64 exec, exec, s[36:37]
	s_and_saveexec_b64 s[36:37], s[10:11]
	s_cbranch_execz .LBB591_184
.LBB591_239:
	v_sub_u32_e32 v12, v24, v8
	v_mov_b32_e32 v13, 0
	v_lshlrev_b64 v[44:45], 3, v[12:13]
	v_add_co_u32_e32 v44, vcc, v3, v44
	v_addc_co_u32_e32 v45, vcc, v7, v45, vcc
	v_mov_b32_e32 v12, v25
	global_store_dwordx2 v[44:45], v[12:13], off
	s_or_b64 exec, exec, s[36:37]
	s_and_saveexec_b64 s[36:37], s[8:9]
	s_cbranch_execz .LBB591_185
.LBB591_240:
	v_sub_u32_e32 v12, v22, v8
	v_mov_b32_e32 v13, 0
	v_lshlrev_b64 v[44:45], 3, v[12:13]
	v_add_co_u32_e32 v44, vcc, v3, v44
	v_addc_co_u32_e32 v45, vcc, v7, v45, vcc
	v_mov_b32_e32 v12, v23
	global_store_dwordx2 v[44:45], v[12:13], off
	s_or_b64 exec, exec, s[36:37]
	s_and_saveexec_b64 s[36:37], s[6:7]
	s_cbranch_execz .LBB591_186
.LBB591_241:
	v_sub_u32_e32 v12, v20, v8
	v_mov_b32_e32 v13, 0
	v_lshlrev_b64 v[44:45], 3, v[12:13]
	v_add_co_u32_e32 v44, vcc, v3, v44
	v_addc_co_u32_e32 v45, vcc, v7, v45, vcc
	v_mov_b32_e32 v12, v21
	global_store_dwordx2 v[44:45], v[12:13], off
	s_or_b64 exec, exec, s[36:37]
	s_and_saveexec_b64 s[36:37], s[4:5]
	s_cbranch_execz .LBB591_187
.LBB591_242:
	v_sub_u32_e32 v12, v18, v8
	v_mov_b32_e32 v13, 0
	v_lshlrev_b64 v[44:45], 3, v[12:13]
	v_add_co_u32_e32 v44, vcc, v3, v44
	v_addc_co_u32_e32 v45, vcc, v7, v45, vcc
	v_mov_b32_e32 v12, v19
	global_store_dwordx2 v[44:45], v[12:13], off
	s_or_b64 exec, exec, s[36:37]
	s_and_saveexec_b64 s[36:37], s[2:3]
	s_cbranch_execnz .LBB591_188
	s_branch .LBB591_189
.LBB591_243:
	v_sub_u32_e32 v9, v40, v8
	v_lshlrev_b32_e32 v9, 2, v9
	ds_write_b32 v9, v41
	s_or_b64 exec, exec, s[36:37]
	s_and_saveexec_b64 s[26:27], s[24:25]
	s_cbranch_execz .LBB591_193
.LBB591_244:
	v_sub_u32_e32 v9, v38, v8
	v_lshlrev_b32_e32 v9, 2, v9
	ds_write_b32 v9, v39
	s_or_b64 exec, exec, s[26:27]
	s_and_saveexec_b64 s[24:25], s[22:23]
	s_cbranch_execz .LBB591_194
.LBB591_245:
	v_sub_u32_e32 v9, v36, v8
	v_lshlrev_b32_e32 v9, 2, v9
	ds_write_b32 v9, v37
	s_or_b64 exec, exec, s[24:25]
	s_and_saveexec_b64 s[22:23], s[20:21]
	s_cbranch_execz .LBB591_195
.LBB591_246:
	v_sub_u32_e32 v9, v34, v8
	v_lshlrev_b32_e32 v9, 2, v9
	ds_write_b32 v9, v35
	s_or_b64 exec, exec, s[22:23]
	s_and_saveexec_b64 s[20:21], s[18:19]
	s_cbranch_execz .LBB591_196
.LBB591_247:
	v_sub_u32_e32 v9, v32, v8
	v_lshlrev_b32_e32 v9, 2, v9
	ds_write_b32 v9, v33
	s_or_b64 exec, exec, s[20:21]
	s_and_saveexec_b64 s[18:19], s[16:17]
	s_cbranch_execz .LBB591_197
.LBB591_248:
	v_sub_u32_e32 v9, v30, v8
	v_lshlrev_b32_e32 v9, 2, v9
	ds_write_b32 v9, v31
	s_or_b64 exec, exec, s[18:19]
	s_and_saveexec_b64 s[16:17], s[14:15]
	s_cbranch_execz .LBB591_198
.LBB591_249:
	v_sub_u32_e32 v9, v28, v8
	v_lshlrev_b32_e32 v9, 2, v9
	ds_write_b32 v9, v29
	s_or_b64 exec, exec, s[16:17]
	s_and_saveexec_b64 s[14:15], s[12:13]
	s_cbranch_execz .LBB591_199
.LBB591_250:
	v_sub_u32_e32 v9, v26, v8
	v_lshlrev_b32_e32 v9, 2, v9
	ds_write_b32 v9, v27
	s_or_b64 exec, exec, s[14:15]
	s_and_saveexec_b64 s[12:13], s[10:11]
	s_cbranch_execz .LBB591_200
.LBB591_251:
	v_sub_u32_e32 v9, v24, v8
	v_lshlrev_b32_e32 v9, 2, v9
	ds_write_b32 v9, v25
	s_or_b64 exec, exec, s[12:13]
	s_and_saveexec_b64 s[10:11], s[8:9]
	s_cbranch_execz .LBB591_201
.LBB591_252:
	v_sub_u32_e32 v9, v22, v8
	v_lshlrev_b32_e32 v9, 2, v9
	ds_write_b32 v9, v23
	s_or_b64 exec, exec, s[10:11]
	s_and_saveexec_b64 s[8:9], s[6:7]
	s_cbranch_execz .LBB591_202
.LBB591_253:
	v_sub_u32_e32 v9, v20, v8
	v_lshlrev_b32_e32 v9, 2, v9
	ds_write_b32 v9, v21
	s_or_b64 exec, exec, s[8:9]
	s_and_saveexec_b64 s[6:7], s[4:5]
	s_cbranch_execz .LBB591_203
.LBB591_254:
	v_sub_u32_e32 v9, v18, v8
	v_lshlrev_b32_e32 v9, 2, v9
	ds_write_b32 v9, v19
	s_or_b64 exec, exec, s[6:7]
	s_and_saveexec_b64 s[4:5], s[2:3]
	s_cbranch_execnz .LBB591_204
	s_branch .LBB591_205
	.section	.rodata,"a",@progbits
	.p2align	6, 0x0
	.amdhsa_kernel _ZN7rocprim17ROCPRIM_400000_NS6detail17trampoline_kernelINS0_14default_configENS1_33run_length_encode_config_selectorIsjNS0_4plusIjEEEEZZNS1_33reduce_by_key_impl_wrapped_configILNS1_25lookback_scan_determinismE0ES3_S7_PKsNS0_17constant_iteratorIjlEEPsPlSF_S6_NS0_8equal_toIsEEEE10hipError_tPvRmT2_T3_mT4_T5_T6_T7_T8_P12ihipStream_tbENKUlT_T0_E_clISt17integral_constantIbLb1EESZ_EEDaSU_SV_EUlSU_E_NS1_11comp_targetILNS1_3genE4ELNS1_11target_archE910ELNS1_3gpuE8ELNS1_3repE0EEENS1_30default_config_static_selectorELNS0_4arch9wavefront6targetE1EEEvT1_
		.amdhsa_group_segment_fixed_size 10752
		.amdhsa_private_segment_fixed_size 0
		.amdhsa_kernarg_size 128
		.amdhsa_user_sgpr_count 6
		.amdhsa_user_sgpr_private_segment_buffer 1
		.amdhsa_user_sgpr_dispatch_ptr 0
		.amdhsa_user_sgpr_queue_ptr 0
		.amdhsa_user_sgpr_kernarg_segment_ptr 1
		.amdhsa_user_sgpr_dispatch_id 0
		.amdhsa_user_sgpr_flat_scratch_init 0
		.amdhsa_user_sgpr_kernarg_preload_length 0
		.amdhsa_user_sgpr_kernarg_preload_offset 0
		.amdhsa_user_sgpr_private_segment_size 0
		.amdhsa_uses_dynamic_stack 0
		.amdhsa_system_sgpr_private_segment_wavefront_offset 0
		.amdhsa_system_sgpr_workgroup_id_x 1
		.amdhsa_system_sgpr_workgroup_id_y 0
		.amdhsa_system_sgpr_workgroup_id_z 0
		.amdhsa_system_sgpr_workgroup_info 0
		.amdhsa_system_vgpr_workitem_id 0
		.amdhsa_next_free_vgpr 65
		.amdhsa_next_free_sgpr 64
		.amdhsa_accum_offset 68
		.amdhsa_reserve_vcc 1
		.amdhsa_reserve_flat_scratch 0
		.amdhsa_float_round_mode_32 0
		.amdhsa_float_round_mode_16_64 0
		.amdhsa_float_denorm_mode_32 3
		.amdhsa_float_denorm_mode_16_64 3
		.amdhsa_dx10_clamp 1
		.amdhsa_ieee_mode 1
		.amdhsa_fp16_overflow 0
		.amdhsa_tg_split 0
		.amdhsa_exception_fp_ieee_invalid_op 0
		.amdhsa_exception_fp_denorm_src 0
		.amdhsa_exception_fp_ieee_div_zero 0
		.amdhsa_exception_fp_ieee_overflow 0
		.amdhsa_exception_fp_ieee_underflow 0
		.amdhsa_exception_fp_ieee_inexact 0
		.amdhsa_exception_int_div_zero 0
	.end_amdhsa_kernel
	.section	.text._ZN7rocprim17ROCPRIM_400000_NS6detail17trampoline_kernelINS0_14default_configENS1_33run_length_encode_config_selectorIsjNS0_4plusIjEEEEZZNS1_33reduce_by_key_impl_wrapped_configILNS1_25lookback_scan_determinismE0ES3_S7_PKsNS0_17constant_iteratorIjlEEPsPlSF_S6_NS0_8equal_toIsEEEE10hipError_tPvRmT2_T3_mT4_T5_T6_T7_T8_P12ihipStream_tbENKUlT_T0_E_clISt17integral_constantIbLb1EESZ_EEDaSU_SV_EUlSU_E_NS1_11comp_targetILNS1_3genE4ELNS1_11target_archE910ELNS1_3gpuE8ELNS1_3repE0EEENS1_30default_config_static_selectorELNS0_4arch9wavefront6targetE1EEEvT1_,"axG",@progbits,_ZN7rocprim17ROCPRIM_400000_NS6detail17trampoline_kernelINS0_14default_configENS1_33run_length_encode_config_selectorIsjNS0_4plusIjEEEEZZNS1_33reduce_by_key_impl_wrapped_configILNS1_25lookback_scan_determinismE0ES3_S7_PKsNS0_17constant_iteratorIjlEEPsPlSF_S6_NS0_8equal_toIsEEEE10hipError_tPvRmT2_T3_mT4_T5_T6_T7_T8_P12ihipStream_tbENKUlT_T0_E_clISt17integral_constantIbLb1EESZ_EEDaSU_SV_EUlSU_E_NS1_11comp_targetILNS1_3genE4ELNS1_11target_archE910ELNS1_3gpuE8ELNS1_3repE0EEENS1_30default_config_static_selectorELNS0_4arch9wavefront6targetE1EEEvT1_,comdat
.Lfunc_end591:
	.size	_ZN7rocprim17ROCPRIM_400000_NS6detail17trampoline_kernelINS0_14default_configENS1_33run_length_encode_config_selectorIsjNS0_4plusIjEEEEZZNS1_33reduce_by_key_impl_wrapped_configILNS1_25lookback_scan_determinismE0ES3_S7_PKsNS0_17constant_iteratorIjlEEPsPlSF_S6_NS0_8equal_toIsEEEE10hipError_tPvRmT2_T3_mT4_T5_T6_T7_T8_P12ihipStream_tbENKUlT_T0_E_clISt17integral_constantIbLb1EESZ_EEDaSU_SV_EUlSU_E_NS1_11comp_targetILNS1_3genE4ELNS1_11target_archE910ELNS1_3gpuE8ELNS1_3repE0EEENS1_30default_config_static_selectorELNS0_4arch9wavefront6targetE1EEEvT1_, .Lfunc_end591-_ZN7rocprim17ROCPRIM_400000_NS6detail17trampoline_kernelINS0_14default_configENS1_33run_length_encode_config_selectorIsjNS0_4plusIjEEEEZZNS1_33reduce_by_key_impl_wrapped_configILNS1_25lookback_scan_determinismE0ES3_S7_PKsNS0_17constant_iteratorIjlEEPsPlSF_S6_NS0_8equal_toIsEEEE10hipError_tPvRmT2_T3_mT4_T5_T6_T7_T8_P12ihipStream_tbENKUlT_T0_E_clISt17integral_constantIbLb1EESZ_EEDaSU_SV_EUlSU_E_NS1_11comp_targetILNS1_3genE4ELNS1_11target_archE910ELNS1_3gpuE8ELNS1_3repE0EEENS1_30default_config_static_selectorELNS0_4arch9wavefront6targetE1EEEvT1_
                                        ; -- End function
	.section	.AMDGPU.csdata,"",@progbits
; Kernel info:
; codeLenInByte = 13672
; NumSgprs: 68
; NumVgprs: 65
; NumAgprs: 0
; TotalNumVgprs: 65
; ScratchSize: 0
; MemoryBound: 0
; FloatMode: 240
; IeeeMode: 1
; LDSByteSize: 10752 bytes/workgroup (compile time only)
; SGPRBlocks: 8
; VGPRBlocks: 8
; NumSGPRsForWavesPerEU: 68
; NumVGPRsForWavesPerEU: 65
; AccumOffset: 68
; Occupancy: 5
; WaveLimiterHint : 1
; COMPUTE_PGM_RSRC2:SCRATCH_EN: 0
; COMPUTE_PGM_RSRC2:USER_SGPR: 6
; COMPUTE_PGM_RSRC2:TRAP_HANDLER: 0
; COMPUTE_PGM_RSRC2:TGID_X_EN: 1
; COMPUTE_PGM_RSRC2:TGID_Y_EN: 0
; COMPUTE_PGM_RSRC2:TGID_Z_EN: 0
; COMPUTE_PGM_RSRC2:TIDIG_COMP_CNT: 0
; COMPUTE_PGM_RSRC3_GFX90A:ACCUM_OFFSET: 16
; COMPUTE_PGM_RSRC3_GFX90A:TG_SPLIT: 0
	.section	.text._ZN7rocprim17ROCPRIM_400000_NS6detail17trampoline_kernelINS0_14default_configENS1_33run_length_encode_config_selectorIsjNS0_4plusIjEEEEZZNS1_33reduce_by_key_impl_wrapped_configILNS1_25lookback_scan_determinismE0ES3_S7_PKsNS0_17constant_iteratorIjlEEPsPlSF_S6_NS0_8equal_toIsEEEE10hipError_tPvRmT2_T3_mT4_T5_T6_T7_T8_P12ihipStream_tbENKUlT_T0_E_clISt17integral_constantIbLb1EESZ_EEDaSU_SV_EUlSU_E_NS1_11comp_targetILNS1_3genE3ELNS1_11target_archE908ELNS1_3gpuE7ELNS1_3repE0EEENS1_30default_config_static_selectorELNS0_4arch9wavefront6targetE1EEEvT1_,"axG",@progbits,_ZN7rocprim17ROCPRIM_400000_NS6detail17trampoline_kernelINS0_14default_configENS1_33run_length_encode_config_selectorIsjNS0_4plusIjEEEEZZNS1_33reduce_by_key_impl_wrapped_configILNS1_25lookback_scan_determinismE0ES3_S7_PKsNS0_17constant_iteratorIjlEEPsPlSF_S6_NS0_8equal_toIsEEEE10hipError_tPvRmT2_T3_mT4_T5_T6_T7_T8_P12ihipStream_tbENKUlT_T0_E_clISt17integral_constantIbLb1EESZ_EEDaSU_SV_EUlSU_E_NS1_11comp_targetILNS1_3genE3ELNS1_11target_archE908ELNS1_3gpuE7ELNS1_3repE0EEENS1_30default_config_static_selectorELNS0_4arch9wavefront6targetE1EEEvT1_,comdat
	.protected	_ZN7rocprim17ROCPRIM_400000_NS6detail17trampoline_kernelINS0_14default_configENS1_33run_length_encode_config_selectorIsjNS0_4plusIjEEEEZZNS1_33reduce_by_key_impl_wrapped_configILNS1_25lookback_scan_determinismE0ES3_S7_PKsNS0_17constant_iteratorIjlEEPsPlSF_S6_NS0_8equal_toIsEEEE10hipError_tPvRmT2_T3_mT4_T5_T6_T7_T8_P12ihipStream_tbENKUlT_T0_E_clISt17integral_constantIbLb1EESZ_EEDaSU_SV_EUlSU_E_NS1_11comp_targetILNS1_3genE3ELNS1_11target_archE908ELNS1_3gpuE7ELNS1_3repE0EEENS1_30default_config_static_selectorELNS0_4arch9wavefront6targetE1EEEvT1_ ; -- Begin function _ZN7rocprim17ROCPRIM_400000_NS6detail17trampoline_kernelINS0_14default_configENS1_33run_length_encode_config_selectorIsjNS0_4plusIjEEEEZZNS1_33reduce_by_key_impl_wrapped_configILNS1_25lookback_scan_determinismE0ES3_S7_PKsNS0_17constant_iteratorIjlEEPsPlSF_S6_NS0_8equal_toIsEEEE10hipError_tPvRmT2_T3_mT4_T5_T6_T7_T8_P12ihipStream_tbENKUlT_T0_E_clISt17integral_constantIbLb1EESZ_EEDaSU_SV_EUlSU_E_NS1_11comp_targetILNS1_3genE3ELNS1_11target_archE908ELNS1_3gpuE7ELNS1_3repE0EEENS1_30default_config_static_selectorELNS0_4arch9wavefront6targetE1EEEvT1_
	.globl	_ZN7rocprim17ROCPRIM_400000_NS6detail17trampoline_kernelINS0_14default_configENS1_33run_length_encode_config_selectorIsjNS0_4plusIjEEEEZZNS1_33reduce_by_key_impl_wrapped_configILNS1_25lookback_scan_determinismE0ES3_S7_PKsNS0_17constant_iteratorIjlEEPsPlSF_S6_NS0_8equal_toIsEEEE10hipError_tPvRmT2_T3_mT4_T5_T6_T7_T8_P12ihipStream_tbENKUlT_T0_E_clISt17integral_constantIbLb1EESZ_EEDaSU_SV_EUlSU_E_NS1_11comp_targetILNS1_3genE3ELNS1_11target_archE908ELNS1_3gpuE7ELNS1_3repE0EEENS1_30default_config_static_selectorELNS0_4arch9wavefront6targetE1EEEvT1_
	.p2align	8
	.type	_ZN7rocprim17ROCPRIM_400000_NS6detail17trampoline_kernelINS0_14default_configENS1_33run_length_encode_config_selectorIsjNS0_4plusIjEEEEZZNS1_33reduce_by_key_impl_wrapped_configILNS1_25lookback_scan_determinismE0ES3_S7_PKsNS0_17constant_iteratorIjlEEPsPlSF_S6_NS0_8equal_toIsEEEE10hipError_tPvRmT2_T3_mT4_T5_T6_T7_T8_P12ihipStream_tbENKUlT_T0_E_clISt17integral_constantIbLb1EESZ_EEDaSU_SV_EUlSU_E_NS1_11comp_targetILNS1_3genE3ELNS1_11target_archE908ELNS1_3gpuE7ELNS1_3repE0EEENS1_30default_config_static_selectorELNS0_4arch9wavefront6targetE1EEEvT1_,@function
_ZN7rocprim17ROCPRIM_400000_NS6detail17trampoline_kernelINS0_14default_configENS1_33run_length_encode_config_selectorIsjNS0_4plusIjEEEEZZNS1_33reduce_by_key_impl_wrapped_configILNS1_25lookback_scan_determinismE0ES3_S7_PKsNS0_17constant_iteratorIjlEEPsPlSF_S6_NS0_8equal_toIsEEEE10hipError_tPvRmT2_T3_mT4_T5_T6_T7_T8_P12ihipStream_tbENKUlT_T0_E_clISt17integral_constantIbLb1EESZ_EEDaSU_SV_EUlSU_E_NS1_11comp_targetILNS1_3genE3ELNS1_11target_archE908ELNS1_3gpuE7ELNS1_3repE0EEENS1_30default_config_static_selectorELNS0_4arch9wavefront6targetE1EEEvT1_: ; @_ZN7rocprim17ROCPRIM_400000_NS6detail17trampoline_kernelINS0_14default_configENS1_33run_length_encode_config_selectorIsjNS0_4plusIjEEEEZZNS1_33reduce_by_key_impl_wrapped_configILNS1_25lookback_scan_determinismE0ES3_S7_PKsNS0_17constant_iteratorIjlEEPsPlSF_S6_NS0_8equal_toIsEEEE10hipError_tPvRmT2_T3_mT4_T5_T6_T7_T8_P12ihipStream_tbENKUlT_T0_E_clISt17integral_constantIbLb1EESZ_EEDaSU_SV_EUlSU_E_NS1_11comp_targetILNS1_3genE3ELNS1_11target_archE908ELNS1_3gpuE7ELNS1_3repE0EEENS1_30default_config_static_selectorELNS0_4arch9wavefront6targetE1EEEvT1_
; %bb.0:
	.section	.rodata,"a",@progbits
	.p2align	6, 0x0
	.amdhsa_kernel _ZN7rocprim17ROCPRIM_400000_NS6detail17trampoline_kernelINS0_14default_configENS1_33run_length_encode_config_selectorIsjNS0_4plusIjEEEEZZNS1_33reduce_by_key_impl_wrapped_configILNS1_25lookback_scan_determinismE0ES3_S7_PKsNS0_17constant_iteratorIjlEEPsPlSF_S6_NS0_8equal_toIsEEEE10hipError_tPvRmT2_T3_mT4_T5_T6_T7_T8_P12ihipStream_tbENKUlT_T0_E_clISt17integral_constantIbLb1EESZ_EEDaSU_SV_EUlSU_E_NS1_11comp_targetILNS1_3genE3ELNS1_11target_archE908ELNS1_3gpuE7ELNS1_3repE0EEENS1_30default_config_static_selectorELNS0_4arch9wavefront6targetE1EEEvT1_
		.amdhsa_group_segment_fixed_size 0
		.amdhsa_private_segment_fixed_size 0
		.amdhsa_kernarg_size 128
		.amdhsa_user_sgpr_count 6
		.amdhsa_user_sgpr_private_segment_buffer 1
		.amdhsa_user_sgpr_dispatch_ptr 0
		.amdhsa_user_sgpr_queue_ptr 0
		.amdhsa_user_sgpr_kernarg_segment_ptr 1
		.amdhsa_user_sgpr_dispatch_id 0
		.amdhsa_user_sgpr_flat_scratch_init 0
		.amdhsa_user_sgpr_kernarg_preload_length 0
		.amdhsa_user_sgpr_kernarg_preload_offset 0
		.amdhsa_user_sgpr_private_segment_size 0
		.amdhsa_uses_dynamic_stack 0
		.amdhsa_system_sgpr_private_segment_wavefront_offset 0
		.amdhsa_system_sgpr_workgroup_id_x 1
		.amdhsa_system_sgpr_workgroup_id_y 0
		.amdhsa_system_sgpr_workgroup_id_z 0
		.amdhsa_system_sgpr_workgroup_info 0
		.amdhsa_system_vgpr_workitem_id 0
		.amdhsa_next_free_vgpr 1
		.amdhsa_next_free_sgpr 0
		.amdhsa_accum_offset 4
		.amdhsa_reserve_vcc 0
		.amdhsa_reserve_flat_scratch 0
		.amdhsa_float_round_mode_32 0
		.amdhsa_float_round_mode_16_64 0
		.amdhsa_float_denorm_mode_32 3
		.amdhsa_float_denorm_mode_16_64 3
		.amdhsa_dx10_clamp 1
		.amdhsa_ieee_mode 1
		.amdhsa_fp16_overflow 0
		.amdhsa_tg_split 0
		.amdhsa_exception_fp_ieee_invalid_op 0
		.amdhsa_exception_fp_denorm_src 0
		.amdhsa_exception_fp_ieee_div_zero 0
		.amdhsa_exception_fp_ieee_overflow 0
		.amdhsa_exception_fp_ieee_underflow 0
		.amdhsa_exception_fp_ieee_inexact 0
		.amdhsa_exception_int_div_zero 0
	.end_amdhsa_kernel
	.section	.text._ZN7rocprim17ROCPRIM_400000_NS6detail17trampoline_kernelINS0_14default_configENS1_33run_length_encode_config_selectorIsjNS0_4plusIjEEEEZZNS1_33reduce_by_key_impl_wrapped_configILNS1_25lookback_scan_determinismE0ES3_S7_PKsNS0_17constant_iteratorIjlEEPsPlSF_S6_NS0_8equal_toIsEEEE10hipError_tPvRmT2_T3_mT4_T5_T6_T7_T8_P12ihipStream_tbENKUlT_T0_E_clISt17integral_constantIbLb1EESZ_EEDaSU_SV_EUlSU_E_NS1_11comp_targetILNS1_3genE3ELNS1_11target_archE908ELNS1_3gpuE7ELNS1_3repE0EEENS1_30default_config_static_selectorELNS0_4arch9wavefront6targetE1EEEvT1_,"axG",@progbits,_ZN7rocprim17ROCPRIM_400000_NS6detail17trampoline_kernelINS0_14default_configENS1_33run_length_encode_config_selectorIsjNS0_4plusIjEEEEZZNS1_33reduce_by_key_impl_wrapped_configILNS1_25lookback_scan_determinismE0ES3_S7_PKsNS0_17constant_iteratorIjlEEPsPlSF_S6_NS0_8equal_toIsEEEE10hipError_tPvRmT2_T3_mT4_T5_T6_T7_T8_P12ihipStream_tbENKUlT_T0_E_clISt17integral_constantIbLb1EESZ_EEDaSU_SV_EUlSU_E_NS1_11comp_targetILNS1_3genE3ELNS1_11target_archE908ELNS1_3gpuE7ELNS1_3repE0EEENS1_30default_config_static_selectorELNS0_4arch9wavefront6targetE1EEEvT1_,comdat
.Lfunc_end592:
	.size	_ZN7rocprim17ROCPRIM_400000_NS6detail17trampoline_kernelINS0_14default_configENS1_33run_length_encode_config_selectorIsjNS0_4plusIjEEEEZZNS1_33reduce_by_key_impl_wrapped_configILNS1_25lookback_scan_determinismE0ES3_S7_PKsNS0_17constant_iteratorIjlEEPsPlSF_S6_NS0_8equal_toIsEEEE10hipError_tPvRmT2_T3_mT4_T5_T6_T7_T8_P12ihipStream_tbENKUlT_T0_E_clISt17integral_constantIbLb1EESZ_EEDaSU_SV_EUlSU_E_NS1_11comp_targetILNS1_3genE3ELNS1_11target_archE908ELNS1_3gpuE7ELNS1_3repE0EEENS1_30default_config_static_selectorELNS0_4arch9wavefront6targetE1EEEvT1_, .Lfunc_end592-_ZN7rocprim17ROCPRIM_400000_NS6detail17trampoline_kernelINS0_14default_configENS1_33run_length_encode_config_selectorIsjNS0_4plusIjEEEEZZNS1_33reduce_by_key_impl_wrapped_configILNS1_25lookback_scan_determinismE0ES3_S7_PKsNS0_17constant_iteratorIjlEEPsPlSF_S6_NS0_8equal_toIsEEEE10hipError_tPvRmT2_T3_mT4_T5_T6_T7_T8_P12ihipStream_tbENKUlT_T0_E_clISt17integral_constantIbLb1EESZ_EEDaSU_SV_EUlSU_E_NS1_11comp_targetILNS1_3genE3ELNS1_11target_archE908ELNS1_3gpuE7ELNS1_3repE0EEENS1_30default_config_static_selectorELNS0_4arch9wavefront6targetE1EEEvT1_
                                        ; -- End function
	.section	.AMDGPU.csdata,"",@progbits
; Kernel info:
; codeLenInByte = 0
; NumSgprs: 4
; NumVgprs: 0
; NumAgprs: 0
; TotalNumVgprs: 0
; ScratchSize: 0
; MemoryBound: 0
; FloatMode: 240
; IeeeMode: 1
; LDSByteSize: 0 bytes/workgroup (compile time only)
; SGPRBlocks: 0
; VGPRBlocks: 0
; NumSGPRsForWavesPerEU: 4
; NumVGPRsForWavesPerEU: 1
; AccumOffset: 4
; Occupancy: 8
; WaveLimiterHint : 0
; COMPUTE_PGM_RSRC2:SCRATCH_EN: 0
; COMPUTE_PGM_RSRC2:USER_SGPR: 6
; COMPUTE_PGM_RSRC2:TRAP_HANDLER: 0
; COMPUTE_PGM_RSRC2:TGID_X_EN: 1
; COMPUTE_PGM_RSRC2:TGID_Y_EN: 0
; COMPUTE_PGM_RSRC2:TGID_Z_EN: 0
; COMPUTE_PGM_RSRC2:TIDIG_COMP_CNT: 0
; COMPUTE_PGM_RSRC3_GFX90A:ACCUM_OFFSET: 0
; COMPUTE_PGM_RSRC3_GFX90A:TG_SPLIT: 0
	.section	.text._ZN7rocprim17ROCPRIM_400000_NS6detail17trampoline_kernelINS0_14default_configENS1_33run_length_encode_config_selectorIsjNS0_4plusIjEEEEZZNS1_33reduce_by_key_impl_wrapped_configILNS1_25lookback_scan_determinismE0ES3_S7_PKsNS0_17constant_iteratorIjlEEPsPlSF_S6_NS0_8equal_toIsEEEE10hipError_tPvRmT2_T3_mT4_T5_T6_T7_T8_P12ihipStream_tbENKUlT_T0_E_clISt17integral_constantIbLb1EESZ_EEDaSU_SV_EUlSU_E_NS1_11comp_targetILNS1_3genE2ELNS1_11target_archE906ELNS1_3gpuE6ELNS1_3repE0EEENS1_30default_config_static_selectorELNS0_4arch9wavefront6targetE1EEEvT1_,"axG",@progbits,_ZN7rocprim17ROCPRIM_400000_NS6detail17trampoline_kernelINS0_14default_configENS1_33run_length_encode_config_selectorIsjNS0_4plusIjEEEEZZNS1_33reduce_by_key_impl_wrapped_configILNS1_25lookback_scan_determinismE0ES3_S7_PKsNS0_17constant_iteratorIjlEEPsPlSF_S6_NS0_8equal_toIsEEEE10hipError_tPvRmT2_T3_mT4_T5_T6_T7_T8_P12ihipStream_tbENKUlT_T0_E_clISt17integral_constantIbLb1EESZ_EEDaSU_SV_EUlSU_E_NS1_11comp_targetILNS1_3genE2ELNS1_11target_archE906ELNS1_3gpuE6ELNS1_3repE0EEENS1_30default_config_static_selectorELNS0_4arch9wavefront6targetE1EEEvT1_,comdat
	.protected	_ZN7rocprim17ROCPRIM_400000_NS6detail17trampoline_kernelINS0_14default_configENS1_33run_length_encode_config_selectorIsjNS0_4plusIjEEEEZZNS1_33reduce_by_key_impl_wrapped_configILNS1_25lookback_scan_determinismE0ES3_S7_PKsNS0_17constant_iteratorIjlEEPsPlSF_S6_NS0_8equal_toIsEEEE10hipError_tPvRmT2_T3_mT4_T5_T6_T7_T8_P12ihipStream_tbENKUlT_T0_E_clISt17integral_constantIbLb1EESZ_EEDaSU_SV_EUlSU_E_NS1_11comp_targetILNS1_3genE2ELNS1_11target_archE906ELNS1_3gpuE6ELNS1_3repE0EEENS1_30default_config_static_selectorELNS0_4arch9wavefront6targetE1EEEvT1_ ; -- Begin function _ZN7rocprim17ROCPRIM_400000_NS6detail17trampoline_kernelINS0_14default_configENS1_33run_length_encode_config_selectorIsjNS0_4plusIjEEEEZZNS1_33reduce_by_key_impl_wrapped_configILNS1_25lookback_scan_determinismE0ES3_S7_PKsNS0_17constant_iteratorIjlEEPsPlSF_S6_NS0_8equal_toIsEEEE10hipError_tPvRmT2_T3_mT4_T5_T6_T7_T8_P12ihipStream_tbENKUlT_T0_E_clISt17integral_constantIbLb1EESZ_EEDaSU_SV_EUlSU_E_NS1_11comp_targetILNS1_3genE2ELNS1_11target_archE906ELNS1_3gpuE6ELNS1_3repE0EEENS1_30default_config_static_selectorELNS0_4arch9wavefront6targetE1EEEvT1_
	.globl	_ZN7rocprim17ROCPRIM_400000_NS6detail17trampoline_kernelINS0_14default_configENS1_33run_length_encode_config_selectorIsjNS0_4plusIjEEEEZZNS1_33reduce_by_key_impl_wrapped_configILNS1_25lookback_scan_determinismE0ES3_S7_PKsNS0_17constant_iteratorIjlEEPsPlSF_S6_NS0_8equal_toIsEEEE10hipError_tPvRmT2_T3_mT4_T5_T6_T7_T8_P12ihipStream_tbENKUlT_T0_E_clISt17integral_constantIbLb1EESZ_EEDaSU_SV_EUlSU_E_NS1_11comp_targetILNS1_3genE2ELNS1_11target_archE906ELNS1_3gpuE6ELNS1_3repE0EEENS1_30default_config_static_selectorELNS0_4arch9wavefront6targetE1EEEvT1_
	.p2align	8
	.type	_ZN7rocprim17ROCPRIM_400000_NS6detail17trampoline_kernelINS0_14default_configENS1_33run_length_encode_config_selectorIsjNS0_4plusIjEEEEZZNS1_33reduce_by_key_impl_wrapped_configILNS1_25lookback_scan_determinismE0ES3_S7_PKsNS0_17constant_iteratorIjlEEPsPlSF_S6_NS0_8equal_toIsEEEE10hipError_tPvRmT2_T3_mT4_T5_T6_T7_T8_P12ihipStream_tbENKUlT_T0_E_clISt17integral_constantIbLb1EESZ_EEDaSU_SV_EUlSU_E_NS1_11comp_targetILNS1_3genE2ELNS1_11target_archE906ELNS1_3gpuE6ELNS1_3repE0EEENS1_30default_config_static_selectorELNS0_4arch9wavefront6targetE1EEEvT1_,@function
_ZN7rocprim17ROCPRIM_400000_NS6detail17trampoline_kernelINS0_14default_configENS1_33run_length_encode_config_selectorIsjNS0_4plusIjEEEEZZNS1_33reduce_by_key_impl_wrapped_configILNS1_25lookback_scan_determinismE0ES3_S7_PKsNS0_17constant_iteratorIjlEEPsPlSF_S6_NS0_8equal_toIsEEEE10hipError_tPvRmT2_T3_mT4_T5_T6_T7_T8_P12ihipStream_tbENKUlT_T0_E_clISt17integral_constantIbLb1EESZ_EEDaSU_SV_EUlSU_E_NS1_11comp_targetILNS1_3genE2ELNS1_11target_archE906ELNS1_3gpuE6ELNS1_3repE0EEENS1_30default_config_static_selectorELNS0_4arch9wavefront6targetE1EEEvT1_: ; @_ZN7rocprim17ROCPRIM_400000_NS6detail17trampoline_kernelINS0_14default_configENS1_33run_length_encode_config_selectorIsjNS0_4plusIjEEEEZZNS1_33reduce_by_key_impl_wrapped_configILNS1_25lookback_scan_determinismE0ES3_S7_PKsNS0_17constant_iteratorIjlEEPsPlSF_S6_NS0_8equal_toIsEEEE10hipError_tPvRmT2_T3_mT4_T5_T6_T7_T8_P12ihipStream_tbENKUlT_T0_E_clISt17integral_constantIbLb1EESZ_EEDaSU_SV_EUlSU_E_NS1_11comp_targetILNS1_3genE2ELNS1_11target_archE906ELNS1_3gpuE6ELNS1_3repE0EEENS1_30default_config_static_selectorELNS0_4arch9wavefront6targetE1EEEvT1_
; %bb.0:
	.section	.rodata,"a",@progbits
	.p2align	6, 0x0
	.amdhsa_kernel _ZN7rocprim17ROCPRIM_400000_NS6detail17trampoline_kernelINS0_14default_configENS1_33run_length_encode_config_selectorIsjNS0_4plusIjEEEEZZNS1_33reduce_by_key_impl_wrapped_configILNS1_25lookback_scan_determinismE0ES3_S7_PKsNS0_17constant_iteratorIjlEEPsPlSF_S6_NS0_8equal_toIsEEEE10hipError_tPvRmT2_T3_mT4_T5_T6_T7_T8_P12ihipStream_tbENKUlT_T0_E_clISt17integral_constantIbLb1EESZ_EEDaSU_SV_EUlSU_E_NS1_11comp_targetILNS1_3genE2ELNS1_11target_archE906ELNS1_3gpuE6ELNS1_3repE0EEENS1_30default_config_static_selectorELNS0_4arch9wavefront6targetE1EEEvT1_
		.amdhsa_group_segment_fixed_size 0
		.amdhsa_private_segment_fixed_size 0
		.amdhsa_kernarg_size 128
		.amdhsa_user_sgpr_count 6
		.amdhsa_user_sgpr_private_segment_buffer 1
		.amdhsa_user_sgpr_dispatch_ptr 0
		.amdhsa_user_sgpr_queue_ptr 0
		.amdhsa_user_sgpr_kernarg_segment_ptr 1
		.amdhsa_user_sgpr_dispatch_id 0
		.amdhsa_user_sgpr_flat_scratch_init 0
		.amdhsa_user_sgpr_kernarg_preload_length 0
		.amdhsa_user_sgpr_kernarg_preload_offset 0
		.amdhsa_user_sgpr_private_segment_size 0
		.amdhsa_uses_dynamic_stack 0
		.amdhsa_system_sgpr_private_segment_wavefront_offset 0
		.amdhsa_system_sgpr_workgroup_id_x 1
		.amdhsa_system_sgpr_workgroup_id_y 0
		.amdhsa_system_sgpr_workgroup_id_z 0
		.amdhsa_system_sgpr_workgroup_info 0
		.amdhsa_system_vgpr_workitem_id 0
		.amdhsa_next_free_vgpr 1
		.amdhsa_next_free_sgpr 0
		.amdhsa_accum_offset 4
		.amdhsa_reserve_vcc 0
		.amdhsa_reserve_flat_scratch 0
		.amdhsa_float_round_mode_32 0
		.amdhsa_float_round_mode_16_64 0
		.amdhsa_float_denorm_mode_32 3
		.amdhsa_float_denorm_mode_16_64 3
		.amdhsa_dx10_clamp 1
		.amdhsa_ieee_mode 1
		.amdhsa_fp16_overflow 0
		.amdhsa_tg_split 0
		.amdhsa_exception_fp_ieee_invalid_op 0
		.amdhsa_exception_fp_denorm_src 0
		.amdhsa_exception_fp_ieee_div_zero 0
		.amdhsa_exception_fp_ieee_overflow 0
		.amdhsa_exception_fp_ieee_underflow 0
		.amdhsa_exception_fp_ieee_inexact 0
		.amdhsa_exception_int_div_zero 0
	.end_amdhsa_kernel
	.section	.text._ZN7rocprim17ROCPRIM_400000_NS6detail17trampoline_kernelINS0_14default_configENS1_33run_length_encode_config_selectorIsjNS0_4plusIjEEEEZZNS1_33reduce_by_key_impl_wrapped_configILNS1_25lookback_scan_determinismE0ES3_S7_PKsNS0_17constant_iteratorIjlEEPsPlSF_S6_NS0_8equal_toIsEEEE10hipError_tPvRmT2_T3_mT4_T5_T6_T7_T8_P12ihipStream_tbENKUlT_T0_E_clISt17integral_constantIbLb1EESZ_EEDaSU_SV_EUlSU_E_NS1_11comp_targetILNS1_3genE2ELNS1_11target_archE906ELNS1_3gpuE6ELNS1_3repE0EEENS1_30default_config_static_selectorELNS0_4arch9wavefront6targetE1EEEvT1_,"axG",@progbits,_ZN7rocprim17ROCPRIM_400000_NS6detail17trampoline_kernelINS0_14default_configENS1_33run_length_encode_config_selectorIsjNS0_4plusIjEEEEZZNS1_33reduce_by_key_impl_wrapped_configILNS1_25lookback_scan_determinismE0ES3_S7_PKsNS0_17constant_iteratorIjlEEPsPlSF_S6_NS0_8equal_toIsEEEE10hipError_tPvRmT2_T3_mT4_T5_T6_T7_T8_P12ihipStream_tbENKUlT_T0_E_clISt17integral_constantIbLb1EESZ_EEDaSU_SV_EUlSU_E_NS1_11comp_targetILNS1_3genE2ELNS1_11target_archE906ELNS1_3gpuE6ELNS1_3repE0EEENS1_30default_config_static_selectorELNS0_4arch9wavefront6targetE1EEEvT1_,comdat
.Lfunc_end593:
	.size	_ZN7rocprim17ROCPRIM_400000_NS6detail17trampoline_kernelINS0_14default_configENS1_33run_length_encode_config_selectorIsjNS0_4plusIjEEEEZZNS1_33reduce_by_key_impl_wrapped_configILNS1_25lookback_scan_determinismE0ES3_S7_PKsNS0_17constant_iteratorIjlEEPsPlSF_S6_NS0_8equal_toIsEEEE10hipError_tPvRmT2_T3_mT4_T5_T6_T7_T8_P12ihipStream_tbENKUlT_T0_E_clISt17integral_constantIbLb1EESZ_EEDaSU_SV_EUlSU_E_NS1_11comp_targetILNS1_3genE2ELNS1_11target_archE906ELNS1_3gpuE6ELNS1_3repE0EEENS1_30default_config_static_selectorELNS0_4arch9wavefront6targetE1EEEvT1_, .Lfunc_end593-_ZN7rocprim17ROCPRIM_400000_NS6detail17trampoline_kernelINS0_14default_configENS1_33run_length_encode_config_selectorIsjNS0_4plusIjEEEEZZNS1_33reduce_by_key_impl_wrapped_configILNS1_25lookback_scan_determinismE0ES3_S7_PKsNS0_17constant_iteratorIjlEEPsPlSF_S6_NS0_8equal_toIsEEEE10hipError_tPvRmT2_T3_mT4_T5_T6_T7_T8_P12ihipStream_tbENKUlT_T0_E_clISt17integral_constantIbLb1EESZ_EEDaSU_SV_EUlSU_E_NS1_11comp_targetILNS1_3genE2ELNS1_11target_archE906ELNS1_3gpuE6ELNS1_3repE0EEENS1_30default_config_static_selectorELNS0_4arch9wavefront6targetE1EEEvT1_
                                        ; -- End function
	.section	.AMDGPU.csdata,"",@progbits
; Kernel info:
; codeLenInByte = 0
; NumSgprs: 4
; NumVgprs: 0
; NumAgprs: 0
; TotalNumVgprs: 0
; ScratchSize: 0
; MemoryBound: 0
; FloatMode: 240
; IeeeMode: 1
; LDSByteSize: 0 bytes/workgroup (compile time only)
; SGPRBlocks: 0
; VGPRBlocks: 0
; NumSGPRsForWavesPerEU: 4
; NumVGPRsForWavesPerEU: 1
; AccumOffset: 4
; Occupancy: 8
; WaveLimiterHint : 0
; COMPUTE_PGM_RSRC2:SCRATCH_EN: 0
; COMPUTE_PGM_RSRC2:USER_SGPR: 6
; COMPUTE_PGM_RSRC2:TRAP_HANDLER: 0
; COMPUTE_PGM_RSRC2:TGID_X_EN: 1
; COMPUTE_PGM_RSRC2:TGID_Y_EN: 0
; COMPUTE_PGM_RSRC2:TGID_Z_EN: 0
; COMPUTE_PGM_RSRC2:TIDIG_COMP_CNT: 0
; COMPUTE_PGM_RSRC3_GFX90A:ACCUM_OFFSET: 0
; COMPUTE_PGM_RSRC3_GFX90A:TG_SPLIT: 0
	.section	.text._ZN7rocprim17ROCPRIM_400000_NS6detail17trampoline_kernelINS0_14default_configENS1_33run_length_encode_config_selectorIsjNS0_4plusIjEEEEZZNS1_33reduce_by_key_impl_wrapped_configILNS1_25lookback_scan_determinismE0ES3_S7_PKsNS0_17constant_iteratorIjlEEPsPlSF_S6_NS0_8equal_toIsEEEE10hipError_tPvRmT2_T3_mT4_T5_T6_T7_T8_P12ihipStream_tbENKUlT_T0_E_clISt17integral_constantIbLb1EESZ_EEDaSU_SV_EUlSU_E_NS1_11comp_targetILNS1_3genE10ELNS1_11target_archE1201ELNS1_3gpuE5ELNS1_3repE0EEENS1_30default_config_static_selectorELNS0_4arch9wavefront6targetE1EEEvT1_,"axG",@progbits,_ZN7rocprim17ROCPRIM_400000_NS6detail17trampoline_kernelINS0_14default_configENS1_33run_length_encode_config_selectorIsjNS0_4plusIjEEEEZZNS1_33reduce_by_key_impl_wrapped_configILNS1_25lookback_scan_determinismE0ES3_S7_PKsNS0_17constant_iteratorIjlEEPsPlSF_S6_NS0_8equal_toIsEEEE10hipError_tPvRmT2_T3_mT4_T5_T6_T7_T8_P12ihipStream_tbENKUlT_T0_E_clISt17integral_constantIbLb1EESZ_EEDaSU_SV_EUlSU_E_NS1_11comp_targetILNS1_3genE10ELNS1_11target_archE1201ELNS1_3gpuE5ELNS1_3repE0EEENS1_30default_config_static_selectorELNS0_4arch9wavefront6targetE1EEEvT1_,comdat
	.protected	_ZN7rocprim17ROCPRIM_400000_NS6detail17trampoline_kernelINS0_14default_configENS1_33run_length_encode_config_selectorIsjNS0_4plusIjEEEEZZNS1_33reduce_by_key_impl_wrapped_configILNS1_25lookback_scan_determinismE0ES3_S7_PKsNS0_17constant_iteratorIjlEEPsPlSF_S6_NS0_8equal_toIsEEEE10hipError_tPvRmT2_T3_mT4_T5_T6_T7_T8_P12ihipStream_tbENKUlT_T0_E_clISt17integral_constantIbLb1EESZ_EEDaSU_SV_EUlSU_E_NS1_11comp_targetILNS1_3genE10ELNS1_11target_archE1201ELNS1_3gpuE5ELNS1_3repE0EEENS1_30default_config_static_selectorELNS0_4arch9wavefront6targetE1EEEvT1_ ; -- Begin function _ZN7rocprim17ROCPRIM_400000_NS6detail17trampoline_kernelINS0_14default_configENS1_33run_length_encode_config_selectorIsjNS0_4plusIjEEEEZZNS1_33reduce_by_key_impl_wrapped_configILNS1_25lookback_scan_determinismE0ES3_S7_PKsNS0_17constant_iteratorIjlEEPsPlSF_S6_NS0_8equal_toIsEEEE10hipError_tPvRmT2_T3_mT4_T5_T6_T7_T8_P12ihipStream_tbENKUlT_T0_E_clISt17integral_constantIbLb1EESZ_EEDaSU_SV_EUlSU_E_NS1_11comp_targetILNS1_3genE10ELNS1_11target_archE1201ELNS1_3gpuE5ELNS1_3repE0EEENS1_30default_config_static_selectorELNS0_4arch9wavefront6targetE1EEEvT1_
	.globl	_ZN7rocprim17ROCPRIM_400000_NS6detail17trampoline_kernelINS0_14default_configENS1_33run_length_encode_config_selectorIsjNS0_4plusIjEEEEZZNS1_33reduce_by_key_impl_wrapped_configILNS1_25lookback_scan_determinismE0ES3_S7_PKsNS0_17constant_iteratorIjlEEPsPlSF_S6_NS0_8equal_toIsEEEE10hipError_tPvRmT2_T3_mT4_T5_T6_T7_T8_P12ihipStream_tbENKUlT_T0_E_clISt17integral_constantIbLb1EESZ_EEDaSU_SV_EUlSU_E_NS1_11comp_targetILNS1_3genE10ELNS1_11target_archE1201ELNS1_3gpuE5ELNS1_3repE0EEENS1_30default_config_static_selectorELNS0_4arch9wavefront6targetE1EEEvT1_
	.p2align	8
	.type	_ZN7rocprim17ROCPRIM_400000_NS6detail17trampoline_kernelINS0_14default_configENS1_33run_length_encode_config_selectorIsjNS0_4plusIjEEEEZZNS1_33reduce_by_key_impl_wrapped_configILNS1_25lookback_scan_determinismE0ES3_S7_PKsNS0_17constant_iteratorIjlEEPsPlSF_S6_NS0_8equal_toIsEEEE10hipError_tPvRmT2_T3_mT4_T5_T6_T7_T8_P12ihipStream_tbENKUlT_T0_E_clISt17integral_constantIbLb1EESZ_EEDaSU_SV_EUlSU_E_NS1_11comp_targetILNS1_3genE10ELNS1_11target_archE1201ELNS1_3gpuE5ELNS1_3repE0EEENS1_30default_config_static_selectorELNS0_4arch9wavefront6targetE1EEEvT1_,@function
_ZN7rocprim17ROCPRIM_400000_NS6detail17trampoline_kernelINS0_14default_configENS1_33run_length_encode_config_selectorIsjNS0_4plusIjEEEEZZNS1_33reduce_by_key_impl_wrapped_configILNS1_25lookback_scan_determinismE0ES3_S7_PKsNS0_17constant_iteratorIjlEEPsPlSF_S6_NS0_8equal_toIsEEEE10hipError_tPvRmT2_T3_mT4_T5_T6_T7_T8_P12ihipStream_tbENKUlT_T0_E_clISt17integral_constantIbLb1EESZ_EEDaSU_SV_EUlSU_E_NS1_11comp_targetILNS1_3genE10ELNS1_11target_archE1201ELNS1_3gpuE5ELNS1_3repE0EEENS1_30default_config_static_selectorELNS0_4arch9wavefront6targetE1EEEvT1_: ; @_ZN7rocprim17ROCPRIM_400000_NS6detail17trampoline_kernelINS0_14default_configENS1_33run_length_encode_config_selectorIsjNS0_4plusIjEEEEZZNS1_33reduce_by_key_impl_wrapped_configILNS1_25lookback_scan_determinismE0ES3_S7_PKsNS0_17constant_iteratorIjlEEPsPlSF_S6_NS0_8equal_toIsEEEE10hipError_tPvRmT2_T3_mT4_T5_T6_T7_T8_P12ihipStream_tbENKUlT_T0_E_clISt17integral_constantIbLb1EESZ_EEDaSU_SV_EUlSU_E_NS1_11comp_targetILNS1_3genE10ELNS1_11target_archE1201ELNS1_3gpuE5ELNS1_3repE0EEENS1_30default_config_static_selectorELNS0_4arch9wavefront6targetE1EEEvT1_
; %bb.0:
	.section	.rodata,"a",@progbits
	.p2align	6, 0x0
	.amdhsa_kernel _ZN7rocprim17ROCPRIM_400000_NS6detail17trampoline_kernelINS0_14default_configENS1_33run_length_encode_config_selectorIsjNS0_4plusIjEEEEZZNS1_33reduce_by_key_impl_wrapped_configILNS1_25lookback_scan_determinismE0ES3_S7_PKsNS0_17constant_iteratorIjlEEPsPlSF_S6_NS0_8equal_toIsEEEE10hipError_tPvRmT2_T3_mT4_T5_T6_T7_T8_P12ihipStream_tbENKUlT_T0_E_clISt17integral_constantIbLb1EESZ_EEDaSU_SV_EUlSU_E_NS1_11comp_targetILNS1_3genE10ELNS1_11target_archE1201ELNS1_3gpuE5ELNS1_3repE0EEENS1_30default_config_static_selectorELNS0_4arch9wavefront6targetE1EEEvT1_
		.amdhsa_group_segment_fixed_size 0
		.amdhsa_private_segment_fixed_size 0
		.amdhsa_kernarg_size 128
		.amdhsa_user_sgpr_count 6
		.amdhsa_user_sgpr_private_segment_buffer 1
		.amdhsa_user_sgpr_dispatch_ptr 0
		.amdhsa_user_sgpr_queue_ptr 0
		.amdhsa_user_sgpr_kernarg_segment_ptr 1
		.amdhsa_user_sgpr_dispatch_id 0
		.amdhsa_user_sgpr_flat_scratch_init 0
		.amdhsa_user_sgpr_kernarg_preload_length 0
		.amdhsa_user_sgpr_kernarg_preload_offset 0
		.amdhsa_user_sgpr_private_segment_size 0
		.amdhsa_uses_dynamic_stack 0
		.amdhsa_system_sgpr_private_segment_wavefront_offset 0
		.amdhsa_system_sgpr_workgroup_id_x 1
		.amdhsa_system_sgpr_workgroup_id_y 0
		.amdhsa_system_sgpr_workgroup_id_z 0
		.amdhsa_system_sgpr_workgroup_info 0
		.amdhsa_system_vgpr_workitem_id 0
		.amdhsa_next_free_vgpr 1
		.amdhsa_next_free_sgpr 0
		.amdhsa_accum_offset 4
		.amdhsa_reserve_vcc 0
		.amdhsa_reserve_flat_scratch 0
		.amdhsa_float_round_mode_32 0
		.amdhsa_float_round_mode_16_64 0
		.amdhsa_float_denorm_mode_32 3
		.amdhsa_float_denorm_mode_16_64 3
		.amdhsa_dx10_clamp 1
		.amdhsa_ieee_mode 1
		.amdhsa_fp16_overflow 0
		.amdhsa_tg_split 0
		.amdhsa_exception_fp_ieee_invalid_op 0
		.amdhsa_exception_fp_denorm_src 0
		.amdhsa_exception_fp_ieee_div_zero 0
		.amdhsa_exception_fp_ieee_overflow 0
		.amdhsa_exception_fp_ieee_underflow 0
		.amdhsa_exception_fp_ieee_inexact 0
		.amdhsa_exception_int_div_zero 0
	.end_amdhsa_kernel
	.section	.text._ZN7rocprim17ROCPRIM_400000_NS6detail17trampoline_kernelINS0_14default_configENS1_33run_length_encode_config_selectorIsjNS0_4plusIjEEEEZZNS1_33reduce_by_key_impl_wrapped_configILNS1_25lookback_scan_determinismE0ES3_S7_PKsNS0_17constant_iteratorIjlEEPsPlSF_S6_NS0_8equal_toIsEEEE10hipError_tPvRmT2_T3_mT4_T5_T6_T7_T8_P12ihipStream_tbENKUlT_T0_E_clISt17integral_constantIbLb1EESZ_EEDaSU_SV_EUlSU_E_NS1_11comp_targetILNS1_3genE10ELNS1_11target_archE1201ELNS1_3gpuE5ELNS1_3repE0EEENS1_30default_config_static_selectorELNS0_4arch9wavefront6targetE1EEEvT1_,"axG",@progbits,_ZN7rocprim17ROCPRIM_400000_NS6detail17trampoline_kernelINS0_14default_configENS1_33run_length_encode_config_selectorIsjNS0_4plusIjEEEEZZNS1_33reduce_by_key_impl_wrapped_configILNS1_25lookback_scan_determinismE0ES3_S7_PKsNS0_17constant_iteratorIjlEEPsPlSF_S6_NS0_8equal_toIsEEEE10hipError_tPvRmT2_T3_mT4_T5_T6_T7_T8_P12ihipStream_tbENKUlT_T0_E_clISt17integral_constantIbLb1EESZ_EEDaSU_SV_EUlSU_E_NS1_11comp_targetILNS1_3genE10ELNS1_11target_archE1201ELNS1_3gpuE5ELNS1_3repE0EEENS1_30default_config_static_selectorELNS0_4arch9wavefront6targetE1EEEvT1_,comdat
.Lfunc_end594:
	.size	_ZN7rocprim17ROCPRIM_400000_NS6detail17trampoline_kernelINS0_14default_configENS1_33run_length_encode_config_selectorIsjNS0_4plusIjEEEEZZNS1_33reduce_by_key_impl_wrapped_configILNS1_25lookback_scan_determinismE0ES3_S7_PKsNS0_17constant_iteratorIjlEEPsPlSF_S6_NS0_8equal_toIsEEEE10hipError_tPvRmT2_T3_mT4_T5_T6_T7_T8_P12ihipStream_tbENKUlT_T0_E_clISt17integral_constantIbLb1EESZ_EEDaSU_SV_EUlSU_E_NS1_11comp_targetILNS1_3genE10ELNS1_11target_archE1201ELNS1_3gpuE5ELNS1_3repE0EEENS1_30default_config_static_selectorELNS0_4arch9wavefront6targetE1EEEvT1_, .Lfunc_end594-_ZN7rocprim17ROCPRIM_400000_NS6detail17trampoline_kernelINS0_14default_configENS1_33run_length_encode_config_selectorIsjNS0_4plusIjEEEEZZNS1_33reduce_by_key_impl_wrapped_configILNS1_25lookback_scan_determinismE0ES3_S7_PKsNS0_17constant_iteratorIjlEEPsPlSF_S6_NS0_8equal_toIsEEEE10hipError_tPvRmT2_T3_mT4_T5_T6_T7_T8_P12ihipStream_tbENKUlT_T0_E_clISt17integral_constantIbLb1EESZ_EEDaSU_SV_EUlSU_E_NS1_11comp_targetILNS1_3genE10ELNS1_11target_archE1201ELNS1_3gpuE5ELNS1_3repE0EEENS1_30default_config_static_selectorELNS0_4arch9wavefront6targetE1EEEvT1_
                                        ; -- End function
	.section	.AMDGPU.csdata,"",@progbits
; Kernel info:
; codeLenInByte = 0
; NumSgprs: 4
; NumVgprs: 0
; NumAgprs: 0
; TotalNumVgprs: 0
; ScratchSize: 0
; MemoryBound: 0
; FloatMode: 240
; IeeeMode: 1
; LDSByteSize: 0 bytes/workgroup (compile time only)
; SGPRBlocks: 0
; VGPRBlocks: 0
; NumSGPRsForWavesPerEU: 4
; NumVGPRsForWavesPerEU: 1
; AccumOffset: 4
; Occupancy: 8
; WaveLimiterHint : 0
; COMPUTE_PGM_RSRC2:SCRATCH_EN: 0
; COMPUTE_PGM_RSRC2:USER_SGPR: 6
; COMPUTE_PGM_RSRC2:TRAP_HANDLER: 0
; COMPUTE_PGM_RSRC2:TGID_X_EN: 1
; COMPUTE_PGM_RSRC2:TGID_Y_EN: 0
; COMPUTE_PGM_RSRC2:TGID_Z_EN: 0
; COMPUTE_PGM_RSRC2:TIDIG_COMP_CNT: 0
; COMPUTE_PGM_RSRC3_GFX90A:ACCUM_OFFSET: 0
; COMPUTE_PGM_RSRC3_GFX90A:TG_SPLIT: 0
	.section	.text._ZN7rocprim17ROCPRIM_400000_NS6detail17trampoline_kernelINS0_14default_configENS1_33run_length_encode_config_selectorIsjNS0_4plusIjEEEEZZNS1_33reduce_by_key_impl_wrapped_configILNS1_25lookback_scan_determinismE0ES3_S7_PKsNS0_17constant_iteratorIjlEEPsPlSF_S6_NS0_8equal_toIsEEEE10hipError_tPvRmT2_T3_mT4_T5_T6_T7_T8_P12ihipStream_tbENKUlT_T0_E_clISt17integral_constantIbLb1EESZ_EEDaSU_SV_EUlSU_E_NS1_11comp_targetILNS1_3genE10ELNS1_11target_archE1200ELNS1_3gpuE4ELNS1_3repE0EEENS1_30default_config_static_selectorELNS0_4arch9wavefront6targetE1EEEvT1_,"axG",@progbits,_ZN7rocprim17ROCPRIM_400000_NS6detail17trampoline_kernelINS0_14default_configENS1_33run_length_encode_config_selectorIsjNS0_4plusIjEEEEZZNS1_33reduce_by_key_impl_wrapped_configILNS1_25lookback_scan_determinismE0ES3_S7_PKsNS0_17constant_iteratorIjlEEPsPlSF_S6_NS0_8equal_toIsEEEE10hipError_tPvRmT2_T3_mT4_T5_T6_T7_T8_P12ihipStream_tbENKUlT_T0_E_clISt17integral_constantIbLb1EESZ_EEDaSU_SV_EUlSU_E_NS1_11comp_targetILNS1_3genE10ELNS1_11target_archE1200ELNS1_3gpuE4ELNS1_3repE0EEENS1_30default_config_static_selectorELNS0_4arch9wavefront6targetE1EEEvT1_,comdat
	.protected	_ZN7rocprim17ROCPRIM_400000_NS6detail17trampoline_kernelINS0_14default_configENS1_33run_length_encode_config_selectorIsjNS0_4plusIjEEEEZZNS1_33reduce_by_key_impl_wrapped_configILNS1_25lookback_scan_determinismE0ES3_S7_PKsNS0_17constant_iteratorIjlEEPsPlSF_S6_NS0_8equal_toIsEEEE10hipError_tPvRmT2_T3_mT4_T5_T6_T7_T8_P12ihipStream_tbENKUlT_T0_E_clISt17integral_constantIbLb1EESZ_EEDaSU_SV_EUlSU_E_NS1_11comp_targetILNS1_3genE10ELNS1_11target_archE1200ELNS1_3gpuE4ELNS1_3repE0EEENS1_30default_config_static_selectorELNS0_4arch9wavefront6targetE1EEEvT1_ ; -- Begin function _ZN7rocprim17ROCPRIM_400000_NS6detail17trampoline_kernelINS0_14default_configENS1_33run_length_encode_config_selectorIsjNS0_4plusIjEEEEZZNS1_33reduce_by_key_impl_wrapped_configILNS1_25lookback_scan_determinismE0ES3_S7_PKsNS0_17constant_iteratorIjlEEPsPlSF_S6_NS0_8equal_toIsEEEE10hipError_tPvRmT2_T3_mT4_T5_T6_T7_T8_P12ihipStream_tbENKUlT_T0_E_clISt17integral_constantIbLb1EESZ_EEDaSU_SV_EUlSU_E_NS1_11comp_targetILNS1_3genE10ELNS1_11target_archE1200ELNS1_3gpuE4ELNS1_3repE0EEENS1_30default_config_static_selectorELNS0_4arch9wavefront6targetE1EEEvT1_
	.globl	_ZN7rocprim17ROCPRIM_400000_NS6detail17trampoline_kernelINS0_14default_configENS1_33run_length_encode_config_selectorIsjNS0_4plusIjEEEEZZNS1_33reduce_by_key_impl_wrapped_configILNS1_25lookback_scan_determinismE0ES3_S7_PKsNS0_17constant_iteratorIjlEEPsPlSF_S6_NS0_8equal_toIsEEEE10hipError_tPvRmT2_T3_mT4_T5_T6_T7_T8_P12ihipStream_tbENKUlT_T0_E_clISt17integral_constantIbLb1EESZ_EEDaSU_SV_EUlSU_E_NS1_11comp_targetILNS1_3genE10ELNS1_11target_archE1200ELNS1_3gpuE4ELNS1_3repE0EEENS1_30default_config_static_selectorELNS0_4arch9wavefront6targetE1EEEvT1_
	.p2align	8
	.type	_ZN7rocprim17ROCPRIM_400000_NS6detail17trampoline_kernelINS0_14default_configENS1_33run_length_encode_config_selectorIsjNS0_4plusIjEEEEZZNS1_33reduce_by_key_impl_wrapped_configILNS1_25lookback_scan_determinismE0ES3_S7_PKsNS0_17constant_iteratorIjlEEPsPlSF_S6_NS0_8equal_toIsEEEE10hipError_tPvRmT2_T3_mT4_T5_T6_T7_T8_P12ihipStream_tbENKUlT_T0_E_clISt17integral_constantIbLb1EESZ_EEDaSU_SV_EUlSU_E_NS1_11comp_targetILNS1_3genE10ELNS1_11target_archE1200ELNS1_3gpuE4ELNS1_3repE0EEENS1_30default_config_static_selectorELNS0_4arch9wavefront6targetE1EEEvT1_,@function
_ZN7rocprim17ROCPRIM_400000_NS6detail17trampoline_kernelINS0_14default_configENS1_33run_length_encode_config_selectorIsjNS0_4plusIjEEEEZZNS1_33reduce_by_key_impl_wrapped_configILNS1_25lookback_scan_determinismE0ES3_S7_PKsNS0_17constant_iteratorIjlEEPsPlSF_S6_NS0_8equal_toIsEEEE10hipError_tPvRmT2_T3_mT4_T5_T6_T7_T8_P12ihipStream_tbENKUlT_T0_E_clISt17integral_constantIbLb1EESZ_EEDaSU_SV_EUlSU_E_NS1_11comp_targetILNS1_3genE10ELNS1_11target_archE1200ELNS1_3gpuE4ELNS1_3repE0EEENS1_30default_config_static_selectorELNS0_4arch9wavefront6targetE1EEEvT1_: ; @_ZN7rocprim17ROCPRIM_400000_NS6detail17trampoline_kernelINS0_14default_configENS1_33run_length_encode_config_selectorIsjNS0_4plusIjEEEEZZNS1_33reduce_by_key_impl_wrapped_configILNS1_25lookback_scan_determinismE0ES3_S7_PKsNS0_17constant_iteratorIjlEEPsPlSF_S6_NS0_8equal_toIsEEEE10hipError_tPvRmT2_T3_mT4_T5_T6_T7_T8_P12ihipStream_tbENKUlT_T0_E_clISt17integral_constantIbLb1EESZ_EEDaSU_SV_EUlSU_E_NS1_11comp_targetILNS1_3genE10ELNS1_11target_archE1200ELNS1_3gpuE4ELNS1_3repE0EEENS1_30default_config_static_selectorELNS0_4arch9wavefront6targetE1EEEvT1_
; %bb.0:
	.section	.rodata,"a",@progbits
	.p2align	6, 0x0
	.amdhsa_kernel _ZN7rocprim17ROCPRIM_400000_NS6detail17trampoline_kernelINS0_14default_configENS1_33run_length_encode_config_selectorIsjNS0_4plusIjEEEEZZNS1_33reduce_by_key_impl_wrapped_configILNS1_25lookback_scan_determinismE0ES3_S7_PKsNS0_17constant_iteratorIjlEEPsPlSF_S6_NS0_8equal_toIsEEEE10hipError_tPvRmT2_T3_mT4_T5_T6_T7_T8_P12ihipStream_tbENKUlT_T0_E_clISt17integral_constantIbLb1EESZ_EEDaSU_SV_EUlSU_E_NS1_11comp_targetILNS1_3genE10ELNS1_11target_archE1200ELNS1_3gpuE4ELNS1_3repE0EEENS1_30default_config_static_selectorELNS0_4arch9wavefront6targetE1EEEvT1_
		.amdhsa_group_segment_fixed_size 0
		.amdhsa_private_segment_fixed_size 0
		.amdhsa_kernarg_size 128
		.amdhsa_user_sgpr_count 6
		.amdhsa_user_sgpr_private_segment_buffer 1
		.amdhsa_user_sgpr_dispatch_ptr 0
		.amdhsa_user_sgpr_queue_ptr 0
		.amdhsa_user_sgpr_kernarg_segment_ptr 1
		.amdhsa_user_sgpr_dispatch_id 0
		.amdhsa_user_sgpr_flat_scratch_init 0
		.amdhsa_user_sgpr_kernarg_preload_length 0
		.amdhsa_user_sgpr_kernarg_preload_offset 0
		.amdhsa_user_sgpr_private_segment_size 0
		.amdhsa_uses_dynamic_stack 0
		.amdhsa_system_sgpr_private_segment_wavefront_offset 0
		.amdhsa_system_sgpr_workgroup_id_x 1
		.amdhsa_system_sgpr_workgroup_id_y 0
		.amdhsa_system_sgpr_workgroup_id_z 0
		.amdhsa_system_sgpr_workgroup_info 0
		.amdhsa_system_vgpr_workitem_id 0
		.amdhsa_next_free_vgpr 1
		.amdhsa_next_free_sgpr 0
		.amdhsa_accum_offset 4
		.amdhsa_reserve_vcc 0
		.amdhsa_reserve_flat_scratch 0
		.amdhsa_float_round_mode_32 0
		.amdhsa_float_round_mode_16_64 0
		.amdhsa_float_denorm_mode_32 3
		.amdhsa_float_denorm_mode_16_64 3
		.amdhsa_dx10_clamp 1
		.amdhsa_ieee_mode 1
		.amdhsa_fp16_overflow 0
		.amdhsa_tg_split 0
		.amdhsa_exception_fp_ieee_invalid_op 0
		.amdhsa_exception_fp_denorm_src 0
		.amdhsa_exception_fp_ieee_div_zero 0
		.amdhsa_exception_fp_ieee_overflow 0
		.amdhsa_exception_fp_ieee_underflow 0
		.amdhsa_exception_fp_ieee_inexact 0
		.amdhsa_exception_int_div_zero 0
	.end_amdhsa_kernel
	.section	.text._ZN7rocprim17ROCPRIM_400000_NS6detail17trampoline_kernelINS0_14default_configENS1_33run_length_encode_config_selectorIsjNS0_4plusIjEEEEZZNS1_33reduce_by_key_impl_wrapped_configILNS1_25lookback_scan_determinismE0ES3_S7_PKsNS0_17constant_iteratorIjlEEPsPlSF_S6_NS0_8equal_toIsEEEE10hipError_tPvRmT2_T3_mT4_T5_T6_T7_T8_P12ihipStream_tbENKUlT_T0_E_clISt17integral_constantIbLb1EESZ_EEDaSU_SV_EUlSU_E_NS1_11comp_targetILNS1_3genE10ELNS1_11target_archE1200ELNS1_3gpuE4ELNS1_3repE0EEENS1_30default_config_static_selectorELNS0_4arch9wavefront6targetE1EEEvT1_,"axG",@progbits,_ZN7rocprim17ROCPRIM_400000_NS6detail17trampoline_kernelINS0_14default_configENS1_33run_length_encode_config_selectorIsjNS0_4plusIjEEEEZZNS1_33reduce_by_key_impl_wrapped_configILNS1_25lookback_scan_determinismE0ES3_S7_PKsNS0_17constant_iteratorIjlEEPsPlSF_S6_NS0_8equal_toIsEEEE10hipError_tPvRmT2_T3_mT4_T5_T6_T7_T8_P12ihipStream_tbENKUlT_T0_E_clISt17integral_constantIbLb1EESZ_EEDaSU_SV_EUlSU_E_NS1_11comp_targetILNS1_3genE10ELNS1_11target_archE1200ELNS1_3gpuE4ELNS1_3repE0EEENS1_30default_config_static_selectorELNS0_4arch9wavefront6targetE1EEEvT1_,comdat
.Lfunc_end595:
	.size	_ZN7rocprim17ROCPRIM_400000_NS6detail17trampoline_kernelINS0_14default_configENS1_33run_length_encode_config_selectorIsjNS0_4plusIjEEEEZZNS1_33reduce_by_key_impl_wrapped_configILNS1_25lookback_scan_determinismE0ES3_S7_PKsNS0_17constant_iteratorIjlEEPsPlSF_S6_NS0_8equal_toIsEEEE10hipError_tPvRmT2_T3_mT4_T5_T6_T7_T8_P12ihipStream_tbENKUlT_T0_E_clISt17integral_constantIbLb1EESZ_EEDaSU_SV_EUlSU_E_NS1_11comp_targetILNS1_3genE10ELNS1_11target_archE1200ELNS1_3gpuE4ELNS1_3repE0EEENS1_30default_config_static_selectorELNS0_4arch9wavefront6targetE1EEEvT1_, .Lfunc_end595-_ZN7rocprim17ROCPRIM_400000_NS6detail17trampoline_kernelINS0_14default_configENS1_33run_length_encode_config_selectorIsjNS0_4plusIjEEEEZZNS1_33reduce_by_key_impl_wrapped_configILNS1_25lookback_scan_determinismE0ES3_S7_PKsNS0_17constant_iteratorIjlEEPsPlSF_S6_NS0_8equal_toIsEEEE10hipError_tPvRmT2_T3_mT4_T5_T6_T7_T8_P12ihipStream_tbENKUlT_T0_E_clISt17integral_constantIbLb1EESZ_EEDaSU_SV_EUlSU_E_NS1_11comp_targetILNS1_3genE10ELNS1_11target_archE1200ELNS1_3gpuE4ELNS1_3repE0EEENS1_30default_config_static_selectorELNS0_4arch9wavefront6targetE1EEEvT1_
                                        ; -- End function
	.section	.AMDGPU.csdata,"",@progbits
; Kernel info:
; codeLenInByte = 0
; NumSgprs: 4
; NumVgprs: 0
; NumAgprs: 0
; TotalNumVgprs: 0
; ScratchSize: 0
; MemoryBound: 0
; FloatMode: 240
; IeeeMode: 1
; LDSByteSize: 0 bytes/workgroup (compile time only)
; SGPRBlocks: 0
; VGPRBlocks: 0
; NumSGPRsForWavesPerEU: 4
; NumVGPRsForWavesPerEU: 1
; AccumOffset: 4
; Occupancy: 8
; WaveLimiterHint : 0
; COMPUTE_PGM_RSRC2:SCRATCH_EN: 0
; COMPUTE_PGM_RSRC2:USER_SGPR: 6
; COMPUTE_PGM_RSRC2:TRAP_HANDLER: 0
; COMPUTE_PGM_RSRC2:TGID_X_EN: 1
; COMPUTE_PGM_RSRC2:TGID_Y_EN: 0
; COMPUTE_PGM_RSRC2:TGID_Z_EN: 0
; COMPUTE_PGM_RSRC2:TIDIG_COMP_CNT: 0
; COMPUTE_PGM_RSRC3_GFX90A:ACCUM_OFFSET: 0
; COMPUTE_PGM_RSRC3_GFX90A:TG_SPLIT: 0
	.section	.text._ZN7rocprim17ROCPRIM_400000_NS6detail17trampoline_kernelINS0_14default_configENS1_33run_length_encode_config_selectorIsjNS0_4plusIjEEEEZZNS1_33reduce_by_key_impl_wrapped_configILNS1_25lookback_scan_determinismE0ES3_S7_PKsNS0_17constant_iteratorIjlEEPsPlSF_S6_NS0_8equal_toIsEEEE10hipError_tPvRmT2_T3_mT4_T5_T6_T7_T8_P12ihipStream_tbENKUlT_T0_E_clISt17integral_constantIbLb1EESZ_EEDaSU_SV_EUlSU_E_NS1_11comp_targetILNS1_3genE9ELNS1_11target_archE1100ELNS1_3gpuE3ELNS1_3repE0EEENS1_30default_config_static_selectorELNS0_4arch9wavefront6targetE1EEEvT1_,"axG",@progbits,_ZN7rocprim17ROCPRIM_400000_NS6detail17trampoline_kernelINS0_14default_configENS1_33run_length_encode_config_selectorIsjNS0_4plusIjEEEEZZNS1_33reduce_by_key_impl_wrapped_configILNS1_25lookback_scan_determinismE0ES3_S7_PKsNS0_17constant_iteratorIjlEEPsPlSF_S6_NS0_8equal_toIsEEEE10hipError_tPvRmT2_T3_mT4_T5_T6_T7_T8_P12ihipStream_tbENKUlT_T0_E_clISt17integral_constantIbLb1EESZ_EEDaSU_SV_EUlSU_E_NS1_11comp_targetILNS1_3genE9ELNS1_11target_archE1100ELNS1_3gpuE3ELNS1_3repE0EEENS1_30default_config_static_selectorELNS0_4arch9wavefront6targetE1EEEvT1_,comdat
	.protected	_ZN7rocprim17ROCPRIM_400000_NS6detail17trampoline_kernelINS0_14default_configENS1_33run_length_encode_config_selectorIsjNS0_4plusIjEEEEZZNS1_33reduce_by_key_impl_wrapped_configILNS1_25lookback_scan_determinismE0ES3_S7_PKsNS0_17constant_iteratorIjlEEPsPlSF_S6_NS0_8equal_toIsEEEE10hipError_tPvRmT2_T3_mT4_T5_T6_T7_T8_P12ihipStream_tbENKUlT_T0_E_clISt17integral_constantIbLb1EESZ_EEDaSU_SV_EUlSU_E_NS1_11comp_targetILNS1_3genE9ELNS1_11target_archE1100ELNS1_3gpuE3ELNS1_3repE0EEENS1_30default_config_static_selectorELNS0_4arch9wavefront6targetE1EEEvT1_ ; -- Begin function _ZN7rocprim17ROCPRIM_400000_NS6detail17trampoline_kernelINS0_14default_configENS1_33run_length_encode_config_selectorIsjNS0_4plusIjEEEEZZNS1_33reduce_by_key_impl_wrapped_configILNS1_25lookback_scan_determinismE0ES3_S7_PKsNS0_17constant_iteratorIjlEEPsPlSF_S6_NS0_8equal_toIsEEEE10hipError_tPvRmT2_T3_mT4_T5_T6_T7_T8_P12ihipStream_tbENKUlT_T0_E_clISt17integral_constantIbLb1EESZ_EEDaSU_SV_EUlSU_E_NS1_11comp_targetILNS1_3genE9ELNS1_11target_archE1100ELNS1_3gpuE3ELNS1_3repE0EEENS1_30default_config_static_selectorELNS0_4arch9wavefront6targetE1EEEvT1_
	.globl	_ZN7rocprim17ROCPRIM_400000_NS6detail17trampoline_kernelINS0_14default_configENS1_33run_length_encode_config_selectorIsjNS0_4plusIjEEEEZZNS1_33reduce_by_key_impl_wrapped_configILNS1_25lookback_scan_determinismE0ES3_S7_PKsNS0_17constant_iteratorIjlEEPsPlSF_S6_NS0_8equal_toIsEEEE10hipError_tPvRmT2_T3_mT4_T5_T6_T7_T8_P12ihipStream_tbENKUlT_T0_E_clISt17integral_constantIbLb1EESZ_EEDaSU_SV_EUlSU_E_NS1_11comp_targetILNS1_3genE9ELNS1_11target_archE1100ELNS1_3gpuE3ELNS1_3repE0EEENS1_30default_config_static_selectorELNS0_4arch9wavefront6targetE1EEEvT1_
	.p2align	8
	.type	_ZN7rocprim17ROCPRIM_400000_NS6detail17trampoline_kernelINS0_14default_configENS1_33run_length_encode_config_selectorIsjNS0_4plusIjEEEEZZNS1_33reduce_by_key_impl_wrapped_configILNS1_25lookback_scan_determinismE0ES3_S7_PKsNS0_17constant_iteratorIjlEEPsPlSF_S6_NS0_8equal_toIsEEEE10hipError_tPvRmT2_T3_mT4_T5_T6_T7_T8_P12ihipStream_tbENKUlT_T0_E_clISt17integral_constantIbLb1EESZ_EEDaSU_SV_EUlSU_E_NS1_11comp_targetILNS1_3genE9ELNS1_11target_archE1100ELNS1_3gpuE3ELNS1_3repE0EEENS1_30default_config_static_selectorELNS0_4arch9wavefront6targetE1EEEvT1_,@function
_ZN7rocprim17ROCPRIM_400000_NS6detail17trampoline_kernelINS0_14default_configENS1_33run_length_encode_config_selectorIsjNS0_4plusIjEEEEZZNS1_33reduce_by_key_impl_wrapped_configILNS1_25lookback_scan_determinismE0ES3_S7_PKsNS0_17constant_iteratorIjlEEPsPlSF_S6_NS0_8equal_toIsEEEE10hipError_tPvRmT2_T3_mT4_T5_T6_T7_T8_P12ihipStream_tbENKUlT_T0_E_clISt17integral_constantIbLb1EESZ_EEDaSU_SV_EUlSU_E_NS1_11comp_targetILNS1_3genE9ELNS1_11target_archE1100ELNS1_3gpuE3ELNS1_3repE0EEENS1_30default_config_static_selectorELNS0_4arch9wavefront6targetE1EEEvT1_: ; @_ZN7rocprim17ROCPRIM_400000_NS6detail17trampoline_kernelINS0_14default_configENS1_33run_length_encode_config_selectorIsjNS0_4plusIjEEEEZZNS1_33reduce_by_key_impl_wrapped_configILNS1_25lookback_scan_determinismE0ES3_S7_PKsNS0_17constant_iteratorIjlEEPsPlSF_S6_NS0_8equal_toIsEEEE10hipError_tPvRmT2_T3_mT4_T5_T6_T7_T8_P12ihipStream_tbENKUlT_T0_E_clISt17integral_constantIbLb1EESZ_EEDaSU_SV_EUlSU_E_NS1_11comp_targetILNS1_3genE9ELNS1_11target_archE1100ELNS1_3gpuE3ELNS1_3repE0EEENS1_30default_config_static_selectorELNS0_4arch9wavefront6targetE1EEEvT1_
; %bb.0:
	.section	.rodata,"a",@progbits
	.p2align	6, 0x0
	.amdhsa_kernel _ZN7rocprim17ROCPRIM_400000_NS6detail17trampoline_kernelINS0_14default_configENS1_33run_length_encode_config_selectorIsjNS0_4plusIjEEEEZZNS1_33reduce_by_key_impl_wrapped_configILNS1_25lookback_scan_determinismE0ES3_S7_PKsNS0_17constant_iteratorIjlEEPsPlSF_S6_NS0_8equal_toIsEEEE10hipError_tPvRmT2_T3_mT4_T5_T6_T7_T8_P12ihipStream_tbENKUlT_T0_E_clISt17integral_constantIbLb1EESZ_EEDaSU_SV_EUlSU_E_NS1_11comp_targetILNS1_3genE9ELNS1_11target_archE1100ELNS1_3gpuE3ELNS1_3repE0EEENS1_30default_config_static_selectorELNS0_4arch9wavefront6targetE1EEEvT1_
		.amdhsa_group_segment_fixed_size 0
		.amdhsa_private_segment_fixed_size 0
		.amdhsa_kernarg_size 128
		.amdhsa_user_sgpr_count 6
		.amdhsa_user_sgpr_private_segment_buffer 1
		.amdhsa_user_sgpr_dispatch_ptr 0
		.amdhsa_user_sgpr_queue_ptr 0
		.amdhsa_user_sgpr_kernarg_segment_ptr 1
		.amdhsa_user_sgpr_dispatch_id 0
		.amdhsa_user_sgpr_flat_scratch_init 0
		.amdhsa_user_sgpr_kernarg_preload_length 0
		.amdhsa_user_sgpr_kernarg_preload_offset 0
		.amdhsa_user_sgpr_private_segment_size 0
		.amdhsa_uses_dynamic_stack 0
		.amdhsa_system_sgpr_private_segment_wavefront_offset 0
		.amdhsa_system_sgpr_workgroup_id_x 1
		.amdhsa_system_sgpr_workgroup_id_y 0
		.amdhsa_system_sgpr_workgroup_id_z 0
		.amdhsa_system_sgpr_workgroup_info 0
		.amdhsa_system_vgpr_workitem_id 0
		.amdhsa_next_free_vgpr 1
		.amdhsa_next_free_sgpr 0
		.amdhsa_accum_offset 4
		.amdhsa_reserve_vcc 0
		.amdhsa_reserve_flat_scratch 0
		.amdhsa_float_round_mode_32 0
		.amdhsa_float_round_mode_16_64 0
		.amdhsa_float_denorm_mode_32 3
		.amdhsa_float_denorm_mode_16_64 3
		.amdhsa_dx10_clamp 1
		.amdhsa_ieee_mode 1
		.amdhsa_fp16_overflow 0
		.amdhsa_tg_split 0
		.amdhsa_exception_fp_ieee_invalid_op 0
		.amdhsa_exception_fp_denorm_src 0
		.amdhsa_exception_fp_ieee_div_zero 0
		.amdhsa_exception_fp_ieee_overflow 0
		.amdhsa_exception_fp_ieee_underflow 0
		.amdhsa_exception_fp_ieee_inexact 0
		.amdhsa_exception_int_div_zero 0
	.end_amdhsa_kernel
	.section	.text._ZN7rocprim17ROCPRIM_400000_NS6detail17trampoline_kernelINS0_14default_configENS1_33run_length_encode_config_selectorIsjNS0_4plusIjEEEEZZNS1_33reduce_by_key_impl_wrapped_configILNS1_25lookback_scan_determinismE0ES3_S7_PKsNS0_17constant_iteratorIjlEEPsPlSF_S6_NS0_8equal_toIsEEEE10hipError_tPvRmT2_T3_mT4_T5_T6_T7_T8_P12ihipStream_tbENKUlT_T0_E_clISt17integral_constantIbLb1EESZ_EEDaSU_SV_EUlSU_E_NS1_11comp_targetILNS1_3genE9ELNS1_11target_archE1100ELNS1_3gpuE3ELNS1_3repE0EEENS1_30default_config_static_selectorELNS0_4arch9wavefront6targetE1EEEvT1_,"axG",@progbits,_ZN7rocprim17ROCPRIM_400000_NS6detail17trampoline_kernelINS0_14default_configENS1_33run_length_encode_config_selectorIsjNS0_4plusIjEEEEZZNS1_33reduce_by_key_impl_wrapped_configILNS1_25lookback_scan_determinismE0ES3_S7_PKsNS0_17constant_iteratorIjlEEPsPlSF_S6_NS0_8equal_toIsEEEE10hipError_tPvRmT2_T3_mT4_T5_T6_T7_T8_P12ihipStream_tbENKUlT_T0_E_clISt17integral_constantIbLb1EESZ_EEDaSU_SV_EUlSU_E_NS1_11comp_targetILNS1_3genE9ELNS1_11target_archE1100ELNS1_3gpuE3ELNS1_3repE0EEENS1_30default_config_static_selectorELNS0_4arch9wavefront6targetE1EEEvT1_,comdat
.Lfunc_end596:
	.size	_ZN7rocprim17ROCPRIM_400000_NS6detail17trampoline_kernelINS0_14default_configENS1_33run_length_encode_config_selectorIsjNS0_4plusIjEEEEZZNS1_33reduce_by_key_impl_wrapped_configILNS1_25lookback_scan_determinismE0ES3_S7_PKsNS0_17constant_iteratorIjlEEPsPlSF_S6_NS0_8equal_toIsEEEE10hipError_tPvRmT2_T3_mT4_T5_T6_T7_T8_P12ihipStream_tbENKUlT_T0_E_clISt17integral_constantIbLb1EESZ_EEDaSU_SV_EUlSU_E_NS1_11comp_targetILNS1_3genE9ELNS1_11target_archE1100ELNS1_3gpuE3ELNS1_3repE0EEENS1_30default_config_static_selectorELNS0_4arch9wavefront6targetE1EEEvT1_, .Lfunc_end596-_ZN7rocprim17ROCPRIM_400000_NS6detail17trampoline_kernelINS0_14default_configENS1_33run_length_encode_config_selectorIsjNS0_4plusIjEEEEZZNS1_33reduce_by_key_impl_wrapped_configILNS1_25lookback_scan_determinismE0ES3_S7_PKsNS0_17constant_iteratorIjlEEPsPlSF_S6_NS0_8equal_toIsEEEE10hipError_tPvRmT2_T3_mT4_T5_T6_T7_T8_P12ihipStream_tbENKUlT_T0_E_clISt17integral_constantIbLb1EESZ_EEDaSU_SV_EUlSU_E_NS1_11comp_targetILNS1_3genE9ELNS1_11target_archE1100ELNS1_3gpuE3ELNS1_3repE0EEENS1_30default_config_static_selectorELNS0_4arch9wavefront6targetE1EEEvT1_
                                        ; -- End function
	.section	.AMDGPU.csdata,"",@progbits
; Kernel info:
; codeLenInByte = 0
; NumSgprs: 4
; NumVgprs: 0
; NumAgprs: 0
; TotalNumVgprs: 0
; ScratchSize: 0
; MemoryBound: 0
; FloatMode: 240
; IeeeMode: 1
; LDSByteSize: 0 bytes/workgroup (compile time only)
; SGPRBlocks: 0
; VGPRBlocks: 0
; NumSGPRsForWavesPerEU: 4
; NumVGPRsForWavesPerEU: 1
; AccumOffset: 4
; Occupancy: 8
; WaveLimiterHint : 0
; COMPUTE_PGM_RSRC2:SCRATCH_EN: 0
; COMPUTE_PGM_RSRC2:USER_SGPR: 6
; COMPUTE_PGM_RSRC2:TRAP_HANDLER: 0
; COMPUTE_PGM_RSRC2:TGID_X_EN: 1
; COMPUTE_PGM_RSRC2:TGID_Y_EN: 0
; COMPUTE_PGM_RSRC2:TGID_Z_EN: 0
; COMPUTE_PGM_RSRC2:TIDIG_COMP_CNT: 0
; COMPUTE_PGM_RSRC3_GFX90A:ACCUM_OFFSET: 0
; COMPUTE_PGM_RSRC3_GFX90A:TG_SPLIT: 0
	.section	.text._ZN7rocprim17ROCPRIM_400000_NS6detail17trampoline_kernelINS0_14default_configENS1_33run_length_encode_config_selectorIsjNS0_4plusIjEEEEZZNS1_33reduce_by_key_impl_wrapped_configILNS1_25lookback_scan_determinismE0ES3_S7_PKsNS0_17constant_iteratorIjlEEPsPlSF_S6_NS0_8equal_toIsEEEE10hipError_tPvRmT2_T3_mT4_T5_T6_T7_T8_P12ihipStream_tbENKUlT_T0_E_clISt17integral_constantIbLb1EESZ_EEDaSU_SV_EUlSU_E_NS1_11comp_targetILNS1_3genE8ELNS1_11target_archE1030ELNS1_3gpuE2ELNS1_3repE0EEENS1_30default_config_static_selectorELNS0_4arch9wavefront6targetE1EEEvT1_,"axG",@progbits,_ZN7rocprim17ROCPRIM_400000_NS6detail17trampoline_kernelINS0_14default_configENS1_33run_length_encode_config_selectorIsjNS0_4plusIjEEEEZZNS1_33reduce_by_key_impl_wrapped_configILNS1_25lookback_scan_determinismE0ES3_S7_PKsNS0_17constant_iteratorIjlEEPsPlSF_S6_NS0_8equal_toIsEEEE10hipError_tPvRmT2_T3_mT4_T5_T6_T7_T8_P12ihipStream_tbENKUlT_T0_E_clISt17integral_constantIbLb1EESZ_EEDaSU_SV_EUlSU_E_NS1_11comp_targetILNS1_3genE8ELNS1_11target_archE1030ELNS1_3gpuE2ELNS1_3repE0EEENS1_30default_config_static_selectorELNS0_4arch9wavefront6targetE1EEEvT1_,comdat
	.protected	_ZN7rocprim17ROCPRIM_400000_NS6detail17trampoline_kernelINS0_14default_configENS1_33run_length_encode_config_selectorIsjNS0_4plusIjEEEEZZNS1_33reduce_by_key_impl_wrapped_configILNS1_25lookback_scan_determinismE0ES3_S7_PKsNS0_17constant_iteratorIjlEEPsPlSF_S6_NS0_8equal_toIsEEEE10hipError_tPvRmT2_T3_mT4_T5_T6_T7_T8_P12ihipStream_tbENKUlT_T0_E_clISt17integral_constantIbLb1EESZ_EEDaSU_SV_EUlSU_E_NS1_11comp_targetILNS1_3genE8ELNS1_11target_archE1030ELNS1_3gpuE2ELNS1_3repE0EEENS1_30default_config_static_selectorELNS0_4arch9wavefront6targetE1EEEvT1_ ; -- Begin function _ZN7rocprim17ROCPRIM_400000_NS6detail17trampoline_kernelINS0_14default_configENS1_33run_length_encode_config_selectorIsjNS0_4plusIjEEEEZZNS1_33reduce_by_key_impl_wrapped_configILNS1_25lookback_scan_determinismE0ES3_S7_PKsNS0_17constant_iteratorIjlEEPsPlSF_S6_NS0_8equal_toIsEEEE10hipError_tPvRmT2_T3_mT4_T5_T6_T7_T8_P12ihipStream_tbENKUlT_T0_E_clISt17integral_constantIbLb1EESZ_EEDaSU_SV_EUlSU_E_NS1_11comp_targetILNS1_3genE8ELNS1_11target_archE1030ELNS1_3gpuE2ELNS1_3repE0EEENS1_30default_config_static_selectorELNS0_4arch9wavefront6targetE1EEEvT1_
	.globl	_ZN7rocprim17ROCPRIM_400000_NS6detail17trampoline_kernelINS0_14default_configENS1_33run_length_encode_config_selectorIsjNS0_4plusIjEEEEZZNS1_33reduce_by_key_impl_wrapped_configILNS1_25lookback_scan_determinismE0ES3_S7_PKsNS0_17constant_iteratorIjlEEPsPlSF_S6_NS0_8equal_toIsEEEE10hipError_tPvRmT2_T3_mT4_T5_T6_T7_T8_P12ihipStream_tbENKUlT_T0_E_clISt17integral_constantIbLb1EESZ_EEDaSU_SV_EUlSU_E_NS1_11comp_targetILNS1_3genE8ELNS1_11target_archE1030ELNS1_3gpuE2ELNS1_3repE0EEENS1_30default_config_static_selectorELNS0_4arch9wavefront6targetE1EEEvT1_
	.p2align	8
	.type	_ZN7rocprim17ROCPRIM_400000_NS6detail17trampoline_kernelINS0_14default_configENS1_33run_length_encode_config_selectorIsjNS0_4plusIjEEEEZZNS1_33reduce_by_key_impl_wrapped_configILNS1_25lookback_scan_determinismE0ES3_S7_PKsNS0_17constant_iteratorIjlEEPsPlSF_S6_NS0_8equal_toIsEEEE10hipError_tPvRmT2_T3_mT4_T5_T6_T7_T8_P12ihipStream_tbENKUlT_T0_E_clISt17integral_constantIbLb1EESZ_EEDaSU_SV_EUlSU_E_NS1_11comp_targetILNS1_3genE8ELNS1_11target_archE1030ELNS1_3gpuE2ELNS1_3repE0EEENS1_30default_config_static_selectorELNS0_4arch9wavefront6targetE1EEEvT1_,@function
_ZN7rocprim17ROCPRIM_400000_NS6detail17trampoline_kernelINS0_14default_configENS1_33run_length_encode_config_selectorIsjNS0_4plusIjEEEEZZNS1_33reduce_by_key_impl_wrapped_configILNS1_25lookback_scan_determinismE0ES3_S7_PKsNS0_17constant_iteratorIjlEEPsPlSF_S6_NS0_8equal_toIsEEEE10hipError_tPvRmT2_T3_mT4_T5_T6_T7_T8_P12ihipStream_tbENKUlT_T0_E_clISt17integral_constantIbLb1EESZ_EEDaSU_SV_EUlSU_E_NS1_11comp_targetILNS1_3genE8ELNS1_11target_archE1030ELNS1_3gpuE2ELNS1_3repE0EEENS1_30default_config_static_selectorELNS0_4arch9wavefront6targetE1EEEvT1_: ; @_ZN7rocprim17ROCPRIM_400000_NS6detail17trampoline_kernelINS0_14default_configENS1_33run_length_encode_config_selectorIsjNS0_4plusIjEEEEZZNS1_33reduce_by_key_impl_wrapped_configILNS1_25lookback_scan_determinismE0ES3_S7_PKsNS0_17constant_iteratorIjlEEPsPlSF_S6_NS0_8equal_toIsEEEE10hipError_tPvRmT2_T3_mT4_T5_T6_T7_T8_P12ihipStream_tbENKUlT_T0_E_clISt17integral_constantIbLb1EESZ_EEDaSU_SV_EUlSU_E_NS1_11comp_targetILNS1_3genE8ELNS1_11target_archE1030ELNS1_3gpuE2ELNS1_3repE0EEENS1_30default_config_static_selectorELNS0_4arch9wavefront6targetE1EEEvT1_
; %bb.0:
	.section	.rodata,"a",@progbits
	.p2align	6, 0x0
	.amdhsa_kernel _ZN7rocprim17ROCPRIM_400000_NS6detail17trampoline_kernelINS0_14default_configENS1_33run_length_encode_config_selectorIsjNS0_4plusIjEEEEZZNS1_33reduce_by_key_impl_wrapped_configILNS1_25lookback_scan_determinismE0ES3_S7_PKsNS0_17constant_iteratorIjlEEPsPlSF_S6_NS0_8equal_toIsEEEE10hipError_tPvRmT2_T3_mT4_T5_T6_T7_T8_P12ihipStream_tbENKUlT_T0_E_clISt17integral_constantIbLb1EESZ_EEDaSU_SV_EUlSU_E_NS1_11comp_targetILNS1_3genE8ELNS1_11target_archE1030ELNS1_3gpuE2ELNS1_3repE0EEENS1_30default_config_static_selectorELNS0_4arch9wavefront6targetE1EEEvT1_
		.amdhsa_group_segment_fixed_size 0
		.amdhsa_private_segment_fixed_size 0
		.amdhsa_kernarg_size 128
		.amdhsa_user_sgpr_count 6
		.amdhsa_user_sgpr_private_segment_buffer 1
		.amdhsa_user_sgpr_dispatch_ptr 0
		.amdhsa_user_sgpr_queue_ptr 0
		.amdhsa_user_sgpr_kernarg_segment_ptr 1
		.amdhsa_user_sgpr_dispatch_id 0
		.amdhsa_user_sgpr_flat_scratch_init 0
		.amdhsa_user_sgpr_kernarg_preload_length 0
		.amdhsa_user_sgpr_kernarg_preload_offset 0
		.amdhsa_user_sgpr_private_segment_size 0
		.amdhsa_uses_dynamic_stack 0
		.amdhsa_system_sgpr_private_segment_wavefront_offset 0
		.amdhsa_system_sgpr_workgroup_id_x 1
		.amdhsa_system_sgpr_workgroup_id_y 0
		.amdhsa_system_sgpr_workgroup_id_z 0
		.amdhsa_system_sgpr_workgroup_info 0
		.amdhsa_system_vgpr_workitem_id 0
		.amdhsa_next_free_vgpr 1
		.amdhsa_next_free_sgpr 0
		.amdhsa_accum_offset 4
		.amdhsa_reserve_vcc 0
		.amdhsa_reserve_flat_scratch 0
		.amdhsa_float_round_mode_32 0
		.amdhsa_float_round_mode_16_64 0
		.amdhsa_float_denorm_mode_32 3
		.amdhsa_float_denorm_mode_16_64 3
		.amdhsa_dx10_clamp 1
		.amdhsa_ieee_mode 1
		.amdhsa_fp16_overflow 0
		.amdhsa_tg_split 0
		.amdhsa_exception_fp_ieee_invalid_op 0
		.amdhsa_exception_fp_denorm_src 0
		.amdhsa_exception_fp_ieee_div_zero 0
		.amdhsa_exception_fp_ieee_overflow 0
		.amdhsa_exception_fp_ieee_underflow 0
		.amdhsa_exception_fp_ieee_inexact 0
		.amdhsa_exception_int_div_zero 0
	.end_amdhsa_kernel
	.section	.text._ZN7rocprim17ROCPRIM_400000_NS6detail17trampoline_kernelINS0_14default_configENS1_33run_length_encode_config_selectorIsjNS0_4plusIjEEEEZZNS1_33reduce_by_key_impl_wrapped_configILNS1_25lookback_scan_determinismE0ES3_S7_PKsNS0_17constant_iteratorIjlEEPsPlSF_S6_NS0_8equal_toIsEEEE10hipError_tPvRmT2_T3_mT4_T5_T6_T7_T8_P12ihipStream_tbENKUlT_T0_E_clISt17integral_constantIbLb1EESZ_EEDaSU_SV_EUlSU_E_NS1_11comp_targetILNS1_3genE8ELNS1_11target_archE1030ELNS1_3gpuE2ELNS1_3repE0EEENS1_30default_config_static_selectorELNS0_4arch9wavefront6targetE1EEEvT1_,"axG",@progbits,_ZN7rocprim17ROCPRIM_400000_NS6detail17trampoline_kernelINS0_14default_configENS1_33run_length_encode_config_selectorIsjNS0_4plusIjEEEEZZNS1_33reduce_by_key_impl_wrapped_configILNS1_25lookback_scan_determinismE0ES3_S7_PKsNS0_17constant_iteratorIjlEEPsPlSF_S6_NS0_8equal_toIsEEEE10hipError_tPvRmT2_T3_mT4_T5_T6_T7_T8_P12ihipStream_tbENKUlT_T0_E_clISt17integral_constantIbLb1EESZ_EEDaSU_SV_EUlSU_E_NS1_11comp_targetILNS1_3genE8ELNS1_11target_archE1030ELNS1_3gpuE2ELNS1_3repE0EEENS1_30default_config_static_selectorELNS0_4arch9wavefront6targetE1EEEvT1_,comdat
.Lfunc_end597:
	.size	_ZN7rocprim17ROCPRIM_400000_NS6detail17trampoline_kernelINS0_14default_configENS1_33run_length_encode_config_selectorIsjNS0_4plusIjEEEEZZNS1_33reduce_by_key_impl_wrapped_configILNS1_25lookback_scan_determinismE0ES3_S7_PKsNS0_17constant_iteratorIjlEEPsPlSF_S6_NS0_8equal_toIsEEEE10hipError_tPvRmT2_T3_mT4_T5_T6_T7_T8_P12ihipStream_tbENKUlT_T0_E_clISt17integral_constantIbLb1EESZ_EEDaSU_SV_EUlSU_E_NS1_11comp_targetILNS1_3genE8ELNS1_11target_archE1030ELNS1_3gpuE2ELNS1_3repE0EEENS1_30default_config_static_selectorELNS0_4arch9wavefront6targetE1EEEvT1_, .Lfunc_end597-_ZN7rocprim17ROCPRIM_400000_NS6detail17trampoline_kernelINS0_14default_configENS1_33run_length_encode_config_selectorIsjNS0_4plusIjEEEEZZNS1_33reduce_by_key_impl_wrapped_configILNS1_25lookback_scan_determinismE0ES3_S7_PKsNS0_17constant_iteratorIjlEEPsPlSF_S6_NS0_8equal_toIsEEEE10hipError_tPvRmT2_T3_mT4_T5_T6_T7_T8_P12ihipStream_tbENKUlT_T0_E_clISt17integral_constantIbLb1EESZ_EEDaSU_SV_EUlSU_E_NS1_11comp_targetILNS1_3genE8ELNS1_11target_archE1030ELNS1_3gpuE2ELNS1_3repE0EEENS1_30default_config_static_selectorELNS0_4arch9wavefront6targetE1EEEvT1_
                                        ; -- End function
	.section	.AMDGPU.csdata,"",@progbits
; Kernel info:
; codeLenInByte = 0
; NumSgprs: 4
; NumVgprs: 0
; NumAgprs: 0
; TotalNumVgprs: 0
; ScratchSize: 0
; MemoryBound: 0
; FloatMode: 240
; IeeeMode: 1
; LDSByteSize: 0 bytes/workgroup (compile time only)
; SGPRBlocks: 0
; VGPRBlocks: 0
; NumSGPRsForWavesPerEU: 4
; NumVGPRsForWavesPerEU: 1
; AccumOffset: 4
; Occupancy: 8
; WaveLimiterHint : 0
; COMPUTE_PGM_RSRC2:SCRATCH_EN: 0
; COMPUTE_PGM_RSRC2:USER_SGPR: 6
; COMPUTE_PGM_RSRC2:TRAP_HANDLER: 0
; COMPUTE_PGM_RSRC2:TGID_X_EN: 1
; COMPUTE_PGM_RSRC2:TGID_Y_EN: 0
; COMPUTE_PGM_RSRC2:TGID_Z_EN: 0
; COMPUTE_PGM_RSRC2:TIDIG_COMP_CNT: 0
; COMPUTE_PGM_RSRC3_GFX90A:ACCUM_OFFSET: 0
; COMPUTE_PGM_RSRC3_GFX90A:TG_SPLIT: 0
	.section	.text._ZN7rocprim17ROCPRIM_400000_NS6detail17trampoline_kernelINS0_14default_configENS1_33run_length_encode_config_selectorIsjNS0_4plusIjEEEEZZNS1_33reduce_by_key_impl_wrapped_configILNS1_25lookback_scan_determinismE0ES3_S7_PKsNS0_17constant_iteratorIjlEEPsPlSF_S6_NS0_8equal_toIsEEEE10hipError_tPvRmT2_T3_mT4_T5_T6_T7_T8_P12ihipStream_tbENKUlT_T0_E_clISt17integral_constantIbLb1EESY_IbLb0EEEEDaSU_SV_EUlSU_E_NS1_11comp_targetILNS1_3genE0ELNS1_11target_archE4294967295ELNS1_3gpuE0ELNS1_3repE0EEENS1_30default_config_static_selectorELNS0_4arch9wavefront6targetE1EEEvT1_,"axG",@progbits,_ZN7rocprim17ROCPRIM_400000_NS6detail17trampoline_kernelINS0_14default_configENS1_33run_length_encode_config_selectorIsjNS0_4plusIjEEEEZZNS1_33reduce_by_key_impl_wrapped_configILNS1_25lookback_scan_determinismE0ES3_S7_PKsNS0_17constant_iteratorIjlEEPsPlSF_S6_NS0_8equal_toIsEEEE10hipError_tPvRmT2_T3_mT4_T5_T6_T7_T8_P12ihipStream_tbENKUlT_T0_E_clISt17integral_constantIbLb1EESY_IbLb0EEEEDaSU_SV_EUlSU_E_NS1_11comp_targetILNS1_3genE0ELNS1_11target_archE4294967295ELNS1_3gpuE0ELNS1_3repE0EEENS1_30default_config_static_selectorELNS0_4arch9wavefront6targetE1EEEvT1_,comdat
	.protected	_ZN7rocprim17ROCPRIM_400000_NS6detail17trampoline_kernelINS0_14default_configENS1_33run_length_encode_config_selectorIsjNS0_4plusIjEEEEZZNS1_33reduce_by_key_impl_wrapped_configILNS1_25lookback_scan_determinismE0ES3_S7_PKsNS0_17constant_iteratorIjlEEPsPlSF_S6_NS0_8equal_toIsEEEE10hipError_tPvRmT2_T3_mT4_T5_T6_T7_T8_P12ihipStream_tbENKUlT_T0_E_clISt17integral_constantIbLb1EESY_IbLb0EEEEDaSU_SV_EUlSU_E_NS1_11comp_targetILNS1_3genE0ELNS1_11target_archE4294967295ELNS1_3gpuE0ELNS1_3repE0EEENS1_30default_config_static_selectorELNS0_4arch9wavefront6targetE1EEEvT1_ ; -- Begin function _ZN7rocprim17ROCPRIM_400000_NS6detail17trampoline_kernelINS0_14default_configENS1_33run_length_encode_config_selectorIsjNS0_4plusIjEEEEZZNS1_33reduce_by_key_impl_wrapped_configILNS1_25lookback_scan_determinismE0ES3_S7_PKsNS0_17constant_iteratorIjlEEPsPlSF_S6_NS0_8equal_toIsEEEE10hipError_tPvRmT2_T3_mT4_T5_T6_T7_T8_P12ihipStream_tbENKUlT_T0_E_clISt17integral_constantIbLb1EESY_IbLb0EEEEDaSU_SV_EUlSU_E_NS1_11comp_targetILNS1_3genE0ELNS1_11target_archE4294967295ELNS1_3gpuE0ELNS1_3repE0EEENS1_30default_config_static_selectorELNS0_4arch9wavefront6targetE1EEEvT1_
	.globl	_ZN7rocprim17ROCPRIM_400000_NS6detail17trampoline_kernelINS0_14default_configENS1_33run_length_encode_config_selectorIsjNS0_4plusIjEEEEZZNS1_33reduce_by_key_impl_wrapped_configILNS1_25lookback_scan_determinismE0ES3_S7_PKsNS0_17constant_iteratorIjlEEPsPlSF_S6_NS0_8equal_toIsEEEE10hipError_tPvRmT2_T3_mT4_T5_T6_T7_T8_P12ihipStream_tbENKUlT_T0_E_clISt17integral_constantIbLb1EESY_IbLb0EEEEDaSU_SV_EUlSU_E_NS1_11comp_targetILNS1_3genE0ELNS1_11target_archE4294967295ELNS1_3gpuE0ELNS1_3repE0EEENS1_30default_config_static_selectorELNS0_4arch9wavefront6targetE1EEEvT1_
	.p2align	8
	.type	_ZN7rocprim17ROCPRIM_400000_NS6detail17trampoline_kernelINS0_14default_configENS1_33run_length_encode_config_selectorIsjNS0_4plusIjEEEEZZNS1_33reduce_by_key_impl_wrapped_configILNS1_25lookback_scan_determinismE0ES3_S7_PKsNS0_17constant_iteratorIjlEEPsPlSF_S6_NS0_8equal_toIsEEEE10hipError_tPvRmT2_T3_mT4_T5_T6_T7_T8_P12ihipStream_tbENKUlT_T0_E_clISt17integral_constantIbLb1EESY_IbLb0EEEEDaSU_SV_EUlSU_E_NS1_11comp_targetILNS1_3genE0ELNS1_11target_archE4294967295ELNS1_3gpuE0ELNS1_3repE0EEENS1_30default_config_static_selectorELNS0_4arch9wavefront6targetE1EEEvT1_,@function
_ZN7rocprim17ROCPRIM_400000_NS6detail17trampoline_kernelINS0_14default_configENS1_33run_length_encode_config_selectorIsjNS0_4plusIjEEEEZZNS1_33reduce_by_key_impl_wrapped_configILNS1_25lookback_scan_determinismE0ES3_S7_PKsNS0_17constant_iteratorIjlEEPsPlSF_S6_NS0_8equal_toIsEEEE10hipError_tPvRmT2_T3_mT4_T5_T6_T7_T8_P12ihipStream_tbENKUlT_T0_E_clISt17integral_constantIbLb1EESY_IbLb0EEEEDaSU_SV_EUlSU_E_NS1_11comp_targetILNS1_3genE0ELNS1_11target_archE4294967295ELNS1_3gpuE0ELNS1_3repE0EEENS1_30default_config_static_selectorELNS0_4arch9wavefront6targetE1EEEvT1_: ; @_ZN7rocprim17ROCPRIM_400000_NS6detail17trampoline_kernelINS0_14default_configENS1_33run_length_encode_config_selectorIsjNS0_4plusIjEEEEZZNS1_33reduce_by_key_impl_wrapped_configILNS1_25lookback_scan_determinismE0ES3_S7_PKsNS0_17constant_iteratorIjlEEPsPlSF_S6_NS0_8equal_toIsEEEE10hipError_tPvRmT2_T3_mT4_T5_T6_T7_T8_P12ihipStream_tbENKUlT_T0_E_clISt17integral_constantIbLb1EESY_IbLb0EEEEDaSU_SV_EUlSU_E_NS1_11comp_targetILNS1_3genE0ELNS1_11target_archE4294967295ELNS1_3gpuE0ELNS1_3repE0EEENS1_30default_config_static_selectorELNS0_4arch9wavefront6targetE1EEEvT1_
; %bb.0:
	.section	.rodata,"a",@progbits
	.p2align	6, 0x0
	.amdhsa_kernel _ZN7rocprim17ROCPRIM_400000_NS6detail17trampoline_kernelINS0_14default_configENS1_33run_length_encode_config_selectorIsjNS0_4plusIjEEEEZZNS1_33reduce_by_key_impl_wrapped_configILNS1_25lookback_scan_determinismE0ES3_S7_PKsNS0_17constant_iteratorIjlEEPsPlSF_S6_NS0_8equal_toIsEEEE10hipError_tPvRmT2_T3_mT4_T5_T6_T7_T8_P12ihipStream_tbENKUlT_T0_E_clISt17integral_constantIbLb1EESY_IbLb0EEEEDaSU_SV_EUlSU_E_NS1_11comp_targetILNS1_3genE0ELNS1_11target_archE4294967295ELNS1_3gpuE0ELNS1_3repE0EEENS1_30default_config_static_selectorELNS0_4arch9wavefront6targetE1EEEvT1_
		.amdhsa_group_segment_fixed_size 0
		.amdhsa_private_segment_fixed_size 0
		.amdhsa_kernarg_size 128
		.amdhsa_user_sgpr_count 6
		.amdhsa_user_sgpr_private_segment_buffer 1
		.amdhsa_user_sgpr_dispatch_ptr 0
		.amdhsa_user_sgpr_queue_ptr 0
		.amdhsa_user_sgpr_kernarg_segment_ptr 1
		.amdhsa_user_sgpr_dispatch_id 0
		.amdhsa_user_sgpr_flat_scratch_init 0
		.amdhsa_user_sgpr_kernarg_preload_length 0
		.amdhsa_user_sgpr_kernarg_preload_offset 0
		.amdhsa_user_sgpr_private_segment_size 0
		.amdhsa_uses_dynamic_stack 0
		.amdhsa_system_sgpr_private_segment_wavefront_offset 0
		.amdhsa_system_sgpr_workgroup_id_x 1
		.amdhsa_system_sgpr_workgroup_id_y 0
		.amdhsa_system_sgpr_workgroup_id_z 0
		.amdhsa_system_sgpr_workgroup_info 0
		.amdhsa_system_vgpr_workitem_id 0
		.amdhsa_next_free_vgpr 1
		.amdhsa_next_free_sgpr 0
		.amdhsa_accum_offset 4
		.amdhsa_reserve_vcc 0
		.amdhsa_reserve_flat_scratch 0
		.amdhsa_float_round_mode_32 0
		.amdhsa_float_round_mode_16_64 0
		.amdhsa_float_denorm_mode_32 3
		.amdhsa_float_denorm_mode_16_64 3
		.amdhsa_dx10_clamp 1
		.amdhsa_ieee_mode 1
		.amdhsa_fp16_overflow 0
		.amdhsa_tg_split 0
		.amdhsa_exception_fp_ieee_invalid_op 0
		.amdhsa_exception_fp_denorm_src 0
		.amdhsa_exception_fp_ieee_div_zero 0
		.amdhsa_exception_fp_ieee_overflow 0
		.amdhsa_exception_fp_ieee_underflow 0
		.amdhsa_exception_fp_ieee_inexact 0
		.amdhsa_exception_int_div_zero 0
	.end_amdhsa_kernel
	.section	.text._ZN7rocprim17ROCPRIM_400000_NS6detail17trampoline_kernelINS0_14default_configENS1_33run_length_encode_config_selectorIsjNS0_4plusIjEEEEZZNS1_33reduce_by_key_impl_wrapped_configILNS1_25lookback_scan_determinismE0ES3_S7_PKsNS0_17constant_iteratorIjlEEPsPlSF_S6_NS0_8equal_toIsEEEE10hipError_tPvRmT2_T3_mT4_T5_T6_T7_T8_P12ihipStream_tbENKUlT_T0_E_clISt17integral_constantIbLb1EESY_IbLb0EEEEDaSU_SV_EUlSU_E_NS1_11comp_targetILNS1_3genE0ELNS1_11target_archE4294967295ELNS1_3gpuE0ELNS1_3repE0EEENS1_30default_config_static_selectorELNS0_4arch9wavefront6targetE1EEEvT1_,"axG",@progbits,_ZN7rocprim17ROCPRIM_400000_NS6detail17trampoline_kernelINS0_14default_configENS1_33run_length_encode_config_selectorIsjNS0_4plusIjEEEEZZNS1_33reduce_by_key_impl_wrapped_configILNS1_25lookback_scan_determinismE0ES3_S7_PKsNS0_17constant_iteratorIjlEEPsPlSF_S6_NS0_8equal_toIsEEEE10hipError_tPvRmT2_T3_mT4_T5_T6_T7_T8_P12ihipStream_tbENKUlT_T0_E_clISt17integral_constantIbLb1EESY_IbLb0EEEEDaSU_SV_EUlSU_E_NS1_11comp_targetILNS1_3genE0ELNS1_11target_archE4294967295ELNS1_3gpuE0ELNS1_3repE0EEENS1_30default_config_static_selectorELNS0_4arch9wavefront6targetE1EEEvT1_,comdat
.Lfunc_end598:
	.size	_ZN7rocprim17ROCPRIM_400000_NS6detail17trampoline_kernelINS0_14default_configENS1_33run_length_encode_config_selectorIsjNS0_4plusIjEEEEZZNS1_33reduce_by_key_impl_wrapped_configILNS1_25lookback_scan_determinismE0ES3_S7_PKsNS0_17constant_iteratorIjlEEPsPlSF_S6_NS0_8equal_toIsEEEE10hipError_tPvRmT2_T3_mT4_T5_T6_T7_T8_P12ihipStream_tbENKUlT_T0_E_clISt17integral_constantIbLb1EESY_IbLb0EEEEDaSU_SV_EUlSU_E_NS1_11comp_targetILNS1_3genE0ELNS1_11target_archE4294967295ELNS1_3gpuE0ELNS1_3repE0EEENS1_30default_config_static_selectorELNS0_4arch9wavefront6targetE1EEEvT1_, .Lfunc_end598-_ZN7rocprim17ROCPRIM_400000_NS6detail17trampoline_kernelINS0_14default_configENS1_33run_length_encode_config_selectorIsjNS0_4plusIjEEEEZZNS1_33reduce_by_key_impl_wrapped_configILNS1_25lookback_scan_determinismE0ES3_S7_PKsNS0_17constant_iteratorIjlEEPsPlSF_S6_NS0_8equal_toIsEEEE10hipError_tPvRmT2_T3_mT4_T5_T6_T7_T8_P12ihipStream_tbENKUlT_T0_E_clISt17integral_constantIbLb1EESY_IbLb0EEEEDaSU_SV_EUlSU_E_NS1_11comp_targetILNS1_3genE0ELNS1_11target_archE4294967295ELNS1_3gpuE0ELNS1_3repE0EEENS1_30default_config_static_selectorELNS0_4arch9wavefront6targetE1EEEvT1_
                                        ; -- End function
	.section	.AMDGPU.csdata,"",@progbits
; Kernel info:
; codeLenInByte = 0
; NumSgprs: 4
; NumVgprs: 0
; NumAgprs: 0
; TotalNumVgprs: 0
; ScratchSize: 0
; MemoryBound: 0
; FloatMode: 240
; IeeeMode: 1
; LDSByteSize: 0 bytes/workgroup (compile time only)
; SGPRBlocks: 0
; VGPRBlocks: 0
; NumSGPRsForWavesPerEU: 4
; NumVGPRsForWavesPerEU: 1
; AccumOffset: 4
; Occupancy: 8
; WaveLimiterHint : 0
; COMPUTE_PGM_RSRC2:SCRATCH_EN: 0
; COMPUTE_PGM_RSRC2:USER_SGPR: 6
; COMPUTE_PGM_RSRC2:TRAP_HANDLER: 0
; COMPUTE_PGM_RSRC2:TGID_X_EN: 1
; COMPUTE_PGM_RSRC2:TGID_Y_EN: 0
; COMPUTE_PGM_RSRC2:TGID_Z_EN: 0
; COMPUTE_PGM_RSRC2:TIDIG_COMP_CNT: 0
; COMPUTE_PGM_RSRC3_GFX90A:ACCUM_OFFSET: 0
; COMPUTE_PGM_RSRC3_GFX90A:TG_SPLIT: 0
	.section	.text._ZN7rocprim17ROCPRIM_400000_NS6detail17trampoline_kernelINS0_14default_configENS1_33run_length_encode_config_selectorIsjNS0_4plusIjEEEEZZNS1_33reduce_by_key_impl_wrapped_configILNS1_25lookback_scan_determinismE0ES3_S7_PKsNS0_17constant_iteratorIjlEEPsPlSF_S6_NS0_8equal_toIsEEEE10hipError_tPvRmT2_T3_mT4_T5_T6_T7_T8_P12ihipStream_tbENKUlT_T0_E_clISt17integral_constantIbLb1EESY_IbLb0EEEEDaSU_SV_EUlSU_E_NS1_11comp_targetILNS1_3genE5ELNS1_11target_archE942ELNS1_3gpuE9ELNS1_3repE0EEENS1_30default_config_static_selectorELNS0_4arch9wavefront6targetE1EEEvT1_,"axG",@progbits,_ZN7rocprim17ROCPRIM_400000_NS6detail17trampoline_kernelINS0_14default_configENS1_33run_length_encode_config_selectorIsjNS0_4plusIjEEEEZZNS1_33reduce_by_key_impl_wrapped_configILNS1_25lookback_scan_determinismE0ES3_S7_PKsNS0_17constant_iteratorIjlEEPsPlSF_S6_NS0_8equal_toIsEEEE10hipError_tPvRmT2_T3_mT4_T5_T6_T7_T8_P12ihipStream_tbENKUlT_T0_E_clISt17integral_constantIbLb1EESY_IbLb0EEEEDaSU_SV_EUlSU_E_NS1_11comp_targetILNS1_3genE5ELNS1_11target_archE942ELNS1_3gpuE9ELNS1_3repE0EEENS1_30default_config_static_selectorELNS0_4arch9wavefront6targetE1EEEvT1_,comdat
	.protected	_ZN7rocprim17ROCPRIM_400000_NS6detail17trampoline_kernelINS0_14default_configENS1_33run_length_encode_config_selectorIsjNS0_4plusIjEEEEZZNS1_33reduce_by_key_impl_wrapped_configILNS1_25lookback_scan_determinismE0ES3_S7_PKsNS0_17constant_iteratorIjlEEPsPlSF_S6_NS0_8equal_toIsEEEE10hipError_tPvRmT2_T3_mT4_T5_T6_T7_T8_P12ihipStream_tbENKUlT_T0_E_clISt17integral_constantIbLb1EESY_IbLb0EEEEDaSU_SV_EUlSU_E_NS1_11comp_targetILNS1_3genE5ELNS1_11target_archE942ELNS1_3gpuE9ELNS1_3repE0EEENS1_30default_config_static_selectorELNS0_4arch9wavefront6targetE1EEEvT1_ ; -- Begin function _ZN7rocprim17ROCPRIM_400000_NS6detail17trampoline_kernelINS0_14default_configENS1_33run_length_encode_config_selectorIsjNS0_4plusIjEEEEZZNS1_33reduce_by_key_impl_wrapped_configILNS1_25lookback_scan_determinismE0ES3_S7_PKsNS0_17constant_iteratorIjlEEPsPlSF_S6_NS0_8equal_toIsEEEE10hipError_tPvRmT2_T3_mT4_T5_T6_T7_T8_P12ihipStream_tbENKUlT_T0_E_clISt17integral_constantIbLb1EESY_IbLb0EEEEDaSU_SV_EUlSU_E_NS1_11comp_targetILNS1_3genE5ELNS1_11target_archE942ELNS1_3gpuE9ELNS1_3repE0EEENS1_30default_config_static_selectorELNS0_4arch9wavefront6targetE1EEEvT1_
	.globl	_ZN7rocprim17ROCPRIM_400000_NS6detail17trampoline_kernelINS0_14default_configENS1_33run_length_encode_config_selectorIsjNS0_4plusIjEEEEZZNS1_33reduce_by_key_impl_wrapped_configILNS1_25lookback_scan_determinismE0ES3_S7_PKsNS0_17constant_iteratorIjlEEPsPlSF_S6_NS0_8equal_toIsEEEE10hipError_tPvRmT2_T3_mT4_T5_T6_T7_T8_P12ihipStream_tbENKUlT_T0_E_clISt17integral_constantIbLb1EESY_IbLb0EEEEDaSU_SV_EUlSU_E_NS1_11comp_targetILNS1_3genE5ELNS1_11target_archE942ELNS1_3gpuE9ELNS1_3repE0EEENS1_30default_config_static_selectorELNS0_4arch9wavefront6targetE1EEEvT1_
	.p2align	8
	.type	_ZN7rocprim17ROCPRIM_400000_NS6detail17trampoline_kernelINS0_14default_configENS1_33run_length_encode_config_selectorIsjNS0_4plusIjEEEEZZNS1_33reduce_by_key_impl_wrapped_configILNS1_25lookback_scan_determinismE0ES3_S7_PKsNS0_17constant_iteratorIjlEEPsPlSF_S6_NS0_8equal_toIsEEEE10hipError_tPvRmT2_T3_mT4_T5_T6_T7_T8_P12ihipStream_tbENKUlT_T0_E_clISt17integral_constantIbLb1EESY_IbLb0EEEEDaSU_SV_EUlSU_E_NS1_11comp_targetILNS1_3genE5ELNS1_11target_archE942ELNS1_3gpuE9ELNS1_3repE0EEENS1_30default_config_static_selectorELNS0_4arch9wavefront6targetE1EEEvT1_,@function
_ZN7rocprim17ROCPRIM_400000_NS6detail17trampoline_kernelINS0_14default_configENS1_33run_length_encode_config_selectorIsjNS0_4plusIjEEEEZZNS1_33reduce_by_key_impl_wrapped_configILNS1_25lookback_scan_determinismE0ES3_S7_PKsNS0_17constant_iteratorIjlEEPsPlSF_S6_NS0_8equal_toIsEEEE10hipError_tPvRmT2_T3_mT4_T5_T6_T7_T8_P12ihipStream_tbENKUlT_T0_E_clISt17integral_constantIbLb1EESY_IbLb0EEEEDaSU_SV_EUlSU_E_NS1_11comp_targetILNS1_3genE5ELNS1_11target_archE942ELNS1_3gpuE9ELNS1_3repE0EEENS1_30default_config_static_selectorELNS0_4arch9wavefront6targetE1EEEvT1_: ; @_ZN7rocprim17ROCPRIM_400000_NS6detail17trampoline_kernelINS0_14default_configENS1_33run_length_encode_config_selectorIsjNS0_4plusIjEEEEZZNS1_33reduce_by_key_impl_wrapped_configILNS1_25lookback_scan_determinismE0ES3_S7_PKsNS0_17constant_iteratorIjlEEPsPlSF_S6_NS0_8equal_toIsEEEE10hipError_tPvRmT2_T3_mT4_T5_T6_T7_T8_P12ihipStream_tbENKUlT_T0_E_clISt17integral_constantIbLb1EESY_IbLb0EEEEDaSU_SV_EUlSU_E_NS1_11comp_targetILNS1_3genE5ELNS1_11target_archE942ELNS1_3gpuE9ELNS1_3repE0EEENS1_30default_config_static_selectorELNS0_4arch9wavefront6targetE1EEEvT1_
; %bb.0:
	.section	.rodata,"a",@progbits
	.p2align	6, 0x0
	.amdhsa_kernel _ZN7rocprim17ROCPRIM_400000_NS6detail17trampoline_kernelINS0_14default_configENS1_33run_length_encode_config_selectorIsjNS0_4plusIjEEEEZZNS1_33reduce_by_key_impl_wrapped_configILNS1_25lookback_scan_determinismE0ES3_S7_PKsNS0_17constant_iteratorIjlEEPsPlSF_S6_NS0_8equal_toIsEEEE10hipError_tPvRmT2_T3_mT4_T5_T6_T7_T8_P12ihipStream_tbENKUlT_T0_E_clISt17integral_constantIbLb1EESY_IbLb0EEEEDaSU_SV_EUlSU_E_NS1_11comp_targetILNS1_3genE5ELNS1_11target_archE942ELNS1_3gpuE9ELNS1_3repE0EEENS1_30default_config_static_selectorELNS0_4arch9wavefront6targetE1EEEvT1_
		.amdhsa_group_segment_fixed_size 0
		.amdhsa_private_segment_fixed_size 0
		.amdhsa_kernarg_size 128
		.amdhsa_user_sgpr_count 6
		.amdhsa_user_sgpr_private_segment_buffer 1
		.amdhsa_user_sgpr_dispatch_ptr 0
		.amdhsa_user_sgpr_queue_ptr 0
		.amdhsa_user_sgpr_kernarg_segment_ptr 1
		.amdhsa_user_sgpr_dispatch_id 0
		.amdhsa_user_sgpr_flat_scratch_init 0
		.amdhsa_user_sgpr_kernarg_preload_length 0
		.amdhsa_user_sgpr_kernarg_preload_offset 0
		.amdhsa_user_sgpr_private_segment_size 0
		.amdhsa_uses_dynamic_stack 0
		.amdhsa_system_sgpr_private_segment_wavefront_offset 0
		.amdhsa_system_sgpr_workgroup_id_x 1
		.amdhsa_system_sgpr_workgroup_id_y 0
		.amdhsa_system_sgpr_workgroup_id_z 0
		.amdhsa_system_sgpr_workgroup_info 0
		.amdhsa_system_vgpr_workitem_id 0
		.amdhsa_next_free_vgpr 1
		.amdhsa_next_free_sgpr 0
		.amdhsa_accum_offset 4
		.amdhsa_reserve_vcc 0
		.amdhsa_reserve_flat_scratch 0
		.amdhsa_float_round_mode_32 0
		.amdhsa_float_round_mode_16_64 0
		.amdhsa_float_denorm_mode_32 3
		.amdhsa_float_denorm_mode_16_64 3
		.amdhsa_dx10_clamp 1
		.amdhsa_ieee_mode 1
		.amdhsa_fp16_overflow 0
		.amdhsa_tg_split 0
		.amdhsa_exception_fp_ieee_invalid_op 0
		.amdhsa_exception_fp_denorm_src 0
		.amdhsa_exception_fp_ieee_div_zero 0
		.amdhsa_exception_fp_ieee_overflow 0
		.amdhsa_exception_fp_ieee_underflow 0
		.amdhsa_exception_fp_ieee_inexact 0
		.amdhsa_exception_int_div_zero 0
	.end_amdhsa_kernel
	.section	.text._ZN7rocprim17ROCPRIM_400000_NS6detail17trampoline_kernelINS0_14default_configENS1_33run_length_encode_config_selectorIsjNS0_4plusIjEEEEZZNS1_33reduce_by_key_impl_wrapped_configILNS1_25lookback_scan_determinismE0ES3_S7_PKsNS0_17constant_iteratorIjlEEPsPlSF_S6_NS0_8equal_toIsEEEE10hipError_tPvRmT2_T3_mT4_T5_T6_T7_T8_P12ihipStream_tbENKUlT_T0_E_clISt17integral_constantIbLb1EESY_IbLb0EEEEDaSU_SV_EUlSU_E_NS1_11comp_targetILNS1_3genE5ELNS1_11target_archE942ELNS1_3gpuE9ELNS1_3repE0EEENS1_30default_config_static_selectorELNS0_4arch9wavefront6targetE1EEEvT1_,"axG",@progbits,_ZN7rocprim17ROCPRIM_400000_NS6detail17trampoline_kernelINS0_14default_configENS1_33run_length_encode_config_selectorIsjNS0_4plusIjEEEEZZNS1_33reduce_by_key_impl_wrapped_configILNS1_25lookback_scan_determinismE0ES3_S7_PKsNS0_17constant_iteratorIjlEEPsPlSF_S6_NS0_8equal_toIsEEEE10hipError_tPvRmT2_T3_mT4_T5_T6_T7_T8_P12ihipStream_tbENKUlT_T0_E_clISt17integral_constantIbLb1EESY_IbLb0EEEEDaSU_SV_EUlSU_E_NS1_11comp_targetILNS1_3genE5ELNS1_11target_archE942ELNS1_3gpuE9ELNS1_3repE0EEENS1_30default_config_static_selectorELNS0_4arch9wavefront6targetE1EEEvT1_,comdat
.Lfunc_end599:
	.size	_ZN7rocprim17ROCPRIM_400000_NS6detail17trampoline_kernelINS0_14default_configENS1_33run_length_encode_config_selectorIsjNS0_4plusIjEEEEZZNS1_33reduce_by_key_impl_wrapped_configILNS1_25lookback_scan_determinismE0ES3_S7_PKsNS0_17constant_iteratorIjlEEPsPlSF_S6_NS0_8equal_toIsEEEE10hipError_tPvRmT2_T3_mT4_T5_T6_T7_T8_P12ihipStream_tbENKUlT_T0_E_clISt17integral_constantIbLb1EESY_IbLb0EEEEDaSU_SV_EUlSU_E_NS1_11comp_targetILNS1_3genE5ELNS1_11target_archE942ELNS1_3gpuE9ELNS1_3repE0EEENS1_30default_config_static_selectorELNS0_4arch9wavefront6targetE1EEEvT1_, .Lfunc_end599-_ZN7rocprim17ROCPRIM_400000_NS6detail17trampoline_kernelINS0_14default_configENS1_33run_length_encode_config_selectorIsjNS0_4plusIjEEEEZZNS1_33reduce_by_key_impl_wrapped_configILNS1_25lookback_scan_determinismE0ES3_S7_PKsNS0_17constant_iteratorIjlEEPsPlSF_S6_NS0_8equal_toIsEEEE10hipError_tPvRmT2_T3_mT4_T5_T6_T7_T8_P12ihipStream_tbENKUlT_T0_E_clISt17integral_constantIbLb1EESY_IbLb0EEEEDaSU_SV_EUlSU_E_NS1_11comp_targetILNS1_3genE5ELNS1_11target_archE942ELNS1_3gpuE9ELNS1_3repE0EEENS1_30default_config_static_selectorELNS0_4arch9wavefront6targetE1EEEvT1_
                                        ; -- End function
	.section	.AMDGPU.csdata,"",@progbits
; Kernel info:
; codeLenInByte = 0
; NumSgprs: 4
; NumVgprs: 0
; NumAgprs: 0
; TotalNumVgprs: 0
; ScratchSize: 0
; MemoryBound: 0
; FloatMode: 240
; IeeeMode: 1
; LDSByteSize: 0 bytes/workgroup (compile time only)
; SGPRBlocks: 0
; VGPRBlocks: 0
; NumSGPRsForWavesPerEU: 4
; NumVGPRsForWavesPerEU: 1
; AccumOffset: 4
; Occupancy: 8
; WaveLimiterHint : 0
; COMPUTE_PGM_RSRC2:SCRATCH_EN: 0
; COMPUTE_PGM_RSRC2:USER_SGPR: 6
; COMPUTE_PGM_RSRC2:TRAP_HANDLER: 0
; COMPUTE_PGM_RSRC2:TGID_X_EN: 1
; COMPUTE_PGM_RSRC2:TGID_Y_EN: 0
; COMPUTE_PGM_RSRC2:TGID_Z_EN: 0
; COMPUTE_PGM_RSRC2:TIDIG_COMP_CNT: 0
; COMPUTE_PGM_RSRC3_GFX90A:ACCUM_OFFSET: 0
; COMPUTE_PGM_RSRC3_GFX90A:TG_SPLIT: 0
	.section	.text._ZN7rocprim17ROCPRIM_400000_NS6detail17trampoline_kernelINS0_14default_configENS1_33run_length_encode_config_selectorIsjNS0_4plusIjEEEEZZNS1_33reduce_by_key_impl_wrapped_configILNS1_25lookback_scan_determinismE0ES3_S7_PKsNS0_17constant_iteratorIjlEEPsPlSF_S6_NS0_8equal_toIsEEEE10hipError_tPvRmT2_T3_mT4_T5_T6_T7_T8_P12ihipStream_tbENKUlT_T0_E_clISt17integral_constantIbLb1EESY_IbLb0EEEEDaSU_SV_EUlSU_E_NS1_11comp_targetILNS1_3genE4ELNS1_11target_archE910ELNS1_3gpuE8ELNS1_3repE0EEENS1_30default_config_static_selectorELNS0_4arch9wavefront6targetE1EEEvT1_,"axG",@progbits,_ZN7rocprim17ROCPRIM_400000_NS6detail17trampoline_kernelINS0_14default_configENS1_33run_length_encode_config_selectorIsjNS0_4plusIjEEEEZZNS1_33reduce_by_key_impl_wrapped_configILNS1_25lookback_scan_determinismE0ES3_S7_PKsNS0_17constant_iteratorIjlEEPsPlSF_S6_NS0_8equal_toIsEEEE10hipError_tPvRmT2_T3_mT4_T5_T6_T7_T8_P12ihipStream_tbENKUlT_T0_E_clISt17integral_constantIbLb1EESY_IbLb0EEEEDaSU_SV_EUlSU_E_NS1_11comp_targetILNS1_3genE4ELNS1_11target_archE910ELNS1_3gpuE8ELNS1_3repE0EEENS1_30default_config_static_selectorELNS0_4arch9wavefront6targetE1EEEvT1_,comdat
	.protected	_ZN7rocprim17ROCPRIM_400000_NS6detail17trampoline_kernelINS0_14default_configENS1_33run_length_encode_config_selectorIsjNS0_4plusIjEEEEZZNS1_33reduce_by_key_impl_wrapped_configILNS1_25lookback_scan_determinismE0ES3_S7_PKsNS0_17constant_iteratorIjlEEPsPlSF_S6_NS0_8equal_toIsEEEE10hipError_tPvRmT2_T3_mT4_T5_T6_T7_T8_P12ihipStream_tbENKUlT_T0_E_clISt17integral_constantIbLb1EESY_IbLb0EEEEDaSU_SV_EUlSU_E_NS1_11comp_targetILNS1_3genE4ELNS1_11target_archE910ELNS1_3gpuE8ELNS1_3repE0EEENS1_30default_config_static_selectorELNS0_4arch9wavefront6targetE1EEEvT1_ ; -- Begin function _ZN7rocprim17ROCPRIM_400000_NS6detail17trampoline_kernelINS0_14default_configENS1_33run_length_encode_config_selectorIsjNS0_4plusIjEEEEZZNS1_33reduce_by_key_impl_wrapped_configILNS1_25lookback_scan_determinismE0ES3_S7_PKsNS0_17constant_iteratorIjlEEPsPlSF_S6_NS0_8equal_toIsEEEE10hipError_tPvRmT2_T3_mT4_T5_T6_T7_T8_P12ihipStream_tbENKUlT_T0_E_clISt17integral_constantIbLb1EESY_IbLb0EEEEDaSU_SV_EUlSU_E_NS1_11comp_targetILNS1_3genE4ELNS1_11target_archE910ELNS1_3gpuE8ELNS1_3repE0EEENS1_30default_config_static_selectorELNS0_4arch9wavefront6targetE1EEEvT1_
	.globl	_ZN7rocprim17ROCPRIM_400000_NS6detail17trampoline_kernelINS0_14default_configENS1_33run_length_encode_config_selectorIsjNS0_4plusIjEEEEZZNS1_33reduce_by_key_impl_wrapped_configILNS1_25lookback_scan_determinismE0ES3_S7_PKsNS0_17constant_iteratorIjlEEPsPlSF_S6_NS0_8equal_toIsEEEE10hipError_tPvRmT2_T3_mT4_T5_T6_T7_T8_P12ihipStream_tbENKUlT_T0_E_clISt17integral_constantIbLb1EESY_IbLb0EEEEDaSU_SV_EUlSU_E_NS1_11comp_targetILNS1_3genE4ELNS1_11target_archE910ELNS1_3gpuE8ELNS1_3repE0EEENS1_30default_config_static_selectorELNS0_4arch9wavefront6targetE1EEEvT1_
	.p2align	8
	.type	_ZN7rocprim17ROCPRIM_400000_NS6detail17trampoline_kernelINS0_14default_configENS1_33run_length_encode_config_selectorIsjNS0_4plusIjEEEEZZNS1_33reduce_by_key_impl_wrapped_configILNS1_25lookback_scan_determinismE0ES3_S7_PKsNS0_17constant_iteratorIjlEEPsPlSF_S6_NS0_8equal_toIsEEEE10hipError_tPvRmT2_T3_mT4_T5_T6_T7_T8_P12ihipStream_tbENKUlT_T0_E_clISt17integral_constantIbLb1EESY_IbLb0EEEEDaSU_SV_EUlSU_E_NS1_11comp_targetILNS1_3genE4ELNS1_11target_archE910ELNS1_3gpuE8ELNS1_3repE0EEENS1_30default_config_static_selectorELNS0_4arch9wavefront6targetE1EEEvT1_,@function
_ZN7rocprim17ROCPRIM_400000_NS6detail17trampoline_kernelINS0_14default_configENS1_33run_length_encode_config_selectorIsjNS0_4plusIjEEEEZZNS1_33reduce_by_key_impl_wrapped_configILNS1_25lookback_scan_determinismE0ES3_S7_PKsNS0_17constant_iteratorIjlEEPsPlSF_S6_NS0_8equal_toIsEEEE10hipError_tPvRmT2_T3_mT4_T5_T6_T7_T8_P12ihipStream_tbENKUlT_T0_E_clISt17integral_constantIbLb1EESY_IbLb0EEEEDaSU_SV_EUlSU_E_NS1_11comp_targetILNS1_3genE4ELNS1_11target_archE910ELNS1_3gpuE8ELNS1_3repE0EEENS1_30default_config_static_selectorELNS0_4arch9wavefront6targetE1EEEvT1_: ; @_ZN7rocprim17ROCPRIM_400000_NS6detail17trampoline_kernelINS0_14default_configENS1_33run_length_encode_config_selectorIsjNS0_4plusIjEEEEZZNS1_33reduce_by_key_impl_wrapped_configILNS1_25lookback_scan_determinismE0ES3_S7_PKsNS0_17constant_iteratorIjlEEPsPlSF_S6_NS0_8equal_toIsEEEE10hipError_tPvRmT2_T3_mT4_T5_T6_T7_T8_P12ihipStream_tbENKUlT_T0_E_clISt17integral_constantIbLb1EESY_IbLb0EEEEDaSU_SV_EUlSU_E_NS1_11comp_targetILNS1_3genE4ELNS1_11target_archE910ELNS1_3gpuE8ELNS1_3repE0EEENS1_30default_config_static_selectorELNS0_4arch9wavefront6targetE1EEEvT1_
; %bb.0:
	s_load_dwordx8 s[36:43], s[4:5], 0x40
	s_load_dwordx4 s[0:3], s[4:5], 0x0
	s_load_dword s7, s[4:5], 0x10
	s_load_dwordx4 s[28:31], s[4:5], 0x60
	s_mov_b64 s[12:13], -1
	s_waitcnt lgkmcnt(0)
	s_mul_i32 s8, s40, s39
	s_mul_hi_u32 s9, s40, s38
	s_add_i32 s8, s9, s8
	s_mul_i32 s9, s41, s38
	s_add_i32 s9, s8, s9
	s_lshl_b64 s[2:3], s[2:3], 1
	s_add_u32 s2, s0, s2
	s_addc_u32 s3, s1, s3
	s_mul_i32 s0, s6, 0xa80
	s_mov_b32 s1, 0
	s_lshl_b64 s[0:1], s[0:1], 1
	s_add_u32 s2, s2, s0
	s_mul_i32 s8, s40, s38
	s_addc_u32 s3, s3, s1
	s_add_u32 s8, s8, s6
	s_addc_u32 s9, s9, 0
	s_add_u32 s10, s42, -1
	s_addc_u32 s11, s43, -1
	s_cmp_eq_u64 s[8:9], s[10:11]
	s_cselect_b64 s[34:35], -1, 0
	s_cmp_lg_u64 s[8:9], s[10:11]
	s_cselect_b64 s[0:1], -1, 0
	s_mul_i32 s33, s10, 0xfffff580
	s_and_b64 vcc, exec, s[34:35]
	s_cbranch_vccnz .LBB600_2
; %bb.1:
	v_lshlrev_b32_e32 v1, 1, v0
	v_mov_b32_e32 v2, s3
	v_add_co_u32_e32 v3, vcc, s2, v1
	v_addc_co_u32_e32 v4, vcc, 0, v2, vcc
	v_add_co_u32_e32 v2, vcc, 0x1000, v3
	global_load_ushort v5, v1, s[2:3]
	global_load_ushort v6, v1, s[2:3] offset:384
	global_load_ushort v7, v1, s[2:3] offset:768
	;; [unrolled: 1-line block ×7, first 2 shown]
	v_addc_co_u32_e32 v3, vcc, 0, v4, vcc
	global_load_ushort v4, v1, s[2:3] offset:3072
	global_load_ushort v13, v1, s[2:3] offset:3456
	;; [unrolled: 1-line block ×3, first 2 shown]
	global_load_ushort v15, v[2:3], off offset:128
	global_load_ushort v16, v[2:3], off offset:512
	;; [unrolled: 1-line block ×3, first 2 shown]
	v_mad_u32_u24 v2, v0, 26, v1
	s_mov_b64 s[10:11], -1
	s_waitcnt vmcnt(13)
	ds_write_b16 v1, v5
	s_waitcnt vmcnt(12)
	ds_write_b16 v1, v6 offset:384
	s_waitcnt vmcnt(11)
	ds_write_b16 v1, v7 offset:768
	;; [unrolled: 2-line block ×13, first 2 shown]
	s_waitcnt lgkmcnt(0)
	s_barrier
	ds_read2_b32 v[12:13], v2 offset1:1
	ds_read2_b32 v[10:11], v2 offset0:2 offset1:3
	ds_read2_b32 v[8:9], v2 offset0:4 offset1:5
	ds_read_b32 v1, v2 offset:24
	s_add_i32 s33, s33, s28
	s_cbranch_execz .LBB600_3
	s_branch .LBB600_32
.LBB600_2:
	s_mov_b64 s[10:11], 0
                                        ; implicit-def: $vgpr12
                                        ; implicit-def: $vgpr10
                                        ; implicit-def: $vgpr8
                                        ; implicit-def: $vgpr1
	s_add_i32 s33, s33, s28
	s_andn2_b64 vcc, exec, s[12:13]
	s_cbranch_vccnz .LBB600_32
.LBB600_3:
	v_cmp_gt_u32_e32 vcc, s33, v0
                                        ; implicit-def: $vgpr1
	s_and_saveexec_b64 s[10:11], vcc
	s_cbranch_execz .LBB600_5
; %bb.4:
	s_waitcnt lgkmcnt(0)
	v_lshlrev_b32_e32 v1, 1, v0
	global_load_ushort v1, v1, s[2:3]
.LBB600_5:
	s_or_b64 exec, exec, s[10:11]
	v_add_u32_e32 v2, 0xc0, v0
	v_cmp_gt_u32_e32 vcc, s33, v2
                                        ; implicit-def: $vgpr2
	s_and_saveexec_b64 s[10:11], vcc
	s_cbranch_execz .LBB600_7
; %bb.6:
	v_lshlrev_b32_e32 v2, 1, v0
	global_load_ushort v2, v2, s[2:3] offset:384
.LBB600_7:
	s_or_b64 exec, exec, s[10:11]
	v_add_u32_e32 v3, 0x180, v0
	v_cmp_gt_u32_e32 vcc, s33, v3
                                        ; implicit-def: $vgpr3
	s_and_saveexec_b64 s[10:11], vcc
	s_cbranch_execz .LBB600_9
; %bb.8:
	v_lshlrev_b32_e32 v3, 1, v0
	global_load_ushort v3, v3, s[2:3] offset:768
.LBB600_9:
	s_or_b64 exec, exec, s[10:11]
	v_add_u32_e32 v4, 0x240, v0
	v_cmp_gt_u32_e32 vcc, s33, v4
                                        ; implicit-def: $vgpr4
	s_and_saveexec_b64 s[10:11], vcc
	s_cbranch_execz .LBB600_11
; %bb.10:
	v_lshlrev_b32_e32 v4, 1, v0
	global_load_ushort v4, v4, s[2:3] offset:1152
.LBB600_11:
	s_or_b64 exec, exec, s[10:11]
	v_or_b32_e32 v5, 0x300, v0
	v_cmp_gt_u32_e32 vcc, s33, v5
                                        ; implicit-def: $vgpr5
	s_and_saveexec_b64 s[10:11], vcc
	s_cbranch_execz .LBB600_13
; %bb.12:
	v_lshlrev_b32_e32 v5, 1, v0
	global_load_ushort v5, v5, s[2:3] offset:1536
.LBB600_13:
	s_or_b64 exec, exec, s[10:11]
	v_add_u32_e32 v6, 0x3c0, v0
	v_cmp_gt_u32_e32 vcc, s33, v6
                                        ; implicit-def: $vgpr6
	s_and_saveexec_b64 s[10:11], vcc
	s_cbranch_execz .LBB600_15
; %bb.14:
	v_lshlrev_b32_e32 v6, 1, v0
	global_load_ushort v6, v6, s[2:3] offset:1920
.LBB600_15:
	s_or_b64 exec, exec, s[10:11]
	v_add_u32_e32 v7, 0x480, v0
	v_cmp_gt_u32_e32 vcc, s33, v7
                                        ; implicit-def: $vgpr7
	s_and_saveexec_b64 s[10:11], vcc
	s_cbranch_execz .LBB600_17
; %bb.16:
	v_lshlrev_b32_e32 v7, 1, v0
	global_load_ushort v7, v7, s[2:3] offset:2304
.LBB600_17:
	s_or_b64 exec, exec, s[10:11]
	s_waitcnt lgkmcnt(1)
	v_add_u32_e32 v8, 0x540, v0
	v_cmp_gt_u32_e32 vcc, s33, v8
                                        ; implicit-def: $vgpr8
	s_and_saveexec_b64 s[10:11], vcc
	s_cbranch_execz .LBB600_19
; %bb.18:
	v_lshlrev_b32_e32 v8, 1, v0
	global_load_ushort v8, v8, s[2:3] offset:2688
.LBB600_19:
	s_or_b64 exec, exec, s[10:11]
	v_or_b32_e32 v9, 0x600, v0
	v_cmp_gt_u32_e32 vcc, s33, v9
                                        ; implicit-def: $vgpr9
	s_and_saveexec_b64 s[10:11], vcc
	s_cbranch_execz .LBB600_21
; %bb.20:
	v_lshlrev_b32_e32 v9, 1, v0
	global_load_ushort v9, v9, s[2:3] offset:3072
.LBB600_21:
	s_or_b64 exec, exec, s[10:11]
	v_add_u32_e32 v10, 0x6c0, v0
	v_cmp_gt_u32_e32 vcc, s33, v10
                                        ; implicit-def: $vgpr10
	s_and_saveexec_b64 s[10:11], vcc
	s_cbranch_execz .LBB600_23
; %bb.22:
	v_lshlrev_b32_e32 v10, 1, v0
	global_load_ushort v10, v10, s[2:3] offset:3456
.LBB600_23:
	s_or_b64 exec, exec, s[10:11]
	v_add_u32_e32 v11, 0x780, v0
	v_cmp_gt_u32_e32 vcc, s33, v11
                                        ; implicit-def: $vgpr11
	s_and_saveexec_b64 s[10:11], vcc
	s_cbranch_execz .LBB600_25
; %bb.24:
	v_lshlrev_b32_e32 v11, 1, v0
	global_load_ushort v11, v11, s[2:3] offset:3840
.LBB600_25:
	s_or_b64 exec, exec, s[10:11]
	v_add_u32_e32 v13, 0x840, v0
	v_cmp_gt_u32_e32 vcc, s33, v13
                                        ; implicit-def: $vgpr12
	s_and_saveexec_b64 s[10:11], vcc
	s_cbranch_execz .LBB600_27
; %bb.26:
	v_lshlrev_b32_e32 v12, 1, v13
	global_load_ushort v12, v12, s[2:3]
.LBB600_27:
	s_or_b64 exec, exec, s[10:11]
	v_or_b32_e32 v14, 0x900, v0
	v_cmp_gt_u32_e32 vcc, s33, v14
                                        ; implicit-def: $vgpr13
	s_and_saveexec_b64 s[10:11], vcc
	s_cbranch_execz .LBB600_29
; %bb.28:
	v_lshlrev_b32_e32 v13, 1, v14
	global_load_ushort v13, v13, s[2:3]
.LBB600_29:
	s_or_b64 exec, exec, s[10:11]
	v_add_u32_e32 v15, 0x9c0, v0
	v_cmp_gt_u32_e32 vcc, s33, v15
                                        ; implicit-def: $vgpr14
	s_and_saveexec_b64 s[10:11], vcc
	s_cbranch_execz .LBB600_31
; %bb.30:
	v_lshlrev_b32_e32 v14, 1, v15
	global_load_ushort v14, v14, s[2:3]
.LBB600_31:
	s_or_b64 exec, exec, s[10:11]
	v_lshlrev_b32_e32 v15, 1, v0
	s_waitcnt vmcnt(0) lgkmcnt(0)
	ds_write_b16 v15, v1
	ds_write_b16 v15, v2 offset:384
	ds_write_b16 v15, v3 offset:768
	;; [unrolled: 1-line block ×13, first 2 shown]
	v_mad_u32_u24 v1, v0, 26, v15
	s_waitcnt lgkmcnt(0)
	s_barrier
	ds_read2_b32 v[12:13], v1 offset1:1
	ds_read2_b32 v[10:11], v1 offset0:2 offset1:3
	ds_read2_b32 v[8:9], v1 offset0:4 offset1:5
	ds_read_b32 v1, v1 offset:24
	v_mad_u32_u24 v2, v0, 14, 13
	v_cmp_gt_u32_e64 s[10:11], s33, v2
.LBB600_32:
	v_mov_b32_e32 v42, s7
                                        ; implicit-def: $vgpr43
	s_and_saveexec_b64 s[12:13], s[10:11]
; %bb.33:
	v_mov_b32_e32 v43, s7
; %bb.34:
	s_or_b64 exec, exec, s[12:13]
	s_load_dwordx2 s[48:49], s[4:5], 0x70
	s_cmp_eq_u64 s[8:9], 0
	s_cselect_b64 s[44:45], -1, 0
	s_cmp_lg_u64 s[8:9], 0
	s_mov_b64 s[10:11], 0
	s_cselect_b64 s[12:13], -1, 0
	s_and_b64 vcc, exec, s[0:1]
	s_waitcnt lgkmcnt(0)
	s_barrier
	s_cbranch_vccz .LBB600_40
; %bb.35:
	s_and_b64 vcc, exec, s[12:13]
	s_cbranch_vccz .LBB600_41
; %bb.36:
	v_mov_b32_e32 v2, 0
	global_load_ushort v2, v2, s[2:3] offset:-2
	v_lshrrev_b32_e32 v4, 16, v1
	v_lshlrev_b32_e32 v3, 1, v0
	v_cmp_ne_u16_e32 vcc, v1, v4
	v_cmp_ne_u16_sdwa s[10:11], v9, v1 src0_sel:WORD_1 src1_sel:DWORD
	v_cmp_ne_u16_sdwa s[14:15], v9, v9 src0_sel:DWORD src1_sel:WORD_1
	v_cmp_ne_u16_sdwa s[16:17], v8, v9 src0_sel:WORD_1 src1_sel:DWORD
	v_cmp_ne_u16_sdwa s[18:19], v8, v8 src0_sel:DWORD src1_sel:WORD_1
	;; [unrolled: 2-line block ×6, first 2 shown]
	v_cmp_ne_u32_e64 s[0:1], 0, v0
	ds_write_b16 v3, v4
	s_waitcnt lgkmcnt(0)
	s_barrier
	s_and_saveexec_b64 s[52:53], s[0:1]
	s_cbranch_execz .LBB600_38
; %bb.37:
	s_waitcnt vmcnt(0)
	v_add_u32_e32 v2, -2, v3
	ds_read_u16 v2, v2
.LBB600_38:
	s_or_b64 exec, exec, s[52:53]
	v_cndmask_b32_e64 v44, 0, 1, vcc
	v_cndmask_b32_e64 v45, 0, 1, s[10:11]
	v_cndmask_b32_e64 v46, 0, 1, s[14:15]
	;; [unrolled: 1-line block ×12, first 2 shown]
	s_waitcnt vmcnt(0) lgkmcnt(0)
	v_cmp_ne_u16_e64 s[0:1], v2, v12
	s_mov_b64 s[10:11], -1
.LBB600_39:
                                        ; implicit-def: $sgpr7
	s_branch .LBB600_53
.LBB600_40:
                                        ; implicit-def: $sgpr0_sgpr1
                                        ; implicit-def: $vgpr44
                                        ; implicit-def: $vgpr45
                                        ; implicit-def: $vgpr46
                                        ; implicit-def: $vgpr47
                                        ; implicit-def: $vgpr48
                                        ; implicit-def: $vgpr49
                                        ; implicit-def: $vgpr50
                                        ; implicit-def: $vgpr51
                                        ; implicit-def: $vgpr52
                                        ; implicit-def: $vgpr53
                                        ; implicit-def: $vgpr54
                                        ; implicit-def: $vgpr55
                                        ; implicit-def: $vgpr56
                                        ; implicit-def: $sgpr7
	s_cbranch_execnz .LBB600_45
	s_branch .LBB600_53
.LBB600_41:
                                        ; implicit-def: $sgpr0_sgpr1
                                        ; implicit-def: $vgpr44
                                        ; implicit-def: $vgpr45
                                        ; implicit-def: $vgpr46
                                        ; implicit-def: $vgpr47
                                        ; implicit-def: $vgpr48
                                        ; implicit-def: $vgpr49
                                        ; implicit-def: $vgpr50
                                        ; implicit-def: $vgpr51
                                        ; implicit-def: $vgpr52
                                        ; implicit-def: $vgpr53
                                        ; implicit-def: $vgpr54
                                        ; implicit-def: $vgpr55
                                        ; implicit-def: $vgpr56
	s_cbranch_execz .LBB600_39
; %bb.42:
	v_cmp_ne_u16_sdwa s[0:1], v9, v1 src0_sel:WORD_1 src1_sel:DWORD
	v_cndmask_b32_e64 v45, 0, 1, s[0:1]
	v_cmp_ne_u16_sdwa s[0:1], v9, v9 src0_sel:DWORD src1_sel:WORD_1
	v_cndmask_b32_e64 v46, 0, 1, s[0:1]
	v_cmp_ne_u16_sdwa s[0:1], v8, v9 src0_sel:WORD_1 src1_sel:DWORD
	v_cndmask_b32_e64 v47, 0, 1, s[0:1]
	v_cmp_ne_u16_sdwa s[0:1], v8, v8 src0_sel:DWORD src1_sel:WORD_1
	v_cndmask_b32_e64 v48, 0, 1, s[0:1]
	;; [unrolled: 4-line block ×4, first 2 shown]
	v_cmp_ne_u16_sdwa s[0:1], v13, v10 src0_sel:WORD_1 src1_sel:DWORD
	v_cndmask_b32_e64 v53, 0, 1, s[0:1]
	v_cmp_ne_u16_sdwa s[0:1], v13, v13 src0_sel:DWORD src1_sel:WORD_1
	v_lshrrev_b32_e32 v3, 16, v1
	v_cndmask_b32_e64 v54, 0, 1, s[0:1]
	v_cmp_ne_u16_sdwa s[0:1], v12, v13 src0_sel:WORD_1 src1_sel:DWORD
	v_cmp_ne_u16_e32 vcc, v1, v3
	v_cndmask_b32_e64 v55, 0, 1, s[0:1]
	v_cmp_ne_u16_sdwa s[0:1], v12, v12 src0_sel:DWORD src1_sel:WORD_1
	s_mov_b32 s7, 1
	v_lshlrev_b32_e32 v2, 1, v0
	v_cndmask_b32_e64 v44, 0, 1, vcc
	v_cndmask_b32_e64 v56, 0, 1, s[0:1]
	v_cmp_ne_u32_e32 vcc, 0, v0
	ds_write_b16 v2, v3
	s_waitcnt lgkmcnt(0)
	s_barrier
	s_waitcnt lgkmcnt(0)
                                        ; implicit-def: $sgpr0_sgpr1
	s_and_saveexec_b64 s[14:15], vcc
	s_xor_b64 s[14:15], exec, s[14:15]
	s_cbranch_execz .LBB600_44
; %bb.43:
	v_add_u32_e32 v2, -2, v2
	ds_read_u16 v2, v2
	s_or_b64 s[10:11], s[10:11], exec
	s_waitcnt lgkmcnt(0)
	v_cmp_ne_u16_e32 vcc, v2, v12
	s_and_b64 s[0:1], vcc, exec
.LBB600_44:
	s_or_b64 exec, exec, s[14:15]
	s_branch .LBB600_53
.LBB600_45:
	s_mul_hi_u32 s1, s8, 0xfffff580
	s_mul_i32 s0, s9, 0xfffff580
	s_sub_i32 s1, s1, s8
	s_add_i32 s1, s1, s0
	s_mul_i32 s0, s8, 0xfffff580
	s_add_u32 s8, s0, s28
	s_addc_u32 s9, s1, s29
	s_and_b64 vcc, exec, s[12:13]
	s_cbranch_vccz .LBB600_50
; %bb.46:
	v_mov_b32_e32 v3, 0
	global_load_ushort v6, v3, s[2:3] offset:-2
	v_lshrrev_b32_e32 v7, 16, v1
	v_mad_u32_u24 v2, v0, 14, 13
	v_cmp_gt_u64_e32 vcc, s[8:9], v[2:3]
	v_cmp_ne_u16_e64 s[0:1], v1, v7
	v_mad_u32_u24 v2, v0, 14, 12
	s_and_b64 s[0:1], vcc, s[0:1]
	v_cmp_gt_u64_e32 vcc, s[8:9], v[2:3]
	v_cmp_ne_u16_sdwa s[2:3], v9, v1 src0_sel:WORD_1 src1_sel:DWORD
	v_mad_u32_u24 v2, v0, 14, 11
	s_and_b64 s[2:3], vcc, s[2:3]
	v_cmp_gt_u64_e32 vcc, s[8:9], v[2:3]
	v_cmp_ne_u16_sdwa s[10:11], v9, v9 src0_sel:DWORD src1_sel:WORD_1
	v_mad_u32_u24 v2, v0, 14, 10
	s_and_b64 s[10:11], vcc, s[10:11]
	v_cmp_gt_u64_e32 vcc, s[8:9], v[2:3]
	v_cmp_ne_u16_sdwa s[12:13], v8, v9 src0_sel:WORD_1 src1_sel:DWORD
	v_mad_u32_u24 v2, v0, 14, 9
	s_and_b64 s[12:13], vcc, s[12:13]
	v_cmp_gt_u64_e32 vcc, s[8:9], v[2:3]
	v_cmp_ne_u16_sdwa s[14:15], v8, v8 src0_sel:DWORD src1_sel:WORD_1
	;; [unrolled: 8-line block ×4, first 2 shown]
	v_mad_u32_u24 v2, v0, 14, 4
	s_and_b64 s[22:23], vcc, s[22:23]
	v_cmp_gt_u64_e32 vcc, s[8:9], v[2:3]
	v_cmp_ne_u16_sdwa s[24:25], v13, v10 src0_sel:WORD_1 src1_sel:DWORD
	v_mad_u32_u24 v2, v0, 14, 3
	v_mul_u32_u24_e32 v4, 14, v0
	s_and_b64 s[24:25], vcc, s[24:25]
	v_cmp_gt_u64_e32 vcc, s[8:9], v[2:3]
	v_cmp_ne_u16_sdwa s[26:27], v13, v13 src0_sel:DWORD src1_sel:WORD_1
	v_mad_u32_u24 v2, v0, 14, 2
	s_and_b64 s[26:27], vcc, s[26:27]
	v_cmp_gt_u64_e32 vcc, s[8:9], v[2:3]
	v_cmp_ne_u16_sdwa s[28:29], v12, v13 src0_sel:WORD_1 src1_sel:DWORD
	v_or_b32_e32 v2, 1, v4
	s_and_b64 s[28:29], vcc, s[28:29]
	v_cmp_gt_u64_e32 vcc, s[8:9], v[2:3]
	v_cmp_ne_u16_sdwa s[40:41], v12, v12 src0_sel:DWORD src1_sel:WORD_1
	v_lshlrev_b32_e32 v5, 1, v0
	s_and_b64 s[40:41], vcc, s[40:41]
	v_cmp_ne_u32_e32 vcc, 0, v0
	ds_write_b16 v5, v7
	s_waitcnt lgkmcnt(0)
	s_barrier
	s_and_saveexec_b64 s[42:43], vcc
	s_cbranch_execz .LBB600_48
; %bb.47:
	v_add_u32_e32 v2, -2, v5
	s_waitcnt vmcnt(0)
	ds_read_u16 v6, v2
.LBB600_48:
	s_or_b64 exec, exec, s[42:43]
	v_mov_b32_e32 v5, v3
	v_cndmask_b32_e64 v44, 0, 1, s[0:1]
	v_cmp_gt_u64_e32 vcc, s[8:9], v[4:5]
	s_waitcnt vmcnt(0) lgkmcnt(0)
	v_cmp_ne_u16_e64 s[0:1], v6, v12
	v_cndmask_b32_e64 v45, 0, 1, s[2:3]
	v_cndmask_b32_e64 v46, 0, 1, s[10:11]
	;; [unrolled: 1-line block ×12, first 2 shown]
	s_and_b64 s[0:1], vcc, s[0:1]
	s_mov_b64 s[10:11], -1
.LBB600_49:
                                        ; implicit-def: $sgpr7
	v_mov_b32_e32 v57, s7
	s_and_saveexec_b64 s[2:3], s[10:11]
	s_cbranch_execnz .LBB600_54
	s_branch .LBB600_55
.LBB600_50:
                                        ; implicit-def: $sgpr0_sgpr1
                                        ; implicit-def: $vgpr44
                                        ; implicit-def: $vgpr45
                                        ; implicit-def: $vgpr46
                                        ; implicit-def: $vgpr47
                                        ; implicit-def: $vgpr48
                                        ; implicit-def: $vgpr49
                                        ; implicit-def: $vgpr50
                                        ; implicit-def: $vgpr51
                                        ; implicit-def: $vgpr52
                                        ; implicit-def: $vgpr53
                                        ; implicit-def: $vgpr54
                                        ; implicit-def: $vgpr55
                                        ; implicit-def: $vgpr56
	s_cbranch_execz .LBB600_49
; %bb.51:
	v_lshrrev_b32_e32 v6, 16, v1
	v_mad_u32_u24 v4, v0, 14, 13
	v_mov_b32_e32 v5, 0
	v_cmp_gt_u64_e32 vcc, s[8:9], v[4:5]
	v_cmp_ne_u16_e64 s[0:1], v1, v6
	s_and_b64 s[0:1], vcc, s[0:1]
	v_mad_u32_u24 v4, v0, 14, 12
	v_cndmask_b32_e64 v44, 0, 1, s[0:1]
	v_cmp_gt_u64_e32 vcc, s[8:9], v[4:5]
	v_cmp_ne_u16_sdwa s[0:1], v9, v1 src0_sel:WORD_1 src1_sel:DWORD
	s_and_b64 s[0:1], vcc, s[0:1]
	v_mad_u32_u24 v4, v0, 14, 11
	v_cndmask_b32_e64 v45, 0, 1, s[0:1]
	v_cmp_gt_u64_e32 vcc, s[8:9], v[4:5]
	v_cmp_ne_u16_sdwa s[0:1], v9, v9 src0_sel:DWORD src1_sel:WORD_1
	s_and_b64 s[0:1], vcc, s[0:1]
	v_mad_u32_u24 v4, v0, 14, 10
	v_cndmask_b32_e64 v46, 0, 1, s[0:1]
	v_cmp_gt_u64_e32 vcc, s[8:9], v[4:5]
	v_cmp_ne_u16_sdwa s[0:1], v8, v9 src0_sel:WORD_1 src1_sel:DWORD
	s_and_b64 s[0:1], vcc, s[0:1]
	v_mad_u32_u24 v4, v0, 14, 9
	v_cndmask_b32_e64 v47, 0, 1, s[0:1]
	v_cmp_gt_u64_e32 vcc, s[8:9], v[4:5]
	v_cmp_ne_u16_sdwa s[0:1], v8, v8 src0_sel:DWORD src1_sel:WORD_1
	;; [unrolled: 10-line block ×5, first 2 shown]
	s_and_b64 s[0:1], vcc, s[0:1]
	v_mad_u32_u24 v4, v0, 14, 2
	v_mul_u32_u24_e32 v2, 14, v0
	v_cndmask_b32_e64 v54, 0, 1, s[0:1]
	v_cmp_gt_u64_e32 vcc, s[8:9], v[4:5]
	v_cmp_ne_u16_sdwa s[0:1], v12, v13 src0_sel:WORD_1 src1_sel:DWORD
	s_and_b64 s[0:1], vcc, s[0:1]
	v_or_b32_e32 v4, 1, v2
	v_cndmask_b32_e64 v55, 0, 1, s[0:1]
	v_cmp_gt_u64_e32 vcc, s[8:9], v[4:5]
	v_cmp_ne_u16_sdwa s[0:1], v12, v12 src0_sel:DWORD src1_sel:WORD_1
	s_and_b64 s[0:1], vcc, s[0:1]
	s_mov_b32 s7, 1
	v_lshlrev_b32_e32 v3, 1, v0
	v_cndmask_b32_e64 v56, 0, 1, s[0:1]
	v_cmp_ne_u32_e32 vcc, 0, v0
	ds_write_b16 v3, v6
	s_waitcnt lgkmcnt(0)
	s_barrier
	s_waitcnt lgkmcnt(0)
                                        ; implicit-def: $sgpr0_sgpr1
	s_and_saveexec_b64 s[2:3], vcc
	s_cbranch_execz .LBB600_138
; %bb.52:
	v_add_u32_e32 v3, -2, v3
	ds_read_u16 v4, v3
	v_mov_b32_e32 v3, v5
	v_cmp_gt_u64_e32 vcc, s[8:9], v[2:3]
	s_or_b64 s[10:11], s[10:11], exec
	s_waitcnt lgkmcnt(0)
	v_cmp_ne_u16_e64 s[0:1], v4, v12
	s_and_b64 s[0:1], vcc, s[0:1]
	s_and_b64 s[0:1], s[0:1], exec
	s_or_b64 exec, exec, s[2:3]
.LBB600_53:
	v_mov_b32_e32 v57, s7
	s_and_saveexec_b64 s[2:3], s[10:11]
.LBB600_54:
	v_cndmask_b32_e64 v57, 0, 1, s[0:1]
.LBB600_55:
	s_or_b64 exec, exec, s[2:3]
	s_load_dwordx4 s[40:43], s[4:5], 0x20
	s_load_dwordx2 s[46:47], s[4:5], 0x30
	s_cmp_eq_u64 s[38:39], 0
	v_add_u32_e32 v2, v56, v57
	s_cselect_b64 s[38:39], -1, 0
	s_cmp_lg_u32 s6, 0
	v_cmp_eq_u32_e64 s[22:23], 0, v56
	v_cmp_eq_u32_e64 s[20:21], 0, v55
	v_add3_u32 v60, v2, v55, v54
	v_cmp_eq_u32_e64 s[18:19], 0, v54
	v_cmp_eq_u32_e64 s[16:17], 0, v53
	;; [unrolled: 1-line block ×10, first 2 shown]
	v_cmp_eq_u32_e32 vcc, 0, v44
	v_mbcnt_lo_u32_b32 v59, -1, 0
	v_lshrrev_b32_e32 v58, 6, v0
	s_cbranch_scc0 .LBB600_86
; %bb.56:
	v_cndmask_b32_e64 v2, 0, v42, s[22:23]
	v_add_u32_e32 v2, v2, v42
	v_cndmask_b32_e64 v2, 0, v2, s[20:21]
	v_add_u32_e32 v2, v2, v42
	v_cndmask_b32_e64 v2, 0, v2, s[18:19]
	v_add_u32_e32 v2, v2, v42
	v_cndmask_b32_e64 v2, 0, v2, s[16:17]
	v_add_u32_e32 v2, v2, v42
	v_cndmask_b32_e64 v2, 0, v2, s[14:15]
	v_add_u32_e32 v2, v2, v42
	v_cndmask_b32_e64 v2, 0, v2, s[12:13]
	v_add_u32_e32 v2, v2, v42
	v_cndmask_b32_e64 v2, 0, v2, s[10:11]
	v_add_u32_e32 v2, v2, v42
	v_cndmask_b32_e64 v2, 0, v2, s[8:9]
	v_add_u32_e32 v2, v2, v42
	v_cndmask_b32_e64 v2, 0, v2, s[26:27]
	v_add_u32_e32 v2, v2, v42
	v_cndmask_b32_e64 v2, 0, v2, s[4:5]
	v_add_u32_e32 v2, v2, v42
	v_cndmask_b32_e64 v2, 0, v2, s[2:3]
	v_add3_u32 v3, v60, v53, v52
	v_add_u32_e32 v2, v2, v42
	v_add3_u32 v3, v3, v51, v50
	v_cndmask_b32_e64 v2, 0, v2, s[0:1]
	v_add3_u32 v3, v3, v49, v48
	v_add_u32_e32 v2, v2, v42
	v_add3_u32 v3, v3, v47, v46
	v_cndmask_b32_e32 v2, 0, v2, vcc
	v_add3_u32 v3, v3, v45, v44
	v_add_u32_e32 v2, v2, v43
	v_mbcnt_hi_u32_b32 v17, -1, v59
	v_and_b32_e32 v4, 15, v17
	v_mov_b32_dpp v6, v2 row_shr:1 row_mask:0xf bank_mask:0xf
	v_cmp_eq_u32_e32 vcc, 0, v3
	v_mov_b32_dpp v5, v3 row_shr:1 row_mask:0xf bank_mask:0xf
	v_cndmask_b32_e32 v6, 0, v6, vcc
	v_cmp_eq_u32_e32 vcc, 0, v4
	v_cndmask_b32_e64 v5, v5, 0, vcc
	v_add_u32_e32 v3, v5, v3
	v_cndmask_b32_e64 v5, v6, 0, vcc
	v_add_u32_e32 v2, v5, v2
	v_cmp_eq_u32_e32 vcc, 0, v3
	v_mov_b32_dpp v5, v3 row_shr:2 row_mask:0xf bank_mask:0xf
	v_cmp_lt_u32_e64 s[24:25], 1, v4
	v_mov_b32_dpp v6, v2 row_shr:2 row_mask:0xf bank_mask:0xf
	v_cndmask_b32_e64 v5, 0, v5, s[24:25]
	s_and_b64 vcc, s[24:25], vcc
	v_cndmask_b32_e32 v6, 0, v6, vcc
	v_add_u32_e32 v3, v3, v5
	v_add_u32_e32 v2, v6, v2
	v_cmp_eq_u32_e32 vcc, 0, v3
	v_mov_b32_dpp v5, v3 row_shr:4 row_mask:0xf bank_mask:0xf
	v_cmp_lt_u32_e64 s[24:25], 3, v4
	v_mov_b32_dpp v6, v2 row_shr:4 row_mask:0xf bank_mask:0xf
	v_cndmask_b32_e64 v5, 0, v5, s[24:25]
	s_and_b64 vcc, s[24:25], vcc
	v_cndmask_b32_e32 v6, 0, v6, vcc
	v_add_u32_e32 v3, v5, v3
	v_add_u32_e32 v2, v2, v6
	v_cmp_eq_u32_e32 vcc, 0, v3
	v_cmp_lt_u32_e64 s[24:25], 7, v4
	v_mov_b32_dpp v5, v3 row_shr:8 row_mask:0xf bank_mask:0xf
	v_mov_b32_dpp v6, v2 row_shr:8 row_mask:0xf bank_mask:0xf
	s_and_b64 vcc, s[24:25], vcc
	v_cndmask_b32_e64 v4, 0, v5, s[24:25]
	v_cndmask_b32_e32 v5, 0, v6, vcc
	v_add_u32_e32 v2, v5, v2
	v_add_u32_e32 v3, v4, v3
	v_bfe_i32 v6, v17, 4, 1
	v_mov_b32_dpp v5, v2 row_bcast:15 row_mask:0xf bank_mask:0xf
	v_mov_b32_dpp v4, v3 row_bcast:15 row_mask:0xf bank_mask:0xf
	v_cmp_eq_u32_e32 vcc, 0, v3
	v_cndmask_b32_e32 v5, 0, v5, vcc
	v_and_b32_e32 v4, v6, v4
	v_add_u32_e32 v3, v4, v3
	v_and_b32_e32 v4, v6, v5
	v_add_u32_e32 v4, v4, v2
	v_mov_b32_dpp v2, v3 row_bcast:31 row_mask:0xf bank_mask:0xf
	v_cmp_eq_u32_e32 vcc, 0, v3
	v_cmp_lt_u32_e64 s[24:25], 31, v17
	v_mov_b32_dpp v5, v4 row_bcast:31 row_mask:0xf bank_mask:0xf
	v_cndmask_b32_e64 v2, 0, v2, s[24:25]
	s_and_b64 vcc, s[24:25], vcc
	v_add_u32_e32 v2, v2, v3
	v_cndmask_b32_e32 v3, 0, v5, vcc
	v_add_u32_e32 v3, v3, v4
	v_and_b32_e32 v4, 0xc0, v0
	v_min_u32_e32 v4, 0x80, v4
	v_or_b32_e32 v4, 63, v4
	v_cmp_eq_u32_e32 vcc, v4, v0
	v_lshlrev_b32_e32 v4, 3, v58
	s_and_saveexec_b64 s[24:25], vcc
	s_cbranch_execz .LBB600_58
; %bb.57:
	ds_write_b64 v4, v[2:3] offset:784
.LBB600_58:
	s_or_b64 exec, exec, s[24:25]
	v_cmp_gt_u32_e32 vcc, 3, v0
	s_waitcnt lgkmcnt(0)
	s_barrier
	s_and_saveexec_b64 s[28:29], vcc
	s_cbranch_execz .LBB600_60
; %bb.59:
	v_lshlrev_b32_e32 v5, 3, v0
	ds_read_b64 v[6:7], v5 offset:784
	v_and_b32_e32 v14, 3, v17
	v_cmp_lt_u32_e64 s[24:25], 1, v14
	s_waitcnt lgkmcnt(0)
	v_mov_b32_dpp v16, v7 row_shr:1 row_mask:0xf bank_mask:0xf
	v_cmp_eq_u32_e32 vcc, 0, v6
	v_mov_b32_dpp v15, v6 row_shr:1 row_mask:0xf bank_mask:0xf
	v_cndmask_b32_e32 v16, 0, v16, vcc
	v_cmp_eq_u32_e32 vcc, 0, v14
	v_cndmask_b32_e64 v15, v15, 0, vcc
	v_add_u32_e32 v6, v15, v6
	v_cndmask_b32_e64 v15, v16, 0, vcc
	v_add_u32_e32 v7, v15, v7
	v_cmp_eq_u32_e32 vcc, 0, v6
	v_mov_b32_dpp v15, v6 row_shr:2 row_mask:0xf bank_mask:0xf
	v_mov_b32_dpp v16, v7 row_shr:2 row_mask:0xf bank_mask:0xf
	v_cndmask_b32_e64 v14, 0, v15, s[24:25]
	s_and_b64 vcc, s[24:25], vcc
	v_add_u32_e32 v6, v14, v6
	v_cndmask_b32_e32 v14, 0, v16, vcc
	v_add_u32_e32 v7, v14, v7
	ds_write_b64 v5, v[6:7] offset:784
.LBB600_60:
	s_or_b64 exec, exec, s[28:29]
	v_cmp_gt_u32_e32 vcc, 64, v0
	v_cmp_lt_u32_e64 s[24:25], 63, v0
	v_mov_b32_e32 v14, 0
	v_mov_b32_e32 v15, 0
	s_waitcnt lgkmcnt(0)
	s_barrier
	s_and_saveexec_b64 s[28:29], s[24:25]
	s_cbranch_execz .LBB600_62
; %bb.61:
	ds_read_b64 v[14:15], v4 offset:776
	v_cmp_eq_u32_e64 s[24:25], 0, v2
	s_waitcnt lgkmcnt(0)
	v_add_u32_e32 v4, v14, v2
	v_cndmask_b32_e64 v2, 0, v15, s[24:25]
	v_add_u32_e32 v3, v2, v3
	v_mov_b32_e32 v2, v4
.LBB600_62:
	s_or_b64 exec, exec, s[28:29]
	v_add_u32_e32 v4, -1, v17
	v_and_b32_e32 v5, 64, v17
	v_cmp_lt_i32_e64 s[24:25], v4, v5
	v_cndmask_b32_e64 v4, v4, v17, s[24:25]
	v_lshlrev_b32_e32 v4, 2, v4
	ds_bpermute_b32 v22, v4, v2
	ds_bpermute_b32 v23, v4, v3
	v_cmp_eq_u32_e64 s[24:25], 0, v17
	s_and_saveexec_b64 s[50:51], vcc
	s_cbranch_execz .LBB600_85
; %bb.63:
	v_mov_b32_e32 v7, 0
	ds_read_b64 v[2:3], v7 offset:800
	s_waitcnt lgkmcnt(0)
	v_readfirstlane_b32 s7, v2
	v_readfirstlane_b32 s54, v3
	s_and_saveexec_b64 s[28:29], s[24:25]
	s_cbranch_execz .LBB600_65
; %bb.64:
	s_add_i32 s52, s6, 64
	s_mov_b32 s53, 0
	s_lshl_b64 s[56:57], s[52:53], 4
	s_add_u32 s56, s36, s56
	s_addc_u32 s57, s37, s57
	s_and_b32 s59, s54, 0xff000000
	s_mov_b32 s58, s53
	s_and_b32 s61, s54, 0xff0000
	s_mov_b32 s60, s53
	s_or_b64 s[58:59], s[60:61], s[58:59]
	s_and_b32 s61, s54, 0xff00
	s_or_b64 s[58:59], s[58:59], s[60:61]
	s_and_b32 s61, s54, 0xff
	s_or_b64 s[52:53], s[58:59], s[60:61]
	v_mov_b32_e32 v4, s7
	v_mov_b32_e32 v5, s53
	;; [unrolled: 1-line block ×3, first 2 shown]
	v_pk_mov_b32 v[2:3], s[56:57], s[56:57] op_sel:[0,1]
	;;#ASMSTART
	global_store_dwordx4 v[2:3], v[4:7] off	
s_waitcnt vmcnt(0)
	;;#ASMEND
.LBB600_65:
	s_or_b64 exec, exec, s[28:29]
	v_xad_u32 v16, v17, -1, s6
	v_add_u32_e32 v6, 64, v16
	v_lshlrev_b64 v[2:3], 4, v[6:7]
	v_mov_b32_e32 v4, s37
	v_add_co_u32_e32 v18, vcc, s36, v2
	v_addc_co_u32_e32 v19, vcc, v4, v3, vcc
	;;#ASMSTART
	global_load_dwordx4 v[2:5], v[18:19] off glc	
s_waitcnt vmcnt(0)
	;;#ASMEND
	v_and_b32_e32 v5, 0xff, v3
	v_and_b32_e32 v6, 0xff00, v3
	v_or3_b32 v5, 0, v5, v6
	v_or3_b32 v2, v2, 0, 0
	v_and_b32_e32 v6, 0xff000000, v3
	v_and_b32_e32 v3, 0xff0000, v3
	v_or3_b32 v3, v5, v3, v6
	v_or3_b32 v2, v2, 0, 0
	v_cmp_eq_u16_sdwa s[52:53], v4, v7 src0_sel:BYTE_0 src1_sel:DWORD
	s_and_saveexec_b64 s[28:29], s[52:53]
	s_cbranch_execz .LBB600_71
; %bb.66:
	s_mov_b32 s55, 1
	s_mov_b64 s[52:53], 0
	v_mov_b32_e32 v6, 0
.LBB600_67:                             ; =>This Loop Header: Depth=1
                                        ;     Child Loop BB600_68 Depth 2
	s_max_u32 s56, s55, 1
.LBB600_68:                             ;   Parent Loop BB600_67 Depth=1
                                        ; =>  This Inner Loop Header: Depth=2
	s_add_i32 s56, s56, -1
	s_cmp_eq_u32 s56, 0
	s_sleep 1
	s_cbranch_scc0 .LBB600_68
; %bb.69:                               ;   in Loop: Header=BB600_67 Depth=1
	s_cmp_lt_u32 s55, 32
	s_cselect_b64 s[56:57], -1, 0
	s_cmp_lg_u64 s[56:57], 0
	s_addc_u32 s55, s55, 0
	;;#ASMSTART
	global_load_dwordx4 v[2:5], v[18:19] off glc	
s_waitcnt vmcnt(0)
	;;#ASMEND
	v_cmp_ne_u16_sdwa s[56:57], v4, v6 src0_sel:BYTE_0 src1_sel:DWORD
	s_or_b64 s[52:53], s[56:57], s[52:53]
	s_andn2_b64 exec, exec, s[52:53]
	s_cbranch_execnz .LBB600_67
; %bb.70:
	s_or_b64 exec, exec, s[52:53]
.LBB600_71:
	s_or_b64 exec, exec, s[28:29]
	v_mov_b32_e32 v24, 2
	v_cmp_eq_u16_sdwa s[28:29], v4, v24 src0_sel:BYTE_0 src1_sel:DWORD
	v_lshlrev_b64 v[18:19], v17, -1
	v_and_b32_e32 v5, s29, v19
	v_and_b32_e32 v25, 63, v17
	v_or_b32_e32 v5, 0x80000000, v5
	v_cmp_ne_u32_e32 vcc, 63, v25
	v_and_b32_e32 v6, s28, v18
	v_ffbl_b32_e32 v5, v5
	v_addc_co_u32_e32 v7, vcc, 0, v17, vcc
	v_add_u32_e32 v5, 32, v5
	v_ffbl_b32_e32 v6, v6
	v_lshlrev_b32_e32 v26, 2, v7
	v_min_u32_e32 v5, v6, v5
	ds_bpermute_b32 v6, v26, v3
	v_cmp_eq_u32_e32 vcc, 0, v2
	v_cmp_lt_u32_e64 s[28:29], v25, v5
	ds_bpermute_b32 v7, v26, v2
	s_and_b64 vcc, s[28:29], vcc
	s_waitcnt lgkmcnt(1)
	v_cndmask_b32_e32 v6, 0, v6, vcc
	v_cmp_gt_u32_e32 vcc, 62, v25
	v_add_u32_e32 v3, v6, v3
	v_cndmask_b32_e64 v6, 0, 1, vcc
	v_lshlrev_b32_e32 v6, 1, v6
	v_add_lshl_u32 v27, v6, v17, 2
	s_waitcnt lgkmcnt(0)
	v_cndmask_b32_e64 v7, 0, v7, s[28:29]
	ds_bpermute_b32 v6, v27, v3
	v_add_u32_e32 v2, v7, v2
	ds_bpermute_b32 v7, v27, v2
	v_add_u32_e32 v28, 2, v25
	v_cmp_eq_u32_e32 vcc, 0, v2
	s_waitcnt lgkmcnt(1)
	v_cndmask_b32_e32 v6, 0, v6, vcc
	v_cmp_gt_u32_e32 vcc, v28, v5
	v_cndmask_b32_e64 v6, v6, 0, vcc
	v_add_u32_e32 v3, v6, v3
	s_waitcnt lgkmcnt(0)
	v_cndmask_b32_e64 v6, v7, 0, vcc
	v_cmp_gt_u32_e32 vcc, 60, v25
	v_cndmask_b32_e64 v7, 0, 1, vcc
	v_lshlrev_b32_e32 v7, 2, v7
	v_add_lshl_u32 v29, v7, v17, 2
	ds_bpermute_b32 v7, v29, v3
	v_add_u32_e32 v2, v2, v6
	ds_bpermute_b32 v6, v29, v2
	v_add_u32_e32 v30, 4, v25
	v_cmp_eq_u32_e32 vcc, 0, v2
	s_waitcnt lgkmcnt(1)
	v_cndmask_b32_e32 v7, 0, v7, vcc
	v_cmp_gt_u32_e32 vcc, v30, v5
	v_cndmask_b32_e64 v7, v7, 0, vcc
	s_waitcnt lgkmcnt(0)
	v_cndmask_b32_e64 v6, v6, 0, vcc
	v_cmp_gt_u32_e32 vcc, 56, v25
	v_add_u32_e32 v3, v3, v7
	v_cndmask_b32_e64 v7, 0, 1, vcc
	v_lshlrev_b32_e32 v7, 3, v7
	v_add_lshl_u32 v31, v7, v17, 2
	ds_bpermute_b32 v7, v31, v3
	v_add_u32_e32 v2, v2, v6
	ds_bpermute_b32 v6, v31, v2
	v_add_u32_e32 v32, 8, v25
	v_cmp_eq_u32_e32 vcc, 0, v2
	s_waitcnt lgkmcnt(1)
	v_cndmask_b32_e32 v7, 0, v7, vcc
	v_cmp_gt_u32_e32 vcc, v32, v5
	v_cndmask_b32_e64 v7, v7, 0, vcc
	s_waitcnt lgkmcnt(0)
	v_cndmask_b32_e64 v6, v6, 0, vcc
	v_cmp_gt_u32_e32 vcc, 48, v25
	v_add_u32_e32 v3, v3, v7
	;; [unrolled: 16-line block ×3, first 2 shown]
	v_cndmask_b32_e64 v7, 0, 1, vcc
	v_lshlrev_b32_e32 v7, 5, v7
	v_add_lshl_u32 v35, v7, v17, 2
	ds_bpermute_b32 v7, v35, v3
	v_add_u32_e32 v2, v2, v6
	ds_bpermute_b32 v6, v35, v2
	v_add_u32_e32 v36, 32, v25
	v_cmp_eq_u32_e32 vcc, 0, v2
	s_waitcnt lgkmcnt(1)
	v_cndmask_b32_e32 v7, 0, v7, vcc
	v_cmp_gt_u32_e32 vcc, v36, v5
	v_cndmask_b32_e64 v5, v7, 0, vcc
	v_add_u32_e32 v3, v5, v3
	s_waitcnt lgkmcnt(0)
	v_cndmask_b32_e64 v5, v6, 0, vcc
	v_add_u32_e32 v2, v5, v2
	v_mov_b32_e32 v17, 0
	s_branch .LBB600_73
.LBB600_72:                             ;   in Loop: Header=BB600_73 Depth=1
	s_or_b64 exec, exec, s[28:29]
	v_cmp_eq_u16_sdwa s[28:29], v4, v24 src0_sel:BYTE_0 src1_sel:DWORD
	v_and_b32_e32 v5, s29, v19
	v_or_b32_e32 v5, 0x80000000, v5
	v_and_b32_e32 v20, s28, v18
	v_ffbl_b32_e32 v5, v5
	v_add_u32_e32 v5, 32, v5
	v_ffbl_b32_e32 v20, v20
	v_min_u32_e32 v5, v20, v5
	ds_bpermute_b32 v20, v26, v3
	v_cmp_eq_u32_e32 vcc, 0, v2
	v_cmp_lt_u32_e64 s[28:29], v25, v5
	ds_bpermute_b32 v21, v26, v2
	s_and_b64 vcc, s[28:29], vcc
	s_waitcnt lgkmcnt(1)
	v_cndmask_b32_e32 v20, 0, v20, vcc
	v_add_u32_e32 v3, v20, v3
	ds_bpermute_b32 v20, v27, v3
	s_waitcnt lgkmcnt(1)
	v_cndmask_b32_e64 v21, 0, v21, s[28:29]
	v_add_u32_e32 v2, v21, v2
	v_cmp_eq_u32_e32 vcc, 0, v2
	ds_bpermute_b32 v21, v27, v2
	s_waitcnt lgkmcnt(1)
	v_cndmask_b32_e32 v20, 0, v20, vcc
	v_cmp_gt_u32_e32 vcc, v28, v5
	v_cndmask_b32_e64 v20, v20, 0, vcc
	v_add_u32_e32 v3, v20, v3
	ds_bpermute_b32 v20, v29, v3
	s_waitcnt lgkmcnt(1)
	v_cndmask_b32_e64 v21, v21, 0, vcc
	v_add_u32_e32 v2, v2, v21
	v_cmp_eq_u32_e32 vcc, 0, v2
	ds_bpermute_b32 v21, v29, v2
	s_waitcnt lgkmcnt(1)
	v_cndmask_b32_e32 v20, 0, v20, vcc
	v_cmp_gt_u32_e32 vcc, v30, v5
	v_cndmask_b32_e64 v20, v20, 0, vcc
	v_add_u32_e32 v3, v3, v20
	ds_bpermute_b32 v20, v31, v3
	s_waitcnt lgkmcnt(1)
	v_cndmask_b32_e64 v21, v21, 0, vcc
	v_add_u32_e32 v2, v2, v21
	ds_bpermute_b32 v21, v31, v2
	v_cmp_eq_u32_e32 vcc, 0, v2
	s_waitcnt lgkmcnt(1)
	v_cndmask_b32_e32 v20, 0, v20, vcc
	v_cmp_gt_u32_e32 vcc, v32, v5
	v_cndmask_b32_e64 v20, v20, 0, vcc
	v_add_u32_e32 v3, v3, v20
	ds_bpermute_b32 v20, v33, v3
	s_waitcnt lgkmcnt(1)
	v_cndmask_b32_e64 v21, v21, 0, vcc
	v_add_u32_e32 v2, v2, v21
	ds_bpermute_b32 v21, v33, v2
	v_cmp_eq_u32_e32 vcc, 0, v2
	;; [unrolled: 11-line block ×3, first 2 shown]
	s_waitcnt lgkmcnt(1)
	v_cndmask_b32_e32 v20, 0, v20, vcc
	v_cmp_gt_u32_e32 vcc, v36, v5
	v_cndmask_b32_e64 v5, v20, 0, vcc
	v_add_u32_e32 v3, v5, v3
	s_waitcnt lgkmcnt(0)
	v_cndmask_b32_e64 v5, v21, 0, vcc
	v_cmp_eq_u32_e32 vcc, 0, v6
	v_cndmask_b32_e32 v3, 0, v3, vcc
	v_subrev_u32_e32 v16, 64, v16
	v_add3_u32 v2, v2, v6, v5
	v_add_u32_e32 v3, v3, v7
.LBB600_73:                             ; =>This Loop Header: Depth=1
                                        ;     Child Loop BB600_76 Depth 2
                                        ;       Child Loop BB600_77 Depth 3
	v_cmp_ne_u16_sdwa s[28:29], v4, v24 src0_sel:BYTE_0 src1_sel:DWORD
	v_mov_b32_e32 v7, v3
	v_cndmask_b32_e64 v3, 0, 1, s[28:29]
	;;#ASMSTART
	;;#ASMEND
	v_cmp_ne_u32_e32 vcc, 0, v3
	s_cmp_lg_u64 vcc, exec
	v_mov_b32_e32 v6, v2
	s_cbranch_scc1 .LBB600_80
; %bb.74:                               ;   in Loop: Header=BB600_73 Depth=1
	v_lshlrev_b64 v[2:3], 4, v[16:17]
	v_mov_b32_e32 v4, s37
	v_add_co_u32_e32 v20, vcc, s36, v2
	v_addc_co_u32_e32 v21, vcc, v4, v3, vcc
	;;#ASMSTART
	global_load_dwordx4 v[2:5], v[20:21] off glc	
s_waitcnt vmcnt(0)
	;;#ASMEND
	v_and_b32_e32 v5, 0xff, v3
	v_and_b32_e32 v37, 0xff00, v3
	v_or3_b32 v5, 0, v5, v37
	v_or3_b32 v2, v2, 0, 0
	v_and_b32_e32 v37, 0xff000000, v3
	v_and_b32_e32 v3, 0xff0000, v3
	v_or3_b32 v3, v5, v3, v37
	v_or3_b32 v2, v2, 0, 0
	v_cmp_eq_u16_sdwa s[52:53], v4, v17 src0_sel:BYTE_0 src1_sel:DWORD
	s_and_saveexec_b64 s[28:29], s[52:53]
	s_cbranch_execz .LBB600_72
; %bb.75:                               ;   in Loop: Header=BB600_73 Depth=1
	s_mov_b32 s55, 1
	s_mov_b64 s[52:53], 0
.LBB600_76:                             ;   Parent Loop BB600_73 Depth=1
                                        ; =>  This Loop Header: Depth=2
                                        ;       Child Loop BB600_77 Depth 3
	s_max_u32 s56, s55, 1
.LBB600_77:                             ;   Parent Loop BB600_73 Depth=1
                                        ;     Parent Loop BB600_76 Depth=2
                                        ; =>    This Inner Loop Header: Depth=3
	s_add_i32 s56, s56, -1
	s_cmp_eq_u32 s56, 0
	s_sleep 1
	s_cbranch_scc0 .LBB600_77
; %bb.78:                               ;   in Loop: Header=BB600_76 Depth=2
	s_cmp_lt_u32 s55, 32
	s_cselect_b64 s[56:57], -1, 0
	s_cmp_lg_u64 s[56:57], 0
	s_addc_u32 s55, s55, 0
	;;#ASMSTART
	global_load_dwordx4 v[2:5], v[20:21] off glc	
s_waitcnt vmcnt(0)
	;;#ASMEND
	v_cmp_ne_u16_sdwa s[56:57], v4, v17 src0_sel:BYTE_0 src1_sel:DWORD
	s_or_b64 s[52:53], s[56:57], s[52:53]
	s_andn2_b64 exec, exec, s[52:53]
	s_cbranch_execnz .LBB600_76
; %bb.79:                               ;   in Loop: Header=BB600_73 Depth=1
	s_or_b64 exec, exec, s[52:53]
	s_branch .LBB600_72
.LBB600_80:                             ;   in Loop: Header=BB600_73 Depth=1
                                        ; implicit-def: $vgpr3
                                        ; implicit-def: $vgpr2
                                        ; implicit-def: $vgpr4
	s_cbranch_execz .LBB600_73
; %bb.81:
	s_and_saveexec_b64 s[28:29], s[24:25]
	s_cbranch_execz .LBB600_83
; %bb.82:
	s_cmp_eq_u32 s7, 0
	s_cselect_b64 vcc, -1, 0
	s_mov_b32 s53, 0
	v_cndmask_b32_e32 v2, 0, v7, vcc
	s_add_i32 s52, s6, 64
	v_add_u32_e32 v2, s54, v2
	s_lshl_b64 s[52:53], s[52:53], 4
	s_add_u32 s52, s36, s52
	v_and_b32_e32 v3, 0xff000000, v2
	v_and_b32_e32 v4, 0xff0000, v2
	s_addc_u32 s53, s37, s53
	v_or_b32_e32 v3, v4, v3
	v_and_b32_e32 v4, 0xff00, v2
	v_and_b32_e32 v2, 0xff, v2
	v_add_u32_e32 v16, s7, v6
	v_mov_b32_e32 v19, 0
	v_or3_b32 v17, v3, v4, v2
	v_mov_b32_e32 v18, 2
	v_pk_mov_b32 v[2:3], s[52:53], s[52:53] op_sel:[0,1]
	;;#ASMSTART
	global_store_dwordx4 v[2:3], v[16:19] off	
s_waitcnt vmcnt(0)
	;;#ASMEND
	v_mov_b32_e32 v4, s7
	v_mov_b32_e32 v5, s54
	ds_write_b128 v19, v[4:7] offset:768
.LBB600_83:
	s_or_b64 exec, exec, s[28:29]
	v_cmp_eq_u32_e32 vcc, 0, v0
	s_and_b64 exec, exec, vcc
	s_cbranch_execz .LBB600_85
; %bb.84:
	v_mov_b32_e32 v2, 0
	ds_write_b64 v2, v[6:7] offset:800
.LBB600_85:
	s_or_b64 exec, exec, s[50:51]
	v_mov_b32_e32 v4, 0
	s_waitcnt lgkmcnt(0)
	s_barrier
	ds_read_b64 v[2:3], v4 offset:800
	v_cndmask_b32_e64 v6, v22, v14, s[24:25]
	v_cmp_eq_u32_e32 vcc, 0, v6
	v_cndmask_b32_e64 v5, v23, v15, s[24:25]
	s_waitcnt lgkmcnt(0)
	v_cndmask_b32_e32 v7, 0, v3, vcc
	v_add_u32_e32 v5, v7, v5
	v_cmp_eq_u32_e32 vcc, 0, v0
	v_cndmask_b32_e32 v41, v5, v3, vcc
	v_cndmask_b32_e64 v3, v6, 0, vcc
	v_cmp_eq_u32_e32 vcc, 0, v57
	v_add_u32_e32 v40, v2, v3
	v_cndmask_b32_e32 v2, 0, v41, vcc
	v_add_u32_e32 v39, v2, v42
	v_cndmask_b32_e64 v2, 0, v39, s[22:23]
	v_add_u32_e32 v37, v2, v42
	v_cndmask_b32_e64 v2, 0, v37, s[20:21]
	;; [unrolled: 2-line block ×7, first 2 shown]
	v_add_u32_e32 v25, v2, v42
	v_add_u32_e32 v38, v40, v57
	v_cndmask_b32_e64 v2, 0, v25, s[8:9]
	v_add_u32_e32 v36, v38, v56
	v_add_u32_e32 v23, v2, v42
	v_add_u32_e32 v34, v36, v55
	v_cndmask_b32_e64 v2, 0, v23, s[26:27]
	v_add_u32_e32 v32, v34, v54
	;; [unrolled: 4-line block ×3, first 2 shown]
	v_add_u32_e32 v19, v2, v42
	s_barrier
	ds_read_b128 v[2:5], v4 offset:768
	v_add_u32_e32 v26, v28, v51
	v_add_u32_e32 v24, v26, v50
	;; [unrolled: 1-line block ×4, first 2 shown]
	v_cndmask_b32_e64 v6, 0, v19, s[2:3]
	v_add_u32_e32 v18, v20, v47
	v_add_u32_e32 v15, v6, v42
	s_waitcnt lgkmcnt(0)
	v_cmp_eq_u32_e32 vcc, 0, v2
	v_add_u32_e32 v14, v18, v46
	v_cndmask_b32_e64 v6, 0, v15, s[0:1]
	v_cndmask_b32_e32 v5, 0, v5, vcc
	v_add_u32_e32 v16, v14, v45
	v_add_u32_e32 v17, v6, v42
	;; [unrolled: 1-line block ×3, first 2 shown]
	s_branch .LBB600_98
.LBB600_86:
                                        ; implicit-def: $vgpr2
                                        ; implicit-def: $vgpr6
                                        ; implicit-def: $vgpr16_vgpr17
                                        ; implicit-def: $vgpr14_vgpr15
                                        ; implicit-def: $vgpr18_vgpr19
                                        ; implicit-def: $vgpr20_vgpr21
                                        ; implicit-def: $vgpr40_vgpr41
                                        ; implicit-def: $vgpr38_vgpr39
                                        ; implicit-def: $vgpr36_vgpr37
                                        ; implicit-def: $vgpr34_vgpr35
                                        ; implicit-def: $vgpr32_vgpr33
                                        ; implicit-def: $vgpr30_vgpr31
                                        ; implicit-def: $vgpr28_vgpr29
                                        ; implicit-def: $vgpr26_vgpr27
                                        ; implicit-def: $vgpr24_vgpr25
                                        ; implicit-def: $vgpr22_vgpr23
	s_cbranch_execz .LBB600_98
; %bb.87:
	s_and_b64 s[0:1], s[38:39], exec
	s_cselect_b32 s1, 0, s49
	s_cselect_b32 s0, 0, s48
	s_cmp_eq_u64 s[0:1], 0
	v_mov_b32_e32 v6, v42
	s_cbranch_scc1 .LBB600_89
; %bb.88:
	v_mov_b32_e32 v2, 0
	global_load_dword v6, v2, s[0:1]
.LBB600_89:
	v_cmp_eq_u32_e64 s[0:1], 0, v56
	v_cndmask_b32_e64 v2, 0, v42, s[0:1]
	v_add_u32_e32 v2, v2, v42
	v_cmp_eq_u32_e64 s[2:3], 0, v55
	v_cndmask_b32_e64 v2, 0, v2, s[2:3]
	v_add_u32_e32 v2, v2, v42
	;; [unrolled: 3-line block ×10, first 2 shown]
	v_cmp_eq_u32_e64 s[20:21], 0, v46
	v_cndmask_b32_e64 v2, 0, v2, s[20:21]
	v_add3_u32 v3, v60, v53, v52
	v_add_u32_e32 v2, v2, v42
	v_cmp_eq_u32_e32 vcc, 0, v45
	v_add3_u32 v3, v3, v51, v50
	v_cndmask_b32_e32 v2, 0, v2, vcc
	v_add3_u32 v3, v3, v49, v48
	v_add_u32_e32 v2, v2, v42
	v_cmp_eq_u32_e64 s[22:23], 0, v44
	v_add3_u32 v3, v3, v47, v46
	v_cndmask_b32_e64 v2, 0, v2, s[22:23]
	v_add3_u32 v3, v3, v45, v44
	v_add_u32_e32 v2, v2, v43
	v_mbcnt_hi_u32_b32 v7, -1, v59
	v_and_b32_e32 v4, 15, v7
	v_mov_b32_dpp v14, v2 row_shr:1 row_mask:0xf bank_mask:0xf
	v_cmp_eq_u32_e64 s[22:23], 0, v3
	v_mov_b32_dpp v5, v3 row_shr:1 row_mask:0xf bank_mask:0xf
	v_cndmask_b32_e64 v14, 0, v14, s[22:23]
	v_cmp_eq_u32_e64 s[22:23], 0, v4
	v_cndmask_b32_e64 v5, v5, 0, s[22:23]
	v_add_u32_e32 v3, v5, v3
	v_cndmask_b32_e64 v5, v14, 0, s[22:23]
	v_add_u32_e32 v2, v5, v2
	v_cmp_eq_u32_e64 s[22:23], 0, v3
	v_mov_b32_dpp v5, v3 row_shr:2 row_mask:0xf bank_mask:0xf
	v_cmp_lt_u32_e64 s[24:25], 1, v4
	v_mov_b32_dpp v14, v2 row_shr:2 row_mask:0xf bank_mask:0xf
	v_cndmask_b32_e64 v5, 0, v5, s[24:25]
	s_and_b64 s[22:23], s[24:25], s[22:23]
	v_cndmask_b32_e64 v14, 0, v14, s[22:23]
	v_add_u32_e32 v3, v3, v5
	v_add_u32_e32 v2, v14, v2
	v_cmp_eq_u32_e64 s[22:23], 0, v3
	v_mov_b32_dpp v5, v3 row_shr:4 row_mask:0xf bank_mask:0xf
	v_cmp_lt_u32_e64 s[24:25], 3, v4
	v_mov_b32_dpp v14, v2 row_shr:4 row_mask:0xf bank_mask:0xf
	v_cndmask_b32_e64 v5, 0, v5, s[24:25]
	s_and_b64 s[22:23], s[24:25], s[22:23]
	v_cndmask_b32_e64 v14, 0, v14, s[22:23]
	v_add_u32_e32 v3, v5, v3
	v_add_u32_e32 v2, v2, v14
	v_cmp_eq_u32_e64 s[22:23], 0, v3
	v_cmp_lt_u32_e64 s[24:25], 7, v4
	v_mov_b32_dpp v5, v3 row_shr:8 row_mask:0xf bank_mask:0xf
	v_mov_b32_dpp v14, v2 row_shr:8 row_mask:0xf bank_mask:0xf
	s_and_b64 s[22:23], s[24:25], s[22:23]
	v_cndmask_b32_e64 v4, 0, v5, s[24:25]
	v_cndmask_b32_e64 v5, 0, v14, s[22:23]
	v_add_u32_e32 v2, v5, v2
	v_add_u32_e32 v3, v4, v3
	v_bfe_i32 v14, v7, 4, 1
	v_mov_b32_dpp v5, v2 row_bcast:15 row_mask:0xf bank_mask:0xf
	v_mov_b32_dpp v4, v3 row_bcast:15 row_mask:0xf bank_mask:0xf
	v_cmp_eq_u32_e64 s[22:23], 0, v3
	v_cndmask_b32_e64 v5, 0, v5, s[22:23]
	v_and_b32_e32 v4, v14, v4
	v_add_u32_e32 v3, v4, v3
	v_and_b32_e32 v4, v14, v5
	v_add_u32_e32 v4, v4, v2
	v_mov_b32_dpp v2, v3 row_bcast:31 row_mask:0xf bank_mask:0xf
	v_cmp_eq_u32_e64 s[22:23], 0, v3
	v_cmp_lt_u32_e64 s[24:25], 31, v7
	v_mov_b32_dpp v5, v4 row_bcast:31 row_mask:0xf bank_mask:0xf
	v_cndmask_b32_e64 v2, 0, v2, s[24:25]
	s_and_b64 s[22:23], s[24:25], s[22:23]
	v_add_u32_e32 v2, v2, v3
	v_cndmask_b32_e64 v3, 0, v5, s[22:23]
	v_add_u32_e32 v3, v3, v4
	v_and_b32_e32 v4, 0xc0, v0
	v_min_u32_e32 v4, 0x80, v4
	v_or_b32_e32 v4, 63, v4
	v_cmp_eq_u32_e64 s[22:23], v4, v0
	s_and_saveexec_b64 s[24:25], s[22:23]
	s_cbranch_execz .LBB600_91
; %bb.90:
	v_lshlrev_b32_e32 v4, 3, v58
	ds_write_b64 v4, v[2:3] offset:784
.LBB600_91:
	s_or_b64 exec, exec, s[24:25]
	v_cmp_gt_u32_e64 s[22:23], 3, v0
	s_waitcnt lgkmcnt(0)
	s_barrier
	s_and_saveexec_b64 s[26:27], s[22:23]
	s_cbranch_execz .LBB600_93
; %bb.92:
	v_lshlrev_b32_e32 v14, 3, v0
	ds_read_b64 v[4:5], v14 offset:784
	v_and_b32_e32 v15, 3, v7
	v_cmp_lt_u32_e64 s[24:25], 1, v15
	s_waitcnt lgkmcnt(0)
	v_mov_b32_dpp v17, v5 row_shr:1 row_mask:0xf bank_mask:0xf
	v_cmp_eq_u32_e64 s[22:23], 0, v4
	v_mov_b32_dpp v16, v4 row_shr:1 row_mask:0xf bank_mask:0xf
	v_cndmask_b32_e64 v17, 0, v17, s[22:23]
	v_cmp_eq_u32_e64 s[22:23], 0, v15
	v_cndmask_b32_e64 v16, v16, 0, s[22:23]
	v_add_u32_e32 v4, v16, v4
	v_cndmask_b32_e64 v16, v17, 0, s[22:23]
	v_add_u32_e32 v5, v16, v5
	v_cmp_eq_u32_e64 s[22:23], 0, v4
	v_mov_b32_dpp v16, v4 row_shr:2 row_mask:0xf bank_mask:0xf
	v_mov_b32_dpp v17, v5 row_shr:2 row_mask:0xf bank_mask:0xf
	v_cndmask_b32_e64 v15, 0, v16, s[24:25]
	s_and_b64 s[22:23], s[24:25], s[22:23]
	v_add_u32_e32 v4, v15, v4
	v_cndmask_b32_e64 v15, 0, v17, s[22:23]
	v_add_u32_e32 v5, v15, v5
	ds_write_b64 v14, v[4:5] offset:784
.LBB600_93:
	s_or_b64 exec, exec, s[26:27]
	v_cmp_lt_u32_e64 s[22:23], 63, v0
	v_mov_b32_e32 v15, 0
	v_mov_b32_e32 v4, 0
	s_waitcnt vmcnt(0)
	v_mov_b32_e32 v5, v6
	s_waitcnt lgkmcnt(0)
	s_barrier
	s_and_saveexec_b64 s[24:25], s[22:23]
	s_cbranch_execz .LBB600_95
; %bb.94:
	v_lshlrev_b32_e32 v4, 3, v58
	ds_read_b64 v[4:5], v4 offset:776
	s_waitcnt lgkmcnt(0)
	v_cmp_eq_u32_e64 s[22:23], 0, v4
	v_cndmask_b32_e64 v14, 0, v6, s[22:23]
	v_add_u32_e32 v5, v14, v5
.LBB600_95:
	s_or_b64 exec, exec, s[24:25]
	v_cmp_eq_u32_e64 s[22:23], 0, v2
	v_add_u32_e32 v14, v4, v2
	v_cndmask_b32_e64 v2, 0, v5, s[22:23]
	v_add_u32_e32 v2, v2, v3
	v_add_u32_e32 v3, -1, v7
	v_and_b32_e32 v16, 64, v7
	v_cmp_lt_i32_e64 s[22:23], v3, v16
	v_cndmask_b32_e64 v3, v3, v7, s[22:23]
	v_lshlrev_b32_e32 v3, 2, v3
	ds_bpermute_b32 v14, v3, v14
	ds_bpermute_b32 v2, v3, v2
	v_cmp_eq_u32_e64 s[22:23], 0, v7
	v_cmp_eq_u32_e64 s[24:25], 0, v57
	s_waitcnt lgkmcnt(1)
	v_cndmask_b32_e64 v3, v14, v4, s[22:23]
	s_waitcnt lgkmcnt(0)
	v_cndmask_b32_e64 v2, v2, v5, s[22:23]
	v_cmp_eq_u32_e64 s[22:23], 0, v0
	v_cndmask_b32_e64 v41, v2, v6, s[22:23]
	v_cndmask_b32_e64 v2, 0, v41, s[24:25]
	v_add_u32_e32 v39, v2, v42
	v_cndmask_b32_e64 v2, 0, v39, s[0:1]
	v_add_u32_e32 v37, v2, v42
	;; [unrolled: 2-line block ×7, first 2 shown]
	v_cndmask_b32_e64 v2, 0, v27, s[12:13]
	v_cndmask_b32_e64 v40, v3, 0, s[22:23]
	v_add_u32_e32 v25, v2, v42
	v_add_u32_e32 v38, v40, v57
	v_cndmask_b32_e64 v2, 0, v25, s[14:15]
	v_add_u32_e32 v36, v38, v56
	v_add_u32_e32 v23, v2, v42
	v_add_u32_e32 v34, v36, v55
	v_cndmask_b32_e64 v2, 0, v23, s[16:17]
	v_add_u32_e32 v32, v34, v54
	;; [unrolled: 4-line block ×3, first 2 shown]
	v_add_u32_e32 v19, v2, v42
	ds_read_b64 v[2:3], v15 offset:800
	v_add_u32_e32 v26, v28, v51
	v_add_u32_e32 v24, v26, v50
	;; [unrolled: 1-line block ×3, first 2 shown]
	v_cndmask_b32_e64 v4, 0, v19, s[20:21]
	v_add_u32_e32 v20, v22, v48
	v_add_u32_e32 v15, v4, v42
	;; [unrolled: 1-line block ×3, first 2 shown]
	v_cndmask_b32_e32 v4, 0, v15, vcc
	s_waitcnt lgkmcnt(0)
	v_cmp_eq_u32_e32 vcc, 0, v2
	v_add_u32_e32 v14, v18, v46
	v_add_u32_e32 v17, v4, v42
	v_cndmask_b32_e32 v4, 0, v6, vcc
	v_add_u32_e32 v16, v14, v45
	v_add_u32_e32 v6, v4, v3
	s_and_saveexec_b64 s[0:1], s[22:23]
	s_cbranch_execz .LBB600_97
; %bb.96:
	s_add_u32 s2, s36, 0x400
	v_and_b32_e32 v3, 0xff000000, v6
	v_and_b32_e32 v4, 0xff0000, v6
	s_addc_u32 s3, s37, 0
	v_or_b32_e32 v3, v4, v3
	v_and_b32_e32 v4, 0xff00, v6
	v_and_b32_e32 v7, 0xff, v6
	v_mov_b32_e32 v5, 0
	v_or3_b32 v3, v3, v4, v7
	v_mov_b32_e32 v4, 2
	v_pk_mov_b32 v[42:43], s[2:3], s[2:3] op_sel:[0,1]
	;;#ASMSTART
	global_store_dwordx4 v[42:43], v[2:5] off	
s_waitcnt vmcnt(0)
	;;#ASMEND
.LBB600_97:
	s_or_b64 exec, exec, s[0:1]
	v_mov_b32_e32 v4, 0
.LBB600_98:
	s_and_b64 s[0:1], s[38:39], exec
	s_cselect_b32 s1, 0, s31
	s_cselect_b32 s0, 0, s30
	s_cmp_eq_u64 s[0:1], 0
	v_pk_mov_b32 v[42:43], 0, 0
	s_waitcnt lgkmcnt(0)
	s_barrier
	s_cbranch_scc1 .LBB600_100
; %bb.99:
	v_mov_b32_e32 v3, 0
	global_load_dwordx2 v[42:43], v3, s[0:1]
.LBB600_100:
	s_waitcnt vmcnt(0)
	v_lshlrev_b64 v[58:59], 1, v[42:43]
	v_mov_b32_e32 v3, s41
	v_add_co_u32_e32 v7, vcc, s40, v58
	v_mov_b32_e32 v5, 0
	v_addc_co_u32_e32 v60, vcc, v3, v59, vcc
	v_lshlrev_b64 v[58:59], 1, v[4:5]
	v_add_co_u32_e32 v3, vcc, v7, v58
	v_addc_co_u32_e32 v7, vcc, v60, v59, vcc
	v_cmp_eq_u32_e32 vcc, 0, v57
	v_cndmask_b32_e64 v58, 1, 2, vcc
	v_cmp_eq_u32_e32 vcc, 0, v56
	v_cndmask_b32_e64 v59, 1, 2, vcc
	v_cmp_eq_u32_e32 vcc, 0, v55
	v_and_b32_e32 v58, v59, v58
	v_cndmask_b32_e64 v59, 1, 2, vcc
	v_cmp_eq_u32_e32 vcc, 0, v54
	v_and_b32_e32 v58, v58, v59
	;; [unrolled: 3-line block ×12, first 2 shown]
	v_cndmask_b32_e64 v59, 1, 2, vcc
	s_movk_i32 s28, 0xc0
	v_and_b32_e32 v58, v58, v59
	v_cmp_gt_u32_e32 vcc, s28, v2
	v_cmp_ne_u32_e64 s[26:27], 0, v57
	v_cmp_ne_u32_e64 s[24:25], 0, v56
	;; [unrolled: 1-line block ×14, first 2 shown]
	s_mov_b64 s[30:31], -1
	v_cmp_gt_i16_e64 s[28:29], 2, v58
	s_cbranch_vccz .LBB600_107
; %bb.101:
	s_and_saveexec_b64 s[30:31], s[28:29]
	s_cbranch_execz .LBB600_106
; %bb.102:
	v_cmp_ne_u16_e32 vcc, 1, v58
	s_mov_b64 s[36:37], 0
	s_and_saveexec_b64 s[28:29], vcc
	s_xor_b64 s[28:29], exec, s[28:29]
	s_cbranch_execnz .LBB600_139
; %bb.103:
	s_andn2_saveexec_b64 s[28:29], s[28:29]
	s_cbranch_execnz .LBB600_154
.LBB600_104:
	s_or_b64 exec, exec, s[28:29]
	s_and_b64 exec, exec, s[36:37]
	s_cbranch_execz .LBB600_106
.LBB600_105:
	v_sub_u32_e32 v60, v16, v4
	v_mov_b32_e32 v61, 0
	v_lshlrev_b64 v[60:61], 1, v[60:61]
	v_add_co_u32_e32 v60, vcc, v3, v60
	v_addc_co_u32_e32 v61, vcc, v7, v61, vcc
	global_store_short_d16_hi v[60:61], v1, off
.LBB600_106:
	s_or_b64 exec, exec, s[30:31]
	s_mov_b64 s[30:31], 0
.LBB600_107:
	s_and_b64 vcc, exec, s[30:31]
	s_cbranch_vccz .LBB600_117
; %bb.108:
	v_cmp_gt_i16_e32 vcc, 2, v58
	s_and_saveexec_b64 s[28:29], vcc
	s_cbranch_execz .LBB600_113
; %bb.109:
	v_cmp_ne_u16_e32 vcc, 1, v58
	s_mov_b64 s[36:37], 0
	s_and_saveexec_b64 s[30:31], vcc
	s_xor_b64 s[30:31], exec, s[30:31]
	s_cbranch_execnz .LBB600_155
; %bb.110:
	s_andn2_saveexec_b64 s[0:1], s[30:31]
	s_cbranch_execnz .LBB600_170
.LBB600_111:
	s_or_b64 exec, exec, s[0:1]
	s_and_b64 exec, exec, s[36:37]
	s_cbranch_execz .LBB600_113
.LBB600_112:
	v_sub_u32_e32 v8, v16, v4
	v_lshlrev_b32_e32 v8, 1, v8
	ds_write_b16_d16_hi v8, v1
.LBB600_113:
	s_or_b64 exec, exec, s[28:29]
	v_cmp_lt_u32_e32 vcc, v0, v2
	s_waitcnt lgkmcnt(0)
	s_barrier
	s_and_saveexec_b64 s[0:1], vcc
	s_cbranch_execz .LBB600_116
; %bb.114:
	v_lshlrev_b32_e32 v1, 1, v0
	s_mov_b64 s[2:3], 0
	v_mov_b32_e32 v9, 0
	v_mov_b32_e32 v8, v0
.LBB600_115:                            ; =>This Inner Loop Header: Depth=1
	ds_read_u16 v12, v1
	v_lshlrev_b64 v[10:11], 1, v[8:9]
	v_add_co_u32_e32 v10, vcc, v3, v10
	v_add_u32_e32 v8, 0xc0, v8
	v_addc_co_u32_e32 v11, vcc, v7, v11, vcc
	v_cmp_ge_u32_e32 vcc, v8, v2
	v_add_u32_e32 v1, 0x180, v1
	s_or_b64 s[2:3], vcc, s[2:3]
	s_waitcnt lgkmcnt(0)
	global_store_short v[10:11], v12, off
	s_andn2_b64 exec, exec, s[2:3]
	s_cbranch_execnz .LBB600_115
.LBB600_116:
	s_or_b64 exec, exec, s[0:1]
.LBB600_117:
	s_cmpk_lg_i32 s33, 0xa80
	s_cselect_b64 s[0:1], -1, 0
	v_cndmask_b32_e64 v11, 0, 1, s[44:45]
	s_and_b64 s[0:1], s[34:35], s[0:1]
	v_cmp_eq_u32_e32 vcc, 0, v0
	v_sub_u32_e32 v1, v2, v11
	v_cndmask_b32_e64 v3, 0, 1, s[0:1]
	s_and_b64 s[0:1], vcc, s[44:45]
	v_add_u32_e32 v1, v1, v3
	v_cndmask_b32_e64 v3, v57, 0, s[0:1]
	s_lshr_b32 s0, s33, 1
	s_mul_hi_u32 s0, s0, 0x92492493
	s_lshr_b32 s0, s0, 2
	v_mad_i32_i24 v7, v0, -14, s33
	v_cmp_eq_u32_e32 vcc, s0, v0
	v_cmp_ne_u32_e64 s[0:1], 0, v7
	v_cndmask_b32_e64 v8, 1, v3, s[0:1]
	v_cmp_ne_u32_e64 s[0:1], 1, v7
	v_cndmask_b32_e64 v9, 1, v56, s[0:1]
	;; [unrolled: 2-line block ×13, first 2 shown]
	v_cmp_ne_u32_e64 s[0:1], 13, v7
	s_and_b64 vcc, s[34:35], vcc
	v_cndmask_b32_e64 v7, 1, v44, s[0:1]
	v_cndmask_b32_e32 v13, v53, v13, vcc
	v_cndmask_b32_e32 v12, v54, v12, vcc
	;; [unrolled: 1-line block ×5, first 2 shown]
	v_lshlrev_b64 v[8:9], 3, v[42:43]
	v_cndmask_b32_e32 v44, v44, v7, vcc
	v_cndmask_b32_e32 v45, v45, v64, vcc
	v_cndmask_b32_e32 v46, v46, v63, vcc
	v_cndmask_b32_e32 v47, v47, v62, vcc
	v_cndmask_b32_e32 v48, v48, v61, vcc
	v_cndmask_b32_e32 v49, v49, v60, vcc
	v_cndmask_b32_e32 v50, v50, v59, vcc
	v_cndmask_b32_e32 v51, v51, v58, vcc
	v_cndmask_b32_e32 v52, v52, v57, vcc
	v_mov_b32_e32 v3, s43
	v_add_co_u32_e32 v7, vcc, s42, v8
	v_addc_co_u32_e32 v3, vcc, v3, v9, vcc
	v_lshlrev_b64 v[8:9], 3, v[4:5]
	v_add_co_u32_e32 v5, vcc, v7, v8
	v_addc_co_u32_e32 v10, vcc, v3, v9, vcc
	v_lshlrev_b32_e32 v3, 3, v11
	v_add_co_u32_e32 v3, vcc, v3, v5
	v_addc_co_u32_e32 v7, vcc, 0, v10, vcc
	v_add_co_u32_e32 v3, vcc, -8, v3
	v_addc_co_u32_e32 v7, vcc, -1, v7, vcc
	v_cmp_eq_u32_e32 vcc, 0, v55
	v_cndmask_b32_e64 v9, 1, 2, vcc
	v_cmp_eq_u32_e32 vcc, 0, v54
	v_add_u32_e32 v8, v4, v11
	v_cndmask_b32_e64 v11, 1, 2, vcc
	v_cmp_eq_u32_e32 vcc, 0, v53
	v_and_b32_e32 v9, v11, v9
	v_cndmask_b32_e64 v11, 1, 2, vcc
	v_cmp_eq_u32_e32 vcc, 0, v12
	v_and_b32_e32 v9, v9, v11
	;; [unrolled: 3-line block ×12, first 2 shown]
	v_cndmask_b32_e64 v11, 1, 2, vcc
	s_movk_i32 s28, 0xc0
	v_and_b32_e32 v9, v9, v11
	v_cmp_gt_u32_e32 vcc, s28, v1
	v_cmp_ne_u32_e64 s[26:27], 0, v55
	v_cmp_ne_u32_e64 s[24:25], 0, v54
	;; [unrolled: 1-line block ×14, first 2 shown]
	s_mov_b64 s[30:31], -1
	v_cmp_gt_i16_e64 s[28:29], 2, v9
	s_barrier
	s_cbranch_vccz .LBB600_124
; %bb.118:
	s_and_saveexec_b64 s[30:31], s[28:29]
	s_cbranch_execz .LBB600_123
; %bb.119:
	v_cmp_ne_u16_e32 vcc, 1, v9
	s_mov_b64 s[36:37], 0
	s_and_saveexec_b64 s[28:29], vcc
	s_xor_b64 s[28:29], exec, s[28:29]
	s_cbranch_execnz .LBB600_171
; %bb.120:
	s_andn2_saveexec_b64 s[28:29], s[28:29]
	s_cbranch_execnz .LBB600_186
.LBB600_121:
	s_or_b64 exec, exec, s[28:29]
	s_and_b64 exec, exec, s[36:37]
	s_cbranch_execz .LBB600_123
.LBB600_122:
	v_mov_b32_e32 v13, 0
	v_sub_u32_e32 v44, v16, v8
	v_mov_b32_e32 v45, v13
	v_lshlrev_b64 v[44:45], 3, v[44:45]
	v_add_co_u32_e32 v44, vcc, v3, v44
	v_mov_b32_e32 v12, v17
	v_addc_co_u32_e32 v45, vcc, v7, v45, vcc
	global_store_dwordx2 v[44:45], v[12:13], off
.LBB600_123:
	s_or_b64 exec, exec, s[30:31]
	s_mov_b64 s[30:31], 0
.LBB600_124:
	s_and_b64 vcc, exec, s[30:31]
	s_cbranch_vccz .LBB600_134
; %bb.125:
	v_cmp_gt_i16_e32 vcc, 2, v9
	s_and_saveexec_b64 s[28:29], vcc
	s_cbranch_execz .LBB600_130
; %bb.126:
	v_cmp_ne_u16_e32 vcc, 1, v9
	s_mov_b64 s[36:37], 0
	s_and_saveexec_b64 s[30:31], vcc
	s_xor_b64 s[30:31], exec, s[30:31]
	s_cbranch_execnz .LBB600_187
; %bb.127:
	s_andn2_saveexec_b64 s[0:1], s[30:31]
	s_cbranch_execnz .LBB600_202
.LBB600_128:
	s_or_b64 exec, exec, s[0:1]
	s_and_b64 exec, exec, s[36:37]
	s_cbranch_execz .LBB600_130
.LBB600_129:
	v_sub_u32_e32 v8, v16, v8
	v_lshlrev_b32_e32 v8, 2, v8
	ds_write_b32 v8, v17
.LBB600_130:
	s_or_b64 exec, exec, s[28:29]
	v_cmp_lt_u32_e32 vcc, v0, v1
	s_waitcnt lgkmcnt(0)
	s_barrier
	s_and_saveexec_b64 s[0:1], vcc
	s_cbranch_execz .LBB600_133
; %bb.131:
	v_lshlrev_b32_e32 v11, 2, v0
	s_mov_b64 s[2:3], 0
	v_mov_b32_e32 v9, 0
	v_mov_b32_e32 v8, v0
.LBB600_132:                            ; =>This Inner Loop Header: Depth=1
	ds_read_b32 v12, v11
	v_lshlrev_b64 v[14:15], 3, v[8:9]
	v_add_co_u32_e32 v14, vcc, v3, v14
	v_add_u32_e32 v8, 0xc0, v8
	v_addc_co_u32_e32 v15, vcc, v7, v15, vcc
	v_cmp_ge_u32_e32 vcc, v8, v1
	v_mov_b32_e32 v13, v9
	v_add_u32_e32 v11, 0x300, v11
	s_or_b64 s[2:3], vcc, s[2:3]
	s_waitcnt lgkmcnt(0)
	global_store_dwordx2 v[14:15], v[12:13], off
	s_andn2_b64 exec, exec, s[2:3]
	s_cbranch_execnz .LBB600_132
.LBB600_133:
	s_or_b64 exec, exec, s[0:1]
.LBB600_134:
	s_movk_i32 s0, 0xbf
	v_cmp_eq_u32_e32 vcc, s0, v0
	s_and_b64 s[0:1], vcc, s[34:35]
	s_and_saveexec_b64 s[2:3], s[0:1]
	s_cbranch_execz .LBB600_137
; %bb.135:
	v_add_co_u32_e32 v0, vcc, v2, v4
	v_addc_co_u32_e64 v1, s[0:1], 0, 0, vcc
	v_add_co_u32_e32 v0, vcc, v0, v42
	v_mov_b32_e32 v3, 0
	v_addc_co_u32_e32 v1, vcc, v1, v43, vcc
	s_cmpk_lg_i32 s33, 0xa80
	global_store_dwordx2 v3, v[0:1], s[46:47]
	s_cbranch_scc1 .LBB600_137
; %bb.136:
	v_lshlrev_b64 v[0:1], 3, v[2:3]
	v_add_co_u32_e32 v0, vcc, v5, v0
	v_mov_b32_e32 v7, v3
	v_addc_co_u32_e32 v1, vcc, v10, v1, vcc
	global_store_dwordx2 v[0:1], v[6:7], off offset:-8
.LBB600_137:
	s_endpgm
.LBB600_138:
	s_or_b64 exec, exec, s[2:3]
	v_mov_b32_e32 v57, s7
	s_and_saveexec_b64 s[2:3], s[10:11]
	s_cbranch_execnz .LBB600_54
	s_branch .LBB600_55
.LBB600_139:
	s_and_saveexec_b64 s[36:37], s[26:27]
	s_cbranch_execnz .LBB600_203
; %bb.140:
	s_or_b64 exec, exec, s[36:37]
	s_and_saveexec_b64 s[36:37], s[24:25]
	s_cbranch_execnz .LBB600_204
.LBB600_141:
	s_or_b64 exec, exec, s[36:37]
	s_and_saveexec_b64 s[36:37], s[22:23]
	s_cbranch_execnz .LBB600_205
.LBB600_142:
	s_or_b64 exec, exec, s[36:37]
	s_and_saveexec_b64 s[36:37], s[20:21]
	s_cbranch_execnz .LBB600_206
.LBB600_143:
	s_or_b64 exec, exec, s[36:37]
	s_and_saveexec_b64 s[36:37], s[18:19]
	s_cbranch_execnz .LBB600_207
.LBB600_144:
	s_or_b64 exec, exec, s[36:37]
	s_and_saveexec_b64 s[36:37], s[16:17]
	s_cbranch_execnz .LBB600_208
.LBB600_145:
	s_or_b64 exec, exec, s[36:37]
	s_and_saveexec_b64 s[36:37], s[14:15]
	s_cbranch_execnz .LBB600_209
.LBB600_146:
	s_or_b64 exec, exec, s[36:37]
	s_and_saveexec_b64 s[36:37], s[12:13]
	s_cbranch_execnz .LBB600_210
.LBB600_147:
	s_or_b64 exec, exec, s[36:37]
	s_and_saveexec_b64 s[36:37], s[10:11]
	s_cbranch_execnz .LBB600_211
.LBB600_148:
	s_or_b64 exec, exec, s[36:37]
	s_and_saveexec_b64 s[36:37], s[8:9]
	s_cbranch_execnz .LBB600_212
.LBB600_149:
	s_or_b64 exec, exec, s[36:37]
	s_and_saveexec_b64 s[36:37], s[6:7]
	s_cbranch_execnz .LBB600_213
.LBB600_150:
	s_or_b64 exec, exec, s[36:37]
	s_and_saveexec_b64 s[36:37], s[4:5]
	s_cbranch_execnz .LBB600_214
.LBB600_151:
	s_or_b64 exec, exec, s[36:37]
	s_and_saveexec_b64 s[36:37], s[2:3]
	s_cbranch_execz .LBB600_153
.LBB600_152:
	v_sub_u32_e32 v60, v14, v4
	v_mov_b32_e32 v61, 0
	v_lshlrev_b64 v[60:61], 1, v[60:61]
	v_add_co_u32_e32 v60, vcc, v3, v60
	v_addc_co_u32_e32 v61, vcc, v7, v61, vcc
	global_store_short v[60:61], v1, off
.LBB600_153:
	s_or_b64 exec, exec, s[36:37]
	s_and_b64 s[36:37], s[0:1], exec
	s_andn2_saveexec_b64 s[28:29], s[28:29]
	s_cbranch_execz .LBB600_104
.LBB600_154:
	v_sub_u32_e32 v60, v40, v4
	v_mov_b32_e32 v61, 0
	v_lshlrev_b64 v[62:63], 1, v[60:61]
	v_add_co_u32_e32 v62, vcc, v3, v62
	v_addc_co_u32_e32 v63, vcc, v7, v63, vcc
	v_sub_u32_e32 v60, v38, v4
	global_store_short v[62:63], v12, off
	v_lshlrev_b64 v[62:63], 1, v[60:61]
	v_add_co_u32_e32 v62, vcc, v3, v62
	v_addc_co_u32_e32 v63, vcc, v7, v63, vcc
	v_sub_u32_e32 v60, v36, v4
	global_store_short_d16_hi v[62:63], v12, off
	v_lshlrev_b64 v[62:63], 1, v[60:61]
	v_add_co_u32_e32 v62, vcc, v3, v62
	v_addc_co_u32_e32 v63, vcc, v7, v63, vcc
	v_sub_u32_e32 v60, v34, v4
	global_store_short v[62:63], v13, off
	v_lshlrev_b64 v[62:63], 1, v[60:61]
	v_add_co_u32_e32 v62, vcc, v3, v62
	v_addc_co_u32_e32 v63, vcc, v7, v63, vcc
	v_sub_u32_e32 v60, v32, v4
	global_store_short_d16_hi v[62:63], v13, off
	;; [unrolled: 10-line block ×5, first 2 shown]
	v_lshlrev_b64 v[62:63], 1, v[60:61]
	v_add_co_u32_e32 v62, vcc, v3, v62
	v_addc_co_u32_e32 v63, vcc, v7, v63, vcc
	v_sub_u32_e32 v60, v18, v4
	global_store_short v[62:63], v9, off
	v_lshlrev_b64 v[62:63], 1, v[60:61]
	v_add_co_u32_e32 v62, vcc, v3, v62
	v_sub_u32_e32 v60, v14, v4
	v_addc_co_u32_e32 v63, vcc, v7, v63, vcc
	v_lshlrev_b64 v[60:61], 1, v[60:61]
	v_add_co_u32_e32 v60, vcc, v3, v60
	v_addc_co_u32_e32 v61, vcc, v7, v61, vcc
	s_or_b64 s[36:37], s[36:37], exec
	global_store_short_d16_hi v[62:63], v9, off
	global_store_short v[60:61], v1, off
	s_or_b64 exec, exec, s[28:29]
	s_and_b64 exec, exec, s[36:37]
	s_cbranch_execnz .LBB600_105
	s_branch .LBB600_106
.LBB600_155:
	s_and_saveexec_b64 s[36:37], s[26:27]
	s_cbranch_execnz .LBB600_215
; %bb.156:
	s_or_b64 exec, exec, s[36:37]
	s_and_saveexec_b64 s[26:27], s[24:25]
	s_cbranch_execnz .LBB600_216
.LBB600_157:
	s_or_b64 exec, exec, s[26:27]
	s_and_saveexec_b64 s[24:25], s[22:23]
	s_cbranch_execnz .LBB600_217
.LBB600_158:
	s_or_b64 exec, exec, s[24:25]
	s_and_saveexec_b64 s[22:23], s[20:21]
	s_cbranch_execnz .LBB600_218
.LBB600_159:
	s_or_b64 exec, exec, s[22:23]
	s_and_saveexec_b64 s[20:21], s[18:19]
	s_cbranch_execnz .LBB600_219
.LBB600_160:
	s_or_b64 exec, exec, s[20:21]
	s_and_saveexec_b64 s[18:19], s[16:17]
	s_cbranch_execnz .LBB600_220
.LBB600_161:
	s_or_b64 exec, exec, s[18:19]
	s_and_saveexec_b64 s[16:17], s[14:15]
	s_cbranch_execnz .LBB600_221
.LBB600_162:
	s_or_b64 exec, exec, s[16:17]
	s_and_saveexec_b64 s[14:15], s[12:13]
	s_cbranch_execnz .LBB600_222
.LBB600_163:
	s_or_b64 exec, exec, s[14:15]
	s_and_saveexec_b64 s[12:13], s[10:11]
	s_cbranch_execnz .LBB600_223
.LBB600_164:
	s_or_b64 exec, exec, s[12:13]
	s_and_saveexec_b64 s[10:11], s[8:9]
	s_cbranch_execnz .LBB600_224
.LBB600_165:
	s_or_b64 exec, exec, s[10:11]
	s_and_saveexec_b64 s[8:9], s[6:7]
	s_cbranch_execnz .LBB600_225
.LBB600_166:
	s_or_b64 exec, exec, s[8:9]
	s_and_saveexec_b64 s[6:7], s[4:5]
	s_cbranch_execnz .LBB600_226
.LBB600_167:
	s_or_b64 exec, exec, s[6:7]
	s_and_saveexec_b64 s[4:5], s[2:3]
	s_cbranch_execz .LBB600_169
.LBB600_168:
	v_sub_u32_e32 v8, v14, v4
	v_lshlrev_b32_e32 v8, 1, v8
	ds_write_b16 v8, v1
.LBB600_169:
	s_or_b64 exec, exec, s[4:5]
	s_and_b64 s[36:37], s[0:1], exec
                                        ; implicit-def: $vgpr12
                                        ; implicit-def: $vgpr10
                                        ; implicit-def: $vgpr8
	s_andn2_saveexec_b64 s[0:1], s[30:31]
	s_cbranch_execz .LBB600_111
.LBB600_170:
	v_sub_u32_e32 v58, v40, v4
	v_lshlrev_b32_e32 v58, 1, v58
	ds_write_b16 v58, v12
	v_sub_u32_e32 v58, v38, v4
	v_lshlrev_b32_e32 v58, 1, v58
	ds_write_b16_d16_hi v58, v12
	v_sub_u32_e32 v12, v36, v4
	v_lshlrev_b32_e32 v12, 1, v12
	ds_write_b16 v12, v13
	v_sub_u32_e32 v12, v34, v4
	v_lshlrev_b32_e32 v12, 1, v12
	ds_write_b16_d16_hi v12, v13
	;; [unrolled: 6-line block ×6, first 2 shown]
	v_sub_u32_e32 v8, v14, v4
	v_lshlrev_b32_e32 v8, 1, v8
	s_or_b64 s[36:37], s[36:37], exec
	ds_write_b16 v8, v1
	s_or_b64 exec, exec, s[0:1]
	s_and_b64 exec, exec, s[36:37]
	s_cbranch_execnz .LBB600_112
	s_branch .LBB600_113
.LBB600_171:
	s_and_saveexec_b64 s[36:37], s[26:27]
	s_cbranch_execnz .LBB600_227
; %bb.172:
	s_or_b64 exec, exec, s[36:37]
	s_and_saveexec_b64 s[36:37], s[24:25]
	s_cbranch_execnz .LBB600_228
.LBB600_173:
	s_or_b64 exec, exec, s[36:37]
	s_and_saveexec_b64 s[36:37], s[22:23]
	s_cbranch_execnz .LBB600_229
.LBB600_174:
	s_or_b64 exec, exec, s[36:37]
	s_and_saveexec_b64 s[36:37], s[20:21]
	s_cbranch_execnz .LBB600_230
.LBB600_175:
	s_or_b64 exec, exec, s[36:37]
	s_and_saveexec_b64 s[36:37], s[18:19]
	s_cbranch_execnz .LBB600_231
.LBB600_176:
	s_or_b64 exec, exec, s[36:37]
	s_and_saveexec_b64 s[36:37], s[16:17]
	s_cbranch_execnz .LBB600_232
.LBB600_177:
	s_or_b64 exec, exec, s[36:37]
	s_and_saveexec_b64 s[36:37], s[14:15]
	s_cbranch_execnz .LBB600_233
.LBB600_178:
	s_or_b64 exec, exec, s[36:37]
	s_and_saveexec_b64 s[36:37], s[12:13]
	s_cbranch_execnz .LBB600_234
.LBB600_179:
	s_or_b64 exec, exec, s[36:37]
	s_and_saveexec_b64 s[36:37], s[10:11]
	s_cbranch_execnz .LBB600_235
.LBB600_180:
	s_or_b64 exec, exec, s[36:37]
	s_and_saveexec_b64 s[36:37], s[8:9]
	s_cbranch_execnz .LBB600_236
.LBB600_181:
	s_or_b64 exec, exec, s[36:37]
	s_and_saveexec_b64 s[36:37], s[6:7]
	s_cbranch_execnz .LBB600_237
.LBB600_182:
	s_or_b64 exec, exec, s[36:37]
	s_and_saveexec_b64 s[36:37], s[4:5]
	s_cbranch_execnz .LBB600_238
.LBB600_183:
	s_or_b64 exec, exec, s[36:37]
	s_and_saveexec_b64 s[36:37], s[2:3]
	s_cbranch_execz .LBB600_185
.LBB600_184:
	v_sub_u32_e32 v12, v14, v8
	v_mov_b32_e32 v13, 0
	v_lshlrev_b64 v[44:45], 3, v[12:13]
	v_add_co_u32_e32 v44, vcc, v3, v44
	v_addc_co_u32_e32 v45, vcc, v7, v45, vcc
	v_mov_b32_e32 v12, v15
	global_store_dwordx2 v[44:45], v[12:13], off
.LBB600_185:
	s_or_b64 exec, exec, s[36:37]
	s_and_b64 s[36:37], s[0:1], exec
	s_andn2_saveexec_b64 s[28:29], s[28:29]
	s_cbranch_execz .LBB600_121
.LBB600_186:
	v_mov_b32_e32 v13, 0
	v_sub_u32_e32 v44, v40, v8
	v_mov_b32_e32 v45, v13
	v_lshlrev_b64 v[44:45], 3, v[44:45]
	v_add_co_u32_e32 v44, vcc, v3, v44
	v_mov_b32_e32 v12, v41
	v_addc_co_u32_e32 v45, vcc, v7, v45, vcc
	global_store_dwordx2 v[44:45], v[12:13], off
	v_sub_u32_e32 v44, v38, v8
	v_mov_b32_e32 v45, v13
	v_lshlrev_b64 v[44:45], 3, v[44:45]
	v_add_co_u32_e32 v44, vcc, v3, v44
	v_mov_b32_e32 v12, v39
	v_addc_co_u32_e32 v45, vcc, v7, v45, vcc
	global_store_dwordx2 v[44:45], v[12:13], off
	;; [unrolled: 7-line block ×12, first 2 shown]
	v_sub_u32_e32 v44, v14, v8
	v_mov_b32_e32 v45, v13
	v_lshlrev_b64 v[44:45], 3, v[44:45]
	v_add_co_u32_e32 v44, vcc, v3, v44
	v_mov_b32_e32 v12, v15
	v_addc_co_u32_e32 v45, vcc, v7, v45, vcc
	s_or_b64 s[36:37], s[36:37], exec
	global_store_dwordx2 v[44:45], v[12:13], off
	s_or_b64 exec, exec, s[28:29]
	s_and_b64 exec, exec, s[36:37]
	s_cbranch_execnz .LBB600_122
	s_branch .LBB600_123
.LBB600_187:
	s_and_saveexec_b64 s[36:37], s[26:27]
	s_cbranch_execnz .LBB600_239
; %bb.188:
	s_or_b64 exec, exec, s[36:37]
	s_and_saveexec_b64 s[26:27], s[24:25]
	s_cbranch_execnz .LBB600_240
.LBB600_189:
	s_or_b64 exec, exec, s[26:27]
	s_and_saveexec_b64 s[24:25], s[22:23]
	s_cbranch_execnz .LBB600_241
.LBB600_190:
	s_or_b64 exec, exec, s[24:25]
	s_and_saveexec_b64 s[22:23], s[20:21]
	s_cbranch_execnz .LBB600_242
.LBB600_191:
	s_or_b64 exec, exec, s[22:23]
	s_and_saveexec_b64 s[20:21], s[18:19]
	s_cbranch_execnz .LBB600_243
.LBB600_192:
	s_or_b64 exec, exec, s[20:21]
	s_and_saveexec_b64 s[18:19], s[16:17]
	s_cbranch_execnz .LBB600_244
.LBB600_193:
	s_or_b64 exec, exec, s[18:19]
	s_and_saveexec_b64 s[16:17], s[14:15]
	s_cbranch_execnz .LBB600_245
.LBB600_194:
	s_or_b64 exec, exec, s[16:17]
	s_and_saveexec_b64 s[14:15], s[12:13]
	s_cbranch_execnz .LBB600_246
.LBB600_195:
	s_or_b64 exec, exec, s[14:15]
	s_and_saveexec_b64 s[12:13], s[10:11]
	s_cbranch_execnz .LBB600_247
.LBB600_196:
	s_or_b64 exec, exec, s[12:13]
	s_and_saveexec_b64 s[10:11], s[8:9]
	s_cbranch_execnz .LBB600_248
.LBB600_197:
	s_or_b64 exec, exec, s[10:11]
	s_and_saveexec_b64 s[8:9], s[6:7]
	s_cbranch_execnz .LBB600_249
.LBB600_198:
	s_or_b64 exec, exec, s[8:9]
	s_and_saveexec_b64 s[6:7], s[4:5]
	s_cbranch_execnz .LBB600_250
.LBB600_199:
	s_or_b64 exec, exec, s[6:7]
	s_and_saveexec_b64 s[4:5], s[2:3]
	s_cbranch_execz .LBB600_201
.LBB600_200:
	v_sub_u32_e32 v9, v14, v8
	v_lshlrev_b32_e32 v9, 2, v9
	ds_write_b32 v9, v15
.LBB600_201:
	s_or_b64 exec, exec, s[4:5]
	s_and_b64 s[36:37], s[0:1], exec
                                        ; implicit-def: $vgpr14_vgpr15
                                        ; implicit-def: $vgpr18_vgpr19
                                        ; implicit-def: $vgpr20_vgpr21
                                        ; implicit-def: $vgpr40_vgpr41
                                        ; implicit-def: $vgpr38_vgpr39
                                        ; implicit-def: $vgpr36_vgpr37
                                        ; implicit-def: $vgpr34_vgpr35
                                        ; implicit-def: $vgpr32_vgpr33
                                        ; implicit-def: $vgpr30_vgpr31
                                        ; implicit-def: $vgpr28_vgpr29
                                        ; implicit-def: $vgpr26_vgpr27
                                        ; implicit-def: $vgpr24_vgpr25
                                        ; implicit-def: $vgpr22_vgpr23
	s_andn2_saveexec_b64 s[0:1], s[30:31]
	s_cbranch_execz .LBB600_128
.LBB600_202:
	v_sub_u32_e32 v9, v40, v8
	v_lshlrev_b32_e32 v9, 2, v9
	ds_write_b32 v9, v41
	v_sub_u32_e32 v9, v38, v8
	v_lshlrev_b32_e32 v9, 2, v9
	ds_write_b32 v9, v39
	;; [unrolled: 3-line block ×12, first 2 shown]
	v_sub_u32_e32 v9, v14, v8
	v_lshlrev_b32_e32 v9, 2, v9
	s_or_b64 s[36:37], s[36:37], exec
	ds_write_b32 v9, v15
	s_or_b64 exec, exec, s[0:1]
	s_and_b64 exec, exec, s[36:37]
	s_cbranch_execnz .LBB600_129
	s_branch .LBB600_130
.LBB600_203:
	v_sub_u32_e32 v60, v40, v4
	v_mov_b32_e32 v61, 0
	v_lshlrev_b64 v[60:61], 1, v[60:61]
	v_add_co_u32_e32 v60, vcc, v3, v60
	v_addc_co_u32_e32 v61, vcc, v7, v61, vcc
	global_store_short v[60:61], v12, off
	s_or_b64 exec, exec, s[36:37]
	s_and_saveexec_b64 s[36:37], s[24:25]
	s_cbranch_execz .LBB600_141
.LBB600_204:
	v_sub_u32_e32 v60, v38, v4
	v_mov_b32_e32 v61, 0
	v_lshlrev_b64 v[60:61], 1, v[60:61]
	v_add_co_u32_e32 v60, vcc, v3, v60
	v_addc_co_u32_e32 v61, vcc, v7, v61, vcc
	global_store_short_d16_hi v[60:61], v12, off
	s_or_b64 exec, exec, s[36:37]
	s_and_saveexec_b64 s[36:37], s[22:23]
	s_cbranch_execz .LBB600_142
.LBB600_205:
	v_sub_u32_e32 v60, v36, v4
	v_mov_b32_e32 v61, 0
	v_lshlrev_b64 v[60:61], 1, v[60:61]
	v_add_co_u32_e32 v60, vcc, v3, v60
	v_addc_co_u32_e32 v61, vcc, v7, v61, vcc
	global_store_short v[60:61], v13, off
	s_or_b64 exec, exec, s[36:37]
	s_and_saveexec_b64 s[36:37], s[20:21]
	s_cbranch_execz .LBB600_143
.LBB600_206:
	v_sub_u32_e32 v60, v34, v4
	v_mov_b32_e32 v61, 0
	v_lshlrev_b64 v[60:61], 1, v[60:61]
	v_add_co_u32_e32 v60, vcc, v3, v60
	v_addc_co_u32_e32 v61, vcc, v7, v61, vcc
	global_store_short_d16_hi v[60:61], v13, off
	s_or_b64 exec, exec, s[36:37]
	s_and_saveexec_b64 s[36:37], s[18:19]
	s_cbranch_execz .LBB600_144
.LBB600_207:
	v_sub_u32_e32 v60, v32, v4
	v_mov_b32_e32 v61, 0
	v_lshlrev_b64 v[60:61], 1, v[60:61]
	v_add_co_u32_e32 v60, vcc, v3, v60
	v_addc_co_u32_e32 v61, vcc, v7, v61, vcc
	global_store_short v[60:61], v10, off
	s_or_b64 exec, exec, s[36:37]
	s_and_saveexec_b64 s[36:37], s[16:17]
	s_cbranch_execz .LBB600_145
.LBB600_208:
	v_sub_u32_e32 v60, v30, v4
	v_mov_b32_e32 v61, 0
	v_lshlrev_b64 v[60:61], 1, v[60:61]
	v_add_co_u32_e32 v60, vcc, v3, v60
	v_addc_co_u32_e32 v61, vcc, v7, v61, vcc
	global_store_short_d16_hi v[60:61], v10, off
	s_or_b64 exec, exec, s[36:37]
	s_and_saveexec_b64 s[36:37], s[14:15]
	s_cbranch_execz .LBB600_146
.LBB600_209:
	v_sub_u32_e32 v60, v28, v4
	v_mov_b32_e32 v61, 0
	v_lshlrev_b64 v[60:61], 1, v[60:61]
	v_add_co_u32_e32 v60, vcc, v3, v60
	v_addc_co_u32_e32 v61, vcc, v7, v61, vcc
	global_store_short v[60:61], v11, off
	s_or_b64 exec, exec, s[36:37]
	s_and_saveexec_b64 s[36:37], s[12:13]
	s_cbranch_execz .LBB600_147
.LBB600_210:
	v_sub_u32_e32 v60, v26, v4
	v_mov_b32_e32 v61, 0
	v_lshlrev_b64 v[60:61], 1, v[60:61]
	v_add_co_u32_e32 v60, vcc, v3, v60
	v_addc_co_u32_e32 v61, vcc, v7, v61, vcc
	global_store_short_d16_hi v[60:61], v11, off
	s_or_b64 exec, exec, s[36:37]
	s_and_saveexec_b64 s[36:37], s[10:11]
	s_cbranch_execz .LBB600_148
.LBB600_211:
	v_sub_u32_e32 v60, v24, v4
	v_mov_b32_e32 v61, 0
	v_lshlrev_b64 v[60:61], 1, v[60:61]
	v_add_co_u32_e32 v60, vcc, v3, v60
	v_addc_co_u32_e32 v61, vcc, v7, v61, vcc
	global_store_short v[60:61], v8, off
	s_or_b64 exec, exec, s[36:37]
	s_and_saveexec_b64 s[36:37], s[8:9]
	s_cbranch_execz .LBB600_149
.LBB600_212:
	v_sub_u32_e32 v60, v22, v4
	v_mov_b32_e32 v61, 0
	v_lshlrev_b64 v[60:61], 1, v[60:61]
	v_add_co_u32_e32 v60, vcc, v3, v60
	v_addc_co_u32_e32 v61, vcc, v7, v61, vcc
	global_store_short_d16_hi v[60:61], v8, off
	s_or_b64 exec, exec, s[36:37]
	s_and_saveexec_b64 s[36:37], s[6:7]
	s_cbranch_execz .LBB600_150
.LBB600_213:
	v_sub_u32_e32 v60, v20, v4
	v_mov_b32_e32 v61, 0
	v_lshlrev_b64 v[60:61], 1, v[60:61]
	v_add_co_u32_e32 v60, vcc, v3, v60
	v_addc_co_u32_e32 v61, vcc, v7, v61, vcc
	global_store_short v[60:61], v9, off
	s_or_b64 exec, exec, s[36:37]
	s_and_saveexec_b64 s[36:37], s[4:5]
	s_cbranch_execz .LBB600_151
.LBB600_214:
	v_sub_u32_e32 v60, v18, v4
	v_mov_b32_e32 v61, 0
	v_lshlrev_b64 v[60:61], 1, v[60:61]
	v_add_co_u32_e32 v60, vcc, v3, v60
	v_addc_co_u32_e32 v61, vcc, v7, v61, vcc
	global_store_short_d16_hi v[60:61], v9, off
	s_or_b64 exec, exec, s[36:37]
	s_and_saveexec_b64 s[36:37], s[2:3]
	s_cbranch_execnz .LBB600_152
	s_branch .LBB600_153
.LBB600_215:
	v_sub_u32_e32 v58, v40, v4
	v_lshlrev_b32_e32 v58, 1, v58
	ds_write_b16 v58, v12
	s_or_b64 exec, exec, s[36:37]
	s_and_saveexec_b64 s[26:27], s[24:25]
	s_cbranch_execz .LBB600_157
.LBB600_216:
	v_sub_u32_e32 v58, v38, v4
	v_lshlrev_b32_e32 v58, 1, v58
	ds_write_b16_d16_hi v58, v12
	s_or_b64 exec, exec, s[26:27]
	s_and_saveexec_b64 s[24:25], s[22:23]
	s_cbranch_execz .LBB600_158
.LBB600_217:
	v_sub_u32_e32 v12, v36, v4
	v_lshlrev_b32_e32 v12, 1, v12
	ds_write_b16 v12, v13
	s_or_b64 exec, exec, s[24:25]
	s_and_saveexec_b64 s[22:23], s[20:21]
	s_cbranch_execz .LBB600_159
.LBB600_218:
	v_sub_u32_e32 v12, v34, v4
	v_lshlrev_b32_e32 v12, 1, v12
	ds_write_b16_d16_hi v12, v13
	s_or_b64 exec, exec, s[22:23]
	s_and_saveexec_b64 s[20:21], s[18:19]
	s_cbranch_execz .LBB600_160
.LBB600_219:
	v_sub_u32_e32 v12, v32, v4
	v_lshlrev_b32_e32 v12, 1, v12
	ds_write_b16 v12, v10
	s_or_b64 exec, exec, s[20:21]
	s_and_saveexec_b64 s[18:19], s[16:17]
	s_cbranch_execz .LBB600_161
.LBB600_220:
	v_sub_u32_e32 v12, v30, v4
	v_lshlrev_b32_e32 v12, 1, v12
	ds_write_b16_d16_hi v12, v10
	s_or_b64 exec, exec, s[18:19]
	s_and_saveexec_b64 s[16:17], s[14:15]
	s_cbranch_execz .LBB600_162
.LBB600_221:
	v_sub_u32_e32 v10, v28, v4
	v_lshlrev_b32_e32 v10, 1, v10
	ds_write_b16 v10, v11
	s_or_b64 exec, exec, s[16:17]
	s_and_saveexec_b64 s[14:15], s[12:13]
	s_cbranch_execz .LBB600_163
.LBB600_222:
	v_sub_u32_e32 v10, v26, v4
	v_lshlrev_b32_e32 v10, 1, v10
	ds_write_b16_d16_hi v10, v11
	s_or_b64 exec, exec, s[14:15]
	s_and_saveexec_b64 s[12:13], s[10:11]
	s_cbranch_execz .LBB600_164
.LBB600_223:
	v_sub_u32_e32 v10, v24, v4
	v_lshlrev_b32_e32 v10, 1, v10
	ds_write_b16 v10, v8
	s_or_b64 exec, exec, s[12:13]
	s_and_saveexec_b64 s[10:11], s[8:9]
	s_cbranch_execz .LBB600_165
.LBB600_224:
	v_sub_u32_e32 v10, v22, v4
	v_lshlrev_b32_e32 v10, 1, v10
	ds_write_b16_d16_hi v10, v8
	s_or_b64 exec, exec, s[10:11]
	s_and_saveexec_b64 s[8:9], s[6:7]
	s_cbranch_execz .LBB600_166
.LBB600_225:
	v_sub_u32_e32 v8, v20, v4
	v_lshlrev_b32_e32 v8, 1, v8
	ds_write_b16 v8, v9
	s_or_b64 exec, exec, s[8:9]
	s_and_saveexec_b64 s[6:7], s[4:5]
	s_cbranch_execz .LBB600_167
.LBB600_226:
	v_sub_u32_e32 v8, v18, v4
	v_lshlrev_b32_e32 v8, 1, v8
	ds_write_b16_d16_hi v8, v9
	s_or_b64 exec, exec, s[6:7]
	s_and_saveexec_b64 s[4:5], s[2:3]
	s_cbranch_execnz .LBB600_168
	s_branch .LBB600_169
.LBB600_227:
	v_sub_u32_e32 v12, v40, v8
	v_mov_b32_e32 v13, 0
	v_lshlrev_b64 v[44:45], 3, v[12:13]
	v_add_co_u32_e32 v44, vcc, v3, v44
	v_addc_co_u32_e32 v45, vcc, v7, v45, vcc
	v_mov_b32_e32 v12, v41
	global_store_dwordx2 v[44:45], v[12:13], off
	s_or_b64 exec, exec, s[36:37]
	s_and_saveexec_b64 s[36:37], s[24:25]
	s_cbranch_execz .LBB600_173
.LBB600_228:
	v_sub_u32_e32 v12, v38, v8
	v_mov_b32_e32 v13, 0
	v_lshlrev_b64 v[44:45], 3, v[12:13]
	v_add_co_u32_e32 v44, vcc, v3, v44
	v_addc_co_u32_e32 v45, vcc, v7, v45, vcc
	v_mov_b32_e32 v12, v39
	global_store_dwordx2 v[44:45], v[12:13], off
	s_or_b64 exec, exec, s[36:37]
	s_and_saveexec_b64 s[36:37], s[22:23]
	s_cbranch_execz .LBB600_174
.LBB600_229:
	v_sub_u32_e32 v12, v36, v8
	v_mov_b32_e32 v13, 0
	v_lshlrev_b64 v[44:45], 3, v[12:13]
	v_add_co_u32_e32 v44, vcc, v3, v44
	v_addc_co_u32_e32 v45, vcc, v7, v45, vcc
	v_mov_b32_e32 v12, v37
	global_store_dwordx2 v[44:45], v[12:13], off
	s_or_b64 exec, exec, s[36:37]
	s_and_saveexec_b64 s[36:37], s[20:21]
	s_cbranch_execz .LBB600_175
.LBB600_230:
	v_sub_u32_e32 v12, v34, v8
	v_mov_b32_e32 v13, 0
	v_lshlrev_b64 v[44:45], 3, v[12:13]
	v_add_co_u32_e32 v44, vcc, v3, v44
	v_addc_co_u32_e32 v45, vcc, v7, v45, vcc
	v_mov_b32_e32 v12, v35
	global_store_dwordx2 v[44:45], v[12:13], off
	s_or_b64 exec, exec, s[36:37]
	s_and_saveexec_b64 s[36:37], s[18:19]
	s_cbranch_execz .LBB600_176
.LBB600_231:
	v_sub_u32_e32 v12, v32, v8
	v_mov_b32_e32 v13, 0
	v_lshlrev_b64 v[44:45], 3, v[12:13]
	v_add_co_u32_e32 v44, vcc, v3, v44
	v_addc_co_u32_e32 v45, vcc, v7, v45, vcc
	v_mov_b32_e32 v12, v33
	global_store_dwordx2 v[44:45], v[12:13], off
	s_or_b64 exec, exec, s[36:37]
	s_and_saveexec_b64 s[36:37], s[16:17]
	s_cbranch_execz .LBB600_177
.LBB600_232:
	v_sub_u32_e32 v12, v30, v8
	v_mov_b32_e32 v13, 0
	v_lshlrev_b64 v[44:45], 3, v[12:13]
	v_add_co_u32_e32 v44, vcc, v3, v44
	v_addc_co_u32_e32 v45, vcc, v7, v45, vcc
	v_mov_b32_e32 v12, v31
	global_store_dwordx2 v[44:45], v[12:13], off
	s_or_b64 exec, exec, s[36:37]
	s_and_saveexec_b64 s[36:37], s[14:15]
	s_cbranch_execz .LBB600_178
.LBB600_233:
	v_sub_u32_e32 v12, v28, v8
	v_mov_b32_e32 v13, 0
	v_lshlrev_b64 v[44:45], 3, v[12:13]
	v_add_co_u32_e32 v44, vcc, v3, v44
	v_addc_co_u32_e32 v45, vcc, v7, v45, vcc
	v_mov_b32_e32 v12, v29
	global_store_dwordx2 v[44:45], v[12:13], off
	s_or_b64 exec, exec, s[36:37]
	s_and_saveexec_b64 s[36:37], s[12:13]
	s_cbranch_execz .LBB600_179
.LBB600_234:
	v_sub_u32_e32 v12, v26, v8
	v_mov_b32_e32 v13, 0
	v_lshlrev_b64 v[44:45], 3, v[12:13]
	v_add_co_u32_e32 v44, vcc, v3, v44
	v_addc_co_u32_e32 v45, vcc, v7, v45, vcc
	v_mov_b32_e32 v12, v27
	global_store_dwordx2 v[44:45], v[12:13], off
	s_or_b64 exec, exec, s[36:37]
	s_and_saveexec_b64 s[36:37], s[10:11]
	s_cbranch_execz .LBB600_180
.LBB600_235:
	v_sub_u32_e32 v12, v24, v8
	v_mov_b32_e32 v13, 0
	v_lshlrev_b64 v[44:45], 3, v[12:13]
	v_add_co_u32_e32 v44, vcc, v3, v44
	v_addc_co_u32_e32 v45, vcc, v7, v45, vcc
	v_mov_b32_e32 v12, v25
	global_store_dwordx2 v[44:45], v[12:13], off
	s_or_b64 exec, exec, s[36:37]
	s_and_saveexec_b64 s[36:37], s[8:9]
	s_cbranch_execz .LBB600_181
.LBB600_236:
	v_sub_u32_e32 v12, v22, v8
	v_mov_b32_e32 v13, 0
	v_lshlrev_b64 v[44:45], 3, v[12:13]
	v_add_co_u32_e32 v44, vcc, v3, v44
	v_addc_co_u32_e32 v45, vcc, v7, v45, vcc
	v_mov_b32_e32 v12, v23
	global_store_dwordx2 v[44:45], v[12:13], off
	s_or_b64 exec, exec, s[36:37]
	s_and_saveexec_b64 s[36:37], s[6:7]
	s_cbranch_execz .LBB600_182
.LBB600_237:
	v_sub_u32_e32 v12, v20, v8
	v_mov_b32_e32 v13, 0
	v_lshlrev_b64 v[44:45], 3, v[12:13]
	v_add_co_u32_e32 v44, vcc, v3, v44
	v_addc_co_u32_e32 v45, vcc, v7, v45, vcc
	v_mov_b32_e32 v12, v21
	global_store_dwordx2 v[44:45], v[12:13], off
	s_or_b64 exec, exec, s[36:37]
	s_and_saveexec_b64 s[36:37], s[4:5]
	s_cbranch_execz .LBB600_183
.LBB600_238:
	v_sub_u32_e32 v12, v18, v8
	v_mov_b32_e32 v13, 0
	v_lshlrev_b64 v[44:45], 3, v[12:13]
	v_add_co_u32_e32 v44, vcc, v3, v44
	v_addc_co_u32_e32 v45, vcc, v7, v45, vcc
	v_mov_b32_e32 v12, v19
	global_store_dwordx2 v[44:45], v[12:13], off
	s_or_b64 exec, exec, s[36:37]
	s_and_saveexec_b64 s[36:37], s[2:3]
	s_cbranch_execnz .LBB600_184
	s_branch .LBB600_185
.LBB600_239:
	v_sub_u32_e32 v9, v40, v8
	v_lshlrev_b32_e32 v9, 2, v9
	ds_write_b32 v9, v41
	s_or_b64 exec, exec, s[36:37]
	s_and_saveexec_b64 s[26:27], s[24:25]
	s_cbranch_execz .LBB600_189
.LBB600_240:
	v_sub_u32_e32 v9, v38, v8
	v_lshlrev_b32_e32 v9, 2, v9
	ds_write_b32 v9, v39
	s_or_b64 exec, exec, s[26:27]
	s_and_saveexec_b64 s[24:25], s[22:23]
	s_cbranch_execz .LBB600_190
.LBB600_241:
	v_sub_u32_e32 v9, v36, v8
	v_lshlrev_b32_e32 v9, 2, v9
	ds_write_b32 v9, v37
	s_or_b64 exec, exec, s[24:25]
	s_and_saveexec_b64 s[22:23], s[20:21]
	s_cbranch_execz .LBB600_191
.LBB600_242:
	v_sub_u32_e32 v9, v34, v8
	v_lshlrev_b32_e32 v9, 2, v9
	ds_write_b32 v9, v35
	s_or_b64 exec, exec, s[22:23]
	s_and_saveexec_b64 s[20:21], s[18:19]
	s_cbranch_execz .LBB600_192
.LBB600_243:
	v_sub_u32_e32 v9, v32, v8
	v_lshlrev_b32_e32 v9, 2, v9
	ds_write_b32 v9, v33
	s_or_b64 exec, exec, s[20:21]
	s_and_saveexec_b64 s[18:19], s[16:17]
	s_cbranch_execz .LBB600_193
.LBB600_244:
	v_sub_u32_e32 v9, v30, v8
	v_lshlrev_b32_e32 v9, 2, v9
	ds_write_b32 v9, v31
	s_or_b64 exec, exec, s[18:19]
	s_and_saveexec_b64 s[16:17], s[14:15]
	s_cbranch_execz .LBB600_194
.LBB600_245:
	v_sub_u32_e32 v9, v28, v8
	v_lshlrev_b32_e32 v9, 2, v9
	ds_write_b32 v9, v29
	s_or_b64 exec, exec, s[16:17]
	s_and_saveexec_b64 s[14:15], s[12:13]
	s_cbranch_execz .LBB600_195
.LBB600_246:
	v_sub_u32_e32 v9, v26, v8
	v_lshlrev_b32_e32 v9, 2, v9
	ds_write_b32 v9, v27
	s_or_b64 exec, exec, s[14:15]
	s_and_saveexec_b64 s[12:13], s[10:11]
	s_cbranch_execz .LBB600_196
.LBB600_247:
	v_sub_u32_e32 v9, v24, v8
	v_lshlrev_b32_e32 v9, 2, v9
	ds_write_b32 v9, v25
	s_or_b64 exec, exec, s[12:13]
	s_and_saveexec_b64 s[10:11], s[8:9]
	s_cbranch_execz .LBB600_197
.LBB600_248:
	v_sub_u32_e32 v9, v22, v8
	v_lshlrev_b32_e32 v9, 2, v9
	ds_write_b32 v9, v23
	s_or_b64 exec, exec, s[10:11]
	s_and_saveexec_b64 s[8:9], s[6:7]
	s_cbranch_execz .LBB600_198
.LBB600_249:
	v_sub_u32_e32 v9, v20, v8
	v_lshlrev_b32_e32 v9, 2, v9
	ds_write_b32 v9, v21
	s_or_b64 exec, exec, s[8:9]
	s_and_saveexec_b64 s[6:7], s[4:5]
	s_cbranch_execz .LBB600_199
.LBB600_250:
	v_sub_u32_e32 v9, v18, v8
	v_lshlrev_b32_e32 v9, 2, v9
	ds_write_b32 v9, v19
	s_or_b64 exec, exec, s[6:7]
	s_and_saveexec_b64 s[4:5], s[2:3]
	s_cbranch_execnz .LBB600_200
	s_branch .LBB600_201
	.section	.rodata,"a",@progbits
	.p2align	6, 0x0
	.amdhsa_kernel _ZN7rocprim17ROCPRIM_400000_NS6detail17trampoline_kernelINS0_14default_configENS1_33run_length_encode_config_selectorIsjNS0_4plusIjEEEEZZNS1_33reduce_by_key_impl_wrapped_configILNS1_25lookback_scan_determinismE0ES3_S7_PKsNS0_17constant_iteratorIjlEEPsPlSF_S6_NS0_8equal_toIsEEEE10hipError_tPvRmT2_T3_mT4_T5_T6_T7_T8_P12ihipStream_tbENKUlT_T0_E_clISt17integral_constantIbLb1EESY_IbLb0EEEEDaSU_SV_EUlSU_E_NS1_11comp_targetILNS1_3genE4ELNS1_11target_archE910ELNS1_3gpuE8ELNS1_3repE0EEENS1_30default_config_static_selectorELNS0_4arch9wavefront6targetE1EEEvT1_
		.amdhsa_group_segment_fixed_size 10752
		.amdhsa_private_segment_fixed_size 0
		.amdhsa_kernarg_size 128
		.amdhsa_user_sgpr_count 6
		.amdhsa_user_sgpr_private_segment_buffer 1
		.amdhsa_user_sgpr_dispatch_ptr 0
		.amdhsa_user_sgpr_queue_ptr 0
		.amdhsa_user_sgpr_kernarg_segment_ptr 1
		.amdhsa_user_sgpr_dispatch_id 0
		.amdhsa_user_sgpr_flat_scratch_init 0
		.amdhsa_user_sgpr_kernarg_preload_length 0
		.amdhsa_user_sgpr_kernarg_preload_offset 0
		.amdhsa_user_sgpr_private_segment_size 0
		.amdhsa_uses_dynamic_stack 0
		.amdhsa_system_sgpr_private_segment_wavefront_offset 0
		.amdhsa_system_sgpr_workgroup_id_x 1
		.amdhsa_system_sgpr_workgroup_id_y 0
		.amdhsa_system_sgpr_workgroup_id_z 0
		.amdhsa_system_sgpr_workgroup_info 0
		.amdhsa_system_vgpr_workitem_id 0
		.amdhsa_next_free_vgpr 65
		.amdhsa_next_free_sgpr 62
		.amdhsa_accum_offset 68
		.amdhsa_reserve_vcc 1
		.amdhsa_reserve_flat_scratch 0
		.amdhsa_float_round_mode_32 0
		.amdhsa_float_round_mode_16_64 0
		.amdhsa_float_denorm_mode_32 3
		.amdhsa_float_denorm_mode_16_64 3
		.amdhsa_dx10_clamp 1
		.amdhsa_ieee_mode 1
		.amdhsa_fp16_overflow 0
		.amdhsa_tg_split 0
		.amdhsa_exception_fp_ieee_invalid_op 0
		.amdhsa_exception_fp_denorm_src 0
		.amdhsa_exception_fp_ieee_div_zero 0
		.amdhsa_exception_fp_ieee_overflow 0
		.amdhsa_exception_fp_ieee_underflow 0
		.amdhsa_exception_fp_ieee_inexact 0
		.amdhsa_exception_int_div_zero 0
	.end_amdhsa_kernel
	.section	.text._ZN7rocprim17ROCPRIM_400000_NS6detail17trampoline_kernelINS0_14default_configENS1_33run_length_encode_config_selectorIsjNS0_4plusIjEEEEZZNS1_33reduce_by_key_impl_wrapped_configILNS1_25lookback_scan_determinismE0ES3_S7_PKsNS0_17constant_iteratorIjlEEPsPlSF_S6_NS0_8equal_toIsEEEE10hipError_tPvRmT2_T3_mT4_T5_T6_T7_T8_P12ihipStream_tbENKUlT_T0_E_clISt17integral_constantIbLb1EESY_IbLb0EEEEDaSU_SV_EUlSU_E_NS1_11comp_targetILNS1_3genE4ELNS1_11target_archE910ELNS1_3gpuE8ELNS1_3repE0EEENS1_30default_config_static_selectorELNS0_4arch9wavefront6targetE1EEEvT1_,"axG",@progbits,_ZN7rocprim17ROCPRIM_400000_NS6detail17trampoline_kernelINS0_14default_configENS1_33run_length_encode_config_selectorIsjNS0_4plusIjEEEEZZNS1_33reduce_by_key_impl_wrapped_configILNS1_25lookback_scan_determinismE0ES3_S7_PKsNS0_17constant_iteratorIjlEEPsPlSF_S6_NS0_8equal_toIsEEEE10hipError_tPvRmT2_T3_mT4_T5_T6_T7_T8_P12ihipStream_tbENKUlT_T0_E_clISt17integral_constantIbLb1EESY_IbLb0EEEEDaSU_SV_EUlSU_E_NS1_11comp_targetILNS1_3genE4ELNS1_11target_archE910ELNS1_3gpuE8ELNS1_3repE0EEENS1_30default_config_static_selectorELNS0_4arch9wavefront6targetE1EEEvT1_,comdat
.Lfunc_end600:
	.size	_ZN7rocprim17ROCPRIM_400000_NS6detail17trampoline_kernelINS0_14default_configENS1_33run_length_encode_config_selectorIsjNS0_4plusIjEEEEZZNS1_33reduce_by_key_impl_wrapped_configILNS1_25lookback_scan_determinismE0ES3_S7_PKsNS0_17constant_iteratorIjlEEPsPlSF_S6_NS0_8equal_toIsEEEE10hipError_tPvRmT2_T3_mT4_T5_T6_T7_T8_P12ihipStream_tbENKUlT_T0_E_clISt17integral_constantIbLb1EESY_IbLb0EEEEDaSU_SV_EUlSU_E_NS1_11comp_targetILNS1_3genE4ELNS1_11target_archE910ELNS1_3gpuE8ELNS1_3repE0EEENS1_30default_config_static_selectorELNS0_4arch9wavefront6targetE1EEEvT1_, .Lfunc_end600-_ZN7rocprim17ROCPRIM_400000_NS6detail17trampoline_kernelINS0_14default_configENS1_33run_length_encode_config_selectorIsjNS0_4plusIjEEEEZZNS1_33reduce_by_key_impl_wrapped_configILNS1_25lookback_scan_determinismE0ES3_S7_PKsNS0_17constant_iteratorIjlEEPsPlSF_S6_NS0_8equal_toIsEEEE10hipError_tPvRmT2_T3_mT4_T5_T6_T7_T8_P12ihipStream_tbENKUlT_T0_E_clISt17integral_constantIbLb1EESY_IbLb0EEEEDaSU_SV_EUlSU_E_NS1_11comp_targetILNS1_3genE4ELNS1_11target_archE910ELNS1_3gpuE8ELNS1_3repE0EEENS1_30default_config_static_selectorELNS0_4arch9wavefront6targetE1EEEvT1_
                                        ; -- End function
	.section	.AMDGPU.csdata,"",@progbits
; Kernel info:
; codeLenInByte = 13392
; NumSgprs: 66
; NumVgprs: 65
; NumAgprs: 0
; TotalNumVgprs: 65
; ScratchSize: 0
; MemoryBound: 0
; FloatMode: 240
; IeeeMode: 1
; LDSByteSize: 10752 bytes/workgroup (compile time only)
; SGPRBlocks: 8
; VGPRBlocks: 8
; NumSGPRsForWavesPerEU: 66
; NumVGPRsForWavesPerEU: 65
; AccumOffset: 68
; Occupancy: 5
; WaveLimiterHint : 1
; COMPUTE_PGM_RSRC2:SCRATCH_EN: 0
; COMPUTE_PGM_RSRC2:USER_SGPR: 6
; COMPUTE_PGM_RSRC2:TRAP_HANDLER: 0
; COMPUTE_PGM_RSRC2:TGID_X_EN: 1
; COMPUTE_PGM_RSRC2:TGID_Y_EN: 0
; COMPUTE_PGM_RSRC2:TGID_Z_EN: 0
; COMPUTE_PGM_RSRC2:TIDIG_COMP_CNT: 0
; COMPUTE_PGM_RSRC3_GFX90A:ACCUM_OFFSET: 16
; COMPUTE_PGM_RSRC3_GFX90A:TG_SPLIT: 0
	.section	.text._ZN7rocprim17ROCPRIM_400000_NS6detail17trampoline_kernelINS0_14default_configENS1_33run_length_encode_config_selectorIsjNS0_4plusIjEEEEZZNS1_33reduce_by_key_impl_wrapped_configILNS1_25lookback_scan_determinismE0ES3_S7_PKsNS0_17constant_iteratorIjlEEPsPlSF_S6_NS0_8equal_toIsEEEE10hipError_tPvRmT2_T3_mT4_T5_T6_T7_T8_P12ihipStream_tbENKUlT_T0_E_clISt17integral_constantIbLb1EESY_IbLb0EEEEDaSU_SV_EUlSU_E_NS1_11comp_targetILNS1_3genE3ELNS1_11target_archE908ELNS1_3gpuE7ELNS1_3repE0EEENS1_30default_config_static_selectorELNS0_4arch9wavefront6targetE1EEEvT1_,"axG",@progbits,_ZN7rocprim17ROCPRIM_400000_NS6detail17trampoline_kernelINS0_14default_configENS1_33run_length_encode_config_selectorIsjNS0_4plusIjEEEEZZNS1_33reduce_by_key_impl_wrapped_configILNS1_25lookback_scan_determinismE0ES3_S7_PKsNS0_17constant_iteratorIjlEEPsPlSF_S6_NS0_8equal_toIsEEEE10hipError_tPvRmT2_T3_mT4_T5_T6_T7_T8_P12ihipStream_tbENKUlT_T0_E_clISt17integral_constantIbLb1EESY_IbLb0EEEEDaSU_SV_EUlSU_E_NS1_11comp_targetILNS1_3genE3ELNS1_11target_archE908ELNS1_3gpuE7ELNS1_3repE0EEENS1_30default_config_static_selectorELNS0_4arch9wavefront6targetE1EEEvT1_,comdat
	.protected	_ZN7rocprim17ROCPRIM_400000_NS6detail17trampoline_kernelINS0_14default_configENS1_33run_length_encode_config_selectorIsjNS0_4plusIjEEEEZZNS1_33reduce_by_key_impl_wrapped_configILNS1_25lookback_scan_determinismE0ES3_S7_PKsNS0_17constant_iteratorIjlEEPsPlSF_S6_NS0_8equal_toIsEEEE10hipError_tPvRmT2_T3_mT4_T5_T6_T7_T8_P12ihipStream_tbENKUlT_T0_E_clISt17integral_constantIbLb1EESY_IbLb0EEEEDaSU_SV_EUlSU_E_NS1_11comp_targetILNS1_3genE3ELNS1_11target_archE908ELNS1_3gpuE7ELNS1_3repE0EEENS1_30default_config_static_selectorELNS0_4arch9wavefront6targetE1EEEvT1_ ; -- Begin function _ZN7rocprim17ROCPRIM_400000_NS6detail17trampoline_kernelINS0_14default_configENS1_33run_length_encode_config_selectorIsjNS0_4plusIjEEEEZZNS1_33reduce_by_key_impl_wrapped_configILNS1_25lookback_scan_determinismE0ES3_S7_PKsNS0_17constant_iteratorIjlEEPsPlSF_S6_NS0_8equal_toIsEEEE10hipError_tPvRmT2_T3_mT4_T5_T6_T7_T8_P12ihipStream_tbENKUlT_T0_E_clISt17integral_constantIbLb1EESY_IbLb0EEEEDaSU_SV_EUlSU_E_NS1_11comp_targetILNS1_3genE3ELNS1_11target_archE908ELNS1_3gpuE7ELNS1_3repE0EEENS1_30default_config_static_selectorELNS0_4arch9wavefront6targetE1EEEvT1_
	.globl	_ZN7rocprim17ROCPRIM_400000_NS6detail17trampoline_kernelINS0_14default_configENS1_33run_length_encode_config_selectorIsjNS0_4plusIjEEEEZZNS1_33reduce_by_key_impl_wrapped_configILNS1_25lookback_scan_determinismE0ES3_S7_PKsNS0_17constant_iteratorIjlEEPsPlSF_S6_NS0_8equal_toIsEEEE10hipError_tPvRmT2_T3_mT4_T5_T6_T7_T8_P12ihipStream_tbENKUlT_T0_E_clISt17integral_constantIbLb1EESY_IbLb0EEEEDaSU_SV_EUlSU_E_NS1_11comp_targetILNS1_3genE3ELNS1_11target_archE908ELNS1_3gpuE7ELNS1_3repE0EEENS1_30default_config_static_selectorELNS0_4arch9wavefront6targetE1EEEvT1_
	.p2align	8
	.type	_ZN7rocprim17ROCPRIM_400000_NS6detail17trampoline_kernelINS0_14default_configENS1_33run_length_encode_config_selectorIsjNS0_4plusIjEEEEZZNS1_33reduce_by_key_impl_wrapped_configILNS1_25lookback_scan_determinismE0ES3_S7_PKsNS0_17constant_iteratorIjlEEPsPlSF_S6_NS0_8equal_toIsEEEE10hipError_tPvRmT2_T3_mT4_T5_T6_T7_T8_P12ihipStream_tbENKUlT_T0_E_clISt17integral_constantIbLb1EESY_IbLb0EEEEDaSU_SV_EUlSU_E_NS1_11comp_targetILNS1_3genE3ELNS1_11target_archE908ELNS1_3gpuE7ELNS1_3repE0EEENS1_30default_config_static_selectorELNS0_4arch9wavefront6targetE1EEEvT1_,@function
_ZN7rocprim17ROCPRIM_400000_NS6detail17trampoline_kernelINS0_14default_configENS1_33run_length_encode_config_selectorIsjNS0_4plusIjEEEEZZNS1_33reduce_by_key_impl_wrapped_configILNS1_25lookback_scan_determinismE0ES3_S7_PKsNS0_17constant_iteratorIjlEEPsPlSF_S6_NS0_8equal_toIsEEEE10hipError_tPvRmT2_T3_mT4_T5_T6_T7_T8_P12ihipStream_tbENKUlT_T0_E_clISt17integral_constantIbLb1EESY_IbLb0EEEEDaSU_SV_EUlSU_E_NS1_11comp_targetILNS1_3genE3ELNS1_11target_archE908ELNS1_3gpuE7ELNS1_3repE0EEENS1_30default_config_static_selectorELNS0_4arch9wavefront6targetE1EEEvT1_: ; @_ZN7rocprim17ROCPRIM_400000_NS6detail17trampoline_kernelINS0_14default_configENS1_33run_length_encode_config_selectorIsjNS0_4plusIjEEEEZZNS1_33reduce_by_key_impl_wrapped_configILNS1_25lookback_scan_determinismE0ES3_S7_PKsNS0_17constant_iteratorIjlEEPsPlSF_S6_NS0_8equal_toIsEEEE10hipError_tPvRmT2_T3_mT4_T5_T6_T7_T8_P12ihipStream_tbENKUlT_T0_E_clISt17integral_constantIbLb1EESY_IbLb0EEEEDaSU_SV_EUlSU_E_NS1_11comp_targetILNS1_3genE3ELNS1_11target_archE908ELNS1_3gpuE7ELNS1_3repE0EEENS1_30default_config_static_selectorELNS0_4arch9wavefront6targetE1EEEvT1_
; %bb.0:
	.section	.rodata,"a",@progbits
	.p2align	6, 0x0
	.amdhsa_kernel _ZN7rocprim17ROCPRIM_400000_NS6detail17trampoline_kernelINS0_14default_configENS1_33run_length_encode_config_selectorIsjNS0_4plusIjEEEEZZNS1_33reduce_by_key_impl_wrapped_configILNS1_25lookback_scan_determinismE0ES3_S7_PKsNS0_17constant_iteratorIjlEEPsPlSF_S6_NS0_8equal_toIsEEEE10hipError_tPvRmT2_T3_mT4_T5_T6_T7_T8_P12ihipStream_tbENKUlT_T0_E_clISt17integral_constantIbLb1EESY_IbLb0EEEEDaSU_SV_EUlSU_E_NS1_11comp_targetILNS1_3genE3ELNS1_11target_archE908ELNS1_3gpuE7ELNS1_3repE0EEENS1_30default_config_static_selectorELNS0_4arch9wavefront6targetE1EEEvT1_
		.amdhsa_group_segment_fixed_size 0
		.amdhsa_private_segment_fixed_size 0
		.amdhsa_kernarg_size 128
		.amdhsa_user_sgpr_count 6
		.amdhsa_user_sgpr_private_segment_buffer 1
		.amdhsa_user_sgpr_dispatch_ptr 0
		.amdhsa_user_sgpr_queue_ptr 0
		.amdhsa_user_sgpr_kernarg_segment_ptr 1
		.amdhsa_user_sgpr_dispatch_id 0
		.amdhsa_user_sgpr_flat_scratch_init 0
		.amdhsa_user_sgpr_kernarg_preload_length 0
		.amdhsa_user_sgpr_kernarg_preload_offset 0
		.amdhsa_user_sgpr_private_segment_size 0
		.amdhsa_uses_dynamic_stack 0
		.amdhsa_system_sgpr_private_segment_wavefront_offset 0
		.amdhsa_system_sgpr_workgroup_id_x 1
		.amdhsa_system_sgpr_workgroup_id_y 0
		.amdhsa_system_sgpr_workgroup_id_z 0
		.amdhsa_system_sgpr_workgroup_info 0
		.amdhsa_system_vgpr_workitem_id 0
		.amdhsa_next_free_vgpr 1
		.amdhsa_next_free_sgpr 0
		.amdhsa_accum_offset 4
		.amdhsa_reserve_vcc 0
		.amdhsa_reserve_flat_scratch 0
		.amdhsa_float_round_mode_32 0
		.amdhsa_float_round_mode_16_64 0
		.amdhsa_float_denorm_mode_32 3
		.amdhsa_float_denorm_mode_16_64 3
		.amdhsa_dx10_clamp 1
		.amdhsa_ieee_mode 1
		.amdhsa_fp16_overflow 0
		.amdhsa_tg_split 0
		.amdhsa_exception_fp_ieee_invalid_op 0
		.amdhsa_exception_fp_denorm_src 0
		.amdhsa_exception_fp_ieee_div_zero 0
		.amdhsa_exception_fp_ieee_overflow 0
		.amdhsa_exception_fp_ieee_underflow 0
		.amdhsa_exception_fp_ieee_inexact 0
		.amdhsa_exception_int_div_zero 0
	.end_amdhsa_kernel
	.section	.text._ZN7rocprim17ROCPRIM_400000_NS6detail17trampoline_kernelINS0_14default_configENS1_33run_length_encode_config_selectorIsjNS0_4plusIjEEEEZZNS1_33reduce_by_key_impl_wrapped_configILNS1_25lookback_scan_determinismE0ES3_S7_PKsNS0_17constant_iteratorIjlEEPsPlSF_S6_NS0_8equal_toIsEEEE10hipError_tPvRmT2_T3_mT4_T5_T6_T7_T8_P12ihipStream_tbENKUlT_T0_E_clISt17integral_constantIbLb1EESY_IbLb0EEEEDaSU_SV_EUlSU_E_NS1_11comp_targetILNS1_3genE3ELNS1_11target_archE908ELNS1_3gpuE7ELNS1_3repE0EEENS1_30default_config_static_selectorELNS0_4arch9wavefront6targetE1EEEvT1_,"axG",@progbits,_ZN7rocprim17ROCPRIM_400000_NS6detail17trampoline_kernelINS0_14default_configENS1_33run_length_encode_config_selectorIsjNS0_4plusIjEEEEZZNS1_33reduce_by_key_impl_wrapped_configILNS1_25lookback_scan_determinismE0ES3_S7_PKsNS0_17constant_iteratorIjlEEPsPlSF_S6_NS0_8equal_toIsEEEE10hipError_tPvRmT2_T3_mT4_T5_T6_T7_T8_P12ihipStream_tbENKUlT_T0_E_clISt17integral_constantIbLb1EESY_IbLb0EEEEDaSU_SV_EUlSU_E_NS1_11comp_targetILNS1_3genE3ELNS1_11target_archE908ELNS1_3gpuE7ELNS1_3repE0EEENS1_30default_config_static_selectorELNS0_4arch9wavefront6targetE1EEEvT1_,comdat
.Lfunc_end601:
	.size	_ZN7rocprim17ROCPRIM_400000_NS6detail17trampoline_kernelINS0_14default_configENS1_33run_length_encode_config_selectorIsjNS0_4plusIjEEEEZZNS1_33reduce_by_key_impl_wrapped_configILNS1_25lookback_scan_determinismE0ES3_S7_PKsNS0_17constant_iteratorIjlEEPsPlSF_S6_NS0_8equal_toIsEEEE10hipError_tPvRmT2_T3_mT4_T5_T6_T7_T8_P12ihipStream_tbENKUlT_T0_E_clISt17integral_constantIbLb1EESY_IbLb0EEEEDaSU_SV_EUlSU_E_NS1_11comp_targetILNS1_3genE3ELNS1_11target_archE908ELNS1_3gpuE7ELNS1_3repE0EEENS1_30default_config_static_selectorELNS0_4arch9wavefront6targetE1EEEvT1_, .Lfunc_end601-_ZN7rocprim17ROCPRIM_400000_NS6detail17trampoline_kernelINS0_14default_configENS1_33run_length_encode_config_selectorIsjNS0_4plusIjEEEEZZNS1_33reduce_by_key_impl_wrapped_configILNS1_25lookback_scan_determinismE0ES3_S7_PKsNS0_17constant_iteratorIjlEEPsPlSF_S6_NS0_8equal_toIsEEEE10hipError_tPvRmT2_T3_mT4_T5_T6_T7_T8_P12ihipStream_tbENKUlT_T0_E_clISt17integral_constantIbLb1EESY_IbLb0EEEEDaSU_SV_EUlSU_E_NS1_11comp_targetILNS1_3genE3ELNS1_11target_archE908ELNS1_3gpuE7ELNS1_3repE0EEENS1_30default_config_static_selectorELNS0_4arch9wavefront6targetE1EEEvT1_
                                        ; -- End function
	.section	.AMDGPU.csdata,"",@progbits
; Kernel info:
; codeLenInByte = 0
; NumSgprs: 4
; NumVgprs: 0
; NumAgprs: 0
; TotalNumVgprs: 0
; ScratchSize: 0
; MemoryBound: 0
; FloatMode: 240
; IeeeMode: 1
; LDSByteSize: 0 bytes/workgroup (compile time only)
; SGPRBlocks: 0
; VGPRBlocks: 0
; NumSGPRsForWavesPerEU: 4
; NumVGPRsForWavesPerEU: 1
; AccumOffset: 4
; Occupancy: 8
; WaveLimiterHint : 0
; COMPUTE_PGM_RSRC2:SCRATCH_EN: 0
; COMPUTE_PGM_RSRC2:USER_SGPR: 6
; COMPUTE_PGM_RSRC2:TRAP_HANDLER: 0
; COMPUTE_PGM_RSRC2:TGID_X_EN: 1
; COMPUTE_PGM_RSRC2:TGID_Y_EN: 0
; COMPUTE_PGM_RSRC2:TGID_Z_EN: 0
; COMPUTE_PGM_RSRC2:TIDIG_COMP_CNT: 0
; COMPUTE_PGM_RSRC3_GFX90A:ACCUM_OFFSET: 0
; COMPUTE_PGM_RSRC3_GFX90A:TG_SPLIT: 0
	.section	.text._ZN7rocprim17ROCPRIM_400000_NS6detail17trampoline_kernelINS0_14default_configENS1_33run_length_encode_config_selectorIsjNS0_4plusIjEEEEZZNS1_33reduce_by_key_impl_wrapped_configILNS1_25lookback_scan_determinismE0ES3_S7_PKsNS0_17constant_iteratorIjlEEPsPlSF_S6_NS0_8equal_toIsEEEE10hipError_tPvRmT2_T3_mT4_T5_T6_T7_T8_P12ihipStream_tbENKUlT_T0_E_clISt17integral_constantIbLb1EESY_IbLb0EEEEDaSU_SV_EUlSU_E_NS1_11comp_targetILNS1_3genE2ELNS1_11target_archE906ELNS1_3gpuE6ELNS1_3repE0EEENS1_30default_config_static_selectorELNS0_4arch9wavefront6targetE1EEEvT1_,"axG",@progbits,_ZN7rocprim17ROCPRIM_400000_NS6detail17trampoline_kernelINS0_14default_configENS1_33run_length_encode_config_selectorIsjNS0_4plusIjEEEEZZNS1_33reduce_by_key_impl_wrapped_configILNS1_25lookback_scan_determinismE0ES3_S7_PKsNS0_17constant_iteratorIjlEEPsPlSF_S6_NS0_8equal_toIsEEEE10hipError_tPvRmT2_T3_mT4_T5_T6_T7_T8_P12ihipStream_tbENKUlT_T0_E_clISt17integral_constantIbLb1EESY_IbLb0EEEEDaSU_SV_EUlSU_E_NS1_11comp_targetILNS1_3genE2ELNS1_11target_archE906ELNS1_3gpuE6ELNS1_3repE0EEENS1_30default_config_static_selectorELNS0_4arch9wavefront6targetE1EEEvT1_,comdat
	.protected	_ZN7rocprim17ROCPRIM_400000_NS6detail17trampoline_kernelINS0_14default_configENS1_33run_length_encode_config_selectorIsjNS0_4plusIjEEEEZZNS1_33reduce_by_key_impl_wrapped_configILNS1_25lookback_scan_determinismE0ES3_S7_PKsNS0_17constant_iteratorIjlEEPsPlSF_S6_NS0_8equal_toIsEEEE10hipError_tPvRmT2_T3_mT4_T5_T6_T7_T8_P12ihipStream_tbENKUlT_T0_E_clISt17integral_constantIbLb1EESY_IbLb0EEEEDaSU_SV_EUlSU_E_NS1_11comp_targetILNS1_3genE2ELNS1_11target_archE906ELNS1_3gpuE6ELNS1_3repE0EEENS1_30default_config_static_selectorELNS0_4arch9wavefront6targetE1EEEvT1_ ; -- Begin function _ZN7rocprim17ROCPRIM_400000_NS6detail17trampoline_kernelINS0_14default_configENS1_33run_length_encode_config_selectorIsjNS0_4plusIjEEEEZZNS1_33reduce_by_key_impl_wrapped_configILNS1_25lookback_scan_determinismE0ES3_S7_PKsNS0_17constant_iteratorIjlEEPsPlSF_S6_NS0_8equal_toIsEEEE10hipError_tPvRmT2_T3_mT4_T5_T6_T7_T8_P12ihipStream_tbENKUlT_T0_E_clISt17integral_constantIbLb1EESY_IbLb0EEEEDaSU_SV_EUlSU_E_NS1_11comp_targetILNS1_3genE2ELNS1_11target_archE906ELNS1_3gpuE6ELNS1_3repE0EEENS1_30default_config_static_selectorELNS0_4arch9wavefront6targetE1EEEvT1_
	.globl	_ZN7rocprim17ROCPRIM_400000_NS6detail17trampoline_kernelINS0_14default_configENS1_33run_length_encode_config_selectorIsjNS0_4plusIjEEEEZZNS1_33reduce_by_key_impl_wrapped_configILNS1_25lookback_scan_determinismE0ES3_S7_PKsNS0_17constant_iteratorIjlEEPsPlSF_S6_NS0_8equal_toIsEEEE10hipError_tPvRmT2_T3_mT4_T5_T6_T7_T8_P12ihipStream_tbENKUlT_T0_E_clISt17integral_constantIbLb1EESY_IbLb0EEEEDaSU_SV_EUlSU_E_NS1_11comp_targetILNS1_3genE2ELNS1_11target_archE906ELNS1_3gpuE6ELNS1_3repE0EEENS1_30default_config_static_selectorELNS0_4arch9wavefront6targetE1EEEvT1_
	.p2align	8
	.type	_ZN7rocprim17ROCPRIM_400000_NS6detail17trampoline_kernelINS0_14default_configENS1_33run_length_encode_config_selectorIsjNS0_4plusIjEEEEZZNS1_33reduce_by_key_impl_wrapped_configILNS1_25lookback_scan_determinismE0ES3_S7_PKsNS0_17constant_iteratorIjlEEPsPlSF_S6_NS0_8equal_toIsEEEE10hipError_tPvRmT2_T3_mT4_T5_T6_T7_T8_P12ihipStream_tbENKUlT_T0_E_clISt17integral_constantIbLb1EESY_IbLb0EEEEDaSU_SV_EUlSU_E_NS1_11comp_targetILNS1_3genE2ELNS1_11target_archE906ELNS1_3gpuE6ELNS1_3repE0EEENS1_30default_config_static_selectorELNS0_4arch9wavefront6targetE1EEEvT1_,@function
_ZN7rocprim17ROCPRIM_400000_NS6detail17trampoline_kernelINS0_14default_configENS1_33run_length_encode_config_selectorIsjNS0_4plusIjEEEEZZNS1_33reduce_by_key_impl_wrapped_configILNS1_25lookback_scan_determinismE0ES3_S7_PKsNS0_17constant_iteratorIjlEEPsPlSF_S6_NS0_8equal_toIsEEEE10hipError_tPvRmT2_T3_mT4_T5_T6_T7_T8_P12ihipStream_tbENKUlT_T0_E_clISt17integral_constantIbLb1EESY_IbLb0EEEEDaSU_SV_EUlSU_E_NS1_11comp_targetILNS1_3genE2ELNS1_11target_archE906ELNS1_3gpuE6ELNS1_3repE0EEENS1_30default_config_static_selectorELNS0_4arch9wavefront6targetE1EEEvT1_: ; @_ZN7rocprim17ROCPRIM_400000_NS6detail17trampoline_kernelINS0_14default_configENS1_33run_length_encode_config_selectorIsjNS0_4plusIjEEEEZZNS1_33reduce_by_key_impl_wrapped_configILNS1_25lookback_scan_determinismE0ES3_S7_PKsNS0_17constant_iteratorIjlEEPsPlSF_S6_NS0_8equal_toIsEEEE10hipError_tPvRmT2_T3_mT4_T5_T6_T7_T8_P12ihipStream_tbENKUlT_T0_E_clISt17integral_constantIbLb1EESY_IbLb0EEEEDaSU_SV_EUlSU_E_NS1_11comp_targetILNS1_3genE2ELNS1_11target_archE906ELNS1_3gpuE6ELNS1_3repE0EEENS1_30default_config_static_selectorELNS0_4arch9wavefront6targetE1EEEvT1_
; %bb.0:
	.section	.rodata,"a",@progbits
	.p2align	6, 0x0
	.amdhsa_kernel _ZN7rocprim17ROCPRIM_400000_NS6detail17trampoline_kernelINS0_14default_configENS1_33run_length_encode_config_selectorIsjNS0_4plusIjEEEEZZNS1_33reduce_by_key_impl_wrapped_configILNS1_25lookback_scan_determinismE0ES3_S7_PKsNS0_17constant_iteratorIjlEEPsPlSF_S6_NS0_8equal_toIsEEEE10hipError_tPvRmT2_T3_mT4_T5_T6_T7_T8_P12ihipStream_tbENKUlT_T0_E_clISt17integral_constantIbLb1EESY_IbLb0EEEEDaSU_SV_EUlSU_E_NS1_11comp_targetILNS1_3genE2ELNS1_11target_archE906ELNS1_3gpuE6ELNS1_3repE0EEENS1_30default_config_static_selectorELNS0_4arch9wavefront6targetE1EEEvT1_
		.amdhsa_group_segment_fixed_size 0
		.amdhsa_private_segment_fixed_size 0
		.amdhsa_kernarg_size 128
		.amdhsa_user_sgpr_count 6
		.amdhsa_user_sgpr_private_segment_buffer 1
		.amdhsa_user_sgpr_dispatch_ptr 0
		.amdhsa_user_sgpr_queue_ptr 0
		.amdhsa_user_sgpr_kernarg_segment_ptr 1
		.amdhsa_user_sgpr_dispatch_id 0
		.amdhsa_user_sgpr_flat_scratch_init 0
		.amdhsa_user_sgpr_kernarg_preload_length 0
		.amdhsa_user_sgpr_kernarg_preload_offset 0
		.amdhsa_user_sgpr_private_segment_size 0
		.amdhsa_uses_dynamic_stack 0
		.amdhsa_system_sgpr_private_segment_wavefront_offset 0
		.amdhsa_system_sgpr_workgroup_id_x 1
		.amdhsa_system_sgpr_workgroup_id_y 0
		.amdhsa_system_sgpr_workgroup_id_z 0
		.amdhsa_system_sgpr_workgroup_info 0
		.amdhsa_system_vgpr_workitem_id 0
		.amdhsa_next_free_vgpr 1
		.amdhsa_next_free_sgpr 0
		.amdhsa_accum_offset 4
		.amdhsa_reserve_vcc 0
		.amdhsa_reserve_flat_scratch 0
		.amdhsa_float_round_mode_32 0
		.amdhsa_float_round_mode_16_64 0
		.amdhsa_float_denorm_mode_32 3
		.amdhsa_float_denorm_mode_16_64 3
		.amdhsa_dx10_clamp 1
		.amdhsa_ieee_mode 1
		.amdhsa_fp16_overflow 0
		.amdhsa_tg_split 0
		.amdhsa_exception_fp_ieee_invalid_op 0
		.amdhsa_exception_fp_denorm_src 0
		.amdhsa_exception_fp_ieee_div_zero 0
		.amdhsa_exception_fp_ieee_overflow 0
		.amdhsa_exception_fp_ieee_underflow 0
		.amdhsa_exception_fp_ieee_inexact 0
		.amdhsa_exception_int_div_zero 0
	.end_amdhsa_kernel
	.section	.text._ZN7rocprim17ROCPRIM_400000_NS6detail17trampoline_kernelINS0_14default_configENS1_33run_length_encode_config_selectorIsjNS0_4plusIjEEEEZZNS1_33reduce_by_key_impl_wrapped_configILNS1_25lookback_scan_determinismE0ES3_S7_PKsNS0_17constant_iteratorIjlEEPsPlSF_S6_NS0_8equal_toIsEEEE10hipError_tPvRmT2_T3_mT4_T5_T6_T7_T8_P12ihipStream_tbENKUlT_T0_E_clISt17integral_constantIbLb1EESY_IbLb0EEEEDaSU_SV_EUlSU_E_NS1_11comp_targetILNS1_3genE2ELNS1_11target_archE906ELNS1_3gpuE6ELNS1_3repE0EEENS1_30default_config_static_selectorELNS0_4arch9wavefront6targetE1EEEvT1_,"axG",@progbits,_ZN7rocprim17ROCPRIM_400000_NS6detail17trampoline_kernelINS0_14default_configENS1_33run_length_encode_config_selectorIsjNS0_4plusIjEEEEZZNS1_33reduce_by_key_impl_wrapped_configILNS1_25lookback_scan_determinismE0ES3_S7_PKsNS0_17constant_iteratorIjlEEPsPlSF_S6_NS0_8equal_toIsEEEE10hipError_tPvRmT2_T3_mT4_T5_T6_T7_T8_P12ihipStream_tbENKUlT_T0_E_clISt17integral_constantIbLb1EESY_IbLb0EEEEDaSU_SV_EUlSU_E_NS1_11comp_targetILNS1_3genE2ELNS1_11target_archE906ELNS1_3gpuE6ELNS1_3repE0EEENS1_30default_config_static_selectorELNS0_4arch9wavefront6targetE1EEEvT1_,comdat
.Lfunc_end602:
	.size	_ZN7rocprim17ROCPRIM_400000_NS6detail17trampoline_kernelINS0_14default_configENS1_33run_length_encode_config_selectorIsjNS0_4plusIjEEEEZZNS1_33reduce_by_key_impl_wrapped_configILNS1_25lookback_scan_determinismE0ES3_S7_PKsNS0_17constant_iteratorIjlEEPsPlSF_S6_NS0_8equal_toIsEEEE10hipError_tPvRmT2_T3_mT4_T5_T6_T7_T8_P12ihipStream_tbENKUlT_T0_E_clISt17integral_constantIbLb1EESY_IbLb0EEEEDaSU_SV_EUlSU_E_NS1_11comp_targetILNS1_3genE2ELNS1_11target_archE906ELNS1_3gpuE6ELNS1_3repE0EEENS1_30default_config_static_selectorELNS0_4arch9wavefront6targetE1EEEvT1_, .Lfunc_end602-_ZN7rocprim17ROCPRIM_400000_NS6detail17trampoline_kernelINS0_14default_configENS1_33run_length_encode_config_selectorIsjNS0_4plusIjEEEEZZNS1_33reduce_by_key_impl_wrapped_configILNS1_25lookback_scan_determinismE0ES3_S7_PKsNS0_17constant_iteratorIjlEEPsPlSF_S6_NS0_8equal_toIsEEEE10hipError_tPvRmT2_T3_mT4_T5_T6_T7_T8_P12ihipStream_tbENKUlT_T0_E_clISt17integral_constantIbLb1EESY_IbLb0EEEEDaSU_SV_EUlSU_E_NS1_11comp_targetILNS1_3genE2ELNS1_11target_archE906ELNS1_3gpuE6ELNS1_3repE0EEENS1_30default_config_static_selectorELNS0_4arch9wavefront6targetE1EEEvT1_
                                        ; -- End function
	.section	.AMDGPU.csdata,"",@progbits
; Kernel info:
; codeLenInByte = 0
; NumSgprs: 4
; NumVgprs: 0
; NumAgprs: 0
; TotalNumVgprs: 0
; ScratchSize: 0
; MemoryBound: 0
; FloatMode: 240
; IeeeMode: 1
; LDSByteSize: 0 bytes/workgroup (compile time only)
; SGPRBlocks: 0
; VGPRBlocks: 0
; NumSGPRsForWavesPerEU: 4
; NumVGPRsForWavesPerEU: 1
; AccumOffset: 4
; Occupancy: 8
; WaveLimiterHint : 0
; COMPUTE_PGM_RSRC2:SCRATCH_EN: 0
; COMPUTE_PGM_RSRC2:USER_SGPR: 6
; COMPUTE_PGM_RSRC2:TRAP_HANDLER: 0
; COMPUTE_PGM_RSRC2:TGID_X_EN: 1
; COMPUTE_PGM_RSRC2:TGID_Y_EN: 0
; COMPUTE_PGM_RSRC2:TGID_Z_EN: 0
; COMPUTE_PGM_RSRC2:TIDIG_COMP_CNT: 0
; COMPUTE_PGM_RSRC3_GFX90A:ACCUM_OFFSET: 0
; COMPUTE_PGM_RSRC3_GFX90A:TG_SPLIT: 0
	.section	.text._ZN7rocprim17ROCPRIM_400000_NS6detail17trampoline_kernelINS0_14default_configENS1_33run_length_encode_config_selectorIsjNS0_4plusIjEEEEZZNS1_33reduce_by_key_impl_wrapped_configILNS1_25lookback_scan_determinismE0ES3_S7_PKsNS0_17constant_iteratorIjlEEPsPlSF_S6_NS0_8equal_toIsEEEE10hipError_tPvRmT2_T3_mT4_T5_T6_T7_T8_P12ihipStream_tbENKUlT_T0_E_clISt17integral_constantIbLb1EESY_IbLb0EEEEDaSU_SV_EUlSU_E_NS1_11comp_targetILNS1_3genE10ELNS1_11target_archE1201ELNS1_3gpuE5ELNS1_3repE0EEENS1_30default_config_static_selectorELNS0_4arch9wavefront6targetE1EEEvT1_,"axG",@progbits,_ZN7rocprim17ROCPRIM_400000_NS6detail17trampoline_kernelINS0_14default_configENS1_33run_length_encode_config_selectorIsjNS0_4plusIjEEEEZZNS1_33reduce_by_key_impl_wrapped_configILNS1_25lookback_scan_determinismE0ES3_S7_PKsNS0_17constant_iteratorIjlEEPsPlSF_S6_NS0_8equal_toIsEEEE10hipError_tPvRmT2_T3_mT4_T5_T6_T7_T8_P12ihipStream_tbENKUlT_T0_E_clISt17integral_constantIbLb1EESY_IbLb0EEEEDaSU_SV_EUlSU_E_NS1_11comp_targetILNS1_3genE10ELNS1_11target_archE1201ELNS1_3gpuE5ELNS1_3repE0EEENS1_30default_config_static_selectorELNS0_4arch9wavefront6targetE1EEEvT1_,comdat
	.protected	_ZN7rocprim17ROCPRIM_400000_NS6detail17trampoline_kernelINS0_14default_configENS1_33run_length_encode_config_selectorIsjNS0_4plusIjEEEEZZNS1_33reduce_by_key_impl_wrapped_configILNS1_25lookback_scan_determinismE0ES3_S7_PKsNS0_17constant_iteratorIjlEEPsPlSF_S6_NS0_8equal_toIsEEEE10hipError_tPvRmT2_T3_mT4_T5_T6_T7_T8_P12ihipStream_tbENKUlT_T0_E_clISt17integral_constantIbLb1EESY_IbLb0EEEEDaSU_SV_EUlSU_E_NS1_11comp_targetILNS1_3genE10ELNS1_11target_archE1201ELNS1_3gpuE5ELNS1_3repE0EEENS1_30default_config_static_selectorELNS0_4arch9wavefront6targetE1EEEvT1_ ; -- Begin function _ZN7rocprim17ROCPRIM_400000_NS6detail17trampoline_kernelINS0_14default_configENS1_33run_length_encode_config_selectorIsjNS0_4plusIjEEEEZZNS1_33reduce_by_key_impl_wrapped_configILNS1_25lookback_scan_determinismE0ES3_S7_PKsNS0_17constant_iteratorIjlEEPsPlSF_S6_NS0_8equal_toIsEEEE10hipError_tPvRmT2_T3_mT4_T5_T6_T7_T8_P12ihipStream_tbENKUlT_T0_E_clISt17integral_constantIbLb1EESY_IbLb0EEEEDaSU_SV_EUlSU_E_NS1_11comp_targetILNS1_3genE10ELNS1_11target_archE1201ELNS1_3gpuE5ELNS1_3repE0EEENS1_30default_config_static_selectorELNS0_4arch9wavefront6targetE1EEEvT1_
	.globl	_ZN7rocprim17ROCPRIM_400000_NS6detail17trampoline_kernelINS0_14default_configENS1_33run_length_encode_config_selectorIsjNS0_4plusIjEEEEZZNS1_33reduce_by_key_impl_wrapped_configILNS1_25lookback_scan_determinismE0ES3_S7_PKsNS0_17constant_iteratorIjlEEPsPlSF_S6_NS0_8equal_toIsEEEE10hipError_tPvRmT2_T3_mT4_T5_T6_T7_T8_P12ihipStream_tbENKUlT_T0_E_clISt17integral_constantIbLb1EESY_IbLb0EEEEDaSU_SV_EUlSU_E_NS1_11comp_targetILNS1_3genE10ELNS1_11target_archE1201ELNS1_3gpuE5ELNS1_3repE0EEENS1_30default_config_static_selectorELNS0_4arch9wavefront6targetE1EEEvT1_
	.p2align	8
	.type	_ZN7rocprim17ROCPRIM_400000_NS6detail17trampoline_kernelINS0_14default_configENS1_33run_length_encode_config_selectorIsjNS0_4plusIjEEEEZZNS1_33reduce_by_key_impl_wrapped_configILNS1_25lookback_scan_determinismE0ES3_S7_PKsNS0_17constant_iteratorIjlEEPsPlSF_S6_NS0_8equal_toIsEEEE10hipError_tPvRmT2_T3_mT4_T5_T6_T7_T8_P12ihipStream_tbENKUlT_T0_E_clISt17integral_constantIbLb1EESY_IbLb0EEEEDaSU_SV_EUlSU_E_NS1_11comp_targetILNS1_3genE10ELNS1_11target_archE1201ELNS1_3gpuE5ELNS1_3repE0EEENS1_30default_config_static_selectorELNS0_4arch9wavefront6targetE1EEEvT1_,@function
_ZN7rocprim17ROCPRIM_400000_NS6detail17trampoline_kernelINS0_14default_configENS1_33run_length_encode_config_selectorIsjNS0_4plusIjEEEEZZNS1_33reduce_by_key_impl_wrapped_configILNS1_25lookback_scan_determinismE0ES3_S7_PKsNS0_17constant_iteratorIjlEEPsPlSF_S6_NS0_8equal_toIsEEEE10hipError_tPvRmT2_T3_mT4_T5_T6_T7_T8_P12ihipStream_tbENKUlT_T0_E_clISt17integral_constantIbLb1EESY_IbLb0EEEEDaSU_SV_EUlSU_E_NS1_11comp_targetILNS1_3genE10ELNS1_11target_archE1201ELNS1_3gpuE5ELNS1_3repE0EEENS1_30default_config_static_selectorELNS0_4arch9wavefront6targetE1EEEvT1_: ; @_ZN7rocprim17ROCPRIM_400000_NS6detail17trampoline_kernelINS0_14default_configENS1_33run_length_encode_config_selectorIsjNS0_4plusIjEEEEZZNS1_33reduce_by_key_impl_wrapped_configILNS1_25lookback_scan_determinismE0ES3_S7_PKsNS0_17constant_iteratorIjlEEPsPlSF_S6_NS0_8equal_toIsEEEE10hipError_tPvRmT2_T3_mT4_T5_T6_T7_T8_P12ihipStream_tbENKUlT_T0_E_clISt17integral_constantIbLb1EESY_IbLb0EEEEDaSU_SV_EUlSU_E_NS1_11comp_targetILNS1_3genE10ELNS1_11target_archE1201ELNS1_3gpuE5ELNS1_3repE0EEENS1_30default_config_static_selectorELNS0_4arch9wavefront6targetE1EEEvT1_
; %bb.0:
	.section	.rodata,"a",@progbits
	.p2align	6, 0x0
	.amdhsa_kernel _ZN7rocprim17ROCPRIM_400000_NS6detail17trampoline_kernelINS0_14default_configENS1_33run_length_encode_config_selectorIsjNS0_4plusIjEEEEZZNS1_33reduce_by_key_impl_wrapped_configILNS1_25lookback_scan_determinismE0ES3_S7_PKsNS0_17constant_iteratorIjlEEPsPlSF_S6_NS0_8equal_toIsEEEE10hipError_tPvRmT2_T3_mT4_T5_T6_T7_T8_P12ihipStream_tbENKUlT_T0_E_clISt17integral_constantIbLb1EESY_IbLb0EEEEDaSU_SV_EUlSU_E_NS1_11comp_targetILNS1_3genE10ELNS1_11target_archE1201ELNS1_3gpuE5ELNS1_3repE0EEENS1_30default_config_static_selectorELNS0_4arch9wavefront6targetE1EEEvT1_
		.amdhsa_group_segment_fixed_size 0
		.amdhsa_private_segment_fixed_size 0
		.amdhsa_kernarg_size 128
		.amdhsa_user_sgpr_count 6
		.amdhsa_user_sgpr_private_segment_buffer 1
		.amdhsa_user_sgpr_dispatch_ptr 0
		.amdhsa_user_sgpr_queue_ptr 0
		.amdhsa_user_sgpr_kernarg_segment_ptr 1
		.amdhsa_user_sgpr_dispatch_id 0
		.amdhsa_user_sgpr_flat_scratch_init 0
		.amdhsa_user_sgpr_kernarg_preload_length 0
		.amdhsa_user_sgpr_kernarg_preload_offset 0
		.amdhsa_user_sgpr_private_segment_size 0
		.amdhsa_uses_dynamic_stack 0
		.amdhsa_system_sgpr_private_segment_wavefront_offset 0
		.amdhsa_system_sgpr_workgroup_id_x 1
		.amdhsa_system_sgpr_workgroup_id_y 0
		.amdhsa_system_sgpr_workgroup_id_z 0
		.amdhsa_system_sgpr_workgroup_info 0
		.amdhsa_system_vgpr_workitem_id 0
		.amdhsa_next_free_vgpr 1
		.amdhsa_next_free_sgpr 0
		.amdhsa_accum_offset 4
		.amdhsa_reserve_vcc 0
		.amdhsa_reserve_flat_scratch 0
		.amdhsa_float_round_mode_32 0
		.amdhsa_float_round_mode_16_64 0
		.amdhsa_float_denorm_mode_32 3
		.amdhsa_float_denorm_mode_16_64 3
		.amdhsa_dx10_clamp 1
		.amdhsa_ieee_mode 1
		.amdhsa_fp16_overflow 0
		.amdhsa_tg_split 0
		.amdhsa_exception_fp_ieee_invalid_op 0
		.amdhsa_exception_fp_denorm_src 0
		.amdhsa_exception_fp_ieee_div_zero 0
		.amdhsa_exception_fp_ieee_overflow 0
		.amdhsa_exception_fp_ieee_underflow 0
		.amdhsa_exception_fp_ieee_inexact 0
		.amdhsa_exception_int_div_zero 0
	.end_amdhsa_kernel
	.section	.text._ZN7rocprim17ROCPRIM_400000_NS6detail17trampoline_kernelINS0_14default_configENS1_33run_length_encode_config_selectorIsjNS0_4plusIjEEEEZZNS1_33reduce_by_key_impl_wrapped_configILNS1_25lookback_scan_determinismE0ES3_S7_PKsNS0_17constant_iteratorIjlEEPsPlSF_S6_NS0_8equal_toIsEEEE10hipError_tPvRmT2_T3_mT4_T5_T6_T7_T8_P12ihipStream_tbENKUlT_T0_E_clISt17integral_constantIbLb1EESY_IbLb0EEEEDaSU_SV_EUlSU_E_NS1_11comp_targetILNS1_3genE10ELNS1_11target_archE1201ELNS1_3gpuE5ELNS1_3repE0EEENS1_30default_config_static_selectorELNS0_4arch9wavefront6targetE1EEEvT1_,"axG",@progbits,_ZN7rocprim17ROCPRIM_400000_NS6detail17trampoline_kernelINS0_14default_configENS1_33run_length_encode_config_selectorIsjNS0_4plusIjEEEEZZNS1_33reduce_by_key_impl_wrapped_configILNS1_25lookback_scan_determinismE0ES3_S7_PKsNS0_17constant_iteratorIjlEEPsPlSF_S6_NS0_8equal_toIsEEEE10hipError_tPvRmT2_T3_mT4_T5_T6_T7_T8_P12ihipStream_tbENKUlT_T0_E_clISt17integral_constantIbLb1EESY_IbLb0EEEEDaSU_SV_EUlSU_E_NS1_11comp_targetILNS1_3genE10ELNS1_11target_archE1201ELNS1_3gpuE5ELNS1_3repE0EEENS1_30default_config_static_selectorELNS0_4arch9wavefront6targetE1EEEvT1_,comdat
.Lfunc_end603:
	.size	_ZN7rocprim17ROCPRIM_400000_NS6detail17trampoline_kernelINS0_14default_configENS1_33run_length_encode_config_selectorIsjNS0_4plusIjEEEEZZNS1_33reduce_by_key_impl_wrapped_configILNS1_25lookback_scan_determinismE0ES3_S7_PKsNS0_17constant_iteratorIjlEEPsPlSF_S6_NS0_8equal_toIsEEEE10hipError_tPvRmT2_T3_mT4_T5_T6_T7_T8_P12ihipStream_tbENKUlT_T0_E_clISt17integral_constantIbLb1EESY_IbLb0EEEEDaSU_SV_EUlSU_E_NS1_11comp_targetILNS1_3genE10ELNS1_11target_archE1201ELNS1_3gpuE5ELNS1_3repE0EEENS1_30default_config_static_selectorELNS0_4arch9wavefront6targetE1EEEvT1_, .Lfunc_end603-_ZN7rocprim17ROCPRIM_400000_NS6detail17trampoline_kernelINS0_14default_configENS1_33run_length_encode_config_selectorIsjNS0_4plusIjEEEEZZNS1_33reduce_by_key_impl_wrapped_configILNS1_25lookback_scan_determinismE0ES3_S7_PKsNS0_17constant_iteratorIjlEEPsPlSF_S6_NS0_8equal_toIsEEEE10hipError_tPvRmT2_T3_mT4_T5_T6_T7_T8_P12ihipStream_tbENKUlT_T0_E_clISt17integral_constantIbLb1EESY_IbLb0EEEEDaSU_SV_EUlSU_E_NS1_11comp_targetILNS1_3genE10ELNS1_11target_archE1201ELNS1_3gpuE5ELNS1_3repE0EEENS1_30default_config_static_selectorELNS0_4arch9wavefront6targetE1EEEvT1_
                                        ; -- End function
	.section	.AMDGPU.csdata,"",@progbits
; Kernel info:
; codeLenInByte = 0
; NumSgprs: 4
; NumVgprs: 0
; NumAgprs: 0
; TotalNumVgprs: 0
; ScratchSize: 0
; MemoryBound: 0
; FloatMode: 240
; IeeeMode: 1
; LDSByteSize: 0 bytes/workgroup (compile time only)
; SGPRBlocks: 0
; VGPRBlocks: 0
; NumSGPRsForWavesPerEU: 4
; NumVGPRsForWavesPerEU: 1
; AccumOffset: 4
; Occupancy: 8
; WaveLimiterHint : 0
; COMPUTE_PGM_RSRC2:SCRATCH_EN: 0
; COMPUTE_PGM_RSRC2:USER_SGPR: 6
; COMPUTE_PGM_RSRC2:TRAP_HANDLER: 0
; COMPUTE_PGM_RSRC2:TGID_X_EN: 1
; COMPUTE_PGM_RSRC2:TGID_Y_EN: 0
; COMPUTE_PGM_RSRC2:TGID_Z_EN: 0
; COMPUTE_PGM_RSRC2:TIDIG_COMP_CNT: 0
; COMPUTE_PGM_RSRC3_GFX90A:ACCUM_OFFSET: 0
; COMPUTE_PGM_RSRC3_GFX90A:TG_SPLIT: 0
	.section	.text._ZN7rocprim17ROCPRIM_400000_NS6detail17trampoline_kernelINS0_14default_configENS1_33run_length_encode_config_selectorIsjNS0_4plusIjEEEEZZNS1_33reduce_by_key_impl_wrapped_configILNS1_25lookback_scan_determinismE0ES3_S7_PKsNS0_17constant_iteratorIjlEEPsPlSF_S6_NS0_8equal_toIsEEEE10hipError_tPvRmT2_T3_mT4_T5_T6_T7_T8_P12ihipStream_tbENKUlT_T0_E_clISt17integral_constantIbLb1EESY_IbLb0EEEEDaSU_SV_EUlSU_E_NS1_11comp_targetILNS1_3genE10ELNS1_11target_archE1200ELNS1_3gpuE4ELNS1_3repE0EEENS1_30default_config_static_selectorELNS0_4arch9wavefront6targetE1EEEvT1_,"axG",@progbits,_ZN7rocprim17ROCPRIM_400000_NS6detail17trampoline_kernelINS0_14default_configENS1_33run_length_encode_config_selectorIsjNS0_4plusIjEEEEZZNS1_33reduce_by_key_impl_wrapped_configILNS1_25lookback_scan_determinismE0ES3_S7_PKsNS0_17constant_iteratorIjlEEPsPlSF_S6_NS0_8equal_toIsEEEE10hipError_tPvRmT2_T3_mT4_T5_T6_T7_T8_P12ihipStream_tbENKUlT_T0_E_clISt17integral_constantIbLb1EESY_IbLb0EEEEDaSU_SV_EUlSU_E_NS1_11comp_targetILNS1_3genE10ELNS1_11target_archE1200ELNS1_3gpuE4ELNS1_3repE0EEENS1_30default_config_static_selectorELNS0_4arch9wavefront6targetE1EEEvT1_,comdat
	.protected	_ZN7rocprim17ROCPRIM_400000_NS6detail17trampoline_kernelINS0_14default_configENS1_33run_length_encode_config_selectorIsjNS0_4plusIjEEEEZZNS1_33reduce_by_key_impl_wrapped_configILNS1_25lookback_scan_determinismE0ES3_S7_PKsNS0_17constant_iteratorIjlEEPsPlSF_S6_NS0_8equal_toIsEEEE10hipError_tPvRmT2_T3_mT4_T5_T6_T7_T8_P12ihipStream_tbENKUlT_T0_E_clISt17integral_constantIbLb1EESY_IbLb0EEEEDaSU_SV_EUlSU_E_NS1_11comp_targetILNS1_3genE10ELNS1_11target_archE1200ELNS1_3gpuE4ELNS1_3repE0EEENS1_30default_config_static_selectorELNS0_4arch9wavefront6targetE1EEEvT1_ ; -- Begin function _ZN7rocprim17ROCPRIM_400000_NS6detail17trampoline_kernelINS0_14default_configENS1_33run_length_encode_config_selectorIsjNS0_4plusIjEEEEZZNS1_33reduce_by_key_impl_wrapped_configILNS1_25lookback_scan_determinismE0ES3_S7_PKsNS0_17constant_iteratorIjlEEPsPlSF_S6_NS0_8equal_toIsEEEE10hipError_tPvRmT2_T3_mT4_T5_T6_T7_T8_P12ihipStream_tbENKUlT_T0_E_clISt17integral_constantIbLb1EESY_IbLb0EEEEDaSU_SV_EUlSU_E_NS1_11comp_targetILNS1_3genE10ELNS1_11target_archE1200ELNS1_3gpuE4ELNS1_3repE0EEENS1_30default_config_static_selectorELNS0_4arch9wavefront6targetE1EEEvT1_
	.globl	_ZN7rocprim17ROCPRIM_400000_NS6detail17trampoline_kernelINS0_14default_configENS1_33run_length_encode_config_selectorIsjNS0_4plusIjEEEEZZNS1_33reduce_by_key_impl_wrapped_configILNS1_25lookback_scan_determinismE0ES3_S7_PKsNS0_17constant_iteratorIjlEEPsPlSF_S6_NS0_8equal_toIsEEEE10hipError_tPvRmT2_T3_mT4_T5_T6_T7_T8_P12ihipStream_tbENKUlT_T0_E_clISt17integral_constantIbLb1EESY_IbLb0EEEEDaSU_SV_EUlSU_E_NS1_11comp_targetILNS1_3genE10ELNS1_11target_archE1200ELNS1_3gpuE4ELNS1_3repE0EEENS1_30default_config_static_selectorELNS0_4arch9wavefront6targetE1EEEvT1_
	.p2align	8
	.type	_ZN7rocprim17ROCPRIM_400000_NS6detail17trampoline_kernelINS0_14default_configENS1_33run_length_encode_config_selectorIsjNS0_4plusIjEEEEZZNS1_33reduce_by_key_impl_wrapped_configILNS1_25lookback_scan_determinismE0ES3_S7_PKsNS0_17constant_iteratorIjlEEPsPlSF_S6_NS0_8equal_toIsEEEE10hipError_tPvRmT2_T3_mT4_T5_T6_T7_T8_P12ihipStream_tbENKUlT_T0_E_clISt17integral_constantIbLb1EESY_IbLb0EEEEDaSU_SV_EUlSU_E_NS1_11comp_targetILNS1_3genE10ELNS1_11target_archE1200ELNS1_3gpuE4ELNS1_3repE0EEENS1_30default_config_static_selectorELNS0_4arch9wavefront6targetE1EEEvT1_,@function
_ZN7rocprim17ROCPRIM_400000_NS6detail17trampoline_kernelINS0_14default_configENS1_33run_length_encode_config_selectorIsjNS0_4plusIjEEEEZZNS1_33reduce_by_key_impl_wrapped_configILNS1_25lookback_scan_determinismE0ES3_S7_PKsNS0_17constant_iteratorIjlEEPsPlSF_S6_NS0_8equal_toIsEEEE10hipError_tPvRmT2_T3_mT4_T5_T6_T7_T8_P12ihipStream_tbENKUlT_T0_E_clISt17integral_constantIbLb1EESY_IbLb0EEEEDaSU_SV_EUlSU_E_NS1_11comp_targetILNS1_3genE10ELNS1_11target_archE1200ELNS1_3gpuE4ELNS1_3repE0EEENS1_30default_config_static_selectorELNS0_4arch9wavefront6targetE1EEEvT1_: ; @_ZN7rocprim17ROCPRIM_400000_NS6detail17trampoline_kernelINS0_14default_configENS1_33run_length_encode_config_selectorIsjNS0_4plusIjEEEEZZNS1_33reduce_by_key_impl_wrapped_configILNS1_25lookback_scan_determinismE0ES3_S7_PKsNS0_17constant_iteratorIjlEEPsPlSF_S6_NS0_8equal_toIsEEEE10hipError_tPvRmT2_T3_mT4_T5_T6_T7_T8_P12ihipStream_tbENKUlT_T0_E_clISt17integral_constantIbLb1EESY_IbLb0EEEEDaSU_SV_EUlSU_E_NS1_11comp_targetILNS1_3genE10ELNS1_11target_archE1200ELNS1_3gpuE4ELNS1_3repE0EEENS1_30default_config_static_selectorELNS0_4arch9wavefront6targetE1EEEvT1_
; %bb.0:
	.section	.rodata,"a",@progbits
	.p2align	6, 0x0
	.amdhsa_kernel _ZN7rocprim17ROCPRIM_400000_NS6detail17trampoline_kernelINS0_14default_configENS1_33run_length_encode_config_selectorIsjNS0_4plusIjEEEEZZNS1_33reduce_by_key_impl_wrapped_configILNS1_25lookback_scan_determinismE0ES3_S7_PKsNS0_17constant_iteratorIjlEEPsPlSF_S6_NS0_8equal_toIsEEEE10hipError_tPvRmT2_T3_mT4_T5_T6_T7_T8_P12ihipStream_tbENKUlT_T0_E_clISt17integral_constantIbLb1EESY_IbLb0EEEEDaSU_SV_EUlSU_E_NS1_11comp_targetILNS1_3genE10ELNS1_11target_archE1200ELNS1_3gpuE4ELNS1_3repE0EEENS1_30default_config_static_selectorELNS0_4arch9wavefront6targetE1EEEvT1_
		.amdhsa_group_segment_fixed_size 0
		.amdhsa_private_segment_fixed_size 0
		.amdhsa_kernarg_size 128
		.amdhsa_user_sgpr_count 6
		.amdhsa_user_sgpr_private_segment_buffer 1
		.amdhsa_user_sgpr_dispatch_ptr 0
		.amdhsa_user_sgpr_queue_ptr 0
		.amdhsa_user_sgpr_kernarg_segment_ptr 1
		.amdhsa_user_sgpr_dispatch_id 0
		.amdhsa_user_sgpr_flat_scratch_init 0
		.amdhsa_user_sgpr_kernarg_preload_length 0
		.amdhsa_user_sgpr_kernarg_preload_offset 0
		.amdhsa_user_sgpr_private_segment_size 0
		.amdhsa_uses_dynamic_stack 0
		.amdhsa_system_sgpr_private_segment_wavefront_offset 0
		.amdhsa_system_sgpr_workgroup_id_x 1
		.amdhsa_system_sgpr_workgroup_id_y 0
		.amdhsa_system_sgpr_workgroup_id_z 0
		.amdhsa_system_sgpr_workgroup_info 0
		.amdhsa_system_vgpr_workitem_id 0
		.amdhsa_next_free_vgpr 1
		.amdhsa_next_free_sgpr 0
		.amdhsa_accum_offset 4
		.amdhsa_reserve_vcc 0
		.amdhsa_reserve_flat_scratch 0
		.amdhsa_float_round_mode_32 0
		.amdhsa_float_round_mode_16_64 0
		.amdhsa_float_denorm_mode_32 3
		.amdhsa_float_denorm_mode_16_64 3
		.amdhsa_dx10_clamp 1
		.amdhsa_ieee_mode 1
		.amdhsa_fp16_overflow 0
		.amdhsa_tg_split 0
		.amdhsa_exception_fp_ieee_invalid_op 0
		.amdhsa_exception_fp_denorm_src 0
		.amdhsa_exception_fp_ieee_div_zero 0
		.amdhsa_exception_fp_ieee_overflow 0
		.amdhsa_exception_fp_ieee_underflow 0
		.amdhsa_exception_fp_ieee_inexact 0
		.amdhsa_exception_int_div_zero 0
	.end_amdhsa_kernel
	.section	.text._ZN7rocprim17ROCPRIM_400000_NS6detail17trampoline_kernelINS0_14default_configENS1_33run_length_encode_config_selectorIsjNS0_4plusIjEEEEZZNS1_33reduce_by_key_impl_wrapped_configILNS1_25lookback_scan_determinismE0ES3_S7_PKsNS0_17constant_iteratorIjlEEPsPlSF_S6_NS0_8equal_toIsEEEE10hipError_tPvRmT2_T3_mT4_T5_T6_T7_T8_P12ihipStream_tbENKUlT_T0_E_clISt17integral_constantIbLb1EESY_IbLb0EEEEDaSU_SV_EUlSU_E_NS1_11comp_targetILNS1_3genE10ELNS1_11target_archE1200ELNS1_3gpuE4ELNS1_3repE0EEENS1_30default_config_static_selectorELNS0_4arch9wavefront6targetE1EEEvT1_,"axG",@progbits,_ZN7rocprim17ROCPRIM_400000_NS6detail17trampoline_kernelINS0_14default_configENS1_33run_length_encode_config_selectorIsjNS0_4plusIjEEEEZZNS1_33reduce_by_key_impl_wrapped_configILNS1_25lookback_scan_determinismE0ES3_S7_PKsNS0_17constant_iteratorIjlEEPsPlSF_S6_NS0_8equal_toIsEEEE10hipError_tPvRmT2_T3_mT4_T5_T6_T7_T8_P12ihipStream_tbENKUlT_T0_E_clISt17integral_constantIbLb1EESY_IbLb0EEEEDaSU_SV_EUlSU_E_NS1_11comp_targetILNS1_3genE10ELNS1_11target_archE1200ELNS1_3gpuE4ELNS1_3repE0EEENS1_30default_config_static_selectorELNS0_4arch9wavefront6targetE1EEEvT1_,comdat
.Lfunc_end604:
	.size	_ZN7rocprim17ROCPRIM_400000_NS6detail17trampoline_kernelINS0_14default_configENS1_33run_length_encode_config_selectorIsjNS0_4plusIjEEEEZZNS1_33reduce_by_key_impl_wrapped_configILNS1_25lookback_scan_determinismE0ES3_S7_PKsNS0_17constant_iteratorIjlEEPsPlSF_S6_NS0_8equal_toIsEEEE10hipError_tPvRmT2_T3_mT4_T5_T6_T7_T8_P12ihipStream_tbENKUlT_T0_E_clISt17integral_constantIbLb1EESY_IbLb0EEEEDaSU_SV_EUlSU_E_NS1_11comp_targetILNS1_3genE10ELNS1_11target_archE1200ELNS1_3gpuE4ELNS1_3repE0EEENS1_30default_config_static_selectorELNS0_4arch9wavefront6targetE1EEEvT1_, .Lfunc_end604-_ZN7rocprim17ROCPRIM_400000_NS6detail17trampoline_kernelINS0_14default_configENS1_33run_length_encode_config_selectorIsjNS0_4plusIjEEEEZZNS1_33reduce_by_key_impl_wrapped_configILNS1_25lookback_scan_determinismE0ES3_S7_PKsNS0_17constant_iteratorIjlEEPsPlSF_S6_NS0_8equal_toIsEEEE10hipError_tPvRmT2_T3_mT4_T5_T6_T7_T8_P12ihipStream_tbENKUlT_T0_E_clISt17integral_constantIbLb1EESY_IbLb0EEEEDaSU_SV_EUlSU_E_NS1_11comp_targetILNS1_3genE10ELNS1_11target_archE1200ELNS1_3gpuE4ELNS1_3repE0EEENS1_30default_config_static_selectorELNS0_4arch9wavefront6targetE1EEEvT1_
                                        ; -- End function
	.section	.AMDGPU.csdata,"",@progbits
; Kernel info:
; codeLenInByte = 0
; NumSgprs: 4
; NumVgprs: 0
; NumAgprs: 0
; TotalNumVgprs: 0
; ScratchSize: 0
; MemoryBound: 0
; FloatMode: 240
; IeeeMode: 1
; LDSByteSize: 0 bytes/workgroup (compile time only)
; SGPRBlocks: 0
; VGPRBlocks: 0
; NumSGPRsForWavesPerEU: 4
; NumVGPRsForWavesPerEU: 1
; AccumOffset: 4
; Occupancy: 8
; WaveLimiterHint : 0
; COMPUTE_PGM_RSRC2:SCRATCH_EN: 0
; COMPUTE_PGM_RSRC2:USER_SGPR: 6
; COMPUTE_PGM_RSRC2:TRAP_HANDLER: 0
; COMPUTE_PGM_RSRC2:TGID_X_EN: 1
; COMPUTE_PGM_RSRC2:TGID_Y_EN: 0
; COMPUTE_PGM_RSRC2:TGID_Z_EN: 0
; COMPUTE_PGM_RSRC2:TIDIG_COMP_CNT: 0
; COMPUTE_PGM_RSRC3_GFX90A:ACCUM_OFFSET: 0
; COMPUTE_PGM_RSRC3_GFX90A:TG_SPLIT: 0
	.section	.text._ZN7rocprim17ROCPRIM_400000_NS6detail17trampoline_kernelINS0_14default_configENS1_33run_length_encode_config_selectorIsjNS0_4plusIjEEEEZZNS1_33reduce_by_key_impl_wrapped_configILNS1_25lookback_scan_determinismE0ES3_S7_PKsNS0_17constant_iteratorIjlEEPsPlSF_S6_NS0_8equal_toIsEEEE10hipError_tPvRmT2_T3_mT4_T5_T6_T7_T8_P12ihipStream_tbENKUlT_T0_E_clISt17integral_constantIbLb1EESY_IbLb0EEEEDaSU_SV_EUlSU_E_NS1_11comp_targetILNS1_3genE9ELNS1_11target_archE1100ELNS1_3gpuE3ELNS1_3repE0EEENS1_30default_config_static_selectorELNS0_4arch9wavefront6targetE1EEEvT1_,"axG",@progbits,_ZN7rocprim17ROCPRIM_400000_NS6detail17trampoline_kernelINS0_14default_configENS1_33run_length_encode_config_selectorIsjNS0_4plusIjEEEEZZNS1_33reduce_by_key_impl_wrapped_configILNS1_25lookback_scan_determinismE0ES3_S7_PKsNS0_17constant_iteratorIjlEEPsPlSF_S6_NS0_8equal_toIsEEEE10hipError_tPvRmT2_T3_mT4_T5_T6_T7_T8_P12ihipStream_tbENKUlT_T0_E_clISt17integral_constantIbLb1EESY_IbLb0EEEEDaSU_SV_EUlSU_E_NS1_11comp_targetILNS1_3genE9ELNS1_11target_archE1100ELNS1_3gpuE3ELNS1_3repE0EEENS1_30default_config_static_selectorELNS0_4arch9wavefront6targetE1EEEvT1_,comdat
	.protected	_ZN7rocprim17ROCPRIM_400000_NS6detail17trampoline_kernelINS0_14default_configENS1_33run_length_encode_config_selectorIsjNS0_4plusIjEEEEZZNS1_33reduce_by_key_impl_wrapped_configILNS1_25lookback_scan_determinismE0ES3_S7_PKsNS0_17constant_iteratorIjlEEPsPlSF_S6_NS0_8equal_toIsEEEE10hipError_tPvRmT2_T3_mT4_T5_T6_T7_T8_P12ihipStream_tbENKUlT_T0_E_clISt17integral_constantIbLb1EESY_IbLb0EEEEDaSU_SV_EUlSU_E_NS1_11comp_targetILNS1_3genE9ELNS1_11target_archE1100ELNS1_3gpuE3ELNS1_3repE0EEENS1_30default_config_static_selectorELNS0_4arch9wavefront6targetE1EEEvT1_ ; -- Begin function _ZN7rocprim17ROCPRIM_400000_NS6detail17trampoline_kernelINS0_14default_configENS1_33run_length_encode_config_selectorIsjNS0_4plusIjEEEEZZNS1_33reduce_by_key_impl_wrapped_configILNS1_25lookback_scan_determinismE0ES3_S7_PKsNS0_17constant_iteratorIjlEEPsPlSF_S6_NS0_8equal_toIsEEEE10hipError_tPvRmT2_T3_mT4_T5_T6_T7_T8_P12ihipStream_tbENKUlT_T0_E_clISt17integral_constantIbLb1EESY_IbLb0EEEEDaSU_SV_EUlSU_E_NS1_11comp_targetILNS1_3genE9ELNS1_11target_archE1100ELNS1_3gpuE3ELNS1_3repE0EEENS1_30default_config_static_selectorELNS0_4arch9wavefront6targetE1EEEvT1_
	.globl	_ZN7rocprim17ROCPRIM_400000_NS6detail17trampoline_kernelINS0_14default_configENS1_33run_length_encode_config_selectorIsjNS0_4plusIjEEEEZZNS1_33reduce_by_key_impl_wrapped_configILNS1_25lookback_scan_determinismE0ES3_S7_PKsNS0_17constant_iteratorIjlEEPsPlSF_S6_NS0_8equal_toIsEEEE10hipError_tPvRmT2_T3_mT4_T5_T6_T7_T8_P12ihipStream_tbENKUlT_T0_E_clISt17integral_constantIbLb1EESY_IbLb0EEEEDaSU_SV_EUlSU_E_NS1_11comp_targetILNS1_3genE9ELNS1_11target_archE1100ELNS1_3gpuE3ELNS1_3repE0EEENS1_30default_config_static_selectorELNS0_4arch9wavefront6targetE1EEEvT1_
	.p2align	8
	.type	_ZN7rocprim17ROCPRIM_400000_NS6detail17trampoline_kernelINS0_14default_configENS1_33run_length_encode_config_selectorIsjNS0_4plusIjEEEEZZNS1_33reduce_by_key_impl_wrapped_configILNS1_25lookback_scan_determinismE0ES3_S7_PKsNS0_17constant_iteratorIjlEEPsPlSF_S6_NS0_8equal_toIsEEEE10hipError_tPvRmT2_T3_mT4_T5_T6_T7_T8_P12ihipStream_tbENKUlT_T0_E_clISt17integral_constantIbLb1EESY_IbLb0EEEEDaSU_SV_EUlSU_E_NS1_11comp_targetILNS1_3genE9ELNS1_11target_archE1100ELNS1_3gpuE3ELNS1_3repE0EEENS1_30default_config_static_selectorELNS0_4arch9wavefront6targetE1EEEvT1_,@function
_ZN7rocprim17ROCPRIM_400000_NS6detail17trampoline_kernelINS0_14default_configENS1_33run_length_encode_config_selectorIsjNS0_4plusIjEEEEZZNS1_33reduce_by_key_impl_wrapped_configILNS1_25lookback_scan_determinismE0ES3_S7_PKsNS0_17constant_iteratorIjlEEPsPlSF_S6_NS0_8equal_toIsEEEE10hipError_tPvRmT2_T3_mT4_T5_T6_T7_T8_P12ihipStream_tbENKUlT_T0_E_clISt17integral_constantIbLb1EESY_IbLb0EEEEDaSU_SV_EUlSU_E_NS1_11comp_targetILNS1_3genE9ELNS1_11target_archE1100ELNS1_3gpuE3ELNS1_3repE0EEENS1_30default_config_static_selectorELNS0_4arch9wavefront6targetE1EEEvT1_: ; @_ZN7rocprim17ROCPRIM_400000_NS6detail17trampoline_kernelINS0_14default_configENS1_33run_length_encode_config_selectorIsjNS0_4plusIjEEEEZZNS1_33reduce_by_key_impl_wrapped_configILNS1_25lookback_scan_determinismE0ES3_S7_PKsNS0_17constant_iteratorIjlEEPsPlSF_S6_NS0_8equal_toIsEEEE10hipError_tPvRmT2_T3_mT4_T5_T6_T7_T8_P12ihipStream_tbENKUlT_T0_E_clISt17integral_constantIbLb1EESY_IbLb0EEEEDaSU_SV_EUlSU_E_NS1_11comp_targetILNS1_3genE9ELNS1_11target_archE1100ELNS1_3gpuE3ELNS1_3repE0EEENS1_30default_config_static_selectorELNS0_4arch9wavefront6targetE1EEEvT1_
; %bb.0:
	.section	.rodata,"a",@progbits
	.p2align	6, 0x0
	.amdhsa_kernel _ZN7rocprim17ROCPRIM_400000_NS6detail17trampoline_kernelINS0_14default_configENS1_33run_length_encode_config_selectorIsjNS0_4plusIjEEEEZZNS1_33reduce_by_key_impl_wrapped_configILNS1_25lookback_scan_determinismE0ES3_S7_PKsNS0_17constant_iteratorIjlEEPsPlSF_S6_NS0_8equal_toIsEEEE10hipError_tPvRmT2_T3_mT4_T5_T6_T7_T8_P12ihipStream_tbENKUlT_T0_E_clISt17integral_constantIbLb1EESY_IbLb0EEEEDaSU_SV_EUlSU_E_NS1_11comp_targetILNS1_3genE9ELNS1_11target_archE1100ELNS1_3gpuE3ELNS1_3repE0EEENS1_30default_config_static_selectorELNS0_4arch9wavefront6targetE1EEEvT1_
		.amdhsa_group_segment_fixed_size 0
		.amdhsa_private_segment_fixed_size 0
		.amdhsa_kernarg_size 128
		.amdhsa_user_sgpr_count 6
		.amdhsa_user_sgpr_private_segment_buffer 1
		.amdhsa_user_sgpr_dispatch_ptr 0
		.amdhsa_user_sgpr_queue_ptr 0
		.amdhsa_user_sgpr_kernarg_segment_ptr 1
		.amdhsa_user_sgpr_dispatch_id 0
		.amdhsa_user_sgpr_flat_scratch_init 0
		.amdhsa_user_sgpr_kernarg_preload_length 0
		.amdhsa_user_sgpr_kernarg_preload_offset 0
		.amdhsa_user_sgpr_private_segment_size 0
		.amdhsa_uses_dynamic_stack 0
		.amdhsa_system_sgpr_private_segment_wavefront_offset 0
		.amdhsa_system_sgpr_workgroup_id_x 1
		.amdhsa_system_sgpr_workgroup_id_y 0
		.amdhsa_system_sgpr_workgroup_id_z 0
		.amdhsa_system_sgpr_workgroup_info 0
		.amdhsa_system_vgpr_workitem_id 0
		.amdhsa_next_free_vgpr 1
		.amdhsa_next_free_sgpr 0
		.amdhsa_accum_offset 4
		.amdhsa_reserve_vcc 0
		.amdhsa_reserve_flat_scratch 0
		.amdhsa_float_round_mode_32 0
		.amdhsa_float_round_mode_16_64 0
		.amdhsa_float_denorm_mode_32 3
		.amdhsa_float_denorm_mode_16_64 3
		.amdhsa_dx10_clamp 1
		.amdhsa_ieee_mode 1
		.amdhsa_fp16_overflow 0
		.amdhsa_tg_split 0
		.amdhsa_exception_fp_ieee_invalid_op 0
		.amdhsa_exception_fp_denorm_src 0
		.amdhsa_exception_fp_ieee_div_zero 0
		.amdhsa_exception_fp_ieee_overflow 0
		.amdhsa_exception_fp_ieee_underflow 0
		.amdhsa_exception_fp_ieee_inexact 0
		.amdhsa_exception_int_div_zero 0
	.end_amdhsa_kernel
	.section	.text._ZN7rocprim17ROCPRIM_400000_NS6detail17trampoline_kernelINS0_14default_configENS1_33run_length_encode_config_selectorIsjNS0_4plusIjEEEEZZNS1_33reduce_by_key_impl_wrapped_configILNS1_25lookback_scan_determinismE0ES3_S7_PKsNS0_17constant_iteratorIjlEEPsPlSF_S6_NS0_8equal_toIsEEEE10hipError_tPvRmT2_T3_mT4_T5_T6_T7_T8_P12ihipStream_tbENKUlT_T0_E_clISt17integral_constantIbLb1EESY_IbLb0EEEEDaSU_SV_EUlSU_E_NS1_11comp_targetILNS1_3genE9ELNS1_11target_archE1100ELNS1_3gpuE3ELNS1_3repE0EEENS1_30default_config_static_selectorELNS0_4arch9wavefront6targetE1EEEvT1_,"axG",@progbits,_ZN7rocprim17ROCPRIM_400000_NS6detail17trampoline_kernelINS0_14default_configENS1_33run_length_encode_config_selectorIsjNS0_4plusIjEEEEZZNS1_33reduce_by_key_impl_wrapped_configILNS1_25lookback_scan_determinismE0ES3_S7_PKsNS0_17constant_iteratorIjlEEPsPlSF_S6_NS0_8equal_toIsEEEE10hipError_tPvRmT2_T3_mT4_T5_T6_T7_T8_P12ihipStream_tbENKUlT_T0_E_clISt17integral_constantIbLb1EESY_IbLb0EEEEDaSU_SV_EUlSU_E_NS1_11comp_targetILNS1_3genE9ELNS1_11target_archE1100ELNS1_3gpuE3ELNS1_3repE0EEENS1_30default_config_static_selectorELNS0_4arch9wavefront6targetE1EEEvT1_,comdat
.Lfunc_end605:
	.size	_ZN7rocprim17ROCPRIM_400000_NS6detail17trampoline_kernelINS0_14default_configENS1_33run_length_encode_config_selectorIsjNS0_4plusIjEEEEZZNS1_33reduce_by_key_impl_wrapped_configILNS1_25lookback_scan_determinismE0ES3_S7_PKsNS0_17constant_iteratorIjlEEPsPlSF_S6_NS0_8equal_toIsEEEE10hipError_tPvRmT2_T3_mT4_T5_T6_T7_T8_P12ihipStream_tbENKUlT_T0_E_clISt17integral_constantIbLb1EESY_IbLb0EEEEDaSU_SV_EUlSU_E_NS1_11comp_targetILNS1_3genE9ELNS1_11target_archE1100ELNS1_3gpuE3ELNS1_3repE0EEENS1_30default_config_static_selectorELNS0_4arch9wavefront6targetE1EEEvT1_, .Lfunc_end605-_ZN7rocprim17ROCPRIM_400000_NS6detail17trampoline_kernelINS0_14default_configENS1_33run_length_encode_config_selectorIsjNS0_4plusIjEEEEZZNS1_33reduce_by_key_impl_wrapped_configILNS1_25lookback_scan_determinismE0ES3_S7_PKsNS0_17constant_iteratorIjlEEPsPlSF_S6_NS0_8equal_toIsEEEE10hipError_tPvRmT2_T3_mT4_T5_T6_T7_T8_P12ihipStream_tbENKUlT_T0_E_clISt17integral_constantIbLb1EESY_IbLb0EEEEDaSU_SV_EUlSU_E_NS1_11comp_targetILNS1_3genE9ELNS1_11target_archE1100ELNS1_3gpuE3ELNS1_3repE0EEENS1_30default_config_static_selectorELNS0_4arch9wavefront6targetE1EEEvT1_
                                        ; -- End function
	.section	.AMDGPU.csdata,"",@progbits
; Kernel info:
; codeLenInByte = 0
; NumSgprs: 4
; NumVgprs: 0
; NumAgprs: 0
; TotalNumVgprs: 0
; ScratchSize: 0
; MemoryBound: 0
; FloatMode: 240
; IeeeMode: 1
; LDSByteSize: 0 bytes/workgroup (compile time only)
; SGPRBlocks: 0
; VGPRBlocks: 0
; NumSGPRsForWavesPerEU: 4
; NumVGPRsForWavesPerEU: 1
; AccumOffset: 4
; Occupancy: 8
; WaveLimiterHint : 0
; COMPUTE_PGM_RSRC2:SCRATCH_EN: 0
; COMPUTE_PGM_RSRC2:USER_SGPR: 6
; COMPUTE_PGM_RSRC2:TRAP_HANDLER: 0
; COMPUTE_PGM_RSRC2:TGID_X_EN: 1
; COMPUTE_PGM_RSRC2:TGID_Y_EN: 0
; COMPUTE_PGM_RSRC2:TGID_Z_EN: 0
; COMPUTE_PGM_RSRC2:TIDIG_COMP_CNT: 0
; COMPUTE_PGM_RSRC3_GFX90A:ACCUM_OFFSET: 0
; COMPUTE_PGM_RSRC3_GFX90A:TG_SPLIT: 0
	.section	.text._ZN7rocprim17ROCPRIM_400000_NS6detail17trampoline_kernelINS0_14default_configENS1_33run_length_encode_config_selectorIsjNS0_4plusIjEEEEZZNS1_33reduce_by_key_impl_wrapped_configILNS1_25lookback_scan_determinismE0ES3_S7_PKsNS0_17constant_iteratorIjlEEPsPlSF_S6_NS0_8equal_toIsEEEE10hipError_tPvRmT2_T3_mT4_T5_T6_T7_T8_P12ihipStream_tbENKUlT_T0_E_clISt17integral_constantIbLb1EESY_IbLb0EEEEDaSU_SV_EUlSU_E_NS1_11comp_targetILNS1_3genE8ELNS1_11target_archE1030ELNS1_3gpuE2ELNS1_3repE0EEENS1_30default_config_static_selectorELNS0_4arch9wavefront6targetE1EEEvT1_,"axG",@progbits,_ZN7rocprim17ROCPRIM_400000_NS6detail17trampoline_kernelINS0_14default_configENS1_33run_length_encode_config_selectorIsjNS0_4plusIjEEEEZZNS1_33reduce_by_key_impl_wrapped_configILNS1_25lookback_scan_determinismE0ES3_S7_PKsNS0_17constant_iteratorIjlEEPsPlSF_S6_NS0_8equal_toIsEEEE10hipError_tPvRmT2_T3_mT4_T5_T6_T7_T8_P12ihipStream_tbENKUlT_T0_E_clISt17integral_constantIbLb1EESY_IbLb0EEEEDaSU_SV_EUlSU_E_NS1_11comp_targetILNS1_3genE8ELNS1_11target_archE1030ELNS1_3gpuE2ELNS1_3repE0EEENS1_30default_config_static_selectorELNS0_4arch9wavefront6targetE1EEEvT1_,comdat
	.protected	_ZN7rocprim17ROCPRIM_400000_NS6detail17trampoline_kernelINS0_14default_configENS1_33run_length_encode_config_selectorIsjNS0_4plusIjEEEEZZNS1_33reduce_by_key_impl_wrapped_configILNS1_25lookback_scan_determinismE0ES3_S7_PKsNS0_17constant_iteratorIjlEEPsPlSF_S6_NS0_8equal_toIsEEEE10hipError_tPvRmT2_T3_mT4_T5_T6_T7_T8_P12ihipStream_tbENKUlT_T0_E_clISt17integral_constantIbLb1EESY_IbLb0EEEEDaSU_SV_EUlSU_E_NS1_11comp_targetILNS1_3genE8ELNS1_11target_archE1030ELNS1_3gpuE2ELNS1_3repE0EEENS1_30default_config_static_selectorELNS0_4arch9wavefront6targetE1EEEvT1_ ; -- Begin function _ZN7rocprim17ROCPRIM_400000_NS6detail17trampoline_kernelINS0_14default_configENS1_33run_length_encode_config_selectorIsjNS0_4plusIjEEEEZZNS1_33reduce_by_key_impl_wrapped_configILNS1_25lookback_scan_determinismE0ES3_S7_PKsNS0_17constant_iteratorIjlEEPsPlSF_S6_NS0_8equal_toIsEEEE10hipError_tPvRmT2_T3_mT4_T5_T6_T7_T8_P12ihipStream_tbENKUlT_T0_E_clISt17integral_constantIbLb1EESY_IbLb0EEEEDaSU_SV_EUlSU_E_NS1_11comp_targetILNS1_3genE8ELNS1_11target_archE1030ELNS1_3gpuE2ELNS1_3repE0EEENS1_30default_config_static_selectorELNS0_4arch9wavefront6targetE1EEEvT1_
	.globl	_ZN7rocprim17ROCPRIM_400000_NS6detail17trampoline_kernelINS0_14default_configENS1_33run_length_encode_config_selectorIsjNS0_4plusIjEEEEZZNS1_33reduce_by_key_impl_wrapped_configILNS1_25lookback_scan_determinismE0ES3_S7_PKsNS0_17constant_iteratorIjlEEPsPlSF_S6_NS0_8equal_toIsEEEE10hipError_tPvRmT2_T3_mT4_T5_T6_T7_T8_P12ihipStream_tbENKUlT_T0_E_clISt17integral_constantIbLb1EESY_IbLb0EEEEDaSU_SV_EUlSU_E_NS1_11comp_targetILNS1_3genE8ELNS1_11target_archE1030ELNS1_3gpuE2ELNS1_3repE0EEENS1_30default_config_static_selectorELNS0_4arch9wavefront6targetE1EEEvT1_
	.p2align	8
	.type	_ZN7rocprim17ROCPRIM_400000_NS6detail17trampoline_kernelINS0_14default_configENS1_33run_length_encode_config_selectorIsjNS0_4plusIjEEEEZZNS1_33reduce_by_key_impl_wrapped_configILNS1_25lookback_scan_determinismE0ES3_S7_PKsNS0_17constant_iteratorIjlEEPsPlSF_S6_NS0_8equal_toIsEEEE10hipError_tPvRmT2_T3_mT4_T5_T6_T7_T8_P12ihipStream_tbENKUlT_T0_E_clISt17integral_constantIbLb1EESY_IbLb0EEEEDaSU_SV_EUlSU_E_NS1_11comp_targetILNS1_3genE8ELNS1_11target_archE1030ELNS1_3gpuE2ELNS1_3repE0EEENS1_30default_config_static_selectorELNS0_4arch9wavefront6targetE1EEEvT1_,@function
_ZN7rocprim17ROCPRIM_400000_NS6detail17trampoline_kernelINS0_14default_configENS1_33run_length_encode_config_selectorIsjNS0_4plusIjEEEEZZNS1_33reduce_by_key_impl_wrapped_configILNS1_25lookback_scan_determinismE0ES3_S7_PKsNS0_17constant_iteratorIjlEEPsPlSF_S6_NS0_8equal_toIsEEEE10hipError_tPvRmT2_T3_mT4_T5_T6_T7_T8_P12ihipStream_tbENKUlT_T0_E_clISt17integral_constantIbLb1EESY_IbLb0EEEEDaSU_SV_EUlSU_E_NS1_11comp_targetILNS1_3genE8ELNS1_11target_archE1030ELNS1_3gpuE2ELNS1_3repE0EEENS1_30default_config_static_selectorELNS0_4arch9wavefront6targetE1EEEvT1_: ; @_ZN7rocprim17ROCPRIM_400000_NS6detail17trampoline_kernelINS0_14default_configENS1_33run_length_encode_config_selectorIsjNS0_4plusIjEEEEZZNS1_33reduce_by_key_impl_wrapped_configILNS1_25lookback_scan_determinismE0ES3_S7_PKsNS0_17constant_iteratorIjlEEPsPlSF_S6_NS0_8equal_toIsEEEE10hipError_tPvRmT2_T3_mT4_T5_T6_T7_T8_P12ihipStream_tbENKUlT_T0_E_clISt17integral_constantIbLb1EESY_IbLb0EEEEDaSU_SV_EUlSU_E_NS1_11comp_targetILNS1_3genE8ELNS1_11target_archE1030ELNS1_3gpuE2ELNS1_3repE0EEENS1_30default_config_static_selectorELNS0_4arch9wavefront6targetE1EEEvT1_
; %bb.0:
	.section	.rodata,"a",@progbits
	.p2align	6, 0x0
	.amdhsa_kernel _ZN7rocprim17ROCPRIM_400000_NS6detail17trampoline_kernelINS0_14default_configENS1_33run_length_encode_config_selectorIsjNS0_4plusIjEEEEZZNS1_33reduce_by_key_impl_wrapped_configILNS1_25lookback_scan_determinismE0ES3_S7_PKsNS0_17constant_iteratorIjlEEPsPlSF_S6_NS0_8equal_toIsEEEE10hipError_tPvRmT2_T3_mT4_T5_T6_T7_T8_P12ihipStream_tbENKUlT_T0_E_clISt17integral_constantIbLb1EESY_IbLb0EEEEDaSU_SV_EUlSU_E_NS1_11comp_targetILNS1_3genE8ELNS1_11target_archE1030ELNS1_3gpuE2ELNS1_3repE0EEENS1_30default_config_static_selectorELNS0_4arch9wavefront6targetE1EEEvT1_
		.amdhsa_group_segment_fixed_size 0
		.amdhsa_private_segment_fixed_size 0
		.amdhsa_kernarg_size 128
		.amdhsa_user_sgpr_count 6
		.amdhsa_user_sgpr_private_segment_buffer 1
		.amdhsa_user_sgpr_dispatch_ptr 0
		.amdhsa_user_sgpr_queue_ptr 0
		.amdhsa_user_sgpr_kernarg_segment_ptr 1
		.amdhsa_user_sgpr_dispatch_id 0
		.amdhsa_user_sgpr_flat_scratch_init 0
		.amdhsa_user_sgpr_kernarg_preload_length 0
		.amdhsa_user_sgpr_kernarg_preload_offset 0
		.amdhsa_user_sgpr_private_segment_size 0
		.amdhsa_uses_dynamic_stack 0
		.amdhsa_system_sgpr_private_segment_wavefront_offset 0
		.amdhsa_system_sgpr_workgroup_id_x 1
		.amdhsa_system_sgpr_workgroup_id_y 0
		.amdhsa_system_sgpr_workgroup_id_z 0
		.amdhsa_system_sgpr_workgroup_info 0
		.amdhsa_system_vgpr_workitem_id 0
		.amdhsa_next_free_vgpr 1
		.amdhsa_next_free_sgpr 0
		.amdhsa_accum_offset 4
		.amdhsa_reserve_vcc 0
		.amdhsa_reserve_flat_scratch 0
		.amdhsa_float_round_mode_32 0
		.amdhsa_float_round_mode_16_64 0
		.amdhsa_float_denorm_mode_32 3
		.amdhsa_float_denorm_mode_16_64 3
		.amdhsa_dx10_clamp 1
		.amdhsa_ieee_mode 1
		.amdhsa_fp16_overflow 0
		.amdhsa_tg_split 0
		.amdhsa_exception_fp_ieee_invalid_op 0
		.amdhsa_exception_fp_denorm_src 0
		.amdhsa_exception_fp_ieee_div_zero 0
		.amdhsa_exception_fp_ieee_overflow 0
		.amdhsa_exception_fp_ieee_underflow 0
		.amdhsa_exception_fp_ieee_inexact 0
		.amdhsa_exception_int_div_zero 0
	.end_amdhsa_kernel
	.section	.text._ZN7rocprim17ROCPRIM_400000_NS6detail17trampoline_kernelINS0_14default_configENS1_33run_length_encode_config_selectorIsjNS0_4plusIjEEEEZZNS1_33reduce_by_key_impl_wrapped_configILNS1_25lookback_scan_determinismE0ES3_S7_PKsNS0_17constant_iteratorIjlEEPsPlSF_S6_NS0_8equal_toIsEEEE10hipError_tPvRmT2_T3_mT4_T5_T6_T7_T8_P12ihipStream_tbENKUlT_T0_E_clISt17integral_constantIbLb1EESY_IbLb0EEEEDaSU_SV_EUlSU_E_NS1_11comp_targetILNS1_3genE8ELNS1_11target_archE1030ELNS1_3gpuE2ELNS1_3repE0EEENS1_30default_config_static_selectorELNS0_4arch9wavefront6targetE1EEEvT1_,"axG",@progbits,_ZN7rocprim17ROCPRIM_400000_NS6detail17trampoline_kernelINS0_14default_configENS1_33run_length_encode_config_selectorIsjNS0_4plusIjEEEEZZNS1_33reduce_by_key_impl_wrapped_configILNS1_25lookback_scan_determinismE0ES3_S7_PKsNS0_17constant_iteratorIjlEEPsPlSF_S6_NS0_8equal_toIsEEEE10hipError_tPvRmT2_T3_mT4_T5_T6_T7_T8_P12ihipStream_tbENKUlT_T0_E_clISt17integral_constantIbLb1EESY_IbLb0EEEEDaSU_SV_EUlSU_E_NS1_11comp_targetILNS1_3genE8ELNS1_11target_archE1030ELNS1_3gpuE2ELNS1_3repE0EEENS1_30default_config_static_selectorELNS0_4arch9wavefront6targetE1EEEvT1_,comdat
.Lfunc_end606:
	.size	_ZN7rocprim17ROCPRIM_400000_NS6detail17trampoline_kernelINS0_14default_configENS1_33run_length_encode_config_selectorIsjNS0_4plusIjEEEEZZNS1_33reduce_by_key_impl_wrapped_configILNS1_25lookback_scan_determinismE0ES3_S7_PKsNS0_17constant_iteratorIjlEEPsPlSF_S6_NS0_8equal_toIsEEEE10hipError_tPvRmT2_T3_mT4_T5_T6_T7_T8_P12ihipStream_tbENKUlT_T0_E_clISt17integral_constantIbLb1EESY_IbLb0EEEEDaSU_SV_EUlSU_E_NS1_11comp_targetILNS1_3genE8ELNS1_11target_archE1030ELNS1_3gpuE2ELNS1_3repE0EEENS1_30default_config_static_selectorELNS0_4arch9wavefront6targetE1EEEvT1_, .Lfunc_end606-_ZN7rocprim17ROCPRIM_400000_NS6detail17trampoline_kernelINS0_14default_configENS1_33run_length_encode_config_selectorIsjNS0_4plusIjEEEEZZNS1_33reduce_by_key_impl_wrapped_configILNS1_25lookback_scan_determinismE0ES3_S7_PKsNS0_17constant_iteratorIjlEEPsPlSF_S6_NS0_8equal_toIsEEEE10hipError_tPvRmT2_T3_mT4_T5_T6_T7_T8_P12ihipStream_tbENKUlT_T0_E_clISt17integral_constantIbLb1EESY_IbLb0EEEEDaSU_SV_EUlSU_E_NS1_11comp_targetILNS1_3genE8ELNS1_11target_archE1030ELNS1_3gpuE2ELNS1_3repE0EEENS1_30default_config_static_selectorELNS0_4arch9wavefront6targetE1EEEvT1_
                                        ; -- End function
	.section	.AMDGPU.csdata,"",@progbits
; Kernel info:
; codeLenInByte = 0
; NumSgprs: 4
; NumVgprs: 0
; NumAgprs: 0
; TotalNumVgprs: 0
; ScratchSize: 0
; MemoryBound: 0
; FloatMode: 240
; IeeeMode: 1
; LDSByteSize: 0 bytes/workgroup (compile time only)
; SGPRBlocks: 0
; VGPRBlocks: 0
; NumSGPRsForWavesPerEU: 4
; NumVGPRsForWavesPerEU: 1
; AccumOffset: 4
; Occupancy: 8
; WaveLimiterHint : 0
; COMPUTE_PGM_RSRC2:SCRATCH_EN: 0
; COMPUTE_PGM_RSRC2:USER_SGPR: 6
; COMPUTE_PGM_RSRC2:TRAP_HANDLER: 0
; COMPUTE_PGM_RSRC2:TGID_X_EN: 1
; COMPUTE_PGM_RSRC2:TGID_Y_EN: 0
; COMPUTE_PGM_RSRC2:TGID_Z_EN: 0
; COMPUTE_PGM_RSRC2:TIDIG_COMP_CNT: 0
; COMPUTE_PGM_RSRC3_GFX90A:ACCUM_OFFSET: 0
; COMPUTE_PGM_RSRC3_GFX90A:TG_SPLIT: 0
	.section	.text._ZN7rocprim17ROCPRIM_400000_NS6detail17trampoline_kernelINS0_14default_configENS1_33run_length_encode_config_selectorIsjNS0_4plusIjEEEEZZNS1_33reduce_by_key_impl_wrapped_configILNS1_25lookback_scan_determinismE0ES3_S7_PKsNS0_17constant_iteratorIjlEEPsPlSF_S6_NS0_8equal_toIsEEEE10hipError_tPvRmT2_T3_mT4_T5_T6_T7_T8_P12ihipStream_tbENKUlT_T0_E_clISt17integral_constantIbLb0EESY_IbLb1EEEEDaSU_SV_EUlSU_E_NS1_11comp_targetILNS1_3genE0ELNS1_11target_archE4294967295ELNS1_3gpuE0ELNS1_3repE0EEENS1_30default_config_static_selectorELNS0_4arch9wavefront6targetE1EEEvT1_,"axG",@progbits,_ZN7rocprim17ROCPRIM_400000_NS6detail17trampoline_kernelINS0_14default_configENS1_33run_length_encode_config_selectorIsjNS0_4plusIjEEEEZZNS1_33reduce_by_key_impl_wrapped_configILNS1_25lookback_scan_determinismE0ES3_S7_PKsNS0_17constant_iteratorIjlEEPsPlSF_S6_NS0_8equal_toIsEEEE10hipError_tPvRmT2_T3_mT4_T5_T6_T7_T8_P12ihipStream_tbENKUlT_T0_E_clISt17integral_constantIbLb0EESY_IbLb1EEEEDaSU_SV_EUlSU_E_NS1_11comp_targetILNS1_3genE0ELNS1_11target_archE4294967295ELNS1_3gpuE0ELNS1_3repE0EEENS1_30default_config_static_selectorELNS0_4arch9wavefront6targetE1EEEvT1_,comdat
	.protected	_ZN7rocprim17ROCPRIM_400000_NS6detail17trampoline_kernelINS0_14default_configENS1_33run_length_encode_config_selectorIsjNS0_4plusIjEEEEZZNS1_33reduce_by_key_impl_wrapped_configILNS1_25lookback_scan_determinismE0ES3_S7_PKsNS0_17constant_iteratorIjlEEPsPlSF_S6_NS0_8equal_toIsEEEE10hipError_tPvRmT2_T3_mT4_T5_T6_T7_T8_P12ihipStream_tbENKUlT_T0_E_clISt17integral_constantIbLb0EESY_IbLb1EEEEDaSU_SV_EUlSU_E_NS1_11comp_targetILNS1_3genE0ELNS1_11target_archE4294967295ELNS1_3gpuE0ELNS1_3repE0EEENS1_30default_config_static_selectorELNS0_4arch9wavefront6targetE1EEEvT1_ ; -- Begin function _ZN7rocprim17ROCPRIM_400000_NS6detail17trampoline_kernelINS0_14default_configENS1_33run_length_encode_config_selectorIsjNS0_4plusIjEEEEZZNS1_33reduce_by_key_impl_wrapped_configILNS1_25lookback_scan_determinismE0ES3_S7_PKsNS0_17constant_iteratorIjlEEPsPlSF_S6_NS0_8equal_toIsEEEE10hipError_tPvRmT2_T3_mT4_T5_T6_T7_T8_P12ihipStream_tbENKUlT_T0_E_clISt17integral_constantIbLb0EESY_IbLb1EEEEDaSU_SV_EUlSU_E_NS1_11comp_targetILNS1_3genE0ELNS1_11target_archE4294967295ELNS1_3gpuE0ELNS1_3repE0EEENS1_30default_config_static_selectorELNS0_4arch9wavefront6targetE1EEEvT1_
	.globl	_ZN7rocprim17ROCPRIM_400000_NS6detail17trampoline_kernelINS0_14default_configENS1_33run_length_encode_config_selectorIsjNS0_4plusIjEEEEZZNS1_33reduce_by_key_impl_wrapped_configILNS1_25lookback_scan_determinismE0ES3_S7_PKsNS0_17constant_iteratorIjlEEPsPlSF_S6_NS0_8equal_toIsEEEE10hipError_tPvRmT2_T3_mT4_T5_T6_T7_T8_P12ihipStream_tbENKUlT_T0_E_clISt17integral_constantIbLb0EESY_IbLb1EEEEDaSU_SV_EUlSU_E_NS1_11comp_targetILNS1_3genE0ELNS1_11target_archE4294967295ELNS1_3gpuE0ELNS1_3repE0EEENS1_30default_config_static_selectorELNS0_4arch9wavefront6targetE1EEEvT1_
	.p2align	8
	.type	_ZN7rocprim17ROCPRIM_400000_NS6detail17trampoline_kernelINS0_14default_configENS1_33run_length_encode_config_selectorIsjNS0_4plusIjEEEEZZNS1_33reduce_by_key_impl_wrapped_configILNS1_25lookback_scan_determinismE0ES3_S7_PKsNS0_17constant_iteratorIjlEEPsPlSF_S6_NS0_8equal_toIsEEEE10hipError_tPvRmT2_T3_mT4_T5_T6_T7_T8_P12ihipStream_tbENKUlT_T0_E_clISt17integral_constantIbLb0EESY_IbLb1EEEEDaSU_SV_EUlSU_E_NS1_11comp_targetILNS1_3genE0ELNS1_11target_archE4294967295ELNS1_3gpuE0ELNS1_3repE0EEENS1_30default_config_static_selectorELNS0_4arch9wavefront6targetE1EEEvT1_,@function
_ZN7rocprim17ROCPRIM_400000_NS6detail17trampoline_kernelINS0_14default_configENS1_33run_length_encode_config_selectorIsjNS0_4plusIjEEEEZZNS1_33reduce_by_key_impl_wrapped_configILNS1_25lookback_scan_determinismE0ES3_S7_PKsNS0_17constant_iteratorIjlEEPsPlSF_S6_NS0_8equal_toIsEEEE10hipError_tPvRmT2_T3_mT4_T5_T6_T7_T8_P12ihipStream_tbENKUlT_T0_E_clISt17integral_constantIbLb0EESY_IbLb1EEEEDaSU_SV_EUlSU_E_NS1_11comp_targetILNS1_3genE0ELNS1_11target_archE4294967295ELNS1_3gpuE0ELNS1_3repE0EEENS1_30default_config_static_selectorELNS0_4arch9wavefront6targetE1EEEvT1_: ; @_ZN7rocprim17ROCPRIM_400000_NS6detail17trampoline_kernelINS0_14default_configENS1_33run_length_encode_config_selectorIsjNS0_4plusIjEEEEZZNS1_33reduce_by_key_impl_wrapped_configILNS1_25lookback_scan_determinismE0ES3_S7_PKsNS0_17constant_iteratorIjlEEPsPlSF_S6_NS0_8equal_toIsEEEE10hipError_tPvRmT2_T3_mT4_T5_T6_T7_T8_P12ihipStream_tbENKUlT_T0_E_clISt17integral_constantIbLb0EESY_IbLb1EEEEDaSU_SV_EUlSU_E_NS1_11comp_targetILNS1_3genE0ELNS1_11target_archE4294967295ELNS1_3gpuE0ELNS1_3repE0EEENS1_30default_config_static_selectorELNS0_4arch9wavefront6targetE1EEEvT1_
; %bb.0:
	.section	.rodata,"a",@progbits
	.p2align	6, 0x0
	.amdhsa_kernel _ZN7rocprim17ROCPRIM_400000_NS6detail17trampoline_kernelINS0_14default_configENS1_33run_length_encode_config_selectorIsjNS0_4plusIjEEEEZZNS1_33reduce_by_key_impl_wrapped_configILNS1_25lookback_scan_determinismE0ES3_S7_PKsNS0_17constant_iteratorIjlEEPsPlSF_S6_NS0_8equal_toIsEEEE10hipError_tPvRmT2_T3_mT4_T5_T6_T7_T8_P12ihipStream_tbENKUlT_T0_E_clISt17integral_constantIbLb0EESY_IbLb1EEEEDaSU_SV_EUlSU_E_NS1_11comp_targetILNS1_3genE0ELNS1_11target_archE4294967295ELNS1_3gpuE0ELNS1_3repE0EEENS1_30default_config_static_selectorELNS0_4arch9wavefront6targetE1EEEvT1_
		.amdhsa_group_segment_fixed_size 0
		.amdhsa_private_segment_fixed_size 0
		.amdhsa_kernarg_size 128
		.amdhsa_user_sgpr_count 6
		.amdhsa_user_sgpr_private_segment_buffer 1
		.amdhsa_user_sgpr_dispatch_ptr 0
		.amdhsa_user_sgpr_queue_ptr 0
		.amdhsa_user_sgpr_kernarg_segment_ptr 1
		.amdhsa_user_sgpr_dispatch_id 0
		.amdhsa_user_sgpr_flat_scratch_init 0
		.amdhsa_user_sgpr_kernarg_preload_length 0
		.amdhsa_user_sgpr_kernarg_preload_offset 0
		.amdhsa_user_sgpr_private_segment_size 0
		.amdhsa_uses_dynamic_stack 0
		.amdhsa_system_sgpr_private_segment_wavefront_offset 0
		.amdhsa_system_sgpr_workgroup_id_x 1
		.amdhsa_system_sgpr_workgroup_id_y 0
		.amdhsa_system_sgpr_workgroup_id_z 0
		.amdhsa_system_sgpr_workgroup_info 0
		.amdhsa_system_vgpr_workitem_id 0
		.amdhsa_next_free_vgpr 1
		.amdhsa_next_free_sgpr 0
		.amdhsa_accum_offset 4
		.amdhsa_reserve_vcc 0
		.amdhsa_reserve_flat_scratch 0
		.amdhsa_float_round_mode_32 0
		.amdhsa_float_round_mode_16_64 0
		.amdhsa_float_denorm_mode_32 3
		.amdhsa_float_denorm_mode_16_64 3
		.amdhsa_dx10_clamp 1
		.amdhsa_ieee_mode 1
		.amdhsa_fp16_overflow 0
		.amdhsa_tg_split 0
		.amdhsa_exception_fp_ieee_invalid_op 0
		.amdhsa_exception_fp_denorm_src 0
		.amdhsa_exception_fp_ieee_div_zero 0
		.amdhsa_exception_fp_ieee_overflow 0
		.amdhsa_exception_fp_ieee_underflow 0
		.amdhsa_exception_fp_ieee_inexact 0
		.amdhsa_exception_int_div_zero 0
	.end_amdhsa_kernel
	.section	.text._ZN7rocprim17ROCPRIM_400000_NS6detail17trampoline_kernelINS0_14default_configENS1_33run_length_encode_config_selectorIsjNS0_4plusIjEEEEZZNS1_33reduce_by_key_impl_wrapped_configILNS1_25lookback_scan_determinismE0ES3_S7_PKsNS0_17constant_iteratorIjlEEPsPlSF_S6_NS0_8equal_toIsEEEE10hipError_tPvRmT2_T3_mT4_T5_T6_T7_T8_P12ihipStream_tbENKUlT_T0_E_clISt17integral_constantIbLb0EESY_IbLb1EEEEDaSU_SV_EUlSU_E_NS1_11comp_targetILNS1_3genE0ELNS1_11target_archE4294967295ELNS1_3gpuE0ELNS1_3repE0EEENS1_30default_config_static_selectorELNS0_4arch9wavefront6targetE1EEEvT1_,"axG",@progbits,_ZN7rocprim17ROCPRIM_400000_NS6detail17trampoline_kernelINS0_14default_configENS1_33run_length_encode_config_selectorIsjNS0_4plusIjEEEEZZNS1_33reduce_by_key_impl_wrapped_configILNS1_25lookback_scan_determinismE0ES3_S7_PKsNS0_17constant_iteratorIjlEEPsPlSF_S6_NS0_8equal_toIsEEEE10hipError_tPvRmT2_T3_mT4_T5_T6_T7_T8_P12ihipStream_tbENKUlT_T0_E_clISt17integral_constantIbLb0EESY_IbLb1EEEEDaSU_SV_EUlSU_E_NS1_11comp_targetILNS1_3genE0ELNS1_11target_archE4294967295ELNS1_3gpuE0ELNS1_3repE0EEENS1_30default_config_static_selectorELNS0_4arch9wavefront6targetE1EEEvT1_,comdat
.Lfunc_end607:
	.size	_ZN7rocprim17ROCPRIM_400000_NS6detail17trampoline_kernelINS0_14default_configENS1_33run_length_encode_config_selectorIsjNS0_4plusIjEEEEZZNS1_33reduce_by_key_impl_wrapped_configILNS1_25lookback_scan_determinismE0ES3_S7_PKsNS0_17constant_iteratorIjlEEPsPlSF_S6_NS0_8equal_toIsEEEE10hipError_tPvRmT2_T3_mT4_T5_T6_T7_T8_P12ihipStream_tbENKUlT_T0_E_clISt17integral_constantIbLb0EESY_IbLb1EEEEDaSU_SV_EUlSU_E_NS1_11comp_targetILNS1_3genE0ELNS1_11target_archE4294967295ELNS1_3gpuE0ELNS1_3repE0EEENS1_30default_config_static_selectorELNS0_4arch9wavefront6targetE1EEEvT1_, .Lfunc_end607-_ZN7rocprim17ROCPRIM_400000_NS6detail17trampoline_kernelINS0_14default_configENS1_33run_length_encode_config_selectorIsjNS0_4plusIjEEEEZZNS1_33reduce_by_key_impl_wrapped_configILNS1_25lookback_scan_determinismE0ES3_S7_PKsNS0_17constant_iteratorIjlEEPsPlSF_S6_NS0_8equal_toIsEEEE10hipError_tPvRmT2_T3_mT4_T5_T6_T7_T8_P12ihipStream_tbENKUlT_T0_E_clISt17integral_constantIbLb0EESY_IbLb1EEEEDaSU_SV_EUlSU_E_NS1_11comp_targetILNS1_3genE0ELNS1_11target_archE4294967295ELNS1_3gpuE0ELNS1_3repE0EEENS1_30default_config_static_selectorELNS0_4arch9wavefront6targetE1EEEvT1_
                                        ; -- End function
	.section	.AMDGPU.csdata,"",@progbits
; Kernel info:
; codeLenInByte = 0
; NumSgprs: 4
; NumVgprs: 0
; NumAgprs: 0
; TotalNumVgprs: 0
; ScratchSize: 0
; MemoryBound: 0
; FloatMode: 240
; IeeeMode: 1
; LDSByteSize: 0 bytes/workgroup (compile time only)
; SGPRBlocks: 0
; VGPRBlocks: 0
; NumSGPRsForWavesPerEU: 4
; NumVGPRsForWavesPerEU: 1
; AccumOffset: 4
; Occupancy: 8
; WaveLimiterHint : 0
; COMPUTE_PGM_RSRC2:SCRATCH_EN: 0
; COMPUTE_PGM_RSRC2:USER_SGPR: 6
; COMPUTE_PGM_RSRC2:TRAP_HANDLER: 0
; COMPUTE_PGM_RSRC2:TGID_X_EN: 1
; COMPUTE_PGM_RSRC2:TGID_Y_EN: 0
; COMPUTE_PGM_RSRC2:TGID_Z_EN: 0
; COMPUTE_PGM_RSRC2:TIDIG_COMP_CNT: 0
; COMPUTE_PGM_RSRC3_GFX90A:ACCUM_OFFSET: 0
; COMPUTE_PGM_RSRC3_GFX90A:TG_SPLIT: 0
	.section	.text._ZN7rocprim17ROCPRIM_400000_NS6detail17trampoline_kernelINS0_14default_configENS1_33run_length_encode_config_selectorIsjNS0_4plusIjEEEEZZNS1_33reduce_by_key_impl_wrapped_configILNS1_25lookback_scan_determinismE0ES3_S7_PKsNS0_17constant_iteratorIjlEEPsPlSF_S6_NS0_8equal_toIsEEEE10hipError_tPvRmT2_T3_mT4_T5_T6_T7_T8_P12ihipStream_tbENKUlT_T0_E_clISt17integral_constantIbLb0EESY_IbLb1EEEEDaSU_SV_EUlSU_E_NS1_11comp_targetILNS1_3genE5ELNS1_11target_archE942ELNS1_3gpuE9ELNS1_3repE0EEENS1_30default_config_static_selectorELNS0_4arch9wavefront6targetE1EEEvT1_,"axG",@progbits,_ZN7rocprim17ROCPRIM_400000_NS6detail17trampoline_kernelINS0_14default_configENS1_33run_length_encode_config_selectorIsjNS0_4plusIjEEEEZZNS1_33reduce_by_key_impl_wrapped_configILNS1_25lookback_scan_determinismE0ES3_S7_PKsNS0_17constant_iteratorIjlEEPsPlSF_S6_NS0_8equal_toIsEEEE10hipError_tPvRmT2_T3_mT4_T5_T6_T7_T8_P12ihipStream_tbENKUlT_T0_E_clISt17integral_constantIbLb0EESY_IbLb1EEEEDaSU_SV_EUlSU_E_NS1_11comp_targetILNS1_3genE5ELNS1_11target_archE942ELNS1_3gpuE9ELNS1_3repE0EEENS1_30default_config_static_selectorELNS0_4arch9wavefront6targetE1EEEvT1_,comdat
	.protected	_ZN7rocprim17ROCPRIM_400000_NS6detail17trampoline_kernelINS0_14default_configENS1_33run_length_encode_config_selectorIsjNS0_4plusIjEEEEZZNS1_33reduce_by_key_impl_wrapped_configILNS1_25lookback_scan_determinismE0ES3_S7_PKsNS0_17constant_iteratorIjlEEPsPlSF_S6_NS0_8equal_toIsEEEE10hipError_tPvRmT2_T3_mT4_T5_T6_T7_T8_P12ihipStream_tbENKUlT_T0_E_clISt17integral_constantIbLb0EESY_IbLb1EEEEDaSU_SV_EUlSU_E_NS1_11comp_targetILNS1_3genE5ELNS1_11target_archE942ELNS1_3gpuE9ELNS1_3repE0EEENS1_30default_config_static_selectorELNS0_4arch9wavefront6targetE1EEEvT1_ ; -- Begin function _ZN7rocprim17ROCPRIM_400000_NS6detail17trampoline_kernelINS0_14default_configENS1_33run_length_encode_config_selectorIsjNS0_4plusIjEEEEZZNS1_33reduce_by_key_impl_wrapped_configILNS1_25lookback_scan_determinismE0ES3_S7_PKsNS0_17constant_iteratorIjlEEPsPlSF_S6_NS0_8equal_toIsEEEE10hipError_tPvRmT2_T3_mT4_T5_T6_T7_T8_P12ihipStream_tbENKUlT_T0_E_clISt17integral_constantIbLb0EESY_IbLb1EEEEDaSU_SV_EUlSU_E_NS1_11comp_targetILNS1_3genE5ELNS1_11target_archE942ELNS1_3gpuE9ELNS1_3repE0EEENS1_30default_config_static_selectorELNS0_4arch9wavefront6targetE1EEEvT1_
	.globl	_ZN7rocprim17ROCPRIM_400000_NS6detail17trampoline_kernelINS0_14default_configENS1_33run_length_encode_config_selectorIsjNS0_4plusIjEEEEZZNS1_33reduce_by_key_impl_wrapped_configILNS1_25lookback_scan_determinismE0ES3_S7_PKsNS0_17constant_iteratorIjlEEPsPlSF_S6_NS0_8equal_toIsEEEE10hipError_tPvRmT2_T3_mT4_T5_T6_T7_T8_P12ihipStream_tbENKUlT_T0_E_clISt17integral_constantIbLb0EESY_IbLb1EEEEDaSU_SV_EUlSU_E_NS1_11comp_targetILNS1_3genE5ELNS1_11target_archE942ELNS1_3gpuE9ELNS1_3repE0EEENS1_30default_config_static_selectorELNS0_4arch9wavefront6targetE1EEEvT1_
	.p2align	8
	.type	_ZN7rocprim17ROCPRIM_400000_NS6detail17trampoline_kernelINS0_14default_configENS1_33run_length_encode_config_selectorIsjNS0_4plusIjEEEEZZNS1_33reduce_by_key_impl_wrapped_configILNS1_25lookback_scan_determinismE0ES3_S7_PKsNS0_17constant_iteratorIjlEEPsPlSF_S6_NS0_8equal_toIsEEEE10hipError_tPvRmT2_T3_mT4_T5_T6_T7_T8_P12ihipStream_tbENKUlT_T0_E_clISt17integral_constantIbLb0EESY_IbLb1EEEEDaSU_SV_EUlSU_E_NS1_11comp_targetILNS1_3genE5ELNS1_11target_archE942ELNS1_3gpuE9ELNS1_3repE0EEENS1_30default_config_static_selectorELNS0_4arch9wavefront6targetE1EEEvT1_,@function
_ZN7rocprim17ROCPRIM_400000_NS6detail17trampoline_kernelINS0_14default_configENS1_33run_length_encode_config_selectorIsjNS0_4plusIjEEEEZZNS1_33reduce_by_key_impl_wrapped_configILNS1_25lookback_scan_determinismE0ES3_S7_PKsNS0_17constant_iteratorIjlEEPsPlSF_S6_NS0_8equal_toIsEEEE10hipError_tPvRmT2_T3_mT4_T5_T6_T7_T8_P12ihipStream_tbENKUlT_T0_E_clISt17integral_constantIbLb0EESY_IbLb1EEEEDaSU_SV_EUlSU_E_NS1_11comp_targetILNS1_3genE5ELNS1_11target_archE942ELNS1_3gpuE9ELNS1_3repE0EEENS1_30default_config_static_selectorELNS0_4arch9wavefront6targetE1EEEvT1_: ; @_ZN7rocprim17ROCPRIM_400000_NS6detail17trampoline_kernelINS0_14default_configENS1_33run_length_encode_config_selectorIsjNS0_4plusIjEEEEZZNS1_33reduce_by_key_impl_wrapped_configILNS1_25lookback_scan_determinismE0ES3_S7_PKsNS0_17constant_iteratorIjlEEPsPlSF_S6_NS0_8equal_toIsEEEE10hipError_tPvRmT2_T3_mT4_T5_T6_T7_T8_P12ihipStream_tbENKUlT_T0_E_clISt17integral_constantIbLb0EESY_IbLb1EEEEDaSU_SV_EUlSU_E_NS1_11comp_targetILNS1_3genE5ELNS1_11target_archE942ELNS1_3gpuE9ELNS1_3repE0EEENS1_30default_config_static_selectorELNS0_4arch9wavefront6targetE1EEEvT1_
; %bb.0:
	.section	.rodata,"a",@progbits
	.p2align	6, 0x0
	.amdhsa_kernel _ZN7rocprim17ROCPRIM_400000_NS6detail17trampoline_kernelINS0_14default_configENS1_33run_length_encode_config_selectorIsjNS0_4plusIjEEEEZZNS1_33reduce_by_key_impl_wrapped_configILNS1_25lookback_scan_determinismE0ES3_S7_PKsNS0_17constant_iteratorIjlEEPsPlSF_S6_NS0_8equal_toIsEEEE10hipError_tPvRmT2_T3_mT4_T5_T6_T7_T8_P12ihipStream_tbENKUlT_T0_E_clISt17integral_constantIbLb0EESY_IbLb1EEEEDaSU_SV_EUlSU_E_NS1_11comp_targetILNS1_3genE5ELNS1_11target_archE942ELNS1_3gpuE9ELNS1_3repE0EEENS1_30default_config_static_selectorELNS0_4arch9wavefront6targetE1EEEvT1_
		.amdhsa_group_segment_fixed_size 0
		.amdhsa_private_segment_fixed_size 0
		.amdhsa_kernarg_size 128
		.amdhsa_user_sgpr_count 6
		.amdhsa_user_sgpr_private_segment_buffer 1
		.amdhsa_user_sgpr_dispatch_ptr 0
		.amdhsa_user_sgpr_queue_ptr 0
		.amdhsa_user_sgpr_kernarg_segment_ptr 1
		.amdhsa_user_sgpr_dispatch_id 0
		.amdhsa_user_sgpr_flat_scratch_init 0
		.amdhsa_user_sgpr_kernarg_preload_length 0
		.amdhsa_user_sgpr_kernarg_preload_offset 0
		.amdhsa_user_sgpr_private_segment_size 0
		.amdhsa_uses_dynamic_stack 0
		.amdhsa_system_sgpr_private_segment_wavefront_offset 0
		.amdhsa_system_sgpr_workgroup_id_x 1
		.amdhsa_system_sgpr_workgroup_id_y 0
		.amdhsa_system_sgpr_workgroup_id_z 0
		.amdhsa_system_sgpr_workgroup_info 0
		.amdhsa_system_vgpr_workitem_id 0
		.amdhsa_next_free_vgpr 1
		.amdhsa_next_free_sgpr 0
		.amdhsa_accum_offset 4
		.amdhsa_reserve_vcc 0
		.amdhsa_reserve_flat_scratch 0
		.amdhsa_float_round_mode_32 0
		.amdhsa_float_round_mode_16_64 0
		.amdhsa_float_denorm_mode_32 3
		.amdhsa_float_denorm_mode_16_64 3
		.amdhsa_dx10_clamp 1
		.amdhsa_ieee_mode 1
		.amdhsa_fp16_overflow 0
		.amdhsa_tg_split 0
		.amdhsa_exception_fp_ieee_invalid_op 0
		.amdhsa_exception_fp_denorm_src 0
		.amdhsa_exception_fp_ieee_div_zero 0
		.amdhsa_exception_fp_ieee_overflow 0
		.amdhsa_exception_fp_ieee_underflow 0
		.amdhsa_exception_fp_ieee_inexact 0
		.amdhsa_exception_int_div_zero 0
	.end_amdhsa_kernel
	.section	.text._ZN7rocprim17ROCPRIM_400000_NS6detail17trampoline_kernelINS0_14default_configENS1_33run_length_encode_config_selectorIsjNS0_4plusIjEEEEZZNS1_33reduce_by_key_impl_wrapped_configILNS1_25lookback_scan_determinismE0ES3_S7_PKsNS0_17constant_iteratorIjlEEPsPlSF_S6_NS0_8equal_toIsEEEE10hipError_tPvRmT2_T3_mT4_T5_T6_T7_T8_P12ihipStream_tbENKUlT_T0_E_clISt17integral_constantIbLb0EESY_IbLb1EEEEDaSU_SV_EUlSU_E_NS1_11comp_targetILNS1_3genE5ELNS1_11target_archE942ELNS1_3gpuE9ELNS1_3repE0EEENS1_30default_config_static_selectorELNS0_4arch9wavefront6targetE1EEEvT1_,"axG",@progbits,_ZN7rocprim17ROCPRIM_400000_NS6detail17trampoline_kernelINS0_14default_configENS1_33run_length_encode_config_selectorIsjNS0_4plusIjEEEEZZNS1_33reduce_by_key_impl_wrapped_configILNS1_25lookback_scan_determinismE0ES3_S7_PKsNS0_17constant_iteratorIjlEEPsPlSF_S6_NS0_8equal_toIsEEEE10hipError_tPvRmT2_T3_mT4_T5_T6_T7_T8_P12ihipStream_tbENKUlT_T0_E_clISt17integral_constantIbLb0EESY_IbLb1EEEEDaSU_SV_EUlSU_E_NS1_11comp_targetILNS1_3genE5ELNS1_11target_archE942ELNS1_3gpuE9ELNS1_3repE0EEENS1_30default_config_static_selectorELNS0_4arch9wavefront6targetE1EEEvT1_,comdat
.Lfunc_end608:
	.size	_ZN7rocprim17ROCPRIM_400000_NS6detail17trampoline_kernelINS0_14default_configENS1_33run_length_encode_config_selectorIsjNS0_4plusIjEEEEZZNS1_33reduce_by_key_impl_wrapped_configILNS1_25lookback_scan_determinismE0ES3_S7_PKsNS0_17constant_iteratorIjlEEPsPlSF_S6_NS0_8equal_toIsEEEE10hipError_tPvRmT2_T3_mT4_T5_T6_T7_T8_P12ihipStream_tbENKUlT_T0_E_clISt17integral_constantIbLb0EESY_IbLb1EEEEDaSU_SV_EUlSU_E_NS1_11comp_targetILNS1_3genE5ELNS1_11target_archE942ELNS1_3gpuE9ELNS1_3repE0EEENS1_30default_config_static_selectorELNS0_4arch9wavefront6targetE1EEEvT1_, .Lfunc_end608-_ZN7rocprim17ROCPRIM_400000_NS6detail17trampoline_kernelINS0_14default_configENS1_33run_length_encode_config_selectorIsjNS0_4plusIjEEEEZZNS1_33reduce_by_key_impl_wrapped_configILNS1_25lookback_scan_determinismE0ES3_S7_PKsNS0_17constant_iteratorIjlEEPsPlSF_S6_NS0_8equal_toIsEEEE10hipError_tPvRmT2_T3_mT4_T5_T6_T7_T8_P12ihipStream_tbENKUlT_T0_E_clISt17integral_constantIbLb0EESY_IbLb1EEEEDaSU_SV_EUlSU_E_NS1_11comp_targetILNS1_3genE5ELNS1_11target_archE942ELNS1_3gpuE9ELNS1_3repE0EEENS1_30default_config_static_selectorELNS0_4arch9wavefront6targetE1EEEvT1_
                                        ; -- End function
	.section	.AMDGPU.csdata,"",@progbits
; Kernel info:
; codeLenInByte = 0
; NumSgprs: 4
; NumVgprs: 0
; NumAgprs: 0
; TotalNumVgprs: 0
; ScratchSize: 0
; MemoryBound: 0
; FloatMode: 240
; IeeeMode: 1
; LDSByteSize: 0 bytes/workgroup (compile time only)
; SGPRBlocks: 0
; VGPRBlocks: 0
; NumSGPRsForWavesPerEU: 4
; NumVGPRsForWavesPerEU: 1
; AccumOffset: 4
; Occupancy: 8
; WaveLimiterHint : 0
; COMPUTE_PGM_RSRC2:SCRATCH_EN: 0
; COMPUTE_PGM_RSRC2:USER_SGPR: 6
; COMPUTE_PGM_RSRC2:TRAP_HANDLER: 0
; COMPUTE_PGM_RSRC2:TGID_X_EN: 1
; COMPUTE_PGM_RSRC2:TGID_Y_EN: 0
; COMPUTE_PGM_RSRC2:TGID_Z_EN: 0
; COMPUTE_PGM_RSRC2:TIDIG_COMP_CNT: 0
; COMPUTE_PGM_RSRC3_GFX90A:ACCUM_OFFSET: 0
; COMPUTE_PGM_RSRC3_GFX90A:TG_SPLIT: 0
	.section	.text._ZN7rocprim17ROCPRIM_400000_NS6detail17trampoline_kernelINS0_14default_configENS1_33run_length_encode_config_selectorIsjNS0_4plusIjEEEEZZNS1_33reduce_by_key_impl_wrapped_configILNS1_25lookback_scan_determinismE0ES3_S7_PKsNS0_17constant_iteratorIjlEEPsPlSF_S6_NS0_8equal_toIsEEEE10hipError_tPvRmT2_T3_mT4_T5_T6_T7_T8_P12ihipStream_tbENKUlT_T0_E_clISt17integral_constantIbLb0EESY_IbLb1EEEEDaSU_SV_EUlSU_E_NS1_11comp_targetILNS1_3genE4ELNS1_11target_archE910ELNS1_3gpuE8ELNS1_3repE0EEENS1_30default_config_static_selectorELNS0_4arch9wavefront6targetE1EEEvT1_,"axG",@progbits,_ZN7rocprim17ROCPRIM_400000_NS6detail17trampoline_kernelINS0_14default_configENS1_33run_length_encode_config_selectorIsjNS0_4plusIjEEEEZZNS1_33reduce_by_key_impl_wrapped_configILNS1_25lookback_scan_determinismE0ES3_S7_PKsNS0_17constant_iteratorIjlEEPsPlSF_S6_NS0_8equal_toIsEEEE10hipError_tPvRmT2_T3_mT4_T5_T6_T7_T8_P12ihipStream_tbENKUlT_T0_E_clISt17integral_constantIbLb0EESY_IbLb1EEEEDaSU_SV_EUlSU_E_NS1_11comp_targetILNS1_3genE4ELNS1_11target_archE910ELNS1_3gpuE8ELNS1_3repE0EEENS1_30default_config_static_selectorELNS0_4arch9wavefront6targetE1EEEvT1_,comdat
	.protected	_ZN7rocprim17ROCPRIM_400000_NS6detail17trampoline_kernelINS0_14default_configENS1_33run_length_encode_config_selectorIsjNS0_4plusIjEEEEZZNS1_33reduce_by_key_impl_wrapped_configILNS1_25lookback_scan_determinismE0ES3_S7_PKsNS0_17constant_iteratorIjlEEPsPlSF_S6_NS0_8equal_toIsEEEE10hipError_tPvRmT2_T3_mT4_T5_T6_T7_T8_P12ihipStream_tbENKUlT_T0_E_clISt17integral_constantIbLb0EESY_IbLb1EEEEDaSU_SV_EUlSU_E_NS1_11comp_targetILNS1_3genE4ELNS1_11target_archE910ELNS1_3gpuE8ELNS1_3repE0EEENS1_30default_config_static_selectorELNS0_4arch9wavefront6targetE1EEEvT1_ ; -- Begin function _ZN7rocprim17ROCPRIM_400000_NS6detail17trampoline_kernelINS0_14default_configENS1_33run_length_encode_config_selectorIsjNS0_4plusIjEEEEZZNS1_33reduce_by_key_impl_wrapped_configILNS1_25lookback_scan_determinismE0ES3_S7_PKsNS0_17constant_iteratorIjlEEPsPlSF_S6_NS0_8equal_toIsEEEE10hipError_tPvRmT2_T3_mT4_T5_T6_T7_T8_P12ihipStream_tbENKUlT_T0_E_clISt17integral_constantIbLb0EESY_IbLb1EEEEDaSU_SV_EUlSU_E_NS1_11comp_targetILNS1_3genE4ELNS1_11target_archE910ELNS1_3gpuE8ELNS1_3repE0EEENS1_30default_config_static_selectorELNS0_4arch9wavefront6targetE1EEEvT1_
	.globl	_ZN7rocprim17ROCPRIM_400000_NS6detail17trampoline_kernelINS0_14default_configENS1_33run_length_encode_config_selectorIsjNS0_4plusIjEEEEZZNS1_33reduce_by_key_impl_wrapped_configILNS1_25lookback_scan_determinismE0ES3_S7_PKsNS0_17constant_iteratorIjlEEPsPlSF_S6_NS0_8equal_toIsEEEE10hipError_tPvRmT2_T3_mT4_T5_T6_T7_T8_P12ihipStream_tbENKUlT_T0_E_clISt17integral_constantIbLb0EESY_IbLb1EEEEDaSU_SV_EUlSU_E_NS1_11comp_targetILNS1_3genE4ELNS1_11target_archE910ELNS1_3gpuE8ELNS1_3repE0EEENS1_30default_config_static_selectorELNS0_4arch9wavefront6targetE1EEEvT1_
	.p2align	8
	.type	_ZN7rocprim17ROCPRIM_400000_NS6detail17trampoline_kernelINS0_14default_configENS1_33run_length_encode_config_selectorIsjNS0_4plusIjEEEEZZNS1_33reduce_by_key_impl_wrapped_configILNS1_25lookback_scan_determinismE0ES3_S7_PKsNS0_17constant_iteratorIjlEEPsPlSF_S6_NS0_8equal_toIsEEEE10hipError_tPvRmT2_T3_mT4_T5_T6_T7_T8_P12ihipStream_tbENKUlT_T0_E_clISt17integral_constantIbLb0EESY_IbLb1EEEEDaSU_SV_EUlSU_E_NS1_11comp_targetILNS1_3genE4ELNS1_11target_archE910ELNS1_3gpuE8ELNS1_3repE0EEENS1_30default_config_static_selectorELNS0_4arch9wavefront6targetE1EEEvT1_,@function
_ZN7rocprim17ROCPRIM_400000_NS6detail17trampoline_kernelINS0_14default_configENS1_33run_length_encode_config_selectorIsjNS0_4plusIjEEEEZZNS1_33reduce_by_key_impl_wrapped_configILNS1_25lookback_scan_determinismE0ES3_S7_PKsNS0_17constant_iteratorIjlEEPsPlSF_S6_NS0_8equal_toIsEEEE10hipError_tPvRmT2_T3_mT4_T5_T6_T7_T8_P12ihipStream_tbENKUlT_T0_E_clISt17integral_constantIbLb0EESY_IbLb1EEEEDaSU_SV_EUlSU_E_NS1_11comp_targetILNS1_3genE4ELNS1_11target_archE910ELNS1_3gpuE8ELNS1_3repE0EEENS1_30default_config_static_selectorELNS0_4arch9wavefront6targetE1EEEvT1_: ; @_ZN7rocprim17ROCPRIM_400000_NS6detail17trampoline_kernelINS0_14default_configENS1_33run_length_encode_config_selectorIsjNS0_4plusIjEEEEZZNS1_33reduce_by_key_impl_wrapped_configILNS1_25lookback_scan_determinismE0ES3_S7_PKsNS0_17constant_iteratorIjlEEPsPlSF_S6_NS0_8equal_toIsEEEE10hipError_tPvRmT2_T3_mT4_T5_T6_T7_T8_P12ihipStream_tbENKUlT_T0_E_clISt17integral_constantIbLb0EESY_IbLb1EEEEDaSU_SV_EUlSU_E_NS1_11comp_targetILNS1_3genE4ELNS1_11target_archE910ELNS1_3gpuE8ELNS1_3repE0EEENS1_30default_config_static_selectorELNS0_4arch9wavefront6targetE1EEEvT1_
; %bb.0:
	s_load_dword s12, s[4:5], 0x10
	s_load_dwordx4 s[44:47], s[4:5], 0x20
	s_load_dwordx2 s[34:35], s[4:5], 0x30
	s_load_dwordx2 s[48:49], s[4:5], 0x70
	s_load_dwordx4 s[28:31], s[4:5], 0x60
	s_load_dwordx8 s[36:43], s[4:5], 0x40
	v_cmp_ne_u32_e64 s[2:3], 0, v0
	v_cmp_eq_u32_e64 s[0:1], 0, v0
	s_and_saveexec_b64 s[6:7], s[0:1]
	s_cbranch_execz .LBB609_4
; %bb.1:
	s_mov_b64 s[10:11], exec
	v_mbcnt_lo_u32_b32 v1, s10, 0
	v_mbcnt_hi_u32_b32 v1, s11, v1
	v_cmp_eq_u32_e32 vcc, 0, v1
                                        ; implicit-def: $vgpr2
	s_and_saveexec_b64 s[8:9], vcc
	s_cbranch_execz .LBB609_3
; %bb.2:
	s_load_dwordx2 s[14:15], s[4:5], 0x78
	s_bcnt1_i32_b64 s10, s[10:11]
	v_mov_b32_e32 v2, 0
	v_mov_b32_e32 v3, s10
	s_waitcnt lgkmcnt(0)
	global_atomic_add v2, v2, v3, s[14:15] glc
.LBB609_3:
	s_or_b64 exec, exec, s[8:9]
	s_waitcnt vmcnt(0)
	v_readfirstlane_b32 s8, v2
	v_add_u32_e32 v1, s8, v1
	v_mov_b32_e32 v2, 0
	ds_write_b32 v2, v1
.LBB609_4:
	s_or_b64 exec, exec, s[6:7]
	s_load_dwordx4 s[4:7], s[4:5], 0x0
	v_mov_b32_e32 v3, 0
	s_waitcnt lgkmcnt(0)
	s_barrier
	ds_read_b32 v1, v3
	s_mul_i32 s8, s40, s39
	s_mul_hi_u32 s9, s40, s38
	s_add_i32 s8, s9, s8
	s_mul_i32 s9, s41, s38
	s_add_i32 s8, s8, s9
	s_lshl_b64 s[6:7], s[6:7], 1
	s_add_u32 s4, s4, s6
	s_movk_i32 s6, 0xa80
	s_waitcnt lgkmcnt(0)
	v_mul_lo_u32 v2, v1, s6
	s_mul_i32 s9, s40, s38
	s_addc_u32 s5, s5, s7
	v_readfirstlane_b32 s56, v1
	v_lshlrev_b64 v[2:3], 1, v[2:3]
	v_add_co_u32_e32 v2, vcc, s4, v2
	s_add_u32 s4, s9, s56
	v_mov_b32_e32 v1, s5
	s_addc_u32 s5, s8, 0
	s_add_u32 s6, s42, -1
	s_addc_u32 s7, s43, -1
	s_cmp_eq_u64 s[4:5], s[6:7]
	v_addc_co_u32_e32 v3, vcc, v1, v3, vcc
	s_cselect_b64 s[40:41], -1, 0
	s_cmp_lg_u64 s[4:5], s[6:7]
	s_mov_b64 s[10:11], -1
	s_cselect_b64 s[8:9], -1, 0
	s_mul_i32 s33, s6, 0xfffff580
	s_and_b64 vcc, exec, s[40:41]
	s_barrier
	s_cbranch_vccnz .LBB609_6
; %bb.5:
	v_lshlrev_b32_e32 v1, 1, v0
	v_add_co_u32_e32 v4, vcc, v2, v1
	v_addc_co_u32_e32 v5, vcc, 0, v3, vcc
	s_movk_i32 s10, 0x1000
	v_readfirstlane_b32 s6, v2
	v_readfirstlane_b32 s7, v3
	v_add_co_u32_e32 v4, vcc, s10, v4
	s_nop 3
	global_load_ushort v6, v1, s[6:7]
	global_load_ushort v7, v1, s[6:7] offset:384
	global_load_ushort v8, v1, s[6:7] offset:768
	;; [unrolled: 1-line block ×7, first 2 shown]
	v_addc_co_u32_e32 v5, vcc, 0, v5, vcc
	global_load_ushort v14, v1, s[6:7] offset:3072
	global_load_ushort v15, v1, s[6:7] offset:3456
	;; [unrolled: 1-line block ×3, first 2 shown]
	global_load_ushort v17, v[4:5], off offset:128
	global_load_ushort v18, v[4:5], off offset:512
	;; [unrolled: 1-line block ×3, first 2 shown]
	v_mad_u32_u24 v4, v0, 26, v1
	s_mov_b64 s[6:7], -1
	s_waitcnt vmcnt(13)
	ds_write_b16 v1, v6
	s_waitcnt vmcnt(12)
	ds_write_b16 v1, v7 offset:384
	s_waitcnt vmcnt(11)
	ds_write_b16 v1, v8 offset:768
	;; [unrolled: 2-line block ×13, first 2 shown]
	s_waitcnt lgkmcnt(0)
	s_barrier
	ds_read2_b32 v[12:13], v4 offset1:1
	ds_read2_b32 v[10:11], v4 offset0:2 offset1:3
	ds_read2_b32 v[8:9], v4 offset0:4 offset1:5
	ds_read_b32 v1, v4 offset:24
	s_add_i32 s33, s33, s28
	s_cbranch_execz .LBB609_7
	s_branch .LBB609_36
.LBB609_6:
	s_mov_b64 s[6:7], 0
                                        ; implicit-def: $vgpr12
                                        ; implicit-def: $vgpr10
                                        ; implicit-def: $vgpr8
                                        ; implicit-def: $vgpr1
	s_add_i32 s33, s33, s28
	s_andn2_b64 vcc, exec, s[10:11]
	s_cbranch_vccnz .LBB609_36
.LBB609_7:
	v_cmp_gt_u32_e32 vcc, s33, v0
                                        ; implicit-def: $vgpr1
	s_and_saveexec_b64 s[6:7], vcc
	s_cbranch_execz .LBB609_9
; %bb.8:
	s_waitcnt lgkmcnt(0)
	v_lshlrev_b32_e32 v1, 1, v0
	v_readfirstlane_b32 s10, v2
	v_readfirstlane_b32 s11, v3
	s_nop 4
	global_load_ushort v1, v1, s[10:11]
.LBB609_9:
	s_or_b64 exec, exec, s[6:7]
	v_add_u32_e32 v4, 0xc0, v0
	v_cmp_gt_u32_e32 vcc, s33, v4
                                        ; implicit-def: $vgpr4
	s_and_saveexec_b64 s[6:7], vcc
	s_cbranch_execz .LBB609_11
; %bb.10:
	v_lshlrev_b32_e32 v4, 1, v0
	v_readfirstlane_b32 s10, v2
	v_readfirstlane_b32 s11, v3
	s_nop 4
	global_load_ushort v4, v4, s[10:11] offset:384
.LBB609_11:
	s_or_b64 exec, exec, s[6:7]
	v_add_u32_e32 v5, 0x180, v0
	v_cmp_gt_u32_e32 vcc, s33, v5
                                        ; implicit-def: $vgpr5
	s_and_saveexec_b64 s[6:7], vcc
	s_cbranch_execz .LBB609_13
; %bb.12:
	v_lshlrev_b32_e32 v5, 1, v0
	v_readfirstlane_b32 s10, v2
	v_readfirstlane_b32 s11, v3
	s_nop 4
	global_load_ushort v5, v5, s[10:11] offset:768
.LBB609_13:
	s_or_b64 exec, exec, s[6:7]
	v_add_u32_e32 v6, 0x240, v0
	v_cmp_gt_u32_e32 vcc, s33, v6
                                        ; implicit-def: $vgpr6
	s_and_saveexec_b64 s[6:7], vcc
	s_cbranch_execz .LBB609_15
; %bb.14:
	v_lshlrev_b32_e32 v6, 1, v0
	v_readfirstlane_b32 s10, v2
	v_readfirstlane_b32 s11, v3
	s_nop 4
	global_load_ushort v6, v6, s[10:11] offset:1152
.LBB609_15:
	s_or_b64 exec, exec, s[6:7]
	v_or_b32_e32 v7, 0x300, v0
	v_cmp_gt_u32_e32 vcc, s33, v7
                                        ; implicit-def: $vgpr7
	s_and_saveexec_b64 s[6:7], vcc
	s_cbranch_execz .LBB609_17
; %bb.16:
	v_lshlrev_b32_e32 v7, 1, v0
	v_readfirstlane_b32 s10, v2
	v_readfirstlane_b32 s11, v3
	s_nop 4
	global_load_ushort v7, v7, s[10:11] offset:1536
.LBB609_17:
	s_or_b64 exec, exec, s[6:7]
	s_waitcnt lgkmcnt(1)
	v_add_u32_e32 v8, 0x3c0, v0
	v_cmp_gt_u32_e32 vcc, s33, v8
                                        ; implicit-def: $vgpr8
	s_and_saveexec_b64 s[6:7], vcc
	s_cbranch_execz .LBB609_19
; %bb.18:
	v_lshlrev_b32_e32 v8, 1, v0
	v_readfirstlane_b32 s10, v2
	v_readfirstlane_b32 s11, v3
	s_nop 4
	global_load_ushort v8, v8, s[10:11] offset:1920
.LBB609_19:
	s_or_b64 exec, exec, s[6:7]
	v_add_u32_e32 v9, 0x480, v0
	v_cmp_gt_u32_e32 vcc, s33, v9
                                        ; implicit-def: $vgpr9
	s_and_saveexec_b64 s[6:7], vcc
	s_cbranch_execz .LBB609_21
; %bb.20:
	v_lshlrev_b32_e32 v9, 1, v0
	v_readfirstlane_b32 s10, v2
	v_readfirstlane_b32 s11, v3
	s_nop 4
	global_load_ushort v9, v9, s[10:11] offset:2304
.LBB609_21:
	s_or_b64 exec, exec, s[6:7]
	v_add_u32_e32 v10, 0x540, v0
	v_cmp_gt_u32_e32 vcc, s33, v10
                                        ; implicit-def: $vgpr10
	s_and_saveexec_b64 s[6:7], vcc
	s_cbranch_execz .LBB609_23
; %bb.22:
	v_lshlrev_b32_e32 v10, 1, v0
	v_readfirstlane_b32 s10, v2
	v_readfirstlane_b32 s11, v3
	s_nop 4
	global_load_ushort v10, v10, s[10:11] offset:2688
.LBB609_23:
	s_or_b64 exec, exec, s[6:7]
	v_or_b32_e32 v11, 0x600, v0
	v_cmp_gt_u32_e32 vcc, s33, v11
                                        ; implicit-def: $vgpr11
	s_and_saveexec_b64 s[6:7], vcc
	s_cbranch_execz .LBB609_25
; %bb.24:
	v_lshlrev_b32_e32 v11, 1, v0
	v_readfirstlane_b32 s10, v2
	v_readfirstlane_b32 s11, v3
	s_nop 4
	global_load_ushort v11, v11, s[10:11] offset:3072
.LBB609_25:
	s_or_b64 exec, exec, s[6:7]
	v_add_u32_e32 v12, 0x6c0, v0
	v_cmp_gt_u32_e32 vcc, s33, v12
                                        ; implicit-def: $vgpr12
	s_and_saveexec_b64 s[6:7], vcc
	s_cbranch_execz .LBB609_27
; %bb.26:
	v_lshlrev_b32_e32 v12, 1, v0
	v_readfirstlane_b32 s10, v2
	v_readfirstlane_b32 s11, v3
	s_nop 4
	global_load_ushort v12, v12, s[10:11] offset:3456
.LBB609_27:
	s_or_b64 exec, exec, s[6:7]
	v_add_u32_e32 v13, 0x780, v0
	v_cmp_gt_u32_e32 vcc, s33, v13
                                        ; implicit-def: $vgpr13
	s_and_saveexec_b64 s[6:7], vcc
	s_cbranch_execz .LBB609_29
; %bb.28:
	v_lshlrev_b32_e32 v13, 1, v0
	v_readfirstlane_b32 s10, v2
	v_readfirstlane_b32 s11, v3
	s_nop 4
	global_load_ushort v13, v13, s[10:11] offset:3840
.LBB609_29:
	s_or_b64 exec, exec, s[6:7]
	v_add_u32_e32 v15, 0x840, v0
	v_cmp_gt_u32_e32 vcc, s33, v15
                                        ; implicit-def: $vgpr14
	s_and_saveexec_b64 s[6:7], vcc
	s_cbranch_execz .LBB609_31
; %bb.30:
	v_lshlrev_b32_e32 v14, 1, v15
	v_readfirstlane_b32 s10, v2
	v_readfirstlane_b32 s11, v3
	s_nop 4
	global_load_ushort v14, v14, s[10:11]
.LBB609_31:
	s_or_b64 exec, exec, s[6:7]
	v_or_b32_e32 v16, 0x900, v0
	v_cmp_gt_u32_e32 vcc, s33, v16
                                        ; implicit-def: $vgpr15
	s_and_saveexec_b64 s[6:7], vcc
	s_cbranch_execz .LBB609_33
; %bb.32:
	v_lshlrev_b32_e32 v15, 1, v16
	v_readfirstlane_b32 s10, v2
	v_readfirstlane_b32 s11, v3
	s_nop 4
	global_load_ushort v15, v15, s[10:11]
.LBB609_33:
	s_or_b64 exec, exec, s[6:7]
	v_add_u32_e32 v17, 0x9c0, v0
	v_cmp_gt_u32_e32 vcc, s33, v17
                                        ; implicit-def: $vgpr16
	s_and_saveexec_b64 s[6:7], vcc
	s_cbranch_execz .LBB609_35
; %bb.34:
	v_lshlrev_b32_e32 v16, 1, v17
	v_readfirstlane_b32 s10, v2
	v_readfirstlane_b32 s11, v3
	s_nop 4
	global_load_ushort v16, v16, s[10:11]
.LBB609_35:
	s_or_b64 exec, exec, s[6:7]
	v_lshlrev_b32_e32 v17, 1, v0
	s_waitcnt vmcnt(0) lgkmcnt(0)
	ds_write_b16 v17, v1
	ds_write_b16 v17, v4 offset:384
	ds_write_b16 v17, v5 offset:768
	;; [unrolled: 1-line block ×13, first 2 shown]
	v_mad_u32_u24 v1, v0, 26, v17
	s_waitcnt lgkmcnt(0)
	s_barrier
	ds_read2_b32 v[12:13], v1 offset1:1
	ds_read2_b32 v[10:11], v1 offset0:2 offset1:3
	ds_read2_b32 v[8:9], v1 offset0:4 offset1:5
	ds_read_b32 v1, v1 offset:24
	v_mad_u32_u24 v4, v0, 14, 13
	v_cmp_gt_u32_e64 s[6:7], s33, v4
.LBB609_36:
	v_mov_b32_e32 v42, s12
                                        ; implicit-def: $vgpr43
	s_and_saveexec_b64 s[10:11], s[6:7]
; %bb.37:
	v_mov_b32_e32 v43, s12
; %bb.38:
	s_or_b64 exec, exec, s[10:11]
	s_cmp_eq_u64 s[4:5], 0
	s_cselect_b64 s[42:43], -1, 0
	s_cmp_lg_u64 s[4:5], 0
	s_mov_b64 s[6:7], 0
	s_cselect_b64 s[10:11], -1, 0
	s_and_b64 vcc, exec, s[8:9]
	s_waitcnt lgkmcnt(0)
	s_barrier
	s_cbranch_vccz .LBB609_44
; %bb.39:
	s_and_b64 vcc, exec, s[10:11]
	s_cbranch_vccz .LBB609_45
; %bb.40:
	global_load_ushort v4, v[2:3], off offset:-2
	v_lshrrev_b32_e32 v6, 16, v1
	v_lshlrev_b32_e32 v5, 1, v0
	v_cmp_ne_u16_e32 vcc, v1, v6
	v_cmp_ne_u16_sdwa s[6:7], v9, v1 src0_sel:WORD_1 src1_sel:DWORD
	v_cmp_ne_u16_sdwa s[8:9], v9, v9 src0_sel:DWORD src1_sel:WORD_1
	v_cmp_ne_u16_sdwa s[12:13], v8, v9 src0_sel:WORD_1 src1_sel:DWORD
	v_cmp_ne_u16_sdwa s[14:15], v8, v8 src0_sel:DWORD src1_sel:WORD_1
	;; [unrolled: 2-line block ×6, first 2 shown]
	ds_write_b16 v5, v6
	s_waitcnt lgkmcnt(0)
	s_barrier
	s_and_saveexec_b64 s[54:55], s[2:3]
	s_cbranch_execz .LBB609_42
; %bb.41:
	s_waitcnt vmcnt(0)
	v_add_u32_e32 v4, -2, v5
	ds_read_u16 v4, v4
.LBB609_42:
	s_or_b64 exec, exec, s[54:55]
	v_cndmask_b32_e64 v44, 0, 1, vcc
	v_cndmask_b32_e64 v45, 0, 1, s[6:7]
	v_cndmask_b32_e64 v46, 0, 1, s[8:9]
	;; [unrolled: 1-line block ×12, first 2 shown]
	s_waitcnt vmcnt(0) lgkmcnt(0)
	v_cmp_ne_u16_e64 s[8:9], v4, v12
	s_mov_b64 s[6:7], -1
.LBB609_43:
                                        ; implicit-def: $sgpr14
	s_branch .LBB609_57
.LBB609_44:
                                        ; implicit-def: $sgpr8_sgpr9
                                        ; implicit-def: $vgpr44
                                        ; implicit-def: $vgpr45
                                        ; implicit-def: $vgpr46
                                        ; implicit-def: $vgpr47
                                        ; implicit-def: $vgpr48
                                        ; implicit-def: $vgpr49
                                        ; implicit-def: $vgpr50
                                        ; implicit-def: $vgpr51
                                        ; implicit-def: $vgpr52
                                        ; implicit-def: $vgpr53
                                        ; implicit-def: $vgpr54
                                        ; implicit-def: $vgpr55
                                        ; implicit-def: $vgpr56
                                        ; implicit-def: $sgpr14
	s_cbranch_execnz .LBB609_49
	s_branch .LBB609_57
.LBB609_45:
                                        ; implicit-def: $sgpr8_sgpr9
                                        ; implicit-def: $vgpr44
                                        ; implicit-def: $vgpr45
                                        ; implicit-def: $vgpr46
                                        ; implicit-def: $vgpr47
                                        ; implicit-def: $vgpr48
                                        ; implicit-def: $vgpr49
                                        ; implicit-def: $vgpr50
                                        ; implicit-def: $vgpr51
                                        ; implicit-def: $vgpr52
                                        ; implicit-def: $vgpr53
                                        ; implicit-def: $vgpr54
                                        ; implicit-def: $vgpr55
                                        ; implicit-def: $vgpr56
	s_cbranch_execz .LBB609_43
; %bb.46:
	v_cmp_ne_u16_sdwa s[8:9], v9, v1 src0_sel:WORD_1 src1_sel:DWORD
	v_cndmask_b32_e64 v45, 0, 1, s[8:9]
	v_cmp_ne_u16_sdwa s[8:9], v9, v9 src0_sel:DWORD src1_sel:WORD_1
	v_cndmask_b32_e64 v46, 0, 1, s[8:9]
	v_cmp_ne_u16_sdwa s[8:9], v8, v9 src0_sel:WORD_1 src1_sel:DWORD
	v_cndmask_b32_e64 v47, 0, 1, s[8:9]
	v_cmp_ne_u16_sdwa s[8:9], v8, v8 src0_sel:DWORD src1_sel:WORD_1
	v_cndmask_b32_e64 v48, 0, 1, s[8:9]
	;; [unrolled: 4-line block ×4, first 2 shown]
	v_cmp_ne_u16_sdwa s[8:9], v13, v10 src0_sel:WORD_1 src1_sel:DWORD
	v_cndmask_b32_e64 v53, 0, 1, s[8:9]
	v_cmp_ne_u16_sdwa s[8:9], v13, v13 src0_sel:DWORD src1_sel:WORD_1
	v_lshrrev_b32_e32 v5, 16, v1
	v_cndmask_b32_e64 v54, 0, 1, s[8:9]
	v_cmp_ne_u16_sdwa s[8:9], v12, v13 src0_sel:WORD_1 src1_sel:DWORD
	v_cmp_ne_u16_e32 vcc, v1, v5
	v_cndmask_b32_e64 v55, 0, 1, s[8:9]
	v_cmp_ne_u16_sdwa s[8:9], v12, v12 src0_sel:DWORD src1_sel:WORD_1
	s_mov_b32 s14, 1
	v_lshlrev_b32_e32 v4, 1, v0
	v_cndmask_b32_e64 v44, 0, 1, vcc
	v_cndmask_b32_e64 v56, 0, 1, s[8:9]
	ds_write_b16 v4, v5
	s_waitcnt lgkmcnt(0)
	s_barrier
	s_waitcnt lgkmcnt(0)
                                        ; implicit-def: $sgpr8_sgpr9
	s_and_saveexec_b64 s[12:13], s[2:3]
	s_xor_b64 s[12:13], exec, s[12:13]
	s_cbranch_execz .LBB609_48
; %bb.47:
	v_add_u32_e32 v4, -2, v4
	ds_read_u16 v4, v4
	s_or_b64 s[6:7], s[6:7], exec
	s_waitcnt lgkmcnt(0)
	v_cmp_ne_u16_e32 vcc, v4, v12
	s_and_b64 s[8:9], vcc, exec
.LBB609_48:
	s_or_b64 exec, exec, s[12:13]
	s_branch .LBB609_57
.LBB609_49:
	s_mul_hi_u32 s8, s4, 0xfffff580
	s_mulk_i32 s5, 0xf580
	s_sub_i32 s8, s8, s4
	s_add_i32 s8, s8, s5
	s_mulk_i32 s4, 0xf580
	s_add_u32 s12, s4, s28
	s_addc_u32 s13, s8, s29
	s_and_b64 vcc, exec, s[10:11]
	v_lshrrev_b32_e32 v36, 16, v1
	v_mul_u32_u24_e32 v4, 14, v0
	v_mad_u32_u24 v6, v0, 14, 13
	v_mad_u32_u24 v34, v0, 14, 12
	v_cmp_ne_u16_sdwa s[52:53], v9, v1 src0_sel:WORD_1 src1_sel:DWORD
	v_mad_u32_u24 v32, v0, 14, 11
	v_cmp_ne_u16_sdwa s[8:9], v9, v9 src0_sel:DWORD src1_sel:WORD_1
	v_mad_u32_u24 v30, v0, 14, 10
	v_cmp_ne_u16_sdwa s[14:15], v8, v9 src0_sel:WORD_1 src1_sel:DWORD
	v_mad_u32_u24 v28, v0, 14, 9
	v_cmp_ne_u16_sdwa s[18:19], v8, v8 src0_sel:DWORD src1_sel:WORD_1
	;; [unrolled: 4-line block ×5, first 2 shown]
	v_mad_u32_u24 v14, v0, 14, 2
	v_cmp_ne_u16_sdwa s[16:17], v12, v13 src0_sel:WORD_1 src1_sel:DWORD
	v_cmp_ne_u16_sdwa s[10:11], v12, v12 src0_sel:DWORD src1_sel:WORD_1
	s_cbranch_vccz .LBB609_54
; %bb.50:
	global_load_ushort v2, v[2:3], off offset:-2
	v_mov_b32_e32 v7, 0
	v_cmp_gt_u64_e32 vcc, s[12:13], v[6:7]
	v_cmp_ne_u16_e64 s[4:5], v1, v36
	v_mov_b32_e32 v35, v7
	s_and_b64 s[4:5], vcc, s[4:5]
	v_cmp_gt_u64_e32 vcc, s[12:13], v[34:35]
	v_mov_b32_e32 v33, v7
	s_and_b64 s[6:7], vcc, s[52:53]
	v_cmp_gt_u64_e32 vcc, s[12:13], v[32:33]
	;; [unrolled: 3-line block ×11, first 2 shown]
	v_or_b32_e32 v38, 1, v4
	v_mov_b32_e32 v39, v7
	s_and_b64 s[16:17], vcc, s[16:17]
	v_cmp_gt_u64_e32 vcc, s[12:13], v[38:39]
	v_lshlrev_b32_e32 v3, 1, v0
	s_and_b64 s[10:11], vcc, s[10:11]
	ds_write_b16 v3, v36
	s_waitcnt lgkmcnt(0)
	s_barrier
	s_and_saveexec_b64 s[52:53], s[2:3]
	s_cbranch_execz .LBB609_52
; %bb.51:
	s_waitcnt vmcnt(0)
	v_add_u32_e32 v2, -2, v3
	ds_read_u16 v2, v2
.LBB609_52:
	s_or_b64 exec, exec, s[52:53]
	v_mov_b32_e32 v5, v7
	v_cndmask_b32_e64 v44, 0, 1, s[4:5]
	v_cmp_gt_u64_e32 vcc, s[12:13], v[4:5]
	s_waitcnt vmcnt(0) lgkmcnt(0)
	v_cmp_ne_u16_e64 s[4:5], v2, v12
	v_cndmask_b32_e64 v45, 0, 1, s[6:7]
	v_cndmask_b32_e64 v46, 0, 1, s[8:9]
	;; [unrolled: 1-line block ×12, first 2 shown]
	s_and_b64 s[8:9], vcc, s[4:5]
	s_mov_b64 s[6:7], -1
.LBB609_53:
                                        ; implicit-def: $sgpr14
	v_mov_b32_e32 v57, s14
	s_and_saveexec_b64 s[2:3], s[6:7]
	s_cbranch_execnz .LBB609_58
	s_branch .LBB609_59
.LBB609_54:
                                        ; implicit-def: $sgpr8_sgpr9
                                        ; implicit-def: $vgpr44
                                        ; implicit-def: $vgpr45
                                        ; implicit-def: $vgpr46
                                        ; implicit-def: $vgpr47
                                        ; implicit-def: $vgpr48
                                        ; implicit-def: $vgpr49
                                        ; implicit-def: $vgpr50
                                        ; implicit-def: $vgpr51
                                        ; implicit-def: $vgpr52
                                        ; implicit-def: $vgpr53
                                        ; implicit-def: $vgpr54
                                        ; implicit-def: $vgpr55
                                        ; implicit-def: $vgpr56
	s_cbranch_execz .LBB609_53
; %bb.55:
	v_mov_b32_e32 v7, 0
	v_cmp_gt_u64_e32 vcc, s[12:13], v[6:7]
	v_cmp_ne_u16_e64 s[4:5], v1, v36
	s_and_b64 s[4:5], vcc, s[4:5]
	v_mov_b32_e32 v35, v7
	v_cndmask_b32_e64 v44, 0, 1, s[4:5]
	v_cmp_gt_u64_e32 vcc, s[12:13], v[34:35]
	v_cmp_ne_u16_sdwa s[4:5], v9, v1 src0_sel:WORD_1 src1_sel:DWORD
	s_and_b64 s[4:5], vcc, s[4:5]
	v_mov_b32_e32 v33, v7
	v_cndmask_b32_e64 v45, 0, 1, s[4:5]
	v_cmp_gt_u64_e32 vcc, s[12:13], v[32:33]
	v_cmp_ne_u16_sdwa s[4:5], v9, v9 src0_sel:DWORD src1_sel:WORD_1
	s_and_b64 s[4:5], vcc, s[4:5]
	v_mov_b32_e32 v31, v7
	v_cndmask_b32_e64 v46, 0, 1, s[4:5]
	v_cmp_gt_u64_e32 vcc, s[12:13], v[30:31]
	v_cmp_ne_u16_sdwa s[4:5], v8, v9 src0_sel:WORD_1 src1_sel:DWORD
	s_and_b64 s[4:5], vcc, s[4:5]
	v_mov_b32_e32 v29, v7
	v_cndmask_b32_e64 v47, 0, 1, s[4:5]
	v_cmp_gt_u64_e32 vcc, s[12:13], v[28:29]
	v_cmp_ne_u16_sdwa s[4:5], v8, v8 src0_sel:DWORD src1_sel:WORD_1
	;; [unrolled: 10-line block ×5, first 2 shown]
	s_and_b64 s[4:5], vcc, s[4:5]
	v_mov_b32_e32 v15, v7
	v_cndmask_b32_e64 v54, 0, 1, s[4:5]
	v_cmp_gt_u64_e32 vcc, s[12:13], v[14:15]
	v_cmp_ne_u16_sdwa s[4:5], v12, v13 src0_sel:WORD_1 src1_sel:DWORD
	s_and_b64 s[4:5], vcc, s[4:5]
	v_or_b32_e32 v6, 1, v4
	v_cndmask_b32_e64 v55, 0, 1, s[4:5]
	v_cmp_gt_u64_e32 vcc, s[12:13], v[6:7]
	v_cmp_ne_u16_sdwa s[4:5], v12, v12 src0_sel:DWORD src1_sel:WORD_1
	s_and_b64 s[4:5], vcc, s[4:5]
	s_mov_b32 s14, 1
	v_lshlrev_b32_e32 v2, 1, v0
	v_cndmask_b32_e64 v56, 0, 1, s[4:5]
	ds_write_b16 v2, v36
	s_waitcnt lgkmcnt(0)
	s_barrier
	s_waitcnt lgkmcnt(0)
                                        ; implicit-def: $sgpr8_sgpr9
	s_and_saveexec_b64 s[4:5], s[2:3]
	s_cbranch_execz .LBB609_138
; %bb.56:
	v_add_u32_e32 v2, -2, v2
	ds_read_u16 v2, v2
	v_mov_b32_e32 v5, v7
	v_cmp_gt_u64_e32 vcc, s[12:13], v[4:5]
	s_or_b64 s[6:7], s[6:7], exec
	s_waitcnt lgkmcnt(0)
	v_cmp_ne_u16_e64 s[2:3], v2, v12
	s_and_b64 s[2:3], vcc, s[2:3]
	s_and_b64 s[8:9], s[2:3], exec
	s_or_b64 exec, exec, s[4:5]
.LBB609_57:
	v_mov_b32_e32 v57, s14
	s_and_saveexec_b64 s[2:3], s[6:7]
.LBB609_58:
	v_cndmask_b32_e64 v57, 0, 1, s[8:9]
.LBB609_59:
	s_or_b64 exec, exec, s[2:3]
	s_cmp_eq_u64 s[38:39], 0
	v_add_u32_e32 v2, v56, v57
	s_cselect_b64 s[38:39], -1, 0
	s_cmp_lg_u32 s56, 0
	v_cmp_eq_u32_e64 s[24:25], 0, v56
	v_cmp_eq_u32_e64 s[22:23], 0, v55
	v_add3_u32 v60, v2, v55, v54
	v_cmp_eq_u32_e64 s[20:21], 0, v54
	v_cmp_eq_u32_e64 s[18:19], 0, v53
	;; [unrolled: 1-line block ×10, first 2 shown]
	v_cmp_eq_u32_e32 vcc, 0, v44
	v_mbcnt_lo_u32_b32 v59, -1, 0
	v_lshrrev_b32_e32 v58, 6, v0
	s_cbranch_scc0 .LBB609_86
; %bb.60:
	v_cndmask_b32_e64 v2, 0, v42, s[24:25]
	v_add_u32_e32 v2, v2, v42
	v_cndmask_b32_e64 v2, 0, v2, s[22:23]
	v_add_u32_e32 v2, v2, v42
	;; [unrolled: 2-line block ×10, first 2 shown]
	v_cndmask_b32_e64 v2, 0, v2, s[4:5]
	v_add3_u32 v3, v60, v53, v52
	v_add_u32_e32 v2, v2, v42
	v_add3_u32 v3, v3, v51, v50
	v_cndmask_b32_e64 v2, 0, v2, s[2:3]
	v_add3_u32 v3, v3, v49, v48
	v_add_u32_e32 v2, v2, v42
	v_add3_u32 v3, v3, v47, v46
	v_cndmask_b32_e32 v2, 0, v2, vcc
	v_add3_u32 v3, v3, v45, v44
	v_add_u32_e32 v2, v2, v43
	v_mbcnt_hi_u32_b32 v17, -1, v59
	v_and_b32_e32 v4, 15, v17
	v_mov_b32_dpp v6, v2 row_shr:1 row_mask:0xf bank_mask:0xf
	v_cmp_eq_u32_e32 vcc, 0, v3
	v_mov_b32_dpp v5, v3 row_shr:1 row_mask:0xf bank_mask:0xf
	v_cndmask_b32_e32 v6, 0, v6, vcc
	v_cmp_eq_u32_e32 vcc, 0, v4
	v_cndmask_b32_e64 v5, v5, 0, vcc
	v_add_u32_e32 v3, v5, v3
	v_cndmask_b32_e64 v5, v6, 0, vcc
	v_add_u32_e32 v2, v5, v2
	v_cmp_eq_u32_e32 vcc, 0, v3
	v_mov_b32_dpp v5, v3 row_shr:2 row_mask:0xf bank_mask:0xf
	v_cmp_lt_u32_e64 s[26:27], 1, v4
	v_mov_b32_dpp v6, v2 row_shr:2 row_mask:0xf bank_mask:0xf
	v_cndmask_b32_e64 v5, 0, v5, s[26:27]
	s_and_b64 vcc, s[26:27], vcc
	v_cndmask_b32_e32 v6, 0, v6, vcc
	v_add_u32_e32 v3, v3, v5
	v_add_u32_e32 v2, v6, v2
	v_cmp_eq_u32_e32 vcc, 0, v3
	v_mov_b32_dpp v5, v3 row_shr:4 row_mask:0xf bank_mask:0xf
	v_cmp_lt_u32_e64 s[26:27], 3, v4
	v_mov_b32_dpp v6, v2 row_shr:4 row_mask:0xf bank_mask:0xf
	v_cndmask_b32_e64 v5, 0, v5, s[26:27]
	s_and_b64 vcc, s[26:27], vcc
	v_cndmask_b32_e32 v6, 0, v6, vcc
	v_add_u32_e32 v3, v5, v3
	v_add_u32_e32 v2, v2, v6
	v_cmp_eq_u32_e32 vcc, 0, v3
	v_cmp_lt_u32_e64 s[26:27], 7, v4
	v_mov_b32_dpp v5, v3 row_shr:8 row_mask:0xf bank_mask:0xf
	v_mov_b32_dpp v6, v2 row_shr:8 row_mask:0xf bank_mask:0xf
	s_and_b64 vcc, s[26:27], vcc
	v_cndmask_b32_e64 v4, 0, v5, s[26:27]
	v_cndmask_b32_e32 v5, 0, v6, vcc
	v_add_u32_e32 v2, v5, v2
	v_add_u32_e32 v3, v4, v3
	v_bfe_i32 v6, v17, 4, 1
	v_mov_b32_dpp v5, v2 row_bcast:15 row_mask:0xf bank_mask:0xf
	v_mov_b32_dpp v4, v3 row_bcast:15 row_mask:0xf bank_mask:0xf
	v_cmp_eq_u32_e32 vcc, 0, v3
	v_cndmask_b32_e32 v5, 0, v5, vcc
	v_and_b32_e32 v4, v6, v4
	v_add_u32_e32 v3, v4, v3
	v_and_b32_e32 v4, v6, v5
	v_add_u32_e32 v4, v4, v2
	v_mov_b32_dpp v2, v3 row_bcast:31 row_mask:0xf bank_mask:0xf
	v_cmp_eq_u32_e32 vcc, 0, v3
	v_cmp_lt_u32_e64 s[26:27], 31, v17
	v_mov_b32_dpp v5, v4 row_bcast:31 row_mask:0xf bank_mask:0xf
	v_cndmask_b32_e64 v2, 0, v2, s[26:27]
	s_and_b64 vcc, s[26:27], vcc
	v_add_u32_e32 v2, v2, v3
	v_cndmask_b32_e32 v3, 0, v5, vcc
	v_add_u32_e32 v3, v3, v4
	v_and_b32_e32 v4, 0xc0, v0
	v_min_u32_e32 v4, 0x80, v4
	v_or_b32_e32 v4, 63, v4
	v_cmp_eq_u32_e32 vcc, v4, v0
	v_lshlrev_b32_e32 v4, 3, v58
	s_and_saveexec_b64 s[26:27], vcc
	s_cbranch_execz .LBB609_62
; %bb.61:
	ds_write_b64 v4, v[2:3] offset:784
.LBB609_62:
	s_or_b64 exec, exec, s[26:27]
	v_cmp_gt_u32_e32 vcc, 3, v0
	s_waitcnt lgkmcnt(0)
	s_barrier
	s_and_saveexec_b64 s[28:29], vcc
	s_cbranch_execz .LBB609_64
; %bb.63:
	v_lshlrev_b32_e32 v5, 3, v0
	ds_read_b64 v[6:7], v5 offset:784
	v_and_b32_e32 v14, 3, v17
	v_cmp_lt_u32_e64 s[26:27], 1, v14
	s_waitcnt lgkmcnt(0)
	v_mov_b32_dpp v16, v7 row_shr:1 row_mask:0xf bank_mask:0xf
	v_cmp_eq_u32_e32 vcc, 0, v6
	v_mov_b32_dpp v15, v6 row_shr:1 row_mask:0xf bank_mask:0xf
	v_cndmask_b32_e32 v16, 0, v16, vcc
	v_cmp_eq_u32_e32 vcc, 0, v14
	v_cndmask_b32_e64 v15, v15, 0, vcc
	v_add_u32_e32 v6, v15, v6
	v_cndmask_b32_e64 v15, v16, 0, vcc
	v_add_u32_e32 v7, v15, v7
	v_cmp_eq_u32_e32 vcc, 0, v6
	v_mov_b32_dpp v15, v6 row_shr:2 row_mask:0xf bank_mask:0xf
	v_mov_b32_dpp v16, v7 row_shr:2 row_mask:0xf bank_mask:0xf
	v_cndmask_b32_e64 v14, 0, v15, s[26:27]
	s_and_b64 vcc, s[26:27], vcc
	v_add_u32_e32 v6, v14, v6
	v_cndmask_b32_e32 v14, 0, v16, vcc
	v_add_u32_e32 v7, v14, v7
	ds_write_b64 v5, v[6:7] offset:784
.LBB609_64:
	s_or_b64 exec, exec, s[28:29]
	v_cmp_gt_u32_e32 vcc, 64, v0
	v_cmp_lt_u32_e64 s[26:27], 63, v0
	v_mov_b32_e32 v14, 0
	v_mov_b32_e32 v15, 0
	s_waitcnt lgkmcnt(0)
	s_barrier
	s_and_saveexec_b64 s[28:29], s[26:27]
	s_cbranch_execz .LBB609_66
; %bb.65:
	ds_read_b64 v[14:15], v4 offset:776
	v_cmp_eq_u32_e64 s[26:27], 0, v2
	s_waitcnt lgkmcnt(0)
	v_add_u32_e32 v4, v14, v2
	v_cndmask_b32_e64 v2, 0, v15, s[26:27]
	v_add_u32_e32 v3, v2, v3
	v_mov_b32_e32 v2, v4
.LBB609_66:
	s_or_b64 exec, exec, s[28:29]
	v_add_u32_e32 v4, -1, v17
	v_and_b32_e32 v5, 64, v17
	v_cmp_lt_i32_e64 s[26:27], v4, v5
	v_cndmask_b32_e64 v4, v4, v17, s[26:27]
	v_lshlrev_b32_e32 v4, 2, v4
	ds_bpermute_b32 v22, v4, v2
	ds_bpermute_b32 v23, v4, v3
	v_cmp_eq_u32_e64 s[26:27], 0, v17
	s_and_saveexec_b64 s[50:51], vcc
	s_cbranch_execz .LBB609_85
; %bb.67:
	v_mov_b32_e32 v7, 0
	ds_read_b64 v[2:3], v7 offset:800
	s_waitcnt lgkmcnt(0)
	v_readfirstlane_b32 s54, v2
	v_readfirstlane_b32 s55, v3
	s_and_saveexec_b64 s[28:29], s[26:27]
	s_cbranch_execz .LBB609_69
; %bb.68:
	s_add_i32 s52, s56, 64
	s_mov_b32 s53, 0
	s_lshl_b64 s[58:59], s[52:53], 4
	s_add_u32 s58, s36, s58
	s_addc_u32 s59, s37, s59
	s_and_b32 s61, s55, 0xff000000
	s_mov_b32 s60, s53
	s_and_b32 s63, s55, 0xff0000
	s_mov_b32 s62, s53
	s_or_b64 s[60:61], s[62:63], s[60:61]
	s_and_b32 s63, s55, 0xff00
	s_or_b64 s[60:61], s[60:61], s[62:63]
	s_and_b32 s63, s55, 0xff
	s_or_b64 s[52:53], s[60:61], s[62:63]
	v_mov_b32_e32 v4, s54
	v_mov_b32_e32 v5, s53
	;; [unrolled: 1-line block ×3, first 2 shown]
	v_pk_mov_b32 v[2:3], s[58:59], s[58:59] op_sel:[0,1]
	;;#ASMSTART
	global_store_dwordx4 v[2:3], v[4:7] off	
s_waitcnt vmcnt(0)
	;;#ASMEND
.LBB609_69:
	s_or_b64 exec, exec, s[28:29]
	v_xad_u32 v16, v17, -1, s56
	v_add_u32_e32 v6, 64, v16
	v_lshlrev_b64 v[2:3], 4, v[6:7]
	v_mov_b32_e32 v4, s37
	v_add_co_u32_e32 v18, vcc, s36, v2
	v_addc_co_u32_e32 v19, vcc, v4, v3, vcc
	;;#ASMSTART
	global_load_dwordx4 v[2:5], v[18:19] off glc	
s_waitcnt vmcnt(0)
	;;#ASMEND
	v_and_b32_e32 v5, 0xff, v3
	v_and_b32_e32 v6, 0xff00, v3
	v_or3_b32 v5, 0, v5, v6
	v_or3_b32 v2, v2, 0, 0
	v_and_b32_e32 v6, 0xff000000, v3
	v_and_b32_e32 v3, 0xff0000, v3
	v_or3_b32 v3, v5, v3, v6
	v_or3_b32 v2, v2, 0, 0
	v_cmp_eq_u16_sdwa s[52:53], v4, v7 src0_sel:BYTE_0 src1_sel:DWORD
	s_and_saveexec_b64 s[28:29], s[52:53]
	s_cbranch_execz .LBB609_73
; %bb.70:
	s_mov_b64 s[52:53], 0
	v_mov_b32_e32 v6, 0
.LBB609_71:                             ; =>This Inner Loop Header: Depth=1
	;;#ASMSTART
	global_load_dwordx4 v[2:5], v[18:19] off glc	
s_waitcnt vmcnt(0)
	;;#ASMEND
	v_cmp_ne_u16_sdwa s[58:59], v4, v6 src0_sel:BYTE_0 src1_sel:DWORD
	s_or_b64 s[52:53], s[58:59], s[52:53]
	s_andn2_b64 exec, exec, s[52:53]
	s_cbranch_execnz .LBB609_71
; %bb.72:
	s_or_b64 exec, exec, s[52:53]
.LBB609_73:
	s_or_b64 exec, exec, s[28:29]
	v_mov_b32_e32 v24, 2
	v_cmp_eq_u16_sdwa s[28:29], v4, v24 src0_sel:BYTE_0 src1_sel:DWORD
	v_lshlrev_b64 v[18:19], v17, -1
	v_and_b32_e32 v5, s29, v19
	v_and_b32_e32 v25, 63, v17
	v_or_b32_e32 v5, 0x80000000, v5
	v_cmp_ne_u32_e32 vcc, 63, v25
	v_and_b32_e32 v6, s28, v18
	v_ffbl_b32_e32 v5, v5
	v_addc_co_u32_e32 v7, vcc, 0, v17, vcc
	v_add_u32_e32 v5, 32, v5
	v_ffbl_b32_e32 v6, v6
	v_lshlrev_b32_e32 v26, 2, v7
	v_min_u32_e32 v5, v6, v5
	ds_bpermute_b32 v6, v26, v3
	v_cmp_eq_u32_e32 vcc, 0, v2
	v_cmp_lt_u32_e64 s[28:29], v25, v5
	ds_bpermute_b32 v7, v26, v2
	s_and_b64 vcc, s[28:29], vcc
	s_waitcnt lgkmcnt(1)
	v_cndmask_b32_e32 v6, 0, v6, vcc
	v_cmp_gt_u32_e32 vcc, 62, v25
	v_add_u32_e32 v3, v6, v3
	v_cndmask_b32_e64 v6, 0, 1, vcc
	v_lshlrev_b32_e32 v6, 1, v6
	v_add_lshl_u32 v27, v6, v17, 2
	s_waitcnt lgkmcnt(0)
	v_cndmask_b32_e64 v7, 0, v7, s[28:29]
	ds_bpermute_b32 v6, v27, v3
	v_add_u32_e32 v2, v7, v2
	ds_bpermute_b32 v7, v27, v2
	v_add_u32_e32 v28, 2, v25
	v_cmp_eq_u32_e32 vcc, 0, v2
	s_waitcnt lgkmcnt(1)
	v_cndmask_b32_e32 v6, 0, v6, vcc
	v_cmp_gt_u32_e32 vcc, v28, v5
	v_cndmask_b32_e64 v6, v6, 0, vcc
	v_add_u32_e32 v3, v6, v3
	s_waitcnt lgkmcnt(0)
	v_cndmask_b32_e64 v6, v7, 0, vcc
	v_cmp_gt_u32_e32 vcc, 60, v25
	v_cndmask_b32_e64 v7, 0, 1, vcc
	v_lshlrev_b32_e32 v7, 2, v7
	v_add_lshl_u32 v29, v7, v17, 2
	ds_bpermute_b32 v7, v29, v3
	v_add_u32_e32 v2, v2, v6
	ds_bpermute_b32 v6, v29, v2
	v_add_u32_e32 v30, 4, v25
	v_cmp_eq_u32_e32 vcc, 0, v2
	s_waitcnt lgkmcnt(1)
	v_cndmask_b32_e32 v7, 0, v7, vcc
	v_cmp_gt_u32_e32 vcc, v30, v5
	v_cndmask_b32_e64 v7, v7, 0, vcc
	s_waitcnt lgkmcnt(0)
	v_cndmask_b32_e64 v6, v6, 0, vcc
	v_cmp_gt_u32_e32 vcc, 56, v25
	v_add_u32_e32 v3, v3, v7
	v_cndmask_b32_e64 v7, 0, 1, vcc
	v_lshlrev_b32_e32 v7, 3, v7
	v_add_lshl_u32 v31, v7, v17, 2
	ds_bpermute_b32 v7, v31, v3
	v_add_u32_e32 v2, v2, v6
	ds_bpermute_b32 v6, v31, v2
	v_add_u32_e32 v32, 8, v25
	v_cmp_eq_u32_e32 vcc, 0, v2
	s_waitcnt lgkmcnt(1)
	v_cndmask_b32_e32 v7, 0, v7, vcc
	v_cmp_gt_u32_e32 vcc, v32, v5
	v_cndmask_b32_e64 v7, v7, 0, vcc
	s_waitcnt lgkmcnt(0)
	v_cndmask_b32_e64 v6, v6, 0, vcc
	v_cmp_gt_u32_e32 vcc, 48, v25
	v_add_u32_e32 v3, v3, v7
	;; [unrolled: 16-line block ×3, first 2 shown]
	v_cndmask_b32_e64 v7, 0, 1, vcc
	v_lshlrev_b32_e32 v7, 5, v7
	v_add_lshl_u32 v35, v7, v17, 2
	ds_bpermute_b32 v7, v35, v3
	v_add_u32_e32 v2, v2, v6
	ds_bpermute_b32 v6, v35, v2
	v_add_u32_e32 v36, 32, v25
	v_cmp_eq_u32_e32 vcc, 0, v2
	s_waitcnt lgkmcnt(1)
	v_cndmask_b32_e32 v7, 0, v7, vcc
	v_cmp_gt_u32_e32 vcc, v36, v5
	v_cndmask_b32_e64 v5, v7, 0, vcc
	v_add_u32_e32 v3, v5, v3
	s_waitcnt lgkmcnt(0)
	v_cndmask_b32_e64 v5, v6, 0, vcc
	v_add_u32_e32 v2, v5, v2
	v_mov_b32_e32 v17, 0
	s_branch .LBB609_75
.LBB609_74:                             ;   in Loop: Header=BB609_75 Depth=1
	s_or_b64 exec, exec, s[28:29]
	v_cmp_eq_u16_sdwa s[28:29], v4, v24 src0_sel:BYTE_0 src1_sel:DWORD
	v_and_b32_e32 v5, s29, v19
	v_or_b32_e32 v5, 0x80000000, v5
	v_and_b32_e32 v20, s28, v18
	v_ffbl_b32_e32 v5, v5
	v_add_u32_e32 v5, 32, v5
	v_ffbl_b32_e32 v20, v20
	v_min_u32_e32 v5, v20, v5
	ds_bpermute_b32 v20, v26, v3
	v_cmp_eq_u32_e32 vcc, 0, v2
	v_cmp_lt_u32_e64 s[28:29], v25, v5
	ds_bpermute_b32 v21, v26, v2
	s_and_b64 vcc, s[28:29], vcc
	s_waitcnt lgkmcnt(1)
	v_cndmask_b32_e32 v20, 0, v20, vcc
	v_add_u32_e32 v3, v20, v3
	ds_bpermute_b32 v20, v27, v3
	s_waitcnt lgkmcnt(1)
	v_cndmask_b32_e64 v21, 0, v21, s[28:29]
	v_add_u32_e32 v2, v21, v2
	v_cmp_eq_u32_e32 vcc, 0, v2
	ds_bpermute_b32 v21, v27, v2
	s_waitcnt lgkmcnt(1)
	v_cndmask_b32_e32 v20, 0, v20, vcc
	v_cmp_gt_u32_e32 vcc, v28, v5
	v_cndmask_b32_e64 v20, v20, 0, vcc
	v_add_u32_e32 v3, v20, v3
	ds_bpermute_b32 v20, v29, v3
	s_waitcnt lgkmcnt(1)
	v_cndmask_b32_e64 v21, v21, 0, vcc
	v_add_u32_e32 v2, v2, v21
	v_cmp_eq_u32_e32 vcc, 0, v2
	ds_bpermute_b32 v21, v29, v2
	s_waitcnt lgkmcnt(1)
	v_cndmask_b32_e32 v20, 0, v20, vcc
	v_cmp_gt_u32_e32 vcc, v30, v5
	v_cndmask_b32_e64 v20, v20, 0, vcc
	v_add_u32_e32 v3, v3, v20
	ds_bpermute_b32 v20, v31, v3
	s_waitcnt lgkmcnt(1)
	v_cndmask_b32_e64 v21, v21, 0, vcc
	v_add_u32_e32 v2, v2, v21
	ds_bpermute_b32 v21, v31, v2
	v_cmp_eq_u32_e32 vcc, 0, v2
	s_waitcnt lgkmcnt(1)
	v_cndmask_b32_e32 v20, 0, v20, vcc
	v_cmp_gt_u32_e32 vcc, v32, v5
	v_cndmask_b32_e64 v20, v20, 0, vcc
	v_add_u32_e32 v3, v3, v20
	ds_bpermute_b32 v20, v33, v3
	s_waitcnt lgkmcnt(1)
	v_cndmask_b32_e64 v21, v21, 0, vcc
	v_add_u32_e32 v2, v2, v21
	ds_bpermute_b32 v21, v33, v2
	v_cmp_eq_u32_e32 vcc, 0, v2
	;; [unrolled: 11-line block ×3, first 2 shown]
	s_waitcnt lgkmcnt(1)
	v_cndmask_b32_e32 v20, 0, v20, vcc
	v_cmp_gt_u32_e32 vcc, v36, v5
	v_cndmask_b32_e64 v5, v20, 0, vcc
	v_add_u32_e32 v3, v5, v3
	s_waitcnt lgkmcnt(0)
	v_cndmask_b32_e64 v5, v21, 0, vcc
	v_cmp_eq_u32_e32 vcc, 0, v6
	v_cndmask_b32_e32 v3, 0, v3, vcc
	v_subrev_u32_e32 v16, 64, v16
	v_add3_u32 v2, v2, v6, v5
	v_add_u32_e32 v3, v3, v7
.LBB609_75:                             ; =>This Loop Header: Depth=1
                                        ;     Child Loop BB609_78 Depth 2
	v_cmp_ne_u16_sdwa s[28:29], v4, v24 src0_sel:BYTE_0 src1_sel:DWORD
	v_mov_b32_e32 v7, v3
	v_cndmask_b32_e64 v3, 0, 1, s[28:29]
	;;#ASMSTART
	;;#ASMEND
	v_cmp_ne_u32_e32 vcc, 0, v3
	s_cmp_lg_u64 vcc, exec
	v_mov_b32_e32 v6, v2
	s_cbranch_scc1 .LBB609_80
; %bb.76:                               ;   in Loop: Header=BB609_75 Depth=1
	v_lshlrev_b64 v[2:3], 4, v[16:17]
	v_mov_b32_e32 v4, s37
	v_add_co_u32_e32 v20, vcc, s36, v2
	v_addc_co_u32_e32 v21, vcc, v4, v3, vcc
	;;#ASMSTART
	global_load_dwordx4 v[2:5], v[20:21] off glc	
s_waitcnt vmcnt(0)
	;;#ASMEND
	v_and_b32_e32 v5, 0xff, v3
	v_and_b32_e32 v37, 0xff00, v3
	v_or3_b32 v5, 0, v5, v37
	v_or3_b32 v2, v2, 0, 0
	v_and_b32_e32 v37, 0xff000000, v3
	v_and_b32_e32 v3, 0xff0000, v3
	v_or3_b32 v3, v5, v3, v37
	v_or3_b32 v2, v2, 0, 0
	v_cmp_eq_u16_sdwa s[52:53], v4, v17 src0_sel:BYTE_0 src1_sel:DWORD
	s_and_saveexec_b64 s[28:29], s[52:53]
	s_cbranch_execz .LBB609_74
; %bb.77:                               ;   in Loop: Header=BB609_75 Depth=1
	s_mov_b64 s[52:53], 0
.LBB609_78:                             ;   Parent Loop BB609_75 Depth=1
                                        ; =>  This Inner Loop Header: Depth=2
	;;#ASMSTART
	global_load_dwordx4 v[2:5], v[20:21] off glc	
s_waitcnt vmcnt(0)
	;;#ASMEND
	v_cmp_ne_u16_sdwa s[58:59], v4, v17 src0_sel:BYTE_0 src1_sel:DWORD
	s_or_b64 s[52:53], s[58:59], s[52:53]
	s_andn2_b64 exec, exec, s[52:53]
	s_cbranch_execnz .LBB609_78
; %bb.79:                               ;   in Loop: Header=BB609_75 Depth=1
	s_or_b64 exec, exec, s[52:53]
	s_branch .LBB609_74
.LBB609_80:                             ;   in Loop: Header=BB609_75 Depth=1
                                        ; implicit-def: $vgpr3
                                        ; implicit-def: $vgpr2
                                        ; implicit-def: $vgpr4
	s_cbranch_execz .LBB609_75
; %bb.81:
	s_and_saveexec_b64 s[28:29], s[26:27]
	s_cbranch_execz .LBB609_83
; %bb.82:
	s_cmp_eq_u32 s54, 0
	s_cselect_b64 vcc, -1, 0
	s_mov_b32 s53, 0
	v_cndmask_b32_e32 v2, 0, v7, vcc
	s_add_i32 s52, s56, 64
	v_add_u32_e32 v2, s55, v2
	s_lshl_b64 s[52:53], s[52:53], 4
	s_add_u32 s52, s36, s52
	v_and_b32_e32 v3, 0xff000000, v2
	v_and_b32_e32 v4, 0xff0000, v2
	s_addc_u32 s53, s37, s53
	v_or_b32_e32 v3, v4, v3
	v_and_b32_e32 v4, 0xff00, v2
	v_and_b32_e32 v2, 0xff, v2
	v_add_u32_e32 v16, s54, v6
	v_mov_b32_e32 v19, 0
	v_or3_b32 v17, v3, v4, v2
	v_mov_b32_e32 v18, 2
	v_pk_mov_b32 v[2:3], s[52:53], s[52:53] op_sel:[0,1]
	;;#ASMSTART
	global_store_dwordx4 v[2:3], v[16:19] off	
s_waitcnt vmcnt(0)
	;;#ASMEND
	v_mov_b32_e32 v4, s54
	v_mov_b32_e32 v5, s55
	ds_write_b128 v19, v[4:7] offset:768
.LBB609_83:
	s_or_b64 exec, exec, s[28:29]
	s_and_b64 exec, exec, s[0:1]
	s_cbranch_execz .LBB609_85
; %bb.84:
	v_mov_b32_e32 v2, 0
	ds_write_b64 v2, v[6:7] offset:800
.LBB609_85:
	s_or_b64 exec, exec, s[50:51]
	v_mov_b32_e32 v4, 0
	s_waitcnt lgkmcnt(0)
	s_barrier
	ds_read_b64 v[2:3], v4 offset:800
	v_cndmask_b32_e64 v6, v22, v14, s[26:27]
	v_cmp_eq_u32_e32 vcc, 0, v6
	v_cndmask_b32_e64 v5, v23, v15, s[26:27]
	s_waitcnt lgkmcnt(0)
	v_cndmask_b32_e32 v7, 0, v3, vcc
	v_add_u32_e32 v5, v7, v5
	v_cndmask_b32_e64 v41, v5, v3, s[0:1]
	v_cndmask_b32_e64 v3, v6, 0, s[0:1]
	v_cmp_eq_u32_e32 vcc, 0, v57
	v_add_u32_e32 v40, v2, v3
	v_cndmask_b32_e32 v2, 0, v41, vcc
	v_add_u32_e32 v39, v2, v42
	v_cndmask_b32_e64 v2, 0, v39, s[24:25]
	v_add_u32_e32 v37, v2, v42
	v_cndmask_b32_e64 v2, 0, v37, s[22:23]
	;; [unrolled: 2-line block ×7, first 2 shown]
	v_add_u32_e32 v25, v2, v42
	v_add_u32_e32 v38, v40, v57
	v_cndmask_b32_e64 v2, 0, v25, s[10:11]
	v_add_u32_e32 v36, v38, v56
	v_add_u32_e32 v23, v2, v42
	v_add_u32_e32 v34, v36, v55
	v_cndmask_b32_e64 v2, 0, v23, s[8:9]
	v_add_u32_e32 v32, v34, v54
	;; [unrolled: 4-line block ×3, first 2 shown]
	v_add_u32_e32 v19, v2, v42
	s_barrier
	ds_read_b128 v[2:5], v4 offset:768
	v_add_u32_e32 v26, v28, v51
	v_add_u32_e32 v24, v26, v50
	;; [unrolled: 1-line block ×4, first 2 shown]
	v_cndmask_b32_e64 v6, 0, v19, s[4:5]
	v_add_u32_e32 v18, v20, v47
	v_add_u32_e32 v15, v6, v42
	s_waitcnt lgkmcnt(0)
	v_cmp_eq_u32_e32 vcc, 0, v2
	v_add_u32_e32 v14, v18, v46
	v_cndmask_b32_e64 v6, 0, v15, s[2:3]
	v_cndmask_b32_e32 v5, 0, v5, vcc
	v_add_u32_e32 v16, v14, v45
	v_add_u32_e32 v17, v6, v42
	;; [unrolled: 1-line block ×3, first 2 shown]
	s_branch .LBB609_98
.LBB609_86:
                                        ; implicit-def: $vgpr2
                                        ; implicit-def: $vgpr6
                                        ; implicit-def: $vgpr16_vgpr17
                                        ; implicit-def: $vgpr14_vgpr15
                                        ; implicit-def: $vgpr18_vgpr19
                                        ; implicit-def: $vgpr20_vgpr21
                                        ; implicit-def: $vgpr40_vgpr41
                                        ; implicit-def: $vgpr38_vgpr39
                                        ; implicit-def: $vgpr36_vgpr37
                                        ; implicit-def: $vgpr34_vgpr35
                                        ; implicit-def: $vgpr32_vgpr33
                                        ; implicit-def: $vgpr30_vgpr31
                                        ; implicit-def: $vgpr28_vgpr29
                                        ; implicit-def: $vgpr26_vgpr27
                                        ; implicit-def: $vgpr24_vgpr25
                                        ; implicit-def: $vgpr22_vgpr23
	s_cbranch_execz .LBB609_98
; %bb.87:
	s_and_b64 s[2:3], s[38:39], exec
	s_cselect_b32 s3, 0, s49
	s_cselect_b32 s2, 0, s48
	s_cmp_eq_u64 s[2:3], 0
	v_mov_b32_e32 v6, v42
	s_cbranch_scc1 .LBB609_89
; %bb.88:
	v_mov_b32_e32 v2, 0
	global_load_dword v6, v2, s[2:3]
.LBB609_89:
	v_cmp_eq_u32_e64 s[2:3], 0, v56
	v_cndmask_b32_e64 v2, 0, v42, s[2:3]
	v_add_u32_e32 v2, v2, v42
	v_cmp_eq_u32_e64 s[4:5], 0, v55
	v_cndmask_b32_e64 v2, 0, v2, s[4:5]
	v_add_u32_e32 v2, v2, v42
	v_cmp_eq_u32_e64 s[6:7], 0, v54
	v_cndmask_b32_e64 v2, 0, v2, s[6:7]
	v_add_u32_e32 v2, v2, v42
	v_cmp_eq_u32_e64 s[8:9], 0, v53
	v_cndmask_b32_e64 v2, 0, v2, s[8:9]
	v_add_u32_e32 v2, v2, v42
	v_cmp_eq_u32_e64 s[10:11], 0, v52
	v_cndmask_b32_e64 v2, 0, v2, s[10:11]
	v_add_u32_e32 v2, v2, v42
	v_cmp_eq_u32_e64 s[12:13], 0, v51
	v_cndmask_b32_e64 v2, 0, v2, s[12:13]
	v_add_u32_e32 v2, v2, v42
	v_cmp_eq_u32_e64 s[14:15], 0, v50
	v_cndmask_b32_e64 v2, 0, v2, s[14:15]
	v_add_u32_e32 v2, v2, v42
	v_cmp_eq_u32_e64 s[16:17], 0, v49
	v_cndmask_b32_e64 v2, 0, v2, s[16:17]
	v_add_u32_e32 v2, v2, v42
	v_cmp_eq_u32_e64 s[18:19], 0, v48
	v_cndmask_b32_e64 v2, 0, v2, s[18:19]
	v_add_u32_e32 v2, v2, v42
	v_cmp_eq_u32_e64 s[20:21], 0, v47
	v_cndmask_b32_e64 v2, 0, v2, s[20:21]
	v_add_u32_e32 v2, v2, v42
	v_cmp_eq_u32_e64 s[22:23], 0, v46
	v_cndmask_b32_e64 v2, 0, v2, s[22:23]
	v_add3_u32 v3, v60, v53, v52
	v_add_u32_e32 v2, v2, v42
	v_cmp_eq_u32_e32 vcc, 0, v45
	v_add3_u32 v3, v3, v51, v50
	v_cndmask_b32_e32 v2, 0, v2, vcc
	v_add3_u32 v3, v3, v49, v48
	v_add_u32_e32 v2, v2, v42
	v_cmp_eq_u32_e64 s[24:25], 0, v44
	v_add3_u32 v3, v3, v47, v46
	v_cndmask_b32_e64 v2, 0, v2, s[24:25]
	v_add3_u32 v3, v3, v45, v44
	v_add_u32_e32 v2, v2, v43
	v_mbcnt_hi_u32_b32 v7, -1, v59
	v_and_b32_e32 v4, 15, v7
	v_mov_b32_dpp v14, v2 row_shr:1 row_mask:0xf bank_mask:0xf
	v_cmp_eq_u32_e64 s[24:25], 0, v3
	v_mov_b32_dpp v5, v3 row_shr:1 row_mask:0xf bank_mask:0xf
	v_cndmask_b32_e64 v14, 0, v14, s[24:25]
	v_cmp_eq_u32_e64 s[24:25], 0, v4
	v_cndmask_b32_e64 v5, v5, 0, s[24:25]
	v_add_u32_e32 v3, v5, v3
	v_cndmask_b32_e64 v5, v14, 0, s[24:25]
	v_add_u32_e32 v2, v5, v2
	v_cmp_eq_u32_e64 s[24:25], 0, v3
	v_mov_b32_dpp v5, v3 row_shr:2 row_mask:0xf bank_mask:0xf
	v_cmp_lt_u32_e64 s[26:27], 1, v4
	v_mov_b32_dpp v14, v2 row_shr:2 row_mask:0xf bank_mask:0xf
	v_cndmask_b32_e64 v5, 0, v5, s[26:27]
	s_and_b64 s[24:25], s[26:27], s[24:25]
	v_cndmask_b32_e64 v14, 0, v14, s[24:25]
	v_add_u32_e32 v3, v3, v5
	v_add_u32_e32 v2, v14, v2
	v_cmp_eq_u32_e64 s[24:25], 0, v3
	v_mov_b32_dpp v5, v3 row_shr:4 row_mask:0xf bank_mask:0xf
	v_cmp_lt_u32_e64 s[26:27], 3, v4
	v_mov_b32_dpp v14, v2 row_shr:4 row_mask:0xf bank_mask:0xf
	v_cndmask_b32_e64 v5, 0, v5, s[26:27]
	s_and_b64 s[24:25], s[26:27], s[24:25]
	v_cndmask_b32_e64 v14, 0, v14, s[24:25]
	v_add_u32_e32 v3, v5, v3
	v_add_u32_e32 v2, v2, v14
	v_cmp_eq_u32_e64 s[24:25], 0, v3
	v_cmp_lt_u32_e64 s[26:27], 7, v4
	v_mov_b32_dpp v5, v3 row_shr:8 row_mask:0xf bank_mask:0xf
	v_mov_b32_dpp v14, v2 row_shr:8 row_mask:0xf bank_mask:0xf
	s_and_b64 s[24:25], s[26:27], s[24:25]
	v_cndmask_b32_e64 v4, 0, v5, s[26:27]
	v_cndmask_b32_e64 v5, 0, v14, s[24:25]
	v_add_u32_e32 v2, v5, v2
	v_add_u32_e32 v3, v4, v3
	v_bfe_i32 v14, v7, 4, 1
	v_mov_b32_dpp v5, v2 row_bcast:15 row_mask:0xf bank_mask:0xf
	v_mov_b32_dpp v4, v3 row_bcast:15 row_mask:0xf bank_mask:0xf
	v_cmp_eq_u32_e64 s[24:25], 0, v3
	v_cndmask_b32_e64 v5, 0, v5, s[24:25]
	v_and_b32_e32 v4, v14, v4
	v_add_u32_e32 v3, v4, v3
	v_and_b32_e32 v4, v14, v5
	v_add_u32_e32 v4, v4, v2
	v_mov_b32_dpp v2, v3 row_bcast:31 row_mask:0xf bank_mask:0xf
	v_cmp_eq_u32_e64 s[24:25], 0, v3
	v_cmp_lt_u32_e64 s[26:27], 31, v7
	v_mov_b32_dpp v5, v4 row_bcast:31 row_mask:0xf bank_mask:0xf
	v_cndmask_b32_e64 v2, 0, v2, s[26:27]
	s_and_b64 s[24:25], s[26:27], s[24:25]
	v_add_u32_e32 v2, v2, v3
	v_cndmask_b32_e64 v3, 0, v5, s[24:25]
	v_add_u32_e32 v3, v3, v4
	v_and_b32_e32 v4, 0xc0, v0
	v_min_u32_e32 v4, 0x80, v4
	v_or_b32_e32 v4, 63, v4
	v_cmp_eq_u32_e64 s[24:25], v4, v0
	v_lshlrev_b32_e32 v5, 3, v58
	s_and_saveexec_b64 s[26:27], s[24:25]
	s_cbranch_execz .LBB609_91
; %bb.90:
	ds_write_b64 v5, v[2:3] offset:784
.LBB609_91:
	s_or_b64 exec, exec, s[26:27]
	v_cmp_gt_u32_e64 s[24:25], 3, v0
	s_waitcnt lgkmcnt(0)
	s_barrier
	s_and_saveexec_b64 s[28:29], s[24:25]
	s_cbranch_execz .LBB609_93
; %bb.92:
	v_lshlrev_b32_e32 v4, 3, v0
	ds_read_b64 v[14:15], v4 offset:784
	v_and_b32_e32 v16, 3, v7
	v_cmp_lt_u32_e64 s[26:27], 1, v16
	s_waitcnt lgkmcnt(0)
	v_mov_b32_dpp v18, v15 row_shr:1 row_mask:0xf bank_mask:0xf
	v_cmp_eq_u32_e64 s[24:25], 0, v14
	v_mov_b32_dpp v17, v14 row_shr:1 row_mask:0xf bank_mask:0xf
	v_cndmask_b32_e64 v18, 0, v18, s[24:25]
	v_cmp_eq_u32_e64 s[24:25], 0, v16
	v_cndmask_b32_e64 v17, v17, 0, s[24:25]
	v_add_u32_e32 v14, v17, v14
	v_cndmask_b32_e64 v17, v18, 0, s[24:25]
	v_add_u32_e32 v15, v17, v15
	v_cmp_eq_u32_e64 s[24:25], 0, v14
	v_mov_b32_dpp v17, v14 row_shr:2 row_mask:0xf bank_mask:0xf
	v_mov_b32_dpp v18, v15 row_shr:2 row_mask:0xf bank_mask:0xf
	v_cndmask_b32_e64 v16, 0, v17, s[26:27]
	s_and_b64 s[24:25], s[26:27], s[24:25]
	v_add_u32_e32 v14, v16, v14
	v_cndmask_b32_e64 v16, 0, v18, s[24:25]
	v_add_u32_e32 v15, v16, v15
	ds_write_b64 v4, v[14:15] offset:784
.LBB609_93:
	s_or_b64 exec, exec, s[28:29]
	v_cmp_lt_u32_e64 s[24:25], 63, v0
	v_mov_b32_e32 v15, 0
	v_mov_b32_e32 v4, 0
	s_waitcnt vmcnt(0)
	v_mov_b32_e32 v14, v6
	s_waitcnt lgkmcnt(0)
	s_barrier
	s_and_saveexec_b64 s[26:27], s[24:25]
	s_cbranch_execz .LBB609_95
; %bb.94:
	ds_read_b64 v[4:5], v5 offset:776
	s_waitcnt lgkmcnt(0)
	v_cmp_eq_u32_e64 s[24:25], 0, v4
	v_cndmask_b32_e64 v14, 0, v6, s[24:25]
	v_add_u32_e32 v14, v14, v5
.LBB609_95:
	s_or_b64 exec, exec, s[26:27]
	v_cmp_eq_u32_e64 s[24:25], 0, v2
	v_add_u32_e32 v5, v4, v2
	v_cndmask_b32_e64 v2, 0, v14, s[24:25]
	v_add_u32_e32 v2, v2, v3
	v_add_u32_e32 v3, -1, v7
	v_and_b32_e32 v16, 64, v7
	v_cmp_lt_i32_e64 s[24:25], v3, v16
	v_cndmask_b32_e64 v3, v3, v7, s[24:25]
	v_lshlrev_b32_e32 v3, 2, v3
	ds_bpermute_b32 v2, v3, v2
	ds_bpermute_b32 v5, v3, v5
	v_cmp_eq_u32_e64 s[24:25], 0, v7
	s_waitcnt lgkmcnt(1)
	v_cndmask_b32_e64 v2, v2, v14, s[24:25]
	s_waitcnt lgkmcnt(0)
	v_cndmask_b32_e64 v3, v5, v4, s[24:25]
	v_cndmask_b32_e64 v41, v2, v6, s[0:1]
	v_cmp_eq_u32_e64 s[24:25], 0, v57
	v_cndmask_b32_e64 v2, 0, v41, s[24:25]
	v_add_u32_e32 v39, v2, v42
	v_cndmask_b32_e64 v2, 0, v39, s[2:3]
	v_add_u32_e32 v37, v2, v42
	;; [unrolled: 2-line block ×7, first 2 shown]
	v_cndmask_b32_e64 v2, 0, v27, s[14:15]
	v_cndmask_b32_e64 v40, v3, 0, s[0:1]
	v_add_u32_e32 v25, v2, v42
	v_add_u32_e32 v38, v40, v57
	v_cndmask_b32_e64 v2, 0, v25, s[16:17]
	v_add_u32_e32 v36, v38, v56
	v_add_u32_e32 v23, v2, v42
	v_add_u32_e32 v34, v36, v55
	v_cndmask_b32_e64 v2, 0, v23, s[18:19]
	v_add_u32_e32 v32, v34, v54
	;; [unrolled: 4-line block ×3, first 2 shown]
	v_add_u32_e32 v19, v2, v42
	ds_read_b64 v[2:3], v15 offset:800
	v_add_u32_e32 v26, v28, v51
	v_add_u32_e32 v24, v26, v50
	;; [unrolled: 1-line block ×3, first 2 shown]
	v_cndmask_b32_e64 v4, 0, v19, s[22:23]
	v_add_u32_e32 v20, v22, v48
	v_add_u32_e32 v15, v4, v42
	;; [unrolled: 1-line block ×3, first 2 shown]
	v_cndmask_b32_e32 v4, 0, v15, vcc
	s_waitcnt lgkmcnt(0)
	v_cmp_eq_u32_e32 vcc, 0, v2
	v_add_u32_e32 v14, v18, v46
	v_add_u32_e32 v17, v4, v42
	v_cndmask_b32_e32 v4, 0, v6, vcc
	v_add_u32_e32 v16, v14, v45
	v_add_u32_e32 v6, v4, v3
	s_and_saveexec_b64 s[2:3], s[0:1]
	s_cbranch_execz .LBB609_97
; %bb.96:
	s_add_u32 s4, s36, 0x400
	v_and_b32_e32 v3, 0xff000000, v6
	v_and_b32_e32 v4, 0xff0000, v6
	s_addc_u32 s5, s37, 0
	v_or_b32_e32 v3, v4, v3
	v_and_b32_e32 v4, 0xff00, v6
	v_and_b32_e32 v7, 0xff, v6
	v_mov_b32_e32 v5, 0
	v_or3_b32 v3, v3, v4, v7
	v_mov_b32_e32 v4, 2
	v_pk_mov_b32 v[42:43], s[4:5], s[4:5] op_sel:[0,1]
	;;#ASMSTART
	global_store_dwordx4 v[42:43], v[2:5] off	
s_waitcnt vmcnt(0)
	;;#ASMEND
.LBB609_97:
	s_or_b64 exec, exec, s[2:3]
	v_mov_b32_e32 v4, 0
.LBB609_98:
	s_and_b64 s[2:3], s[38:39], exec
	s_cselect_b32 s3, 0, s31
	s_cselect_b32 s2, 0, s30
	s_cmp_eq_u64 s[2:3], 0
	v_pk_mov_b32 v[42:43], 0, 0
	s_barrier
	s_cbranch_scc1 .LBB609_100
; %bb.99:
	v_mov_b32_e32 v3, 0
	global_load_dwordx2 v[42:43], v3, s[2:3]
.LBB609_100:
	s_waitcnt vmcnt(0)
	v_lshlrev_b64 v[58:59], 1, v[42:43]
	v_mov_b32_e32 v3, s45
	v_add_co_u32_e32 v7, vcc, s44, v58
	v_mov_b32_e32 v5, 0
	v_addc_co_u32_e32 v60, vcc, v3, v59, vcc
	v_lshlrev_b64 v[58:59], 1, v[4:5]
	v_add_co_u32_e32 v3, vcc, v7, v58
	v_addc_co_u32_e32 v7, vcc, v60, v59, vcc
	v_cmp_eq_u32_e32 vcc, 0, v57
	v_cndmask_b32_e64 v58, 1, 2, vcc
	v_cmp_eq_u32_e32 vcc, 0, v56
	v_cndmask_b32_e64 v59, 1, 2, vcc
	v_cmp_eq_u32_e32 vcc, 0, v55
	v_and_b32_e32 v58, v59, v58
	v_cndmask_b32_e64 v59, 1, 2, vcc
	v_cmp_eq_u32_e32 vcc, 0, v54
	v_and_b32_e32 v58, v58, v59
	;; [unrolled: 3-line block ×12, first 2 shown]
	v_cndmask_b32_e64 v59, 1, 2, vcc
	s_movk_i32 s30, 0xc0
	v_and_b32_e32 v58, v58, v59
	v_cmp_gt_u32_e32 vcc, s30, v2
	v_cmp_ne_u32_e64 s[28:29], 0, v57
	v_cmp_ne_u32_e64 s[26:27], 0, v56
	;; [unrolled: 1-line block ×14, first 2 shown]
	s_mov_b64 s[36:37], -1
	v_cmp_gt_i16_e64 s[30:31], 2, v58
	s_cbranch_vccz .LBB609_107
; %bb.101:
	s_and_saveexec_b64 s[36:37], s[30:31]
	s_cbranch_execz .LBB609_106
; %bb.102:
	v_cmp_ne_u16_e32 vcc, 1, v58
	s_mov_b64 s[38:39], 0
	s_and_saveexec_b64 s[30:31], vcc
	s_xor_b64 s[30:31], exec, s[30:31]
	s_cbranch_execnz .LBB609_139
; %bb.103:
	s_andn2_saveexec_b64 s[30:31], s[30:31]
	s_cbranch_execnz .LBB609_154
.LBB609_104:
	s_or_b64 exec, exec, s[30:31]
	s_and_b64 exec, exec, s[38:39]
	s_cbranch_execz .LBB609_106
.LBB609_105:
	v_sub_u32_e32 v60, v16, v4
	v_mov_b32_e32 v61, 0
	v_lshlrev_b64 v[60:61], 1, v[60:61]
	v_add_co_u32_e32 v60, vcc, v3, v60
	v_addc_co_u32_e32 v61, vcc, v7, v61, vcc
	global_store_short_d16_hi v[60:61], v1, off
.LBB609_106:
	s_or_b64 exec, exec, s[36:37]
	s_mov_b64 s[36:37], 0
.LBB609_107:
	s_and_b64 vcc, exec, s[36:37]
	s_cbranch_vccz .LBB609_117
; %bb.108:
	v_cmp_gt_i16_e32 vcc, 2, v58
	s_and_saveexec_b64 s[30:31], vcc
	s_cbranch_execz .LBB609_113
; %bb.109:
	v_cmp_ne_u16_e32 vcc, 1, v58
	s_mov_b64 s[38:39], 0
	s_and_saveexec_b64 s[36:37], vcc
	s_xor_b64 s[36:37], exec, s[36:37]
	s_cbranch_execnz .LBB609_155
; %bb.110:
	s_andn2_saveexec_b64 s[2:3], s[36:37]
	s_cbranch_execnz .LBB609_170
.LBB609_111:
	s_or_b64 exec, exec, s[2:3]
	s_and_b64 exec, exec, s[38:39]
	s_cbranch_execz .LBB609_113
.LBB609_112:
	v_sub_u32_e32 v8, v16, v4
	v_lshlrev_b32_e32 v8, 1, v8
	ds_write_b16_d16_hi v8, v1
.LBB609_113:
	s_or_b64 exec, exec, s[30:31]
	v_cmp_lt_u32_e32 vcc, v0, v2
	s_waitcnt lgkmcnt(0)
	s_barrier
	s_and_saveexec_b64 s[2:3], vcc
	s_cbranch_execz .LBB609_116
; %bb.114:
	v_lshlrev_b32_e32 v1, 1, v0
	s_mov_b64 s[4:5], 0
	v_mov_b32_e32 v9, 0
	v_mov_b32_e32 v8, v0
.LBB609_115:                            ; =>This Inner Loop Header: Depth=1
	ds_read_u16 v12, v1
	v_lshlrev_b64 v[10:11], 1, v[8:9]
	v_add_co_u32_e32 v10, vcc, v3, v10
	v_add_u32_e32 v8, 0xc0, v8
	v_addc_co_u32_e32 v11, vcc, v7, v11, vcc
	v_cmp_ge_u32_e32 vcc, v8, v2
	v_add_u32_e32 v1, 0x180, v1
	s_or_b64 s[4:5], vcc, s[4:5]
	s_waitcnt lgkmcnt(0)
	global_store_short v[10:11], v12, off
	s_andn2_b64 exec, exec, s[4:5]
	s_cbranch_execnz .LBB609_115
.LBB609_116:
	s_or_b64 exec, exec, s[2:3]
.LBB609_117:
	s_cmpk_lg_i32 s33, 0xa80
	s_cselect_b64 s[2:3], -1, 0
	v_cndmask_b32_e64 v11, 0, 1, s[42:43]
	s_and_b64 s[2:3], s[2:3], s[40:41]
	v_sub_u32_e32 v1, v2, v11
	v_cndmask_b32_e64 v3, 0, 1, s[2:3]
	s_and_b64 s[0:1], s[0:1], s[42:43]
	v_add_u32_e32 v1, v1, v3
	v_cndmask_b32_e64 v3, v57, 0, s[0:1]
	s_lshr_b32 s0, s33, 1
	s_mul_hi_u32 s0, s0, 0x92492493
	s_lshr_b32 s0, s0, 2
	v_mad_i32_i24 v7, v0, -14, s33
	v_cmp_eq_u32_e32 vcc, s0, v0
	v_cmp_ne_u32_e64 s[0:1], 0, v7
	v_cndmask_b32_e64 v8, 1, v3, s[0:1]
	v_cmp_ne_u32_e64 s[0:1], 1, v7
	v_cndmask_b32_e64 v9, 1, v56, s[0:1]
	;; [unrolled: 2-line block ×13, first 2 shown]
	v_cmp_ne_u32_e64 s[0:1], 13, v7
	s_and_b64 vcc, vcc, s[40:41]
	v_cndmask_b32_e64 v7, 1, v44, s[0:1]
	v_cndmask_b32_e32 v13, v53, v13, vcc
	v_cndmask_b32_e32 v12, v54, v12, vcc
	;; [unrolled: 1-line block ×5, first 2 shown]
	v_lshlrev_b64 v[8:9], 3, v[42:43]
	v_cndmask_b32_e32 v44, v44, v7, vcc
	v_cndmask_b32_e32 v45, v45, v64, vcc
	;; [unrolled: 1-line block ×9, first 2 shown]
	v_mov_b32_e32 v3, s47
	v_add_co_u32_e32 v7, vcc, s46, v8
	v_addc_co_u32_e32 v3, vcc, v3, v9, vcc
	v_lshlrev_b64 v[8:9], 3, v[4:5]
	v_add_co_u32_e32 v5, vcc, v7, v8
	v_addc_co_u32_e32 v10, vcc, v3, v9, vcc
	v_lshlrev_b32_e32 v3, 3, v11
	v_add_co_u32_e32 v3, vcc, v3, v5
	v_addc_co_u32_e32 v7, vcc, 0, v10, vcc
	v_add_co_u32_e32 v3, vcc, -8, v3
	v_addc_co_u32_e32 v7, vcc, -1, v7, vcc
	v_cmp_eq_u32_e32 vcc, 0, v55
	v_cndmask_b32_e64 v9, 1, 2, vcc
	v_cmp_eq_u32_e32 vcc, 0, v54
	v_add_u32_e32 v8, v4, v11
	v_cndmask_b32_e64 v11, 1, 2, vcc
	v_cmp_eq_u32_e32 vcc, 0, v53
	v_and_b32_e32 v9, v11, v9
	v_cndmask_b32_e64 v11, 1, 2, vcc
	v_cmp_eq_u32_e32 vcc, 0, v12
	v_and_b32_e32 v9, v9, v11
	;; [unrolled: 3-line block ×12, first 2 shown]
	v_cndmask_b32_e64 v11, 1, 2, vcc
	s_movk_i32 s28, 0xc0
	v_and_b32_e32 v9, v9, v11
	v_cmp_gt_u32_e32 vcc, s28, v1
	v_cmp_ne_u32_e64 s[26:27], 0, v55
	v_cmp_ne_u32_e64 s[24:25], 0, v54
	v_cmp_ne_u32_e64 s[22:23], 0, v53
	v_cmp_ne_u32_e64 s[20:21], 0, v12
	v_cmp_ne_u32_e64 s[18:19], 0, v13
	v_cmp_ne_u32_e64 s[16:17], 0, v52
	v_cmp_ne_u32_e64 s[14:15], 0, v51
	v_cmp_ne_u32_e64 s[12:13], 0, v50
	v_cmp_ne_u32_e64 s[10:11], 0, v49
	v_cmp_ne_u32_e64 s[8:9], 0, v48
	v_cmp_ne_u32_e64 s[6:7], 0, v47
	v_cmp_ne_u32_e64 s[4:5], 0, v46
	v_cmp_ne_u32_e64 s[2:3], 0, v45
	v_cmp_ne_u32_e64 s[0:1], 0, v44
	s_mov_b64 s[30:31], -1
	v_cmp_gt_i16_e64 s[28:29], 2, v9
	s_barrier
	s_cbranch_vccz .LBB609_124
; %bb.118:
	s_and_saveexec_b64 s[30:31], s[28:29]
	s_cbranch_execz .LBB609_123
; %bb.119:
	v_cmp_ne_u16_e32 vcc, 1, v9
	s_mov_b64 s[36:37], 0
	s_and_saveexec_b64 s[28:29], vcc
	s_xor_b64 s[28:29], exec, s[28:29]
	s_cbranch_execnz .LBB609_171
; %bb.120:
	s_andn2_saveexec_b64 s[28:29], s[28:29]
	s_cbranch_execnz .LBB609_186
.LBB609_121:
	s_or_b64 exec, exec, s[28:29]
	s_and_b64 exec, exec, s[36:37]
	s_cbranch_execz .LBB609_123
.LBB609_122:
	v_mov_b32_e32 v13, 0
	v_sub_u32_e32 v44, v16, v8
	v_mov_b32_e32 v45, v13
	v_lshlrev_b64 v[44:45], 3, v[44:45]
	v_add_co_u32_e32 v44, vcc, v3, v44
	v_mov_b32_e32 v12, v17
	v_addc_co_u32_e32 v45, vcc, v7, v45, vcc
	global_store_dwordx2 v[44:45], v[12:13], off
.LBB609_123:
	s_or_b64 exec, exec, s[30:31]
	s_mov_b64 s[30:31], 0
.LBB609_124:
	s_and_b64 vcc, exec, s[30:31]
	s_cbranch_vccz .LBB609_134
; %bb.125:
	v_cmp_gt_i16_e32 vcc, 2, v9
	s_and_saveexec_b64 s[28:29], vcc
	s_cbranch_execz .LBB609_130
; %bb.126:
	v_cmp_ne_u16_e32 vcc, 1, v9
	s_mov_b64 s[36:37], 0
	s_and_saveexec_b64 s[30:31], vcc
	s_xor_b64 s[30:31], exec, s[30:31]
	s_cbranch_execnz .LBB609_187
; %bb.127:
	s_andn2_saveexec_b64 s[0:1], s[30:31]
	s_cbranch_execnz .LBB609_202
.LBB609_128:
	s_or_b64 exec, exec, s[0:1]
	s_and_b64 exec, exec, s[36:37]
	s_cbranch_execz .LBB609_130
.LBB609_129:
	v_sub_u32_e32 v8, v16, v8
	v_lshlrev_b32_e32 v8, 2, v8
	ds_write_b32 v8, v17
.LBB609_130:
	s_or_b64 exec, exec, s[28:29]
	v_cmp_lt_u32_e32 vcc, v0, v1
	s_waitcnt lgkmcnt(0)
	s_barrier
	s_and_saveexec_b64 s[0:1], vcc
	s_cbranch_execz .LBB609_133
; %bb.131:
	v_lshlrev_b32_e32 v11, 2, v0
	s_mov_b64 s[2:3], 0
	v_mov_b32_e32 v9, 0
	v_mov_b32_e32 v8, v0
.LBB609_132:                            ; =>This Inner Loop Header: Depth=1
	ds_read_b32 v12, v11
	v_lshlrev_b64 v[14:15], 3, v[8:9]
	v_add_co_u32_e32 v14, vcc, v3, v14
	v_add_u32_e32 v8, 0xc0, v8
	v_addc_co_u32_e32 v15, vcc, v7, v15, vcc
	v_cmp_ge_u32_e32 vcc, v8, v1
	v_mov_b32_e32 v13, v9
	v_add_u32_e32 v11, 0x300, v11
	s_or_b64 s[2:3], vcc, s[2:3]
	s_waitcnt lgkmcnt(0)
	global_store_dwordx2 v[14:15], v[12:13], off
	s_andn2_b64 exec, exec, s[2:3]
	s_cbranch_execnz .LBB609_132
.LBB609_133:
	s_or_b64 exec, exec, s[0:1]
.LBB609_134:
	s_movk_i32 s0, 0xbf
	v_cmp_eq_u32_e32 vcc, s0, v0
	s_and_b64 s[0:1], vcc, s[40:41]
	s_and_saveexec_b64 s[2:3], s[0:1]
	s_cbranch_execz .LBB609_137
; %bb.135:
	v_add_co_u32_e32 v0, vcc, v2, v4
	v_addc_co_u32_e64 v1, s[0:1], 0, 0, vcc
	v_add_co_u32_e32 v0, vcc, v0, v42
	v_mov_b32_e32 v3, 0
	v_addc_co_u32_e32 v1, vcc, v1, v43, vcc
	s_cmpk_lg_i32 s33, 0xa80
	global_store_dwordx2 v3, v[0:1], s[34:35]
	s_cbranch_scc1 .LBB609_137
; %bb.136:
	v_lshlrev_b64 v[0:1], 3, v[2:3]
	v_add_co_u32_e32 v0, vcc, v5, v0
	v_mov_b32_e32 v7, v3
	v_addc_co_u32_e32 v1, vcc, v10, v1, vcc
	global_store_dwordx2 v[0:1], v[6:7], off offset:-8
.LBB609_137:
	s_endpgm
.LBB609_138:
	s_or_b64 exec, exec, s[4:5]
	v_mov_b32_e32 v57, s14
	s_and_saveexec_b64 s[2:3], s[6:7]
	s_cbranch_execnz .LBB609_58
	s_branch .LBB609_59
.LBB609_139:
	s_and_saveexec_b64 s[38:39], s[28:29]
	s_cbranch_execnz .LBB609_203
; %bb.140:
	s_or_b64 exec, exec, s[38:39]
	s_and_saveexec_b64 s[38:39], s[26:27]
	s_cbranch_execnz .LBB609_204
.LBB609_141:
	s_or_b64 exec, exec, s[38:39]
	s_and_saveexec_b64 s[38:39], s[24:25]
	s_cbranch_execnz .LBB609_205
.LBB609_142:
	s_or_b64 exec, exec, s[38:39]
	s_and_saveexec_b64 s[38:39], s[22:23]
	s_cbranch_execnz .LBB609_206
.LBB609_143:
	s_or_b64 exec, exec, s[38:39]
	s_and_saveexec_b64 s[38:39], s[20:21]
	s_cbranch_execnz .LBB609_207
.LBB609_144:
	s_or_b64 exec, exec, s[38:39]
	s_and_saveexec_b64 s[38:39], s[18:19]
	s_cbranch_execnz .LBB609_208
.LBB609_145:
	s_or_b64 exec, exec, s[38:39]
	s_and_saveexec_b64 s[38:39], s[16:17]
	s_cbranch_execnz .LBB609_209
.LBB609_146:
	s_or_b64 exec, exec, s[38:39]
	s_and_saveexec_b64 s[38:39], s[14:15]
	s_cbranch_execnz .LBB609_210
.LBB609_147:
	s_or_b64 exec, exec, s[38:39]
	s_and_saveexec_b64 s[38:39], s[12:13]
	s_cbranch_execnz .LBB609_211
.LBB609_148:
	s_or_b64 exec, exec, s[38:39]
	s_and_saveexec_b64 s[38:39], s[10:11]
	s_cbranch_execnz .LBB609_212
.LBB609_149:
	s_or_b64 exec, exec, s[38:39]
	s_and_saveexec_b64 s[38:39], s[8:9]
	s_cbranch_execnz .LBB609_213
.LBB609_150:
	s_or_b64 exec, exec, s[38:39]
	s_and_saveexec_b64 s[38:39], s[6:7]
	s_cbranch_execnz .LBB609_214
.LBB609_151:
	s_or_b64 exec, exec, s[38:39]
	s_and_saveexec_b64 s[38:39], s[4:5]
	s_cbranch_execz .LBB609_153
.LBB609_152:
	v_sub_u32_e32 v60, v14, v4
	v_mov_b32_e32 v61, 0
	v_lshlrev_b64 v[60:61], 1, v[60:61]
	v_add_co_u32_e32 v60, vcc, v3, v60
	v_addc_co_u32_e32 v61, vcc, v7, v61, vcc
	global_store_short v[60:61], v1, off
.LBB609_153:
	s_or_b64 exec, exec, s[38:39]
	s_and_b64 s[38:39], s[2:3], exec
	s_andn2_saveexec_b64 s[30:31], s[30:31]
	s_cbranch_execz .LBB609_104
.LBB609_154:
	v_sub_u32_e32 v60, v40, v4
	v_mov_b32_e32 v61, 0
	v_lshlrev_b64 v[62:63], 1, v[60:61]
	v_add_co_u32_e32 v62, vcc, v3, v62
	v_addc_co_u32_e32 v63, vcc, v7, v63, vcc
	v_sub_u32_e32 v60, v38, v4
	global_store_short v[62:63], v12, off
	v_lshlrev_b64 v[62:63], 1, v[60:61]
	v_add_co_u32_e32 v62, vcc, v3, v62
	v_addc_co_u32_e32 v63, vcc, v7, v63, vcc
	v_sub_u32_e32 v60, v36, v4
	global_store_short_d16_hi v[62:63], v12, off
	v_lshlrev_b64 v[62:63], 1, v[60:61]
	v_add_co_u32_e32 v62, vcc, v3, v62
	v_addc_co_u32_e32 v63, vcc, v7, v63, vcc
	v_sub_u32_e32 v60, v34, v4
	global_store_short v[62:63], v13, off
	v_lshlrev_b64 v[62:63], 1, v[60:61]
	v_add_co_u32_e32 v62, vcc, v3, v62
	v_addc_co_u32_e32 v63, vcc, v7, v63, vcc
	v_sub_u32_e32 v60, v32, v4
	global_store_short_d16_hi v[62:63], v13, off
	;; [unrolled: 10-line block ×5, first 2 shown]
	v_lshlrev_b64 v[62:63], 1, v[60:61]
	v_add_co_u32_e32 v62, vcc, v3, v62
	v_addc_co_u32_e32 v63, vcc, v7, v63, vcc
	v_sub_u32_e32 v60, v18, v4
	global_store_short v[62:63], v9, off
	v_lshlrev_b64 v[62:63], 1, v[60:61]
	v_add_co_u32_e32 v62, vcc, v3, v62
	v_sub_u32_e32 v60, v14, v4
	v_addc_co_u32_e32 v63, vcc, v7, v63, vcc
	v_lshlrev_b64 v[60:61], 1, v[60:61]
	v_add_co_u32_e32 v60, vcc, v3, v60
	v_addc_co_u32_e32 v61, vcc, v7, v61, vcc
	s_or_b64 s[38:39], s[38:39], exec
	global_store_short_d16_hi v[62:63], v9, off
	global_store_short v[60:61], v1, off
	s_or_b64 exec, exec, s[30:31]
	s_and_b64 exec, exec, s[38:39]
	s_cbranch_execnz .LBB609_105
	s_branch .LBB609_106
.LBB609_155:
	s_and_saveexec_b64 s[38:39], s[28:29]
	s_cbranch_execnz .LBB609_215
; %bb.156:
	s_or_b64 exec, exec, s[38:39]
	s_and_saveexec_b64 s[28:29], s[26:27]
	s_cbranch_execnz .LBB609_216
.LBB609_157:
	s_or_b64 exec, exec, s[28:29]
	s_and_saveexec_b64 s[26:27], s[24:25]
	s_cbranch_execnz .LBB609_217
.LBB609_158:
	s_or_b64 exec, exec, s[26:27]
	s_and_saveexec_b64 s[24:25], s[22:23]
	s_cbranch_execnz .LBB609_218
.LBB609_159:
	s_or_b64 exec, exec, s[24:25]
	s_and_saveexec_b64 s[22:23], s[20:21]
	s_cbranch_execnz .LBB609_219
.LBB609_160:
	s_or_b64 exec, exec, s[22:23]
	s_and_saveexec_b64 s[20:21], s[18:19]
	s_cbranch_execnz .LBB609_220
.LBB609_161:
	s_or_b64 exec, exec, s[20:21]
	s_and_saveexec_b64 s[18:19], s[16:17]
	s_cbranch_execnz .LBB609_221
.LBB609_162:
	s_or_b64 exec, exec, s[18:19]
	s_and_saveexec_b64 s[16:17], s[14:15]
	s_cbranch_execnz .LBB609_222
.LBB609_163:
	s_or_b64 exec, exec, s[16:17]
	s_and_saveexec_b64 s[14:15], s[12:13]
	s_cbranch_execnz .LBB609_223
.LBB609_164:
	s_or_b64 exec, exec, s[14:15]
	s_and_saveexec_b64 s[12:13], s[10:11]
	s_cbranch_execnz .LBB609_224
.LBB609_165:
	s_or_b64 exec, exec, s[12:13]
	s_and_saveexec_b64 s[10:11], s[8:9]
	s_cbranch_execnz .LBB609_225
.LBB609_166:
	s_or_b64 exec, exec, s[10:11]
	s_and_saveexec_b64 s[8:9], s[6:7]
	s_cbranch_execnz .LBB609_226
.LBB609_167:
	s_or_b64 exec, exec, s[8:9]
	s_and_saveexec_b64 s[6:7], s[4:5]
	s_cbranch_execz .LBB609_169
.LBB609_168:
	v_sub_u32_e32 v8, v14, v4
	v_lshlrev_b32_e32 v8, 1, v8
	ds_write_b16 v8, v1
.LBB609_169:
	s_or_b64 exec, exec, s[6:7]
	s_and_b64 s[38:39], s[2:3], exec
                                        ; implicit-def: $vgpr12
                                        ; implicit-def: $vgpr10
                                        ; implicit-def: $vgpr8
	s_andn2_saveexec_b64 s[2:3], s[36:37]
	s_cbranch_execz .LBB609_111
.LBB609_170:
	v_sub_u32_e32 v58, v40, v4
	v_lshlrev_b32_e32 v58, 1, v58
	ds_write_b16 v58, v12
	v_sub_u32_e32 v58, v38, v4
	v_lshlrev_b32_e32 v58, 1, v58
	ds_write_b16_d16_hi v58, v12
	v_sub_u32_e32 v12, v36, v4
	v_lshlrev_b32_e32 v12, 1, v12
	ds_write_b16 v12, v13
	v_sub_u32_e32 v12, v34, v4
	v_lshlrev_b32_e32 v12, 1, v12
	ds_write_b16_d16_hi v12, v13
	;; [unrolled: 6-line block ×6, first 2 shown]
	v_sub_u32_e32 v8, v14, v4
	v_lshlrev_b32_e32 v8, 1, v8
	s_or_b64 s[38:39], s[38:39], exec
	ds_write_b16 v8, v1
	s_or_b64 exec, exec, s[2:3]
	s_and_b64 exec, exec, s[38:39]
	s_cbranch_execnz .LBB609_112
	s_branch .LBB609_113
.LBB609_171:
	s_and_saveexec_b64 s[36:37], s[26:27]
	s_cbranch_execnz .LBB609_227
; %bb.172:
	s_or_b64 exec, exec, s[36:37]
	s_and_saveexec_b64 s[36:37], s[24:25]
	s_cbranch_execnz .LBB609_228
.LBB609_173:
	s_or_b64 exec, exec, s[36:37]
	s_and_saveexec_b64 s[36:37], s[22:23]
	s_cbranch_execnz .LBB609_229
.LBB609_174:
	s_or_b64 exec, exec, s[36:37]
	s_and_saveexec_b64 s[36:37], s[20:21]
	s_cbranch_execnz .LBB609_230
.LBB609_175:
	s_or_b64 exec, exec, s[36:37]
	s_and_saveexec_b64 s[36:37], s[18:19]
	s_cbranch_execnz .LBB609_231
.LBB609_176:
	s_or_b64 exec, exec, s[36:37]
	s_and_saveexec_b64 s[36:37], s[16:17]
	s_cbranch_execnz .LBB609_232
.LBB609_177:
	s_or_b64 exec, exec, s[36:37]
	s_and_saveexec_b64 s[36:37], s[14:15]
	s_cbranch_execnz .LBB609_233
.LBB609_178:
	s_or_b64 exec, exec, s[36:37]
	s_and_saveexec_b64 s[36:37], s[12:13]
	s_cbranch_execnz .LBB609_234
.LBB609_179:
	s_or_b64 exec, exec, s[36:37]
	s_and_saveexec_b64 s[36:37], s[10:11]
	s_cbranch_execnz .LBB609_235
.LBB609_180:
	s_or_b64 exec, exec, s[36:37]
	s_and_saveexec_b64 s[36:37], s[8:9]
	s_cbranch_execnz .LBB609_236
.LBB609_181:
	s_or_b64 exec, exec, s[36:37]
	s_and_saveexec_b64 s[36:37], s[6:7]
	s_cbranch_execnz .LBB609_237
.LBB609_182:
	s_or_b64 exec, exec, s[36:37]
	s_and_saveexec_b64 s[36:37], s[4:5]
	s_cbranch_execnz .LBB609_238
.LBB609_183:
	s_or_b64 exec, exec, s[36:37]
	s_and_saveexec_b64 s[36:37], s[2:3]
	s_cbranch_execz .LBB609_185
.LBB609_184:
	v_sub_u32_e32 v12, v14, v8
	v_mov_b32_e32 v13, 0
	v_lshlrev_b64 v[44:45], 3, v[12:13]
	v_add_co_u32_e32 v44, vcc, v3, v44
	v_addc_co_u32_e32 v45, vcc, v7, v45, vcc
	v_mov_b32_e32 v12, v15
	global_store_dwordx2 v[44:45], v[12:13], off
.LBB609_185:
	s_or_b64 exec, exec, s[36:37]
	s_and_b64 s[36:37], s[0:1], exec
	s_andn2_saveexec_b64 s[28:29], s[28:29]
	s_cbranch_execz .LBB609_121
.LBB609_186:
	v_mov_b32_e32 v13, 0
	v_sub_u32_e32 v44, v40, v8
	v_mov_b32_e32 v45, v13
	v_lshlrev_b64 v[44:45], 3, v[44:45]
	v_add_co_u32_e32 v44, vcc, v3, v44
	v_mov_b32_e32 v12, v41
	v_addc_co_u32_e32 v45, vcc, v7, v45, vcc
	global_store_dwordx2 v[44:45], v[12:13], off
	v_sub_u32_e32 v44, v38, v8
	v_mov_b32_e32 v45, v13
	v_lshlrev_b64 v[44:45], 3, v[44:45]
	v_add_co_u32_e32 v44, vcc, v3, v44
	v_mov_b32_e32 v12, v39
	v_addc_co_u32_e32 v45, vcc, v7, v45, vcc
	global_store_dwordx2 v[44:45], v[12:13], off
	v_sub_u32_e32 v44, v36, v8
	v_mov_b32_e32 v45, v13
	v_lshlrev_b64 v[44:45], 3, v[44:45]
	v_add_co_u32_e32 v44, vcc, v3, v44
	v_mov_b32_e32 v12, v37
	v_addc_co_u32_e32 v45, vcc, v7, v45, vcc
	global_store_dwordx2 v[44:45], v[12:13], off
	v_sub_u32_e32 v44, v34, v8
	v_mov_b32_e32 v45, v13
	v_lshlrev_b64 v[44:45], 3, v[44:45]
	v_add_co_u32_e32 v44, vcc, v3, v44
	v_mov_b32_e32 v12, v35
	v_addc_co_u32_e32 v45, vcc, v7, v45, vcc
	global_store_dwordx2 v[44:45], v[12:13], off
	v_sub_u32_e32 v44, v32, v8
	v_mov_b32_e32 v45, v13
	v_lshlrev_b64 v[44:45], 3, v[44:45]
	v_add_co_u32_e32 v44, vcc, v3, v44
	v_mov_b32_e32 v12, v33
	v_addc_co_u32_e32 v45, vcc, v7, v45, vcc
	global_store_dwordx2 v[44:45], v[12:13], off
	v_sub_u32_e32 v44, v30, v8
	v_mov_b32_e32 v45, v13
	v_lshlrev_b64 v[44:45], 3, v[44:45]
	v_add_co_u32_e32 v44, vcc, v3, v44
	v_mov_b32_e32 v12, v31
	v_addc_co_u32_e32 v45, vcc, v7, v45, vcc
	global_store_dwordx2 v[44:45], v[12:13], off
	v_sub_u32_e32 v44, v28, v8
	v_mov_b32_e32 v45, v13
	v_lshlrev_b64 v[44:45], 3, v[44:45]
	v_add_co_u32_e32 v44, vcc, v3, v44
	v_mov_b32_e32 v12, v29
	v_addc_co_u32_e32 v45, vcc, v7, v45, vcc
	global_store_dwordx2 v[44:45], v[12:13], off
	v_sub_u32_e32 v44, v26, v8
	v_mov_b32_e32 v45, v13
	v_lshlrev_b64 v[44:45], 3, v[44:45]
	v_add_co_u32_e32 v44, vcc, v3, v44
	v_mov_b32_e32 v12, v27
	v_addc_co_u32_e32 v45, vcc, v7, v45, vcc
	global_store_dwordx2 v[44:45], v[12:13], off
	v_sub_u32_e32 v44, v24, v8
	v_mov_b32_e32 v45, v13
	v_lshlrev_b64 v[44:45], 3, v[44:45]
	v_add_co_u32_e32 v44, vcc, v3, v44
	v_mov_b32_e32 v12, v25
	v_addc_co_u32_e32 v45, vcc, v7, v45, vcc
	global_store_dwordx2 v[44:45], v[12:13], off
	v_sub_u32_e32 v44, v22, v8
	v_mov_b32_e32 v45, v13
	v_lshlrev_b64 v[44:45], 3, v[44:45]
	v_add_co_u32_e32 v44, vcc, v3, v44
	v_mov_b32_e32 v12, v23
	v_addc_co_u32_e32 v45, vcc, v7, v45, vcc
	global_store_dwordx2 v[44:45], v[12:13], off
	v_sub_u32_e32 v44, v20, v8
	v_mov_b32_e32 v45, v13
	v_lshlrev_b64 v[44:45], 3, v[44:45]
	v_add_co_u32_e32 v44, vcc, v3, v44
	v_mov_b32_e32 v12, v21
	v_addc_co_u32_e32 v45, vcc, v7, v45, vcc
	global_store_dwordx2 v[44:45], v[12:13], off
	v_sub_u32_e32 v44, v18, v8
	v_mov_b32_e32 v45, v13
	v_lshlrev_b64 v[44:45], 3, v[44:45]
	v_add_co_u32_e32 v44, vcc, v3, v44
	v_mov_b32_e32 v12, v19
	v_addc_co_u32_e32 v45, vcc, v7, v45, vcc
	global_store_dwordx2 v[44:45], v[12:13], off
	v_sub_u32_e32 v44, v14, v8
	v_mov_b32_e32 v45, v13
	v_lshlrev_b64 v[44:45], 3, v[44:45]
	v_add_co_u32_e32 v44, vcc, v3, v44
	v_mov_b32_e32 v12, v15
	v_addc_co_u32_e32 v45, vcc, v7, v45, vcc
	s_or_b64 s[36:37], s[36:37], exec
	global_store_dwordx2 v[44:45], v[12:13], off
	s_or_b64 exec, exec, s[28:29]
	s_and_b64 exec, exec, s[36:37]
	s_cbranch_execnz .LBB609_122
	s_branch .LBB609_123
.LBB609_187:
	s_and_saveexec_b64 s[36:37], s[26:27]
	s_cbranch_execnz .LBB609_239
; %bb.188:
	s_or_b64 exec, exec, s[36:37]
	s_and_saveexec_b64 s[26:27], s[24:25]
	s_cbranch_execnz .LBB609_240
.LBB609_189:
	s_or_b64 exec, exec, s[26:27]
	s_and_saveexec_b64 s[24:25], s[22:23]
	s_cbranch_execnz .LBB609_241
.LBB609_190:
	s_or_b64 exec, exec, s[24:25]
	s_and_saveexec_b64 s[22:23], s[20:21]
	s_cbranch_execnz .LBB609_242
.LBB609_191:
	s_or_b64 exec, exec, s[22:23]
	s_and_saveexec_b64 s[20:21], s[18:19]
	s_cbranch_execnz .LBB609_243
.LBB609_192:
	s_or_b64 exec, exec, s[20:21]
	s_and_saveexec_b64 s[18:19], s[16:17]
	s_cbranch_execnz .LBB609_244
.LBB609_193:
	s_or_b64 exec, exec, s[18:19]
	s_and_saveexec_b64 s[16:17], s[14:15]
	s_cbranch_execnz .LBB609_245
.LBB609_194:
	s_or_b64 exec, exec, s[16:17]
	s_and_saveexec_b64 s[14:15], s[12:13]
	s_cbranch_execnz .LBB609_246
.LBB609_195:
	s_or_b64 exec, exec, s[14:15]
	s_and_saveexec_b64 s[12:13], s[10:11]
	s_cbranch_execnz .LBB609_247
.LBB609_196:
	s_or_b64 exec, exec, s[12:13]
	s_and_saveexec_b64 s[10:11], s[8:9]
	s_cbranch_execnz .LBB609_248
.LBB609_197:
	s_or_b64 exec, exec, s[10:11]
	s_and_saveexec_b64 s[8:9], s[6:7]
	s_cbranch_execnz .LBB609_249
.LBB609_198:
	s_or_b64 exec, exec, s[8:9]
	s_and_saveexec_b64 s[6:7], s[4:5]
	s_cbranch_execnz .LBB609_250
.LBB609_199:
	s_or_b64 exec, exec, s[6:7]
	s_and_saveexec_b64 s[4:5], s[2:3]
	s_cbranch_execz .LBB609_201
.LBB609_200:
	v_sub_u32_e32 v9, v14, v8
	v_lshlrev_b32_e32 v9, 2, v9
	ds_write_b32 v9, v15
.LBB609_201:
	s_or_b64 exec, exec, s[4:5]
	s_and_b64 s[36:37], s[0:1], exec
                                        ; implicit-def: $vgpr14_vgpr15
                                        ; implicit-def: $vgpr18_vgpr19
                                        ; implicit-def: $vgpr20_vgpr21
                                        ; implicit-def: $vgpr40_vgpr41
                                        ; implicit-def: $vgpr38_vgpr39
                                        ; implicit-def: $vgpr36_vgpr37
                                        ; implicit-def: $vgpr34_vgpr35
                                        ; implicit-def: $vgpr32_vgpr33
                                        ; implicit-def: $vgpr30_vgpr31
                                        ; implicit-def: $vgpr28_vgpr29
                                        ; implicit-def: $vgpr26_vgpr27
                                        ; implicit-def: $vgpr24_vgpr25
                                        ; implicit-def: $vgpr22_vgpr23
	s_andn2_saveexec_b64 s[0:1], s[30:31]
	s_cbranch_execz .LBB609_128
.LBB609_202:
	v_sub_u32_e32 v9, v40, v8
	v_lshlrev_b32_e32 v9, 2, v9
	ds_write_b32 v9, v41
	v_sub_u32_e32 v9, v38, v8
	v_lshlrev_b32_e32 v9, 2, v9
	ds_write_b32 v9, v39
	;; [unrolled: 3-line block ×12, first 2 shown]
	v_sub_u32_e32 v9, v14, v8
	v_lshlrev_b32_e32 v9, 2, v9
	s_or_b64 s[36:37], s[36:37], exec
	ds_write_b32 v9, v15
	s_or_b64 exec, exec, s[0:1]
	s_and_b64 exec, exec, s[36:37]
	s_cbranch_execnz .LBB609_129
	s_branch .LBB609_130
.LBB609_203:
	v_sub_u32_e32 v60, v40, v4
	v_mov_b32_e32 v61, 0
	v_lshlrev_b64 v[60:61], 1, v[60:61]
	v_add_co_u32_e32 v60, vcc, v3, v60
	v_addc_co_u32_e32 v61, vcc, v7, v61, vcc
	global_store_short v[60:61], v12, off
	s_or_b64 exec, exec, s[38:39]
	s_and_saveexec_b64 s[38:39], s[26:27]
	s_cbranch_execz .LBB609_141
.LBB609_204:
	v_sub_u32_e32 v60, v38, v4
	v_mov_b32_e32 v61, 0
	v_lshlrev_b64 v[60:61], 1, v[60:61]
	v_add_co_u32_e32 v60, vcc, v3, v60
	v_addc_co_u32_e32 v61, vcc, v7, v61, vcc
	global_store_short_d16_hi v[60:61], v12, off
	s_or_b64 exec, exec, s[38:39]
	s_and_saveexec_b64 s[38:39], s[24:25]
	s_cbranch_execz .LBB609_142
.LBB609_205:
	v_sub_u32_e32 v60, v36, v4
	v_mov_b32_e32 v61, 0
	v_lshlrev_b64 v[60:61], 1, v[60:61]
	v_add_co_u32_e32 v60, vcc, v3, v60
	v_addc_co_u32_e32 v61, vcc, v7, v61, vcc
	global_store_short v[60:61], v13, off
	s_or_b64 exec, exec, s[38:39]
	s_and_saveexec_b64 s[38:39], s[22:23]
	s_cbranch_execz .LBB609_143
.LBB609_206:
	v_sub_u32_e32 v60, v34, v4
	v_mov_b32_e32 v61, 0
	v_lshlrev_b64 v[60:61], 1, v[60:61]
	v_add_co_u32_e32 v60, vcc, v3, v60
	v_addc_co_u32_e32 v61, vcc, v7, v61, vcc
	global_store_short_d16_hi v[60:61], v13, off
	s_or_b64 exec, exec, s[38:39]
	s_and_saveexec_b64 s[38:39], s[20:21]
	s_cbranch_execz .LBB609_144
.LBB609_207:
	v_sub_u32_e32 v60, v32, v4
	v_mov_b32_e32 v61, 0
	v_lshlrev_b64 v[60:61], 1, v[60:61]
	v_add_co_u32_e32 v60, vcc, v3, v60
	v_addc_co_u32_e32 v61, vcc, v7, v61, vcc
	global_store_short v[60:61], v10, off
	s_or_b64 exec, exec, s[38:39]
	s_and_saveexec_b64 s[38:39], s[18:19]
	s_cbranch_execz .LBB609_145
.LBB609_208:
	v_sub_u32_e32 v60, v30, v4
	v_mov_b32_e32 v61, 0
	v_lshlrev_b64 v[60:61], 1, v[60:61]
	v_add_co_u32_e32 v60, vcc, v3, v60
	v_addc_co_u32_e32 v61, vcc, v7, v61, vcc
	global_store_short_d16_hi v[60:61], v10, off
	s_or_b64 exec, exec, s[38:39]
	s_and_saveexec_b64 s[38:39], s[16:17]
	s_cbranch_execz .LBB609_146
.LBB609_209:
	v_sub_u32_e32 v60, v28, v4
	v_mov_b32_e32 v61, 0
	v_lshlrev_b64 v[60:61], 1, v[60:61]
	v_add_co_u32_e32 v60, vcc, v3, v60
	v_addc_co_u32_e32 v61, vcc, v7, v61, vcc
	global_store_short v[60:61], v11, off
	s_or_b64 exec, exec, s[38:39]
	s_and_saveexec_b64 s[38:39], s[14:15]
	s_cbranch_execz .LBB609_147
.LBB609_210:
	v_sub_u32_e32 v60, v26, v4
	v_mov_b32_e32 v61, 0
	v_lshlrev_b64 v[60:61], 1, v[60:61]
	v_add_co_u32_e32 v60, vcc, v3, v60
	v_addc_co_u32_e32 v61, vcc, v7, v61, vcc
	global_store_short_d16_hi v[60:61], v11, off
	s_or_b64 exec, exec, s[38:39]
	s_and_saveexec_b64 s[38:39], s[12:13]
	s_cbranch_execz .LBB609_148
.LBB609_211:
	v_sub_u32_e32 v60, v24, v4
	v_mov_b32_e32 v61, 0
	v_lshlrev_b64 v[60:61], 1, v[60:61]
	v_add_co_u32_e32 v60, vcc, v3, v60
	v_addc_co_u32_e32 v61, vcc, v7, v61, vcc
	global_store_short v[60:61], v8, off
	s_or_b64 exec, exec, s[38:39]
	s_and_saveexec_b64 s[38:39], s[10:11]
	s_cbranch_execz .LBB609_149
.LBB609_212:
	v_sub_u32_e32 v60, v22, v4
	v_mov_b32_e32 v61, 0
	v_lshlrev_b64 v[60:61], 1, v[60:61]
	v_add_co_u32_e32 v60, vcc, v3, v60
	v_addc_co_u32_e32 v61, vcc, v7, v61, vcc
	global_store_short_d16_hi v[60:61], v8, off
	s_or_b64 exec, exec, s[38:39]
	s_and_saveexec_b64 s[38:39], s[8:9]
	s_cbranch_execz .LBB609_150
.LBB609_213:
	v_sub_u32_e32 v60, v20, v4
	v_mov_b32_e32 v61, 0
	v_lshlrev_b64 v[60:61], 1, v[60:61]
	v_add_co_u32_e32 v60, vcc, v3, v60
	v_addc_co_u32_e32 v61, vcc, v7, v61, vcc
	global_store_short v[60:61], v9, off
	s_or_b64 exec, exec, s[38:39]
	s_and_saveexec_b64 s[38:39], s[6:7]
	s_cbranch_execz .LBB609_151
.LBB609_214:
	v_sub_u32_e32 v60, v18, v4
	v_mov_b32_e32 v61, 0
	v_lshlrev_b64 v[60:61], 1, v[60:61]
	v_add_co_u32_e32 v60, vcc, v3, v60
	v_addc_co_u32_e32 v61, vcc, v7, v61, vcc
	global_store_short_d16_hi v[60:61], v9, off
	s_or_b64 exec, exec, s[38:39]
	s_and_saveexec_b64 s[38:39], s[4:5]
	s_cbranch_execnz .LBB609_152
	s_branch .LBB609_153
.LBB609_215:
	v_sub_u32_e32 v58, v40, v4
	v_lshlrev_b32_e32 v58, 1, v58
	ds_write_b16 v58, v12
	s_or_b64 exec, exec, s[38:39]
	s_and_saveexec_b64 s[28:29], s[26:27]
	s_cbranch_execz .LBB609_157
.LBB609_216:
	v_sub_u32_e32 v58, v38, v4
	v_lshlrev_b32_e32 v58, 1, v58
	ds_write_b16_d16_hi v58, v12
	s_or_b64 exec, exec, s[28:29]
	s_and_saveexec_b64 s[26:27], s[24:25]
	s_cbranch_execz .LBB609_158
.LBB609_217:
	v_sub_u32_e32 v12, v36, v4
	v_lshlrev_b32_e32 v12, 1, v12
	ds_write_b16 v12, v13
	s_or_b64 exec, exec, s[26:27]
	s_and_saveexec_b64 s[24:25], s[22:23]
	s_cbranch_execz .LBB609_159
.LBB609_218:
	v_sub_u32_e32 v12, v34, v4
	v_lshlrev_b32_e32 v12, 1, v12
	ds_write_b16_d16_hi v12, v13
	s_or_b64 exec, exec, s[24:25]
	s_and_saveexec_b64 s[22:23], s[20:21]
	s_cbranch_execz .LBB609_160
.LBB609_219:
	v_sub_u32_e32 v12, v32, v4
	v_lshlrev_b32_e32 v12, 1, v12
	ds_write_b16 v12, v10
	s_or_b64 exec, exec, s[22:23]
	s_and_saveexec_b64 s[20:21], s[18:19]
	s_cbranch_execz .LBB609_161
.LBB609_220:
	v_sub_u32_e32 v12, v30, v4
	v_lshlrev_b32_e32 v12, 1, v12
	ds_write_b16_d16_hi v12, v10
	s_or_b64 exec, exec, s[20:21]
	s_and_saveexec_b64 s[18:19], s[16:17]
	s_cbranch_execz .LBB609_162
.LBB609_221:
	v_sub_u32_e32 v10, v28, v4
	v_lshlrev_b32_e32 v10, 1, v10
	ds_write_b16 v10, v11
	s_or_b64 exec, exec, s[18:19]
	s_and_saveexec_b64 s[16:17], s[14:15]
	s_cbranch_execz .LBB609_163
.LBB609_222:
	v_sub_u32_e32 v10, v26, v4
	v_lshlrev_b32_e32 v10, 1, v10
	ds_write_b16_d16_hi v10, v11
	s_or_b64 exec, exec, s[16:17]
	s_and_saveexec_b64 s[14:15], s[12:13]
	s_cbranch_execz .LBB609_164
.LBB609_223:
	v_sub_u32_e32 v10, v24, v4
	v_lshlrev_b32_e32 v10, 1, v10
	ds_write_b16 v10, v8
	s_or_b64 exec, exec, s[14:15]
	s_and_saveexec_b64 s[12:13], s[10:11]
	s_cbranch_execz .LBB609_165
.LBB609_224:
	v_sub_u32_e32 v10, v22, v4
	v_lshlrev_b32_e32 v10, 1, v10
	ds_write_b16_d16_hi v10, v8
	s_or_b64 exec, exec, s[12:13]
	s_and_saveexec_b64 s[10:11], s[8:9]
	s_cbranch_execz .LBB609_166
.LBB609_225:
	v_sub_u32_e32 v8, v20, v4
	v_lshlrev_b32_e32 v8, 1, v8
	ds_write_b16 v8, v9
	s_or_b64 exec, exec, s[10:11]
	s_and_saveexec_b64 s[8:9], s[6:7]
	s_cbranch_execz .LBB609_167
.LBB609_226:
	v_sub_u32_e32 v8, v18, v4
	v_lshlrev_b32_e32 v8, 1, v8
	ds_write_b16_d16_hi v8, v9
	s_or_b64 exec, exec, s[8:9]
	s_and_saveexec_b64 s[6:7], s[4:5]
	s_cbranch_execnz .LBB609_168
	s_branch .LBB609_169
.LBB609_227:
	v_sub_u32_e32 v12, v40, v8
	v_mov_b32_e32 v13, 0
	v_lshlrev_b64 v[44:45], 3, v[12:13]
	v_add_co_u32_e32 v44, vcc, v3, v44
	v_addc_co_u32_e32 v45, vcc, v7, v45, vcc
	v_mov_b32_e32 v12, v41
	global_store_dwordx2 v[44:45], v[12:13], off
	s_or_b64 exec, exec, s[36:37]
	s_and_saveexec_b64 s[36:37], s[24:25]
	s_cbranch_execz .LBB609_173
.LBB609_228:
	v_sub_u32_e32 v12, v38, v8
	v_mov_b32_e32 v13, 0
	v_lshlrev_b64 v[44:45], 3, v[12:13]
	v_add_co_u32_e32 v44, vcc, v3, v44
	v_addc_co_u32_e32 v45, vcc, v7, v45, vcc
	v_mov_b32_e32 v12, v39
	global_store_dwordx2 v[44:45], v[12:13], off
	s_or_b64 exec, exec, s[36:37]
	s_and_saveexec_b64 s[36:37], s[22:23]
	s_cbranch_execz .LBB609_174
.LBB609_229:
	v_sub_u32_e32 v12, v36, v8
	v_mov_b32_e32 v13, 0
	v_lshlrev_b64 v[44:45], 3, v[12:13]
	v_add_co_u32_e32 v44, vcc, v3, v44
	v_addc_co_u32_e32 v45, vcc, v7, v45, vcc
	v_mov_b32_e32 v12, v37
	global_store_dwordx2 v[44:45], v[12:13], off
	s_or_b64 exec, exec, s[36:37]
	s_and_saveexec_b64 s[36:37], s[20:21]
	s_cbranch_execz .LBB609_175
.LBB609_230:
	v_sub_u32_e32 v12, v34, v8
	v_mov_b32_e32 v13, 0
	v_lshlrev_b64 v[44:45], 3, v[12:13]
	v_add_co_u32_e32 v44, vcc, v3, v44
	v_addc_co_u32_e32 v45, vcc, v7, v45, vcc
	v_mov_b32_e32 v12, v35
	global_store_dwordx2 v[44:45], v[12:13], off
	s_or_b64 exec, exec, s[36:37]
	s_and_saveexec_b64 s[36:37], s[18:19]
	s_cbranch_execz .LBB609_176
.LBB609_231:
	v_sub_u32_e32 v12, v32, v8
	v_mov_b32_e32 v13, 0
	v_lshlrev_b64 v[44:45], 3, v[12:13]
	v_add_co_u32_e32 v44, vcc, v3, v44
	v_addc_co_u32_e32 v45, vcc, v7, v45, vcc
	v_mov_b32_e32 v12, v33
	global_store_dwordx2 v[44:45], v[12:13], off
	s_or_b64 exec, exec, s[36:37]
	s_and_saveexec_b64 s[36:37], s[16:17]
	s_cbranch_execz .LBB609_177
.LBB609_232:
	v_sub_u32_e32 v12, v30, v8
	v_mov_b32_e32 v13, 0
	v_lshlrev_b64 v[44:45], 3, v[12:13]
	v_add_co_u32_e32 v44, vcc, v3, v44
	v_addc_co_u32_e32 v45, vcc, v7, v45, vcc
	v_mov_b32_e32 v12, v31
	global_store_dwordx2 v[44:45], v[12:13], off
	s_or_b64 exec, exec, s[36:37]
	s_and_saveexec_b64 s[36:37], s[14:15]
	s_cbranch_execz .LBB609_178
.LBB609_233:
	v_sub_u32_e32 v12, v28, v8
	v_mov_b32_e32 v13, 0
	v_lshlrev_b64 v[44:45], 3, v[12:13]
	v_add_co_u32_e32 v44, vcc, v3, v44
	v_addc_co_u32_e32 v45, vcc, v7, v45, vcc
	v_mov_b32_e32 v12, v29
	global_store_dwordx2 v[44:45], v[12:13], off
	s_or_b64 exec, exec, s[36:37]
	s_and_saveexec_b64 s[36:37], s[12:13]
	s_cbranch_execz .LBB609_179
.LBB609_234:
	v_sub_u32_e32 v12, v26, v8
	v_mov_b32_e32 v13, 0
	v_lshlrev_b64 v[44:45], 3, v[12:13]
	v_add_co_u32_e32 v44, vcc, v3, v44
	v_addc_co_u32_e32 v45, vcc, v7, v45, vcc
	v_mov_b32_e32 v12, v27
	global_store_dwordx2 v[44:45], v[12:13], off
	s_or_b64 exec, exec, s[36:37]
	s_and_saveexec_b64 s[36:37], s[10:11]
	s_cbranch_execz .LBB609_180
.LBB609_235:
	v_sub_u32_e32 v12, v24, v8
	v_mov_b32_e32 v13, 0
	v_lshlrev_b64 v[44:45], 3, v[12:13]
	v_add_co_u32_e32 v44, vcc, v3, v44
	v_addc_co_u32_e32 v45, vcc, v7, v45, vcc
	v_mov_b32_e32 v12, v25
	global_store_dwordx2 v[44:45], v[12:13], off
	s_or_b64 exec, exec, s[36:37]
	s_and_saveexec_b64 s[36:37], s[8:9]
	s_cbranch_execz .LBB609_181
.LBB609_236:
	v_sub_u32_e32 v12, v22, v8
	v_mov_b32_e32 v13, 0
	v_lshlrev_b64 v[44:45], 3, v[12:13]
	v_add_co_u32_e32 v44, vcc, v3, v44
	v_addc_co_u32_e32 v45, vcc, v7, v45, vcc
	v_mov_b32_e32 v12, v23
	global_store_dwordx2 v[44:45], v[12:13], off
	s_or_b64 exec, exec, s[36:37]
	s_and_saveexec_b64 s[36:37], s[6:7]
	s_cbranch_execz .LBB609_182
.LBB609_237:
	v_sub_u32_e32 v12, v20, v8
	v_mov_b32_e32 v13, 0
	v_lshlrev_b64 v[44:45], 3, v[12:13]
	v_add_co_u32_e32 v44, vcc, v3, v44
	v_addc_co_u32_e32 v45, vcc, v7, v45, vcc
	v_mov_b32_e32 v12, v21
	global_store_dwordx2 v[44:45], v[12:13], off
	s_or_b64 exec, exec, s[36:37]
	s_and_saveexec_b64 s[36:37], s[4:5]
	s_cbranch_execz .LBB609_183
.LBB609_238:
	v_sub_u32_e32 v12, v18, v8
	v_mov_b32_e32 v13, 0
	v_lshlrev_b64 v[44:45], 3, v[12:13]
	v_add_co_u32_e32 v44, vcc, v3, v44
	v_addc_co_u32_e32 v45, vcc, v7, v45, vcc
	v_mov_b32_e32 v12, v19
	global_store_dwordx2 v[44:45], v[12:13], off
	s_or_b64 exec, exec, s[36:37]
	s_and_saveexec_b64 s[36:37], s[2:3]
	s_cbranch_execnz .LBB609_184
	s_branch .LBB609_185
.LBB609_239:
	v_sub_u32_e32 v9, v40, v8
	v_lshlrev_b32_e32 v9, 2, v9
	ds_write_b32 v9, v41
	s_or_b64 exec, exec, s[36:37]
	s_and_saveexec_b64 s[26:27], s[24:25]
	s_cbranch_execz .LBB609_189
.LBB609_240:
	v_sub_u32_e32 v9, v38, v8
	v_lshlrev_b32_e32 v9, 2, v9
	ds_write_b32 v9, v39
	s_or_b64 exec, exec, s[26:27]
	s_and_saveexec_b64 s[24:25], s[22:23]
	s_cbranch_execz .LBB609_190
.LBB609_241:
	v_sub_u32_e32 v9, v36, v8
	v_lshlrev_b32_e32 v9, 2, v9
	ds_write_b32 v9, v37
	s_or_b64 exec, exec, s[24:25]
	s_and_saveexec_b64 s[22:23], s[20:21]
	s_cbranch_execz .LBB609_191
.LBB609_242:
	v_sub_u32_e32 v9, v34, v8
	v_lshlrev_b32_e32 v9, 2, v9
	ds_write_b32 v9, v35
	s_or_b64 exec, exec, s[22:23]
	s_and_saveexec_b64 s[20:21], s[18:19]
	s_cbranch_execz .LBB609_192
.LBB609_243:
	v_sub_u32_e32 v9, v32, v8
	v_lshlrev_b32_e32 v9, 2, v9
	ds_write_b32 v9, v33
	s_or_b64 exec, exec, s[20:21]
	s_and_saveexec_b64 s[18:19], s[16:17]
	s_cbranch_execz .LBB609_193
.LBB609_244:
	v_sub_u32_e32 v9, v30, v8
	v_lshlrev_b32_e32 v9, 2, v9
	ds_write_b32 v9, v31
	s_or_b64 exec, exec, s[18:19]
	s_and_saveexec_b64 s[16:17], s[14:15]
	s_cbranch_execz .LBB609_194
.LBB609_245:
	v_sub_u32_e32 v9, v28, v8
	v_lshlrev_b32_e32 v9, 2, v9
	ds_write_b32 v9, v29
	s_or_b64 exec, exec, s[16:17]
	s_and_saveexec_b64 s[14:15], s[12:13]
	s_cbranch_execz .LBB609_195
.LBB609_246:
	v_sub_u32_e32 v9, v26, v8
	v_lshlrev_b32_e32 v9, 2, v9
	ds_write_b32 v9, v27
	s_or_b64 exec, exec, s[14:15]
	s_and_saveexec_b64 s[12:13], s[10:11]
	s_cbranch_execz .LBB609_196
.LBB609_247:
	v_sub_u32_e32 v9, v24, v8
	v_lshlrev_b32_e32 v9, 2, v9
	ds_write_b32 v9, v25
	s_or_b64 exec, exec, s[12:13]
	s_and_saveexec_b64 s[10:11], s[8:9]
	s_cbranch_execz .LBB609_197
.LBB609_248:
	v_sub_u32_e32 v9, v22, v8
	v_lshlrev_b32_e32 v9, 2, v9
	ds_write_b32 v9, v23
	s_or_b64 exec, exec, s[10:11]
	s_and_saveexec_b64 s[8:9], s[6:7]
	s_cbranch_execz .LBB609_198
.LBB609_249:
	v_sub_u32_e32 v9, v20, v8
	v_lshlrev_b32_e32 v9, 2, v9
	ds_write_b32 v9, v21
	s_or_b64 exec, exec, s[8:9]
	s_and_saveexec_b64 s[6:7], s[4:5]
	s_cbranch_execz .LBB609_199
.LBB609_250:
	v_sub_u32_e32 v9, v18, v8
	v_lshlrev_b32_e32 v9, 2, v9
	ds_write_b32 v9, v19
	s_or_b64 exec, exec, s[6:7]
	s_and_saveexec_b64 s[4:5], s[2:3]
	s_cbranch_execnz .LBB609_200
	s_branch .LBB609_201
	.section	.rodata,"a",@progbits
	.p2align	6, 0x0
	.amdhsa_kernel _ZN7rocprim17ROCPRIM_400000_NS6detail17trampoline_kernelINS0_14default_configENS1_33run_length_encode_config_selectorIsjNS0_4plusIjEEEEZZNS1_33reduce_by_key_impl_wrapped_configILNS1_25lookback_scan_determinismE0ES3_S7_PKsNS0_17constant_iteratorIjlEEPsPlSF_S6_NS0_8equal_toIsEEEE10hipError_tPvRmT2_T3_mT4_T5_T6_T7_T8_P12ihipStream_tbENKUlT_T0_E_clISt17integral_constantIbLb0EESY_IbLb1EEEEDaSU_SV_EUlSU_E_NS1_11comp_targetILNS1_3genE4ELNS1_11target_archE910ELNS1_3gpuE8ELNS1_3repE0EEENS1_30default_config_static_selectorELNS0_4arch9wavefront6targetE1EEEvT1_
		.amdhsa_group_segment_fixed_size 10752
		.amdhsa_private_segment_fixed_size 0
		.amdhsa_kernarg_size 128
		.amdhsa_user_sgpr_count 6
		.amdhsa_user_sgpr_private_segment_buffer 1
		.amdhsa_user_sgpr_dispatch_ptr 0
		.amdhsa_user_sgpr_queue_ptr 0
		.amdhsa_user_sgpr_kernarg_segment_ptr 1
		.amdhsa_user_sgpr_dispatch_id 0
		.amdhsa_user_sgpr_flat_scratch_init 0
		.amdhsa_user_sgpr_kernarg_preload_length 0
		.amdhsa_user_sgpr_kernarg_preload_offset 0
		.amdhsa_user_sgpr_private_segment_size 0
		.amdhsa_uses_dynamic_stack 0
		.amdhsa_system_sgpr_private_segment_wavefront_offset 0
		.amdhsa_system_sgpr_workgroup_id_x 1
		.amdhsa_system_sgpr_workgroup_id_y 0
		.amdhsa_system_sgpr_workgroup_id_z 0
		.amdhsa_system_sgpr_workgroup_info 0
		.amdhsa_system_vgpr_workitem_id 0
		.amdhsa_next_free_vgpr 65
		.amdhsa_next_free_sgpr 64
		.amdhsa_accum_offset 68
		.amdhsa_reserve_vcc 1
		.amdhsa_reserve_flat_scratch 0
		.amdhsa_float_round_mode_32 0
		.amdhsa_float_round_mode_16_64 0
		.amdhsa_float_denorm_mode_32 3
		.amdhsa_float_denorm_mode_16_64 3
		.amdhsa_dx10_clamp 1
		.amdhsa_ieee_mode 1
		.amdhsa_fp16_overflow 0
		.amdhsa_tg_split 0
		.amdhsa_exception_fp_ieee_invalid_op 0
		.amdhsa_exception_fp_denorm_src 0
		.amdhsa_exception_fp_ieee_div_zero 0
		.amdhsa_exception_fp_ieee_overflow 0
		.amdhsa_exception_fp_ieee_underflow 0
		.amdhsa_exception_fp_ieee_inexact 0
		.amdhsa_exception_int_div_zero 0
	.end_amdhsa_kernel
	.section	.text._ZN7rocprim17ROCPRIM_400000_NS6detail17trampoline_kernelINS0_14default_configENS1_33run_length_encode_config_selectorIsjNS0_4plusIjEEEEZZNS1_33reduce_by_key_impl_wrapped_configILNS1_25lookback_scan_determinismE0ES3_S7_PKsNS0_17constant_iteratorIjlEEPsPlSF_S6_NS0_8equal_toIsEEEE10hipError_tPvRmT2_T3_mT4_T5_T6_T7_T8_P12ihipStream_tbENKUlT_T0_E_clISt17integral_constantIbLb0EESY_IbLb1EEEEDaSU_SV_EUlSU_E_NS1_11comp_targetILNS1_3genE4ELNS1_11target_archE910ELNS1_3gpuE8ELNS1_3repE0EEENS1_30default_config_static_selectorELNS0_4arch9wavefront6targetE1EEEvT1_,"axG",@progbits,_ZN7rocprim17ROCPRIM_400000_NS6detail17trampoline_kernelINS0_14default_configENS1_33run_length_encode_config_selectorIsjNS0_4plusIjEEEEZZNS1_33reduce_by_key_impl_wrapped_configILNS1_25lookback_scan_determinismE0ES3_S7_PKsNS0_17constant_iteratorIjlEEPsPlSF_S6_NS0_8equal_toIsEEEE10hipError_tPvRmT2_T3_mT4_T5_T6_T7_T8_P12ihipStream_tbENKUlT_T0_E_clISt17integral_constantIbLb0EESY_IbLb1EEEEDaSU_SV_EUlSU_E_NS1_11comp_targetILNS1_3genE4ELNS1_11target_archE910ELNS1_3gpuE8ELNS1_3repE0EEENS1_30default_config_static_selectorELNS0_4arch9wavefront6targetE1EEEvT1_,comdat
.Lfunc_end609:
	.size	_ZN7rocprim17ROCPRIM_400000_NS6detail17trampoline_kernelINS0_14default_configENS1_33run_length_encode_config_selectorIsjNS0_4plusIjEEEEZZNS1_33reduce_by_key_impl_wrapped_configILNS1_25lookback_scan_determinismE0ES3_S7_PKsNS0_17constant_iteratorIjlEEPsPlSF_S6_NS0_8equal_toIsEEEE10hipError_tPvRmT2_T3_mT4_T5_T6_T7_T8_P12ihipStream_tbENKUlT_T0_E_clISt17integral_constantIbLb0EESY_IbLb1EEEEDaSU_SV_EUlSU_E_NS1_11comp_targetILNS1_3genE4ELNS1_11target_archE910ELNS1_3gpuE8ELNS1_3repE0EEENS1_30default_config_static_selectorELNS0_4arch9wavefront6targetE1EEEvT1_, .Lfunc_end609-_ZN7rocprim17ROCPRIM_400000_NS6detail17trampoline_kernelINS0_14default_configENS1_33run_length_encode_config_selectorIsjNS0_4plusIjEEEEZZNS1_33reduce_by_key_impl_wrapped_configILNS1_25lookback_scan_determinismE0ES3_S7_PKsNS0_17constant_iteratorIjlEEPsPlSF_S6_NS0_8equal_toIsEEEE10hipError_tPvRmT2_T3_mT4_T5_T6_T7_T8_P12ihipStream_tbENKUlT_T0_E_clISt17integral_constantIbLb0EESY_IbLb1EEEEDaSU_SV_EUlSU_E_NS1_11comp_targetILNS1_3genE4ELNS1_11target_archE910ELNS1_3gpuE8ELNS1_3repE0EEENS1_30default_config_static_selectorELNS0_4arch9wavefront6targetE1EEEvT1_
                                        ; -- End function
	.section	.AMDGPU.csdata,"",@progbits
; Kernel info:
; codeLenInByte = 13576
; NumSgprs: 68
; NumVgprs: 65
; NumAgprs: 0
; TotalNumVgprs: 65
; ScratchSize: 0
; MemoryBound: 0
; FloatMode: 240
; IeeeMode: 1
; LDSByteSize: 10752 bytes/workgroup (compile time only)
; SGPRBlocks: 8
; VGPRBlocks: 8
; NumSGPRsForWavesPerEU: 68
; NumVGPRsForWavesPerEU: 65
; AccumOffset: 68
; Occupancy: 5
; WaveLimiterHint : 1
; COMPUTE_PGM_RSRC2:SCRATCH_EN: 0
; COMPUTE_PGM_RSRC2:USER_SGPR: 6
; COMPUTE_PGM_RSRC2:TRAP_HANDLER: 0
; COMPUTE_PGM_RSRC2:TGID_X_EN: 1
; COMPUTE_PGM_RSRC2:TGID_Y_EN: 0
; COMPUTE_PGM_RSRC2:TGID_Z_EN: 0
; COMPUTE_PGM_RSRC2:TIDIG_COMP_CNT: 0
; COMPUTE_PGM_RSRC3_GFX90A:ACCUM_OFFSET: 16
; COMPUTE_PGM_RSRC3_GFX90A:TG_SPLIT: 0
	.section	.text._ZN7rocprim17ROCPRIM_400000_NS6detail17trampoline_kernelINS0_14default_configENS1_33run_length_encode_config_selectorIsjNS0_4plusIjEEEEZZNS1_33reduce_by_key_impl_wrapped_configILNS1_25lookback_scan_determinismE0ES3_S7_PKsNS0_17constant_iteratorIjlEEPsPlSF_S6_NS0_8equal_toIsEEEE10hipError_tPvRmT2_T3_mT4_T5_T6_T7_T8_P12ihipStream_tbENKUlT_T0_E_clISt17integral_constantIbLb0EESY_IbLb1EEEEDaSU_SV_EUlSU_E_NS1_11comp_targetILNS1_3genE3ELNS1_11target_archE908ELNS1_3gpuE7ELNS1_3repE0EEENS1_30default_config_static_selectorELNS0_4arch9wavefront6targetE1EEEvT1_,"axG",@progbits,_ZN7rocprim17ROCPRIM_400000_NS6detail17trampoline_kernelINS0_14default_configENS1_33run_length_encode_config_selectorIsjNS0_4plusIjEEEEZZNS1_33reduce_by_key_impl_wrapped_configILNS1_25lookback_scan_determinismE0ES3_S7_PKsNS0_17constant_iteratorIjlEEPsPlSF_S6_NS0_8equal_toIsEEEE10hipError_tPvRmT2_T3_mT4_T5_T6_T7_T8_P12ihipStream_tbENKUlT_T0_E_clISt17integral_constantIbLb0EESY_IbLb1EEEEDaSU_SV_EUlSU_E_NS1_11comp_targetILNS1_3genE3ELNS1_11target_archE908ELNS1_3gpuE7ELNS1_3repE0EEENS1_30default_config_static_selectorELNS0_4arch9wavefront6targetE1EEEvT1_,comdat
	.protected	_ZN7rocprim17ROCPRIM_400000_NS6detail17trampoline_kernelINS0_14default_configENS1_33run_length_encode_config_selectorIsjNS0_4plusIjEEEEZZNS1_33reduce_by_key_impl_wrapped_configILNS1_25lookback_scan_determinismE0ES3_S7_PKsNS0_17constant_iteratorIjlEEPsPlSF_S6_NS0_8equal_toIsEEEE10hipError_tPvRmT2_T3_mT4_T5_T6_T7_T8_P12ihipStream_tbENKUlT_T0_E_clISt17integral_constantIbLb0EESY_IbLb1EEEEDaSU_SV_EUlSU_E_NS1_11comp_targetILNS1_3genE3ELNS1_11target_archE908ELNS1_3gpuE7ELNS1_3repE0EEENS1_30default_config_static_selectorELNS0_4arch9wavefront6targetE1EEEvT1_ ; -- Begin function _ZN7rocprim17ROCPRIM_400000_NS6detail17trampoline_kernelINS0_14default_configENS1_33run_length_encode_config_selectorIsjNS0_4plusIjEEEEZZNS1_33reduce_by_key_impl_wrapped_configILNS1_25lookback_scan_determinismE0ES3_S7_PKsNS0_17constant_iteratorIjlEEPsPlSF_S6_NS0_8equal_toIsEEEE10hipError_tPvRmT2_T3_mT4_T5_T6_T7_T8_P12ihipStream_tbENKUlT_T0_E_clISt17integral_constantIbLb0EESY_IbLb1EEEEDaSU_SV_EUlSU_E_NS1_11comp_targetILNS1_3genE3ELNS1_11target_archE908ELNS1_3gpuE7ELNS1_3repE0EEENS1_30default_config_static_selectorELNS0_4arch9wavefront6targetE1EEEvT1_
	.globl	_ZN7rocprim17ROCPRIM_400000_NS6detail17trampoline_kernelINS0_14default_configENS1_33run_length_encode_config_selectorIsjNS0_4plusIjEEEEZZNS1_33reduce_by_key_impl_wrapped_configILNS1_25lookback_scan_determinismE0ES3_S7_PKsNS0_17constant_iteratorIjlEEPsPlSF_S6_NS0_8equal_toIsEEEE10hipError_tPvRmT2_T3_mT4_T5_T6_T7_T8_P12ihipStream_tbENKUlT_T0_E_clISt17integral_constantIbLb0EESY_IbLb1EEEEDaSU_SV_EUlSU_E_NS1_11comp_targetILNS1_3genE3ELNS1_11target_archE908ELNS1_3gpuE7ELNS1_3repE0EEENS1_30default_config_static_selectorELNS0_4arch9wavefront6targetE1EEEvT1_
	.p2align	8
	.type	_ZN7rocprim17ROCPRIM_400000_NS6detail17trampoline_kernelINS0_14default_configENS1_33run_length_encode_config_selectorIsjNS0_4plusIjEEEEZZNS1_33reduce_by_key_impl_wrapped_configILNS1_25lookback_scan_determinismE0ES3_S7_PKsNS0_17constant_iteratorIjlEEPsPlSF_S6_NS0_8equal_toIsEEEE10hipError_tPvRmT2_T3_mT4_T5_T6_T7_T8_P12ihipStream_tbENKUlT_T0_E_clISt17integral_constantIbLb0EESY_IbLb1EEEEDaSU_SV_EUlSU_E_NS1_11comp_targetILNS1_3genE3ELNS1_11target_archE908ELNS1_3gpuE7ELNS1_3repE0EEENS1_30default_config_static_selectorELNS0_4arch9wavefront6targetE1EEEvT1_,@function
_ZN7rocprim17ROCPRIM_400000_NS6detail17trampoline_kernelINS0_14default_configENS1_33run_length_encode_config_selectorIsjNS0_4plusIjEEEEZZNS1_33reduce_by_key_impl_wrapped_configILNS1_25lookback_scan_determinismE0ES3_S7_PKsNS0_17constant_iteratorIjlEEPsPlSF_S6_NS0_8equal_toIsEEEE10hipError_tPvRmT2_T3_mT4_T5_T6_T7_T8_P12ihipStream_tbENKUlT_T0_E_clISt17integral_constantIbLb0EESY_IbLb1EEEEDaSU_SV_EUlSU_E_NS1_11comp_targetILNS1_3genE3ELNS1_11target_archE908ELNS1_3gpuE7ELNS1_3repE0EEENS1_30default_config_static_selectorELNS0_4arch9wavefront6targetE1EEEvT1_: ; @_ZN7rocprim17ROCPRIM_400000_NS6detail17trampoline_kernelINS0_14default_configENS1_33run_length_encode_config_selectorIsjNS0_4plusIjEEEEZZNS1_33reduce_by_key_impl_wrapped_configILNS1_25lookback_scan_determinismE0ES3_S7_PKsNS0_17constant_iteratorIjlEEPsPlSF_S6_NS0_8equal_toIsEEEE10hipError_tPvRmT2_T3_mT4_T5_T6_T7_T8_P12ihipStream_tbENKUlT_T0_E_clISt17integral_constantIbLb0EESY_IbLb1EEEEDaSU_SV_EUlSU_E_NS1_11comp_targetILNS1_3genE3ELNS1_11target_archE908ELNS1_3gpuE7ELNS1_3repE0EEENS1_30default_config_static_selectorELNS0_4arch9wavefront6targetE1EEEvT1_
; %bb.0:
	.section	.rodata,"a",@progbits
	.p2align	6, 0x0
	.amdhsa_kernel _ZN7rocprim17ROCPRIM_400000_NS6detail17trampoline_kernelINS0_14default_configENS1_33run_length_encode_config_selectorIsjNS0_4plusIjEEEEZZNS1_33reduce_by_key_impl_wrapped_configILNS1_25lookback_scan_determinismE0ES3_S7_PKsNS0_17constant_iteratorIjlEEPsPlSF_S6_NS0_8equal_toIsEEEE10hipError_tPvRmT2_T3_mT4_T5_T6_T7_T8_P12ihipStream_tbENKUlT_T0_E_clISt17integral_constantIbLb0EESY_IbLb1EEEEDaSU_SV_EUlSU_E_NS1_11comp_targetILNS1_3genE3ELNS1_11target_archE908ELNS1_3gpuE7ELNS1_3repE0EEENS1_30default_config_static_selectorELNS0_4arch9wavefront6targetE1EEEvT1_
		.amdhsa_group_segment_fixed_size 0
		.amdhsa_private_segment_fixed_size 0
		.amdhsa_kernarg_size 128
		.amdhsa_user_sgpr_count 6
		.amdhsa_user_sgpr_private_segment_buffer 1
		.amdhsa_user_sgpr_dispatch_ptr 0
		.amdhsa_user_sgpr_queue_ptr 0
		.amdhsa_user_sgpr_kernarg_segment_ptr 1
		.amdhsa_user_sgpr_dispatch_id 0
		.amdhsa_user_sgpr_flat_scratch_init 0
		.amdhsa_user_sgpr_kernarg_preload_length 0
		.amdhsa_user_sgpr_kernarg_preload_offset 0
		.amdhsa_user_sgpr_private_segment_size 0
		.amdhsa_uses_dynamic_stack 0
		.amdhsa_system_sgpr_private_segment_wavefront_offset 0
		.amdhsa_system_sgpr_workgroup_id_x 1
		.amdhsa_system_sgpr_workgroup_id_y 0
		.amdhsa_system_sgpr_workgroup_id_z 0
		.amdhsa_system_sgpr_workgroup_info 0
		.amdhsa_system_vgpr_workitem_id 0
		.amdhsa_next_free_vgpr 1
		.amdhsa_next_free_sgpr 0
		.amdhsa_accum_offset 4
		.amdhsa_reserve_vcc 0
		.amdhsa_reserve_flat_scratch 0
		.amdhsa_float_round_mode_32 0
		.amdhsa_float_round_mode_16_64 0
		.amdhsa_float_denorm_mode_32 3
		.amdhsa_float_denorm_mode_16_64 3
		.amdhsa_dx10_clamp 1
		.amdhsa_ieee_mode 1
		.amdhsa_fp16_overflow 0
		.amdhsa_tg_split 0
		.amdhsa_exception_fp_ieee_invalid_op 0
		.amdhsa_exception_fp_denorm_src 0
		.amdhsa_exception_fp_ieee_div_zero 0
		.amdhsa_exception_fp_ieee_overflow 0
		.amdhsa_exception_fp_ieee_underflow 0
		.amdhsa_exception_fp_ieee_inexact 0
		.amdhsa_exception_int_div_zero 0
	.end_amdhsa_kernel
	.section	.text._ZN7rocprim17ROCPRIM_400000_NS6detail17trampoline_kernelINS0_14default_configENS1_33run_length_encode_config_selectorIsjNS0_4plusIjEEEEZZNS1_33reduce_by_key_impl_wrapped_configILNS1_25lookback_scan_determinismE0ES3_S7_PKsNS0_17constant_iteratorIjlEEPsPlSF_S6_NS0_8equal_toIsEEEE10hipError_tPvRmT2_T3_mT4_T5_T6_T7_T8_P12ihipStream_tbENKUlT_T0_E_clISt17integral_constantIbLb0EESY_IbLb1EEEEDaSU_SV_EUlSU_E_NS1_11comp_targetILNS1_3genE3ELNS1_11target_archE908ELNS1_3gpuE7ELNS1_3repE0EEENS1_30default_config_static_selectorELNS0_4arch9wavefront6targetE1EEEvT1_,"axG",@progbits,_ZN7rocprim17ROCPRIM_400000_NS6detail17trampoline_kernelINS0_14default_configENS1_33run_length_encode_config_selectorIsjNS0_4plusIjEEEEZZNS1_33reduce_by_key_impl_wrapped_configILNS1_25lookback_scan_determinismE0ES3_S7_PKsNS0_17constant_iteratorIjlEEPsPlSF_S6_NS0_8equal_toIsEEEE10hipError_tPvRmT2_T3_mT4_T5_T6_T7_T8_P12ihipStream_tbENKUlT_T0_E_clISt17integral_constantIbLb0EESY_IbLb1EEEEDaSU_SV_EUlSU_E_NS1_11comp_targetILNS1_3genE3ELNS1_11target_archE908ELNS1_3gpuE7ELNS1_3repE0EEENS1_30default_config_static_selectorELNS0_4arch9wavefront6targetE1EEEvT1_,comdat
.Lfunc_end610:
	.size	_ZN7rocprim17ROCPRIM_400000_NS6detail17trampoline_kernelINS0_14default_configENS1_33run_length_encode_config_selectorIsjNS0_4plusIjEEEEZZNS1_33reduce_by_key_impl_wrapped_configILNS1_25lookback_scan_determinismE0ES3_S7_PKsNS0_17constant_iteratorIjlEEPsPlSF_S6_NS0_8equal_toIsEEEE10hipError_tPvRmT2_T3_mT4_T5_T6_T7_T8_P12ihipStream_tbENKUlT_T0_E_clISt17integral_constantIbLb0EESY_IbLb1EEEEDaSU_SV_EUlSU_E_NS1_11comp_targetILNS1_3genE3ELNS1_11target_archE908ELNS1_3gpuE7ELNS1_3repE0EEENS1_30default_config_static_selectorELNS0_4arch9wavefront6targetE1EEEvT1_, .Lfunc_end610-_ZN7rocprim17ROCPRIM_400000_NS6detail17trampoline_kernelINS0_14default_configENS1_33run_length_encode_config_selectorIsjNS0_4plusIjEEEEZZNS1_33reduce_by_key_impl_wrapped_configILNS1_25lookback_scan_determinismE0ES3_S7_PKsNS0_17constant_iteratorIjlEEPsPlSF_S6_NS0_8equal_toIsEEEE10hipError_tPvRmT2_T3_mT4_T5_T6_T7_T8_P12ihipStream_tbENKUlT_T0_E_clISt17integral_constantIbLb0EESY_IbLb1EEEEDaSU_SV_EUlSU_E_NS1_11comp_targetILNS1_3genE3ELNS1_11target_archE908ELNS1_3gpuE7ELNS1_3repE0EEENS1_30default_config_static_selectorELNS0_4arch9wavefront6targetE1EEEvT1_
                                        ; -- End function
	.section	.AMDGPU.csdata,"",@progbits
; Kernel info:
; codeLenInByte = 0
; NumSgprs: 4
; NumVgprs: 0
; NumAgprs: 0
; TotalNumVgprs: 0
; ScratchSize: 0
; MemoryBound: 0
; FloatMode: 240
; IeeeMode: 1
; LDSByteSize: 0 bytes/workgroup (compile time only)
; SGPRBlocks: 0
; VGPRBlocks: 0
; NumSGPRsForWavesPerEU: 4
; NumVGPRsForWavesPerEU: 1
; AccumOffset: 4
; Occupancy: 8
; WaveLimiterHint : 0
; COMPUTE_PGM_RSRC2:SCRATCH_EN: 0
; COMPUTE_PGM_RSRC2:USER_SGPR: 6
; COMPUTE_PGM_RSRC2:TRAP_HANDLER: 0
; COMPUTE_PGM_RSRC2:TGID_X_EN: 1
; COMPUTE_PGM_RSRC2:TGID_Y_EN: 0
; COMPUTE_PGM_RSRC2:TGID_Z_EN: 0
; COMPUTE_PGM_RSRC2:TIDIG_COMP_CNT: 0
; COMPUTE_PGM_RSRC3_GFX90A:ACCUM_OFFSET: 0
; COMPUTE_PGM_RSRC3_GFX90A:TG_SPLIT: 0
	.section	.text._ZN7rocprim17ROCPRIM_400000_NS6detail17trampoline_kernelINS0_14default_configENS1_33run_length_encode_config_selectorIsjNS0_4plusIjEEEEZZNS1_33reduce_by_key_impl_wrapped_configILNS1_25lookback_scan_determinismE0ES3_S7_PKsNS0_17constant_iteratorIjlEEPsPlSF_S6_NS0_8equal_toIsEEEE10hipError_tPvRmT2_T3_mT4_T5_T6_T7_T8_P12ihipStream_tbENKUlT_T0_E_clISt17integral_constantIbLb0EESY_IbLb1EEEEDaSU_SV_EUlSU_E_NS1_11comp_targetILNS1_3genE2ELNS1_11target_archE906ELNS1_3gpuE6ELNS1_3repE0EEENS1_30default_config_static_selectorELNS0_4arch9wavefront6targetE1EEEvT1_,"axG",@progbits,_ZN7rocprim17ROCPRIM_400000_NS6detail17trampoline_kernelINS0_14default_configENS1_33run_length_encode_config_selectorIsjNS0_4plusIjEEEEZZNS1_33reduce_by_key_impl_wrapped_configILNS1_25lookback_scan_determinismE0ES3_S7_PKsNS0_17constant_iteratorIjlEEPsPlSF_S6_NS0_8equal_toIsEEEE10hipError_tPvRmT2_T3_mT4_T5_T6_T7_T8_P12ihipStream_tbENKUlT_T0_E_clISt17integral_constantIbLb0EESY_IbLb1EEEEDaSU_SV_EUlSU_E_NS1_11comp_targetILNS1_3genE2ELNS1_11target_archE906ELNS1_3gpuE6ELNS1_3repE0EEENS1_30default_config_static_selectorELNS0_4arch9wavefront6targetE1EEEvT1_,comdat
	.protected	_ZN7rocprim17ROCPRIM_400000_NS6detail17trampoline_kernelINS0_14default_configENS1_33run_length_encode_config_selectorIsjNS0_4plusIjEEEEZZNS1_33reduce_by_key_impl_wrapped_configILNS1_25lookback_scan_determinismE0ES3_S7_PKsNS0_17constant_iteratorIjlEEPsPlSF_S6_NS0_8equal_toIsEEEE10hipError_tPvRmT2_T3_mT4_T5_T6_T7_T8_P12ihipStream_tbENKUlT_T0_E_clISt17integral_constantIbLb0EESY_IbLb1EEEEDaSU_SV_EUlSU_E_NS1_11comp_targetILNS1_3genE2ELNS1_11target_archE906ELNS1_3gpuE6ELNS1_3repE0EEENS1_30default_config_static_selectorELNS0_4arch9wavefront6targetE1EEEvT1_ ; -- Begin function _ZN7rocprim17ROCPRIM_400000_NS6detail17trampoline_kernelINS0_14default_configENS1_33run_length_encode_config_selectorIsjNS0_4plusIjEEEEZZNS1_33reduce_by_key_impl_wrapped_configILNS1_25lookback_scan_determinismE0ES3_S7_PKsNS0_17constant_iteratorIjlEEPsPlSF_S6_NS0_8equal_toIsEEEE10hipError_tPvRmT2_T3_mT4_T5_T6_T7_T8_P12ihipStream_tbENKUlT_T0_E_clISt17integral_constantIbLb0EESY_IbLb1EEEEDaSU_SV_EUlSU_E_NS1_11comp_targetILNS1_3genE2ELNS1_11target_archE906ELNS1_3gpuE6ELNS1_3repE0EEENS1_30default_config_static_selectorELNS0_4arch9wavefront6targetE1EEEvT1_
	.globl	_ZN7rocprim17ROCPRIM_400000_NS6detail17trampoline_kernelINS0_14default_configENS1_33run_length_encode_config_selectorIsjNS0_4plusIjEEEEZZNS1_33reduce_by_key_impl_wrapped_configILNS1_25lookback_scan_determinismE0ES3_S7_PKsNS0_17constant_iteratorIjlEEPsPlSF_S6_NS0_8equal_toIsEEEE10hipError_tPvRmT2_T3_mT4_T5_T6_T7_T8_P12ihipStream_tbENKUlT_T0_E_clISt17integral_constantIbLb0EESY_IbLb1EEEEDaSU_SV_EUlSU_E_NS1_11comp_targetILNS1_3genE2ELNS1_11target_archE906ELNS1_3gpuE6ELNS1_3repE0EEENS1_30default_config_static_selectorELNS0_4arch9wavefront6targetE1EEEvT1_
	.p2align	8
	.type	_ZN7rocprim17ROCPRIM_400000_NS6detail17trampoline_kernelINS0_14default_configENS1_33run_length_encode_config_selectorIsjNS0_4plusIjEEEEZZNS1_33reduce_by_key_impl_wrapped_configILNS1_25lookback_scan_determinismE0ES3_S7_PKsNS0_17constant_iteratorIjlEEPsPlSF_S6_NS0_8equal_toIsEEEE10hipError_tPvRmT2_T3_mT4_T5_T6_T7_T8_P12ihipStream_tbENKUlT_T0_E_clISt17integral_constantIbLb0EESY_IbLb1EEEEDaSU_SV_EUlSU_E_NS1_11comp_targetILNS1_3genE2ELNS1_11target_archE906ELNS1_3gpuE6ELNS1_3repE0EEENS1_30default_config_static_selectorELNS0_4arch9wavefront6targetE1EEEvT1_,@function
_ZN7rocprim17ROCPRIM_400000_NS6detail17trampoline_kernelINS0_14default_configENS1_33run_length_encode_config_selectorIsjNS0_4plusIjEEEEZZNS1_33reduce_by_key_impl_wrapped_configILNS1_25lookback_scan_determinismE0ES3_S7_PKsNS0_17constant_iteratorIjlEEPsPlSF_S6_NS0_8equal_toIsEEEE10hipError_tPvRmT2_T3_mT4_T5_T6_T7_T8_P12ihipStream_tbENKUlT_T0_E_clISt17integral_constantIbLb0EESY_IbLb1EEEEDaSU_SV_EUlSU_E_NS1_11comp_targetILNS1_3genE2ELNS1_11target_archE906ELNS1_3gpuE6ELNS1_3repE0EEENS1_30default_config_static_selectorELNS0_4arch9wavefront6targetE1EEEvT1_: ; @_ZN7rocprim17ROCPRIM_400000_NS6detail17trampoline_kernelINS0_14default_configENS1_33run_length_encode_config_selectorIsjNS0_4plusIjEEEEZZNS1_33reduce_by_key_impl_wrapped_configILNS1_25lookback_scan_determinismE0ES3_S7_PKsNS0_17constant_iteratorIjlEEPsPlSF_S6_NS0_8equal_toIsEEEE10hipError_tPvRmT2_T3_mT4_T5_T6_T7_T8_P12ihipStream_tbENKUlT_T0_E_clISt17integral_constantIbLb0EESY_IbLb1EEEEDaSU_SV_EUlSU_E_NS1_11comp_targetILNS1_3genE2ELNS1_11target_archE906ELNS1_3gpuE6ELNS1_3repE0EEENS1_30default_config_static_selectorELNS0_4arch9wavefront6targetE1EEEvT1_
; %bb.0:
	.section	.rodata,"a",@progbits
	.p2align	6, 0x0
	.amdhsa_kernel _ZN7rocprim17ROCPRIM_400000_NS6detail17trampoline_kernelINS0_14default_configENS1_33run_length_encode_config_selectorIsjNS0_4plusIjEEEEZZNS1_33reduce_by_key_impl_wrapped_configILNS1_25lookback_scan_determinismE0ES3_S7_PKsNS0_17constant_iteratorIjlEEPsPlSF_S6_NS0_8equal_toIsEEEE10hipError_tPvRmT2_T3_mT4_T5_T6_T7_T8_P12ihipStream_tbENKUlT_T0_E_clISt17integral_constantIbLb0EESY_IbLb1EEEEDaSU_SV_EUlSU_E_NS1_11comp_targetILNS1_3genE2ELNS1_11target_archE906ELNS1_3gpuE6ELNS1_3repE0EEENS1_30default_config_static_selectorELNS0_4arch9wavefront6targetE1EEEvT1_
		.amdhsa_group_segment_fixed_size 0
		.amdhsa_private_segment_fixed_size 0
		.amdhsa_kernarg_size 128
		.amdhsa_user_sgpr_count 6
		.amdhsa_user_sgpr_private_segment_buffer 1
		.amdhsa_user_sgpr_dispatch_ptr 0
		.amdhsa_user_sgpr_queue_ptr 0
		.amdhsa_user_sgpr_kernarg_segment_ptr 1
		.amdhsa_user_sgpr_dispatch_id 0
		.amdhsa_user_sgpr_flat_scratch_init 0
		.amdhsa_user_sgpr_kernarg_preload_length 0
		.amdhsa_user_sgpr_kernarg_preload_offset 0
		.amdhsa_user_sgpr_private_segment_size 0
		.amdhsa_uses_dynamic_stack 0
		.amdhsa_system_sgpr_private_segment_wavefront_offset 0
		.amdhsa_system_sgpr_workgroup_id_x 1
		.amdhsa_system_sgpr_workgroup_id_y 0
		.amdhsa_system_sgpr_workgroup_id_z 0
		.amdhsa_system_sgpr_workgroup_info 0
		.amdhsa_system_vgpr_workitem_id 0
		.amdhsa_next_free_vgpr 1
		.amdhsa_next_free_sgpr 0
		.amdhsa_accum_offset 4
		.amdhsa_reserve_vcc 0
		.amdhsa_reserve_flat_scratch 0
		.amdhsa_float_round_mode_32 0
		.amdhsa_float_round_mode_16_64 0
		.amdhsa_float_denorm_mode_32 3
		.amdhsa_float_denorm_mode_16_64 3
		.amdhsa_dx10_clamp 1
		.amdhsa_ieee_mode 1
		.amdhsa_fp16_overflow 0
		.amdhsa_tg_split 0
		.amdhsa_exception_fp_ieee_invalid_op 0
		.amdhsa_exception_fp_denorm_src 0
		.amdhsa_exception_fp_ieee_div_zero 0
		.amdhsa_exception_fp_ieee_overflow 0
		.amdhsa_exception_fp_ieee_underflow 0
		.amdhsa_exception_fp_ieee_inexact 0
		.amdhsa_exception_int_div_zero 0
	.end_amdhsa_kernel
	.section	.text._ZN7rocprim17ROCPRIM_400000_NS6detail17trampoline_kernelINS0_14default_configENS1_33run_length_encode_config_selectorIsjNS0_4plusIjEEEEZZNS1_33reduce_by_key_impl_wrapped_configILNS1_25lookback_scan_determinismE0ES3_S7_PKsNS0_17constant_iteratorIjlEEPsPlSF_S6_NS0_8equal_toIsEEEE10hipError_tPvRmT2_T3_mT4_T5_T6_T7_T8_P12ihipStream_tbENKUlT_T0_E_clISt17integral_constantIbLb0EESY_IbLb1EEEEDaSU_SV_EUlSU_E_NS1_11comp_targetILNS1_3genE2ELNS1_11target_archE906ELNS1_3gpuE6ELNS1_3repE0EEENS1_30default_config_static_selectorELNS0_4arch9wavefront6targetE1EEEvT1_,"axG",@progbits,_ZN7rocprim17ROCPRIM_400000_NS6detail17trampoline_kernelINS0_14default_configENS1_33run_length_encode_config_selectorIsjNS0_4plusIjEEEEZZNS1_33reduce_by_key_impl_wrapped_configILNS1_25lookback_scan_determinismE0ES3_S7_PKsNS0_17constant_iteratorIjlEEPsPlSF_S6_NS0_8equal_toIsEEEE10hipError_tPvRmT2_T3_mT4_T5_T6_T7_T8_P12ihipStream_tbENKUlT_T0_E_clISt17integral_constantIbLb0EESY_IbLb1EEEEDaSU_SV_EUlSU_E_NS1_11comp_targetILNS1_3genE2ELNS1_11target_archE906ELNS1_3gpuE6ELNS1_3repE0EEENS1_30default_config_static_selectorELNS0_4arch9wavefront6targetE1EEEvT1_,comdat
.Lfunc_end611:
	.size	_ZN7rocprim17ROCPRIM_400000_NS6detail17trampoline_kernelINS0_14default_configENS1_33run_length_encode_config_selectorIsjNS0_4plusIjEEEEZZNS1_33reduce_by_key_impl_wrapped_configILNS1_25lookback_scan_determinismE0ES3_S7_PKsNS0_17constant_iteratorIjlEEPsPlSF_S6_NS0_8equal_toIsEEEE10hipError_tPvRmT2_T3_mT4_T5_T6_T7_T8_P12ihipStream_tbENKUlT_T0_E_clISt17integral_constantIbLb0EESY_IbLb1EEEEDaSU_SV_EUlSU_E_NS1_11comp_targetILNS1_3genE2ELNS1_11target_archE906ELNS1_3gpuE6ELNS1_3repE0EEENS1_30default_config_static_selectorELNS0_4arch9wavefront6targetE1EEEvT1_, .Lfunc_end611-_ZN7rocprim17ROCPRIM_400000_NS6detail17trampoline_kernelINS0_14default_configENS1_33run_length_encode_config_selectorIsjNS0_4plusIjEEEEZZNS1_33reduce_by_key_impl_wrapped_configILNS1_25lookback_scan_determinismE0ES3_S7_PKsNS0_17constant_iteratorIjlEEPsPlSF_S6_NS0_8equal_toIsEEEE10hipError_tPvRmT2_T3_mT4_T5_T6_T7_T8_P12ihipStream_tbENKUlT_T0_E_clISt17integral_constantIbLb0EESY_IbLb1EEEEDaSU_SV_EUlSU_E_NS1_11comp_targetILNS1_3genE2ELNS1_11target_archE906ELNS1_3gpuE6ELNS1_3repE0EEENS1_30default_config_static_selectorELNS0_4arch9wavefront6targetE1EEEvT1_
                                        ; -- End function
	.section	.AMDGPU.csdata,"",@progbits
; Kernel info:
; codeLenInByte = 0
; NumSgprs: 4
; NumVgprs: 0
; NumAgprs: 0
; TotalNumVgprs: 0
; ScratchSize: 0
; MemoryBound: 0
; FloatMode: 240
; IeeeMode: 1
; LDSByteSize: 0 bytes/workgroup (compile time only)
; SGPRBlocks: 0
; VGPRBlocks: 0
; NumSGPRsForWavesPerEU: 4
; NumVGPRsForWavesPerEU: 1
; AccumOffset: 4
; Occupancy: 8
; WaveLimiterHint : 0
; COMPUTE_PGM_RSRC2:SCRATCH_EN: 0
; COMPUTE_PGM_RSRC2:USER_SGPR: 6
; COMPUTE_PGM_RSRC2:TRAP_HANDLER: 0
; COMPUTE_PGM_RSRC2:TGID_X_EN: 1
; COMPUTE_PGM_RSRC2:TGID_Y_EN: 0
; COMPUTE_PGM_RSRC2:TGID_Z_EN: 0
; COMPUTE_PGM_RSRC2:TIDIG_COMP_CNT: 0
; COMPUTE_PGM_RSRC3_GFX90A:ACCUM_OFFSET: 0
; COMPUTE_PGM_RSRC3_GFX90A:TG_SPLIT: 0
	.section	.text._ZN7rocprim17ROCPRIM_400000_NS6detail17trampoline_kernelINS0_14default_configENS1_33run_length_encode_config_selectorIsjNS0_4plusIjEEEEZZNS1_33reduce_by_key_impl_wrapped_configILNS1_25lookback_scan_determinismE0ES3_S7_PKsNS0_17constant_iteratorIjlEEPsPlSF_S6_NS0_8equal_toIsEEEE10hipError_tPvRmT2_T3_mT4_T5_T6_T7_T8_P12ihipStream_tbENKUlT_T0_E_clISt17integral_constantIbLb0EESY_IbLb1EEEEDaSU_SV_EUlSU_E_NS1_11comp_targetILNS1_3genE10ELNS1_11target_archE1201ELNS1_3gpuE5ELNS1_3repE0EEENS1_30default_config_static_selectorELNS0_4arch9wavefront6targetE1EEEvT1_,"axG",@progbits,_ZN7rocprim17ROCPRIM_400000_NS6detail17trampoline_kernelINS0_14default_configENS1_33run_length_encode_config_selectorIsjNS0_4plusIjEEEEZZNS1_33reduce_by_key_impl_wrapped_configILNS1_25lookback_scan_determinismE0ES3_S7_PKsNS0_17constant_iteratorIjlEEPsPlSF_S6_NS0_8equal_toIsEEEE10hipError_tPvRmT2_T3_mT4_T5_T6_T7_T8_P12ihipStream_tbENKUlT_T0_E_clISt17integral_constantIbLb0EESY_IbLb1EEEEDaSU_SV_EUlSU_E_NS1_11comp_targetILNS1_3genE10ELNS1_11target_archE1201ELNS1_3gpuE5ELNS1_3repE0EEENS1_30default_config_static_selectorELNS0_4arch9wavefront6targetE1EEEvT1_,comdat
	.protected	_ZN7rocprim17ROCPRIM_400000_NS6detail17trampoline_kernelINS0_14default_configENS1_33run_length_encode_config_selectorIsjNS0_4plusIjEEEEZZNS1_33reduce_by_key_impl_wrapped_configILNS1_25lookback_scan_determinismE0ES3_S7_PKsNS0_17constant_iteratorIjlEEPsPlSF_S6_NS0_8equal_toIsEEEE10hipError_tPvRmT2_T3_mT4_T5_T6_T7_T8_P12ihipStream_tbENKUlT_T0_E_clISt17integral_constantIbLb0EESY_IbLb1EEEEDaSU_SV_EUlSU_E_NS1_11comp_targetILNS1_3genE10ELNS1_11target_archE1201ELNS1_3gpuE5ELNS1_3repE0EEENS1_30default_config_static_selectorELNS0_4arch9wavefront6targetE1EEEvT1_ ; -- Begin function _ZN7rocprim17ROCPRIM_400000_NS6detail17trampoline_kernelINS0_14default_configENS1_33run_length_encode_config_selectorIsjNS0_4plusIjEEEEZZNS1_33reduce_by_key_impl_wrapped_configILNS1_25lookback_scan_determinismE0ES3_S7_PKsNS0_17constant_iteratorIjlEEPsPlSF_S6_NS0_8equal_toIsEEEE10hipError_tPvRmT2_T3_mT4_T5_T6_T7_T8_P12ihipStream_tbENKUlT_T0_E_clISt17integral_constantIbLb0EESY_IbLb1EEEEDaSU_SV_EUlSU_E_NS1_11comp_targetILNS1_3genE10ELNS1_11target_archE1201ELNS1_3gpuE5ELNS1_3repE0EEENS1_30default_config_static_selectorELNS0_4arch9wavefront6targetE1EEEvT1_
	.globl	_ZN7rocprim17ROCPRIM_400000_NS6detail17trampoline_kernelINS0_14default_configENS1_33run_length_encode_config_selectorIsjNS0_4plusIjEEEEZZNS1_33reduce_by_key_impl_wrapped_configILNS1_25lookback_scan_determinismE0ES3_S7_PKsNS0_17constant_iteratorIjlEEPsPlSF_S6_NS0_8equal_toIsEEEE10hipError_tPvRmT2_T3_mT4_T5_T6_T7_T8_P12ihipStream_tbENKUlT_T0_E_clISt17integral_constantIbLb0EESY_IbLb1EEEEDaSU_SV_EUlSU_E_NS1_11comp_targetILNS1_3genE10ELNS1_11target_archE1201ELNS1_3gpuE5ELNS1_3repE0EEENS1_30default_config_static_selectorELNS0_4arch9wavefront6targetE1EEEvT1_
	.p2align	8
	.type	_ZN7rocprim17ROCPRIM_400000_NS6detail17trampoline_kernelINS0_14default_configENS1_33run_length_encode_config_selectorIsjNS0_4plusIjEEEEZZNS1_33reduce_by_key_impl_wrapped_configILNS1_25lookback_scan_determinismE0ES3_S7_PKsNS0_17constant_iteratorIjlEEPsPlSF_S6_NS0_8equal_toIsEEEE10hipError_tPvRmT2_T3_mT4_T5_T6_T7_T8_P12ihipStream_tbENKUlT_T0_E_clISt17integral_constantIbLb0EESY_IbLb1EEEEDaSU_SV_EUlSU_E_NS1_11comp_targetILNS1_3genE10ELNS1_11target_archE1201ELNS1_3gpuE5ELNS1_3repE0EEENS1_30default_config_static_selectorELNS0_4arch9wavefront6targetE1EEEvT1_,@function
_ZN7rocprim17ROCPRIM_400000_NS6detail17trampoline_kernelINS0_14default_configENS1_33run_length_encode_config_selectorIsjNS0_4plusIjEEEEZZNS1_33reduce_by_key_impl_wrapped_configILNS1_25lookback_scan_determinismE0ES3_S7_PKsNS0_17constant_iteratorIjlEEPsPlSF_S6_NS0_8equal_toIsEEEE10hipError_tPvRmT2_T3_mT4_T5_T6_T7_T8_P12ihipStream_tbENKUlT_T0_E_clISt17integral_constantIbLb0EESY_IbLb1EEEEDaSU_SV_EUlSU_E_NS1_11comp_targetILNS1_3genE10ELNS1_11target_archE1201ELNS1_3gpuE5ELNS1_3repE0EEENS1_30default_config_static_selectorELNS0_4arch9wavefront6targetE1EEEvT1_: ; @_ZN7rocprim17ROCPRIM_400000_NS6detail17trampoline_kernelINS0_14default_configENS1_33run_length_encode_config_selectorIsjNS0_4plusIjEEEEZZNS1_33reduce_by_key_impl_wrapped_configILNS1_25lookback_scan_determinismE0ES3_S7_PKsNS0_17constant_iteratorIjlEEPsPlSF_S6_NS0_8equal_toIsEEEE10hipError_tPvRmT2_T3_mT4_T5_T6_T7_T8_P12ihipStream_tbENKUlT_T0_E_clISt17integral_constantIbLb0EESY_IbLb1EEEEDaSU_SV_EUlSU_E_NS1_11comp_targetILNS1_3genE10ELNS1_11target_archE1201ELNS1_3gpuE5ELNS1_3repE0EEENS1_30default_config_static_selectorELNS0_4arch9wavefront6targetE1EEEvT1_
; %bb.0:
	.section	.rodata,"a",@progbits
	.p2align	6, 0x0
	.amdhsa_kernel _ZN7rocprim17ROCPRIM_400000_NS6detail17trampoline_kernelINS0_14default_configENS1_33run_length_encode_config_selectorIsjNS0_4plusIjEEEEZZNS1_33reduce_by_key_impl_wrapped_configILNS1_25lookback_scan_determinismE0ES3_S7_PKsNS0_17constant_iteratorIjlEEPsPlSF_S6_NS0_8equal_toIsEEEE10hipError_tPvRmT2_T3_mT4_T5_T6_T7_T8_P12ihipStream_tbENKUlT_T0_E_clISt17integral_constantIbLb0EESY_IbLb1EEEEDaSU_SV_EUlSU_E_NS1_11comp_targetILNS1_3genE10ELNS1_11target_archE1201ELNS1_3gpuE5ELNS1_3repE0EEENS1_30default_config_static_selectorELNS0_4arch9wavefront6targetE1EEEvT1_
		.amdhsa_group_segment_fixed_size 0
		.amdhsa_private_segment_fixed_size 0
		.amdhsa_kernarg_size 128
		.amdhsa_user_sgpr_count 6
		.amdhsa_user_sgpr_private_segment_buffer 1
		.amdhsa_user_sgpr_dispatch_ptr 0
		.amdhsa_user_sgpr_queue_ptr 0
		.amdhsa_user_sgpr_kernarg_segment_ptr 1
		.amdhsa_user_sgpr_dispatch_id 0
		.amdhsa_user_sgpr_flat_scratch_init 0
		.amdhsa_user_sgpr_kernarg_preload_length 0
		.amdhsa_user_sgpr_kernarg_preload_offset 0
		.amdhsa_user_sgpr_private_segment_size 0
		.amdhsa_uses_dynamic_stack 0
		.amdhsa_system_sgpr_private_segment_wavefront_offset 0
		.amdhsa_system_sgpr_workgroup_id_x 1
		.amdhsa_system_sgpr_workgroup_id_y 0
		.amdhsa_system_sgpr_workgroup_id_z 0
		.amdhsa_system_sgpr_workgroup_info 0
		.amdhsa_system_vgpr_workitem_id 0
		.amdhsa_next_free_vgpr 1
		.amdhsa_next_free_sgpr 0
		.amdhsa_accum_offset 4
		.amdhsa_reserve_vcc 0
		.amdhsa_reserve_flat_scratch 0
		.amdhsa_float_round_mode_32 0
		.amdhsa_float_round_mode_16_64 0
		.amdhsa_float_denorm_mode_32 3
		.amdhsa_float_denorm_mode_16_64 3
		.amdhsa_dx10_clamp 1
		.amdhsa_ieee_mode 1
		.amdhsa_fp16_overflow 0
		.amdhsa_tg_split 0
		.amdhsa_exception_fp_ieee_invalid_op 0
		.amdhsa_exception_fp_denorm_src 0
		.amdhsa_exception_fp_ieee_div_zero 0
		.amdhsa_exception_fp_ieee_overflow 0
		.amdhsa_exception_fp_ieee_underflow 0
		.amdhsa_exception_fp_ieee_inexact 0
		.amdhsa_exception_int_div_zero 0
	.end_amdhsa_kernel
	.section	.text._ZN7rocprim17ROCPRIM_400000_NS6detail17trampoline_kernelINS0_14default_configENS1_33run_length_encode_config_selectorIsjNS0_4plusIjEEEEZZNS1_33reduce_by_key_impl_wrapped_configILNS1_25lookback_scan_determinismE0ES3_S7_PKsNS0_17constant_iteratorIjlEEPsPlSF_S6_NS0_8equal_toIsEEEE10hipError_tPvRmT2_T3_mT4_T5_T6_T7_T8_P12ihipStream_tbENKUlT_T0_E_clISt17integral_constantIbLb0EESY_IbLb1EEEEDaSU_SV_EUlSU_E_NS1_11comp_targetILNS1_3genE10ELNS1_11target_archE1201ELNS1_3gpuE5ELNS1_3repE0EEENS1_30default_config_static_selectorELNS0_4arch9wavefront6targetE1EEEvT1_,"axG",@progbits,_ZN7rocprim17ROCPRIM_400000_NS6detail17trampoline_kernelINS0_14default_configENS1_33run_length_encode_config_selectorIsjNS0_4plusIjEEEEZZNS1_33reduce_by_key_impl_wrapped_configILNS1_25lookback_scan_determinismE0ES3_S7_PKsNS0_17constant_iteratorIjlEEPsPlSF_S6_NS0_8equal_toIsEEEE10hipError_tPvRmT2_T3_mT4_T5_T6_T7_T8_P12ihipStream_tbENKUlT_T0_E_clISt17integral_constantIbLb0EESY_IbLb1EEEEDaSU_SV_EUlSU_E_NS1_11comp_targetILNS1_3genE10ELNS1_11target_archE1201ELNS1_3gpuE5ELNS1_3repE0EEENS1_30default_config_static_selectorELNS0_4arch9wavefront6targetE1EEEvT1_,comdat
.Lfunc_end612:
	.size	_ZN7rocprim17ROCPRIM_400000_NS6detail17trampoline_kernelINS0_14default_configENS1_33run_length_encode_config_selectorIsjNS0_4plusIjEEEEZZNS1_33reduce_by_key_impl_wrapped_configILNS1_25lookback_scan_determinismE0ES3_S7_PKsNS0_17constant_iteratorIjlEEPsPlSF_S6_NS0_8equal_toIsEEEE10hipError_tPvRmT2_T3_mT4_T5_T6_T7_T8_P12ihipStream_tbENKUlT_T0_E_clISt17integral_constantIbLb0EESY_IbLb1EEEEDaSU_SV_EUlSU_E_NS1_11comp_targetILNS1_3genE10ELNS1_11target_archE1201ELNS1_3gpuE5ELNS1_3repE0EEENS1_30default_config_static_selectorELNS0_4arch9wavefront6targetE1EEEvT1_, .Lfunc_end612-_ZN7rocprim17ROCPRIM_400000_NS6detail17trampoline_kernelINS0_14default_configENS1_33run_length_encode_config_selectorIsjNS0_4plusIjEEEEZZNS1_33reduce_by_key_impl_wrapped_configILNS1_25lookback_scan_determinismE0ES3_S7_PKsNS0_17constant_iteratorIjlEEPsPlSF_S6_NS0_8equal_toIsEEEE10hipError_tPvRmT2_T3_mT4_T5_T6_T7_T8_P12ihipStream_tbENKUlT_T0_E_clISt17integral_constantIbLb0EESY_IbLb1EEEEDaSU_SV_EUlSU_E_NS1_11comp_targetILNS1_3genE10ELNS1_11target_archE1201ELNS1_3gpuE5ELNS1_3repE0EEENS1_30default_config_static_selectorELNS0_4arch9wavefront6targetE1EEEvT1_
                                        ; -- End function
	.section	.AMDGPU.csdata,"",@progbits
; Kernel info:
; codeLenInByte = 0
; NumSgprs: 4
; NumVgprs: 0
; NumAgprs: 0
; TotalNumVgprs: 0
; ScratchSize: 0
; MemoryBound: 0
; FloatMode: 240
; IeeeMode: 1
; LDSByteSize: 0 bytes/workgroup (compile time only)
; SGPRBlocks: 0
; VGPRBlocks: 0
; NumSGPRsForWavesPerEU: 4
; NumVGPRsForWavesPerEU: 1
; AccumOffset: 4
; Occupancy: 8
; WaveLimiterHint : 0
; COMPUTE_PGM_RSRC2:SCRATCH_EN: 0
; COMPUTE_PGM_RSRC2:USER_SGPR: 6
; COMPUTE_PGM_RSRC2:TRAP_HANDLER: 0
; COMPUTE_PGM_RSRC2:TGID_X_EN: 1
; COMPUTE_PGM_RSRC2:TGID_Y_EN: 0
; COMPUTE_PGM_RSRC2:TGID_Z_EN: 0
; COMPUTE_PGM_RSRC2:TIDIG_COMP_CNT: 0
; COMPUTE_PGM_RSRC3_GFX90A:ACCUM_OFFSET: 0
; COMPUTE_PGM_RSRC3_GFX90A:TG_SPLIT: 0
	.section	.text._ZN7rocprim17ROCPRIM_400000_NS6detail17trampoline_kernelINS0_14default_configENS1_33run_length_encode_config_selectorIsjNS0_4plusIjEEEEZZNS1_33reduce_by_key_impl_wrapped_configILNS1_25lookback_scan_determinismE0ES3_S7_PKsNS0_17constant_iteratorIjlEEPsPlSF_S6_NS0_8equal_toIsEEEE10hipError_tPvRmT2_T3_mT4_T5_T6_T7_T8_P12ihipStream_tbENKUlT_T0_E_clISt17integral_constantIbLb0EESY_IbLb1EEEEDaSU_SV_EUlSU_E_NS1_11comp_targetILNS1_3genE10ELNS1_11target_archE1200ELNS1_3gpuE4ELNS1_3repE0EEENS1_30default_config_static_selectorELNS0_4arch9wavefront6targetE1EEEvT1_,"axG",@progbits,_ZN7rocprim17ROCPRIM_400000_NS6detail17trampoline_kernelINS0_14default_configENS1_33run_length_encode_config_selectorIsjNS0_4plusIjEEEEZZNS1_33reduce_by_key_impl_wrapped_configILNS1_25lookback_scan_determinismE0ES3_S7_PKsNS0_17constant_iteratorIjlEEPsPlSF_S6_NS0_8equal_toIsEEEE10hipError_tPvRmT2_T3_mT4_T5_T6_T7_T8_P12ihipStream_tbENKUlT_T0_E_clISt17integral_constantIbLb0EESY_IbLb1EEEEDaSU_SV_EUlSU_E_NS1_11comp_targetILNS1_3genE10ELNS1_11target_archE1200ELNS1_3gpuE4ELNS1_3repE0EEENS1_30default_config_static_selectorELNS0_4arch9wavefront6targetE1EEEvT1_,comdat
	.protected	_ZN7rocprim17ROCPRIM_400000_NS6detail17trampoline_kernelINS0_14default_configENS1_33run_length_encode_config_selectorIsjNS0_4plusIjEEEEZZNS1_33reduce_by_key_impl_wrapped_configILNS1_25lookback_scan_determinismE0ES3_S7_PKsNS0_17constant_iteratorIjlEEPsPlSF_S6_NS0_8equal_toIsEEEE10hipError_tPvRmT2_T3_mT4_T5_T6_T7_T8_P12ihipStream_tbENKUlT_T0_E_clISt17integral_constantIbLb0EESY_IbLb1EEEEDaSU_SV_EUlSU_E_NS1_11comp_targetILNS1_3genE10ELNS1_11target_archE1200ELNS1_3gpuE4ELNS1_3repE0EEENS1_30default_config_static_selectorELNS0_4arch9wavefront6targetE1EEEvT1_ ; -- Begin function _ZN7rocprim17ROCPRIM_400000_NS6detail17trampoline_kernelINS0_14default_configENS1_33run_length_encode_config_selectorIsjNS0_4plusIjEEEEZZNS1_33reduce_by_key_impl_wrapped_configILNS1_25lookback_scan_determinismE0ES3_S7_PKsNS0_17constant_iteratorIjlEEPsPlSF_S6_NS0_8equal_toIsEEEE10hipError_tPvRmT2_T3_mT4_T5_T6_T7_T8_P12ihipStream_tbENKUlT_T0_E_clISt17integral_constantIbLb0EESY_IbLb1EEEEDaSU_SV_EUlSU_E_NS1_11comp_targetILNS1_3genE10ELNS1_11target_archE1200ELNS1_3gpuE4ELNS1_3repE0EEENS1_30default_config_static_selectorELNS0_4arch9wavefront6targetE1EEEvT1_
	.globl	_ZN7rocprim17ROCPRIM_400000_NS6detail17trampoline_kernelINS0_14default_configENS1_33run_length_encode_config_selectorIsjNS0_4plusIjEEEEZZNS1_33reduce_by_key_impl_wrapped_configILNS1_25lookback_scan_determinismE0ES3_S7_PKsNS0_17constant_iteratorIjlEEPsPlSF_S6_NS0_8equal_toIsEEEE10hipError_tPvRmT2_T3_mT4_T5_T6_T7_T8_P12ihipStream_tbENKUlT_T0_E_clISt17integral_constantIbLb0EESY_IbLb1EEEEDaSU_SV_EUlSU_E_NS1_11comp_targetILNS1_3genE10ELNS1_11target_archE1200ELNS1_3gpuE4ELNS1_3repE0EEENS1_30default_config_static_selectorELNS0_4arch9wavefront6targetE1EEEvT1_
	.p2align	8
	.type	_ZN7rocprim17ROCPRIM_400000_NS6detail17trampoline_kernelINS0_14default_configENS1_33run_length_encode_config_selectorIsjNS0_4plusIjEEEEZZNS1_33reduce_by_key_impl_wrapped_configILNS1_25lookback_scan_determinismE0ES3_S7_PKsNS0_17constant_iteratorIjlEEPsPlSF_S6_NS0_8equal_toIsEEEE10hipError_tPvRmT2_T3_mT4_T5_T6_T7_T8_P12ihipStream_tbENKUlT_T0_E_clISt17integral_constantIbLb0EESY_IbLb1EEEEDaSU_SV_EUlSU_E_NS1_11comp_targetILNS1_3genE10ELNS1_11target_archE1200ELNS1_3gpuE4ELNS1_3repE0EEENS1_30default_config_static_selectorELNS0_4arch9wavefront6targetE1EEEvT1_,@function
_ZN7rocprim17ROCPRIM_400000_NS6detail17trampoline_kernelINS0_14default_configENS1_33run_length_encode_config_selectorIsjNS0_4plusIjEEEEZZNS1_33reduce_by_key_impl_wrapped_configILNS1_25lookback_scan_determinismE0ES3_S7_PKsNS0_17constant_iteratorIjlEEPsPlSF_S6_NS0_8equal_toIsEEEE10hipError_tPvRmT2_T3_mT4_T5_T6_T7_T8_P12ihipStream_tbENKUlT_T0_E_clISt17integral_constantIbLb0EESY_IbLb1EEEEDaSU_SV_EUlSU_E_NS1_11comp_targetILNS1_3genE10ELNS1_11target_archE1200ELNS1_3gpuE4ELNS1_3repE0EEENS1_30default_config_static_selectorELNS0_4arch9wavefront6targetE1EEEvT1_: ; @_ZN7rocprim17ROCPRIM_400000_NS6detail17trampoline_kernelINS0_14default_configENS1_33run_length_encode_config_selectorIsjNS0_4plusIjEEEEZZNS1_33reduce_by_key_impl_wrapped_configILNS1_25lookback_scan_determinismE0ES3_S7_PKsNS0_17constant_iteratorIjlEEPsPlSF_S6_NS0_8equal_toIsEEEE10hipError_tPvRmT2_T3_mT4_T5_T6_T7_T8_P12ihipStream_tbENKUlT_T0_E_clISt17integral_constantIbLb0EESY_IbLb1EEEEDaSU_SV_EUlSU_E_NS1_11comp_targetILNS1_3genE10ELNS1_11target_archE1200ELNS1_3gpuE4ELNS1_3repE0EEENS1_30default_config_static_selectorELNS0_4arch9wavefront6targetE1EEEvT1_
; %bb.0:
	.section	.rodata,"a",@progbits
	.p2align	6, 0x0
	.amdhsa_kernel _ZN7rocprim17ROCPRIM_400000_NS6detail17trampoline_kernelINS0_14default_configENS1_33run_length_encode_config_selectorIsjNS0_4plusIjEEEEZZNS1_33reduce_by_key_impl_wrapped_configILNS1_25lookback_scan_determinismE0ES3_S7_PKsNS0_17constant_iteratorIjlEEPsPlSF_S6_NS0_8equal_toIsEEEE10hipError_tPvRmT2_T3_mT4_T5_T6_T7_T8_P12ihipStream_tbENKUlT_T0_E_clISt17integral_constantIbLb0EESY_IbLb1EEEEDaSU_SV_EUlSU_E_NS1_11comp_targetILNS1_3genE10ELNS1_11target_archE1200ELNS1_3gpuE4ELNS1_3repE0EEENS1_30default_config_static_selectorELNS0_4arch9wavefront6targetE1EEEvT1_
		.amdhsa_group_segment_fixed_size 0
		.amdhsa_private_segment_fixed_size 0
		.amdhsa_kernarg_size 128
		.amdhsa_user_sgpr_count 6
		.amdhsa_user_sgpr_private_segment_buffer 1
		.amdhsa_user_sgpr_dispatch_ptr 0
		.amdhsa_user_sgpr_queue_ptr 0
		.amdhsa_user_sgpr_kernarg_segment_ptr 1
		.amdhsa_user_sgpr_dispatch_id 0
		.amdhsa_user_sgpr_flat_scratch_init 0
		.amdhsa_user_sgpr_kernarg_preload_length 0
		.amdhsa_user_sgpr_kernarg_preload_offset 0
		.amdhsa_user_sgpr_private_segment_size 0
		.amdhsa_uses_dynamic_stack 0
		.amdhsa_system_sgpr_private_segment_wavefront_offset 0
		.amdhsa_system_sgpr_workgroup_id_x 1
		.amdhsa_system_sgpr_workgroup_id_y 0
		.amdhsa_system_sgpr_workgroup_id_z 0
		.amdhsa_system_sgpr_workgroup_info 0
		.amdhsa_system_vgpr_workitem_id 0
		.amdhsa_next_free_vgpr 1
		.amdhsa_next_free_sgpr 0
		.amdhsa_accum_offset 4
		.amdhsa_reserve_vcc 0
		.amdhsa_reserve_flat_scratch 0
		.amdhsa_float_round_mode_32 0
		.amdhsa_float_round_mode_16_64 0
		.amdhsa_float_denorm_mode_32 3
		.amdhsa_float_denorm_mode_16_64 3
		.amdhsa_dx10_clamp 1
		.amdhsa_ieee_mode 1
		.amdhsa_fp16_overflow 0
		.amdhsa_tg_split 0
		.amdhsa_exception_fp_ieee_invalid_op 0
		.amdhsa_exception_fp_denorm_src 0
		.amdhsa_exception_fp_ieee_div_zero 0
		.amdhsa_exception_fp_ieee_overflow 0
		.amdhsa_exception_fp_ieee_underflow 0
		.amdhsa_exception_fp_ieee_inexact 0
		.amdhsa_exception_int_div_zero 0
	.end_amdhsa_kernel
	.section	.text._ZN7rocprim17ROCPRIM_400000_NS6detail17trampoline_kernelINS0_14default_configENS1_33run_length_encode_config_selectorIsjNS0_4plusIjEEEEZZNS1_33reduce_by_key_impl_wrapped_configILNS1_25lookback_scan_determinismE0ES3_S7_PKsNS0_17constant_iteratorIjlEEPsPlSF_S6_NS0_8equal_toIsEEEE10hipError_tPvRmT2_T3_mT4_T5_T6_T7_T8_P12ihipStream_tbENKUlT_T0_E_clISt17integral_constantIbLb0EESY_IbLb1EEEEDaSU_SV_EUlSU_E_NS1_11comp_targetILNS1_3genE10ELNS1_11target_archE1200ELNS1_3gpuE4ELNS1_3repE0EEENS1_30default_config_static_selectorELNS0_4arch9wavefront6targetE1EEEvT1_,"axG",@progbits,_ZN7rocprim17ROCPRIM_400000_NS6detail17trampoline_kernelINS0_14default_configENS1_33run_length_encode_config_selectorIsjNS0_4plusIjEEEEZZNS1_33reduce_by_key_impl_wrapped_configILNS1_25lookback_scan_determinismE0ES3_S7_PKsNS0_17constant_iteratorIjlEEPsPlSF_S6_NS0_8equal_toIsEEEE10hipError_tPvRmT2_T3_mT4_T5_T6_T7_T8_P12ihipStream_tbENKUlT_T0_E_clISt17integral_constantIbLb0EESY_IbLb1EEEEDaSU_SV_EUlSU_E_NS1_11comp_targetILNS1_3genE10ELNS1_11target_archE1200ELNS1_3gpuE4ELNS1_3repE0EEENS1_30default_config_static_selectorELNS0_4arch9wavefront6targetE1EEEvT1_,comdat
.Lfunc_end613:
	.size	_ZN7rocprim17ROCPRIM_400000_NS6detail17trampoline_kernelINS0_14default_configENS1_33run_length_encode_config_selectorIsjNS0_4plusIjEEEEZZNS1_33reduce_by_key_impl_wrapped_configILNS1_25lookback_scan_determinismE0ES3_S7_PKsNS0_17constant_iteratorIjlEEPsPlSF_S6_NS0_8equal_toIsEEEE10hipError_tPvRmT2_T3_mT4_T5_T6_T7_T8_P12ihipStream_tbENKUlT_T0_E_clISt17integral_constantIbLb0EESY_IbLb1EEEEDaSU_SV_EUlSU_E_NS1_11comp_targetILNS1_3genE10ELNS1_11target_archE1200ELNS1_3gpuE4ELNS1_3repE0EEENS1_30default_config_static_selectorELNS0_4arch9wavefront6targetE1EEEvT1_, .Lfunc_end613-_ZN7rocprim17ROCPRIM_400000_NS6detail17trampoline_kernelINS0_14default_configENS1_33run_length_encode_config_selectorIsjNS0_4plusIjEEEEZZNS1_33reduce_by_key_impl_wrapped_configILNS1_25lookback_scan_determinismE0ES3_S7_PKsNS0_17constant_iteratorIjlEEPsPlSF_S6_NS0_8equal_toIsEEEE10hipError_tPvRmT2_T3_mT4_T5_T6_T7_T8_P12ihipStream_tbENKUlT_T0_E_clISt17integral_constantIbLb0EESY_IbLb1EEEEDaSU_SV_EUlSU_E_NS1_11comp_targetILNS1_3genE10ELNS1_11target_archE1200ELNS1_3gpuE4ELNS1_3repE0EEENS1_30default_config_static_selectorELNS0_4arch9wavefront6targetE1EEEvT1_
                                        ; -- End function
	.section	.AMDGPU.csdata,"",@progbits
; Kernel info:
; codeLenInByte = 0
; NumSgprs: 4
; NumVgprs: 0
; NumAgprs: 0
; TotalNumVgprs: 0
; ScratchSize: 0
; MemoryBound: 0
; FloatMode: 240
; IeeeMode: 1
; LDSByteSize: 0 bytes/workgroup (compile time only)
; SGPRBlocks: 0
; VGPRBlocks: 0
; NumSGPRsForWavesPerEU: 4
; NumVGPRsForWavesPerEU: 1
; AccumOffset: 4
; Occupancy: 8
; WaveLimiterHint : 0
; COMPUTE_PGM_RSRC2:SCRATCH_EN: 0
; COMPUTE_PGM_RSRC2:USER_SGPR: 6
; COMPUTE_PGM_RSRC2:TRAP_HANDLER: 0
; COMPUTE_PGM_RSRC2:TGID_X_EN: 1
; COMPUTE_PGM_RSRC2:TGID_Y_EN: 0
; COMPUTE_PGM_RSRC2:TGID_Z_EN: 0
; COMPUTE_PGM_RSRC2:TIDIG_COMP_CNT: 0
; COMPUTE_PGM_RSRC3_GFX90A:ACCUM_OFFSET: 0
; COMPUTE_PGM_RSRC3_GFX90A:TG_SPLIT: 0
	.section	.text._ZN7rocprim17ROCPRIM_400000_NS6detail17trampoline_kernelINS0_14default_configENS1_33run_length_encode_config_selectorIsjNS0_4plusIjEEEEZZNS1_33reduce_by_key_impl_wrapped_configILNS1_25lookback_scan_determinismE0ES3_S7_PKsNS0_17constant_iteratorIjlEEPsPlSF_S6_NS0_8equal_toIsEEEE10hipError_tPvRmT2_T3_mT4_T5_T6_T7_T8_P12ihipStream_tbENKUlT_T0_E_clISt17integral_constantIbLb0EESY_IbLb1EEEEDaSU_SV_EUlSU_E_NS1_11comp_targetILNS1_3genE9ELNS1_11target_archE1100ELNS1_3gpuE3ELNS1_3repE0EEENS1_30default_config_static_selectorELNS0_4arch9wavefront6targetE1EEEvT1_,"axG",@progbits,_ZN7rocprim17ROCPRIM_400000_NS6detail17trampoline_kernelINS0_14default_configENS1_33run_length_encode_config_selectorIsjNS0_4plusIjEEEEZZNS1_33reduce_by_key_impl_wrapped_configILNS1_25lookback_scan_determinismE0ES3_S7_PKsNS0_17constant_iteratorIjlEEPsPlSF_S6_NS0_8equal_toIsEEEE10hipError_tPvRmT2_T3_mT4_T5_T6_T7_T8_P12ihipStream_tbENKUlT_T0_E_clISt17integral_constantIbLb0EESY_IbLb1EEEEDaSU_SV_EUlSU_E_NS1_11comp_targetILNS1_3genE9ELNS1_11target_archE1100ELNS1_3gpuE3ELNS1_3repE0EEENS1_30default_config_static_selectorELNS0_4arch9wavefront6targetE1EEEvT1_,comdat
	.protected	_ZN7rocprim17ROCPRIM_400000_NS6detail17trampoline_kernelINS0_14default_configENS1_33run_length_encode_config_selectorIsjNS0_4plusIjEEEEZZNS1_33reduce_by_key_impl_wrapped_configILNS1_25lookback_scan_determinismE0ES3_S7_PKsNS0_17constant_iteratorIjlEEPsPlSF_S6_NS0_8equal_toIsEEEE10hipError_tPvRmT2_T3_mT4_T5_T6_T7_T8_P12ihipStream_tbENKUlT_T0_E_clISt17integral_constantIbLb0EESY_IbLb1EEEEDaSU_SV_EUlSU_E_NS1_11comp_targetILNS1_3genE9ELNS1_11target_archE1100ELNS1_3gpuE3ELNS1_3repE0EEENS1_30default_config_static_selectorELNS0_4arch9wavefront6targetE1EEEvT1_ ; -- Begin function _ZN7rocprim17ROCPRIM_400000_NS6detail17trampoline_kernelINS0_14default_configENS1_33run_length_encode_config_selectorIsjNS0_4plusIjEEEEZZNS1_33reduce_by_key_impl_wrapped_configILNS1_25lookback_scan_determinismE0ES3_S7_PKsNS0_17constant_iteratorIjlEEPsPlSF_S6_NS0_8equal_toIsEEEE10hipError_tPvRmT2_T3_mT4_T5_T6_T7_T8_P12ihipStream_tbENKUlT_T0_E_clISt17integral_constantIbLb0EESY_IbLb1EEEEDaSU_SV_EUlSU_E_NS1_11comp_targetILNS1_3genE9ELNS1_11target_archE1100ELNS1_3gpuE3ELNS1_3repE0EEENS1_30default_config_static_selectorELNS0_4arch9wavefront6targetE1EEEvT1_
	.globl	_ZN7rocprim17ROCPRIM_400000_NS6detail17trampoline_kernelINS0_14default_configENS1_33run_length_encode_config_selectorIsjNS0_4plusIjEEEEZZNS1_33reduce_by_key_impl_wrapped_configILNS1_25lookback_scan_determinismE0ES3_S7_PKsNS0_17constant_iteratorIjlEEPsPlSF_S6_NS0_8equal_toIsEEEE10hipError_tPvRmT2_T3_mT4_T5_T6_T7_T8_P12ihipStream_tbENKUlT_T0_E_clISt17integral_constantIbLb0EESY_IbLb1EEEEDaSU_SV_EUlSU_E_NS1_11comp_targetILNS1_3genE9ELNS1_11target_archE1100ELNS1_3gpuE3ELNS1_3repE0EEENS1_30default_config_static_selectorELNS0_4arch9wavefront6targetE1EEEvT1_
	.p2align	8
	.type	_ZN7rocprim17ROCPRIM_400000_NS6detail17trampoline_kernelINS0_14default_configENS1_33run_length_encode_config_selectorIsjNS0_4plusIjEEEEZZNS1_33reduce_by_key_impl_wrapped_configILNS1_25lookback_scan_determinismE0ES3_S7_PKsNS0_17constant_iteratorIjlEEPsPlSF_S6_NS0_8equal_toIsEEEE10hipError_tPvRmT2_T3_mT4_T5_T6_T7_T8_P12ihipStream_tbENKUlT_T0_E_clISt17integral_constantIbLb0EESY_IbLb1EEEEDaSU_SV_EUlSU_E_NS1_11comp_targetILNS1_3genE9ELNS1_11target_archE1100ELNS1_3gpuE3ELNS1_3repE0EEENS1_30default_config_static_selectorELNS0_4arch9wavefront6targetE1EEEvT1_,@function
_ZN7rocprim17ROCPRIM_400000_NS6detail17trampoline_kernelINS0_14default_configENS1_33run_length_encode_config_selectorIsjNS0_4plusIjEEEEZZNS1_33reduce_by_key_impl_wrapped_configILNS1_25lookback_scan_determinismE0ES3_S7_PKsNS0_17constant_iteratorIjlEEPsPlSF_S6_NS0_8equal_toIsEEEE10hipError_tPvRmT2_T3_mT4_T5_T6_T7_T8_P12ihipStream_tbENKUlT_T0_E_clISt17integral_constantIbLb0EESY_IbLb1EEEEDaSU_SV_EUlSU_E_NS1_11comp_targetILNS1_3genE9ELNS1_11target_archE1100ELNS1_3gpuE3ELNS1_3repE0EEENS1_30default_config_static_selectorELNS0_4arch9wavefront6targetE1EEEvT1_: ; @_ZN7rocprim17ROCPRIM_400000_NS6detail17trampoline_kernelINS0_14default_configENS1_33run_length_encode_config_selectorIsjNS0_4plusIjEEEEZZNS1_33reduce_by_key_impl_wrapped_configILNS1_25lookback_scan_determinismE0ES3_S7_PKsNS0_17constant_iteratorIjlEEPsPlSF_S6_NS0_8equal_toIsEEEE10hipError_tPvRmT2_T3_mT4_T5_T6_T7_T8_P12ihipStream_tbENKUlT_T0_E_clISt17integral_constantIbLb0EESY_IbLb1EEEEDaSU_SV_EUlSU_E_NS1_11comp_targetILNS1_3genE9ELNS1_11target_archE1100ELNS1_3gpuE3ELNS1_3repE0EEENS1_30default_config_static_selectorELNS0_4arch9wavefront6targetE1EEEvT1_
; %bb.0:
	.section	.rodata,"a",@progbits
	.p2align	6, 0x0
	.amdhsa_kernel _ZN7rocprim17ROCPRIM_400000_NS6detail17trampoline_kernelINS0_14default_configENS1_33run_length_encode_config_selectorIsjNS0_4plusIjEEEEZZNS1_33reduce_by_key_impl_wrapped_configILNS1_25lookback_scan_determinismE0ES3_S7_PKsNS0_17constant_iteratorIjlEEPsPlSF_S6_NS0_8equal_toIsEEEE10hipError_tPvRmT2_T3_mT4_T5_T6_T7_T8_P12ihipStream_tbENKUlT_T0_E_clISt17integral_constantIbLb0EESY_IbLb1EEEEDaSU_SV_EUlSU_E_NS1_11comp_targetILNS1_3genE9ELNS1_11target_archE1100ELNS1_3gpuE3ELNS1_3repE0EEENS1_30default_config_static_selectorELNS0_4arch9wavefront6targetE1EEEvT1_
		.amdhsa_group_segment_fixed_size 0
		.amdhsa_private_segment_fixed_size 0
		.amdhsa_kernarg_size 128
		.amdhsa_user_sgpr_count 6
		.amdhsa_user_sgpr_private_segment_buffer 1
		.amdhsa_user_sgpr_dispatch_ptr 0
		.amdhsa_user_sgpr_queue_ptr 0
		.amdhsa_user_sgpr_kernarg_segment_ptr 1
		.amdhsa_user_sgpr_dispatch_id 0
		.amdhsa_user_sgpr_flat_scratch_init 0
		.amdhsa_user_sgpr_kernarg_preload_length 0
		.amdhsa_user_sgpr_kernarg_preload_offset 0
		.amdhsa_user_sgpr_private_segment_size 0
		.amdhsa_uses_dynamic_stack 0
		.amdhsa_system_sgpr_private_segment_wavefront_offset 0
		.amdhsa_system_sgpr_workgroup_id_x 1
		.amdhsa_system_sgpr_workgroup_id_y 0
		.amdhsa_system_sgpr_workgroup_id_z 0
		.amdhsa_system_sgpr_workgroup_info 0
		.amdhsa_system_vgpr_workitem_id 0
		.amdhsa_next_free_vgpr 1
		.amdhsa_next_free_sgpr 0
		.amdhsa_accum_offset 4
		.amdhsa_reserve_vcc 0
		.amdhsa_reserve_flat_scratch 0
		.amdhsa_float_round_mode_32 0
		.amdhsa_float_round_mode_16_64 0
		.amdhsa_float_denorm_mode_32 3
		.amdhsa_float_denorm_mode_16_64 3
		.amdhsa_dx10_clamp 1
		.amdhsa_ieee_mode 1
		.amdhsa_fp16_overflow 0
		.amdhsa_tg_split 0
		.amdhsa_exception_fp_ieee_invalid_op 0
		.amdhsa_exception_fp_denorm_src 0
		.amdhsa_exception_fp_ieee_div_zero 0
		.amdhsa_exception_fp_ieee_overflow 0
		.amdhsa_exception_fp_ieee_underflow 0
		.amdhsa_exception_fp_ieee_inexact 0
		.amdhsa_exception_int_div_zero 0
	.end_amdhsa_kernel
	.section	.text._ZN7rocprim17ROCPRIM_400000_NS6detail17trampoline_kernelINS0_14default_configENS1_33run_length_encode_config_selectorIsjNS0_4plusIjEEEEZZNS1_33reduce_by_key_impl_wrapped_configILNS1_25lookback_scan_determinismE0ES3_S7_PKsNS0_17constant_iteratorIjlEEPsPlSF_S6_NS0_8equal_toIsEEEE10hipError_tPvRmT2_T3_mT4_T5_T6_T7_T8_P12ihipStream_tbENKUlT_T0_E_clISt17integral_constantIbLb0EESY_IbLb1EEEEDaSU_SV_EUlSU_E_NS1_11comp_targetILNS1_3genE9ELNS1_11target_archE1100ELNS1_3gpuE3ELNS1_3repE0EEENS1_30default_config_static_selectorELNS0_4arch9wavefront6targetE1EEEvT1_,"axG",@progbits,_ZN7rocprim17ROCPRIM_400000_NS6detail17trampoline_kernelINS0_14default_configENS1_33run_length_encode_config_selectorIsjNS0_4plusIjEEEEZZNS1_33reduce_by_key_impl_wrapped_configILNS1_25lookback_scan_determinismE0ES3_S7_PKsNS0_17constant_iteratorIjlEEPsPlSF_S6_NS0_8equal_toIsEEEE10hipError_tPvRmT2_T3_mT4_T5_T6_T7_T8_P12ihipStream_tbENKUlT_T0_E_clISt17integral_constantIbLb0EESY_IbLb1EEEEDaSU_SV_EUlSU_E_NS1_11comp_targetILNS1_3genE9ELNS1_11target_archE1100ELNS1_3gpuE3ELNS1_3repE0EEENS1_30default_config_static_selectorELNS0_4arch9wavefront6targetE1EEEvT1_,comdat
.Lfunc_end614:
	.size	_ZN7rocprim17ROCPRIM_400000_NS6detail17trampoline_kernelINS0_14default_configENS1_33run_length_encode_config_selectorIsjNS0_4plusIjEEEEZZNS1_33reduce_by_key_impl_wrapped_configILNS1_25lookback_scan_determinismE0ES3_S7_PKsNS0_17constant_iteratorIjlEEPsPlSF_S6_NS0_8equal_toIsEEEE10hipError_tPvRmT2_T3_mT4_T5_T6_T7_T8_P12ihipStream_tbENKUlT_T0_E_clISt17integral_constantIbLb0EESY_IbLb1EEEEDaSU_SV_EUlSU_E_NS1_11comp_targetILNS1_3genE9ELNS1_11target_archE1100ELNS1_3gpuE3ELNS1_3repE0EEENS1_30default_config_static_selectorELNS0_4arch9wavefront6targetE1EEEvT1_, .Lfunc_end614-_ZN7rocprim17ROCPRIM_400000_NS6detail17trampoline_kernelINS0_14default_configENS1_33run_length_encode_config_selectorIsjNS0_4plusIjEEEEZZNS1_33reduce_by_key_impl_wrapped_configILNS1_25lookback_scan_determinismE0ES3_S7_PKsNS0_17constant_iteratorIjlEEPsPlSF_S6_NS0_8equal_toIsEEEE10hipError_tPvRmT2_T3_mT4_T5_T6_T7_T8_P12ihipStream_tbENKUlT_T0_E_clISt17integral_constantIbLb0EESY_IbLb1EEEEDaSU_SV_EUlSU_E_NS1_11comp_targetILNS1_3genE9ELNS1_11target_archE1100ELNS1_3gpuE3ELNS1_3repE0EEENS1_30default_config_static_selectorELNS0_4arch9wavefront6targetE1EEEvT1_
                                        ; -- End function
	.section	.AMDGPU.csdata,"",@progbits
; Kernel info:
; codeLenInByte = 0
; NumSgprs: 4
; NumVgprs: 0
; NumAgprs: 0
; TotalNumVgprs: 0
; ScratchSize: 0
; MemoryBound: 0
; FloatMode: 240
; IeeeMode: 1
; LDSByteSize: 0 bytes/workgroup (compile time only)
; SGPRBlocks: 0
; VGPRBlocks: 0
; NumSGPRsForWavesPerEU: 4
; NumVGPRsForWavesPerEU: 1
; AccumOffset: 4
; Occupancy: 8
; WaveLimiterHint : 0
; COMPUTE_PGM_RSRC2:SCRATCH_EN: 0
; COMPUTE_PGM_RSRC2:USER_SGPR: 6
; COMPUTE_PGM_RSRC2:TRAP_HANDLER: 0
; COMPUTE_PGM_RSRC2:TGID_X_EN: 1
; COMPUTE_PGM_RSRC2:TGID_Y_EN: 0
; COMPUTE_PGM_RSRC2:TGID_Z_EN: 0
; COMPUTE_PGM_RSRC2:TIDIG_COMP_CNT: 0
; COMPUTE_PGM_RSRC3_GFX90A:ACCUM_OFFSET: 0
; COMPUTE_PGM_RSRC3_GFX90A:TG_SPLIT: 0
	.section	.text._ZN7rocprim17ROCPRIM_400000_NS6detail17trampoline_kernelINS0_14default_configENS1_33run_length_encode_config_selectorIsjNS0_4plusIjEEEEZZNS1_33reduce_by_key_impl_wrapped_configILNS1_25lookback_scan_determinismE0ES3_S7_PKsNS0_17constant_iteratorIjlEEPsPlSF_S6_NS0_8equal_toIsEEEE10hipError_tPvRmT2_T3_mT4_T5_T6_T7_T8_P12ihipStream_tbENKUlT_T0_E_clISt17integral_constantIbLb0EESY_IbLb1EEEEDaSU_SV_EUlSU_E_NS1_11comp_targetILNS1_3genE8ELNS1_11target_archE1030ELNS1_3gpuE2ELNS1_3repE0EEENS1_30default_config_static_selectorELNS0_4arch9wavefront6targetE1EEEvT1_,"axG",@progbits,_ZN7rocprim17ROCPRIM_400000_NS6detail17trampoline_kernelINS0_14default_configENS1_33run_length_encode_config_selectorIsjNS0_4plusIjEEEEZZNS1_33reduce_by_key_impl_wrapped_configILNS1_25lookback_scan_determinismE0ES3_S7_PKsNS0_17constant_iteratorIjlEEPsPlSF_S6_NS0_8equal_toIsEEEE10hipError_tPvRmT2_T3_mT4_T5_T6_T7_T8_P12ihipStream_tbENKUlT_T0_E_clISt17integral_constantIbLb0EESY_IbLb1EEEEDaSU_SV_EUlSU_E_NS1_11comp_targetILNS1_3genE8ELNS1_11target_archE1030ELNS1_3gpuE2ELNS1_3repE0EEENS1_30default_config_static_selectorELNS0_4arch9wavefront6targetE1EEEvT1_,comdat
	.protected	_ZN7rocprim17ROCPRIM_400000_NS6detail17trampoline_kernelINS0_14default_configENS1_33run_length_encode_config_selectorIsjNS0_4plusIjEEEEZZNS1_33reduce_by_key_impl_wrapped_configILNS1_25lookback_scan_determinismE0ES3_S7_PKsNS0_17constant_iteratorIjlEEPsPlSF_S6_NS0_8equal_toIsEEEE10hipError_tPvRmT2_T3_mT4_T5_T6_T7_T8_P12ihipStream_tbENKUlT_T0_E_clISt17integral_constantIbLb0EESY_IbLb1EEEEDaSU_SV_EUlSU_E_NS1_11comp_targetILNS1_3genE8ELNS1_11target_archE1030ELNS1_3gpuE2ELNS1_3repE0EEENS1_30default_config_static_selectorELNS0_4arch9wavefront6targetE1EEEvT1_ ; -- Begin function _ZN7rocprim17ROCPRIM_400000_NS6detail17trampoline_kernelINS0_14default_configENS1_33run_length_encode_config_selectorIsjNS0_4plusIjEEEEZZNS1_33reduce_by_key_impl_wrapped_configILNS1_25lookback_scan_determinismE0ES3_S7_PKsNS0_17constant_iteratorIjlEEPsPlSF_S6_NS0_8equal_toIsEEEE10hipError_tPvRmT2_T3_mT4_T5_T6_T7_T8_P12ihipStream_tbENKUlT_T0_E_clISt17integral_constantIbLb0EESY_IbLb1EEEEDaSU_SV_EUlSU_E_NS1_11comp_targetILNS1_3genE8ELNS1_11target_archE1030ELNS1_3gpuE2ELNS1_3repE0EEENS1_30default_config_static_selectorELNS0_4arch9wavefront6targetE1EEEvT1_
	.globl	_ZN7rocprim17ROCPRIM_400000_NS6detail17trampoline_kernelINS0_14default_configENS1_33run_length_encode_config_selectorIsjNS0_4plusIjEEEEZZNS1_33reduce_by_key_impl_wrapped_configILNS1_25lookback_scan_determinismE0ES3_S7_PKsNS0_17constant_iteratorIjlEEPsPlSF_S6_NS0_8equal_toIsEEEE10hipError_tPvRmT2_T3_mT4_T5_T6_T7_T8_P12ihipStream_tbENKUlT_T0_E_clISt17integral_constantIbLb0EESY_IbLb1EEEEDaSU_SV_EUlSU_E_NS1_11comp_targetILNS1_3genE8ELNS1_11target_archE1030ELNS1_3gpuE2ELNS1_3repE0EEENS1_30default_config_static_selectorELNS0_4arch9wavefront6targetE1EEEvT1_
	.p2align	8
	.type	_ZN7rocprim17ROCPRIM_400000_NS6detail17trampoline_kernelINS0_14default_configENS1_33run_length_encode_config_selectorIsjNS0_4plusIjEEEEZZNS1_33reduce_by_key_impl_wrapped_configILNS1_25lookback_scan_determinismE0ES3_S7_PKsNS0_17constant_iteratorIjlEEPsPlSF_S6_NS0_8equal_toIsEEEE10hipError_tPvRmT2_T3_mT4_T5_T6_T7_T8_P12ihipStream_tbENKUlT_T0_E_clISt17integral_constantIbLb0EESY_IbLb1EEEEDaSU_SV_EUlSU_E_NS1_11comp_targetILNS1_3genE8ELNS1_11target_archE1030ELNS1_3gpuE2ELNS1_3repE0EEENS1_30default_config_static_selectorELNS0_4arch9wavefront6targetE1EEEvT1_,@function
_ZN7rocprim17ROCPRIM_400000_NS6detail17trampoline_kernelINS0_14default_configENS1_33run_length_encode_config_selectorIsjNS0_4plusIjEEEEZZNS1_33reduce_by_key_impl_wrapped_configILNS1_25lookback_scan_determinismE0ES3_S7_PKsNS0_17constant_iteratorIjlEEPsPlSF_S6_NS0_8equal_toIsEEEE10hipError_tPvRmT2_T3_mT4_T5_T6_T7_T8_P12ihipStream_tbENKUlT_T0_E_clISt17integral_constantIbLb0EESY_IbLb1EEEEDaSU_SV_EUlSU_E_NS1_11comp_targetILNS1_3genE8ELNS1_11target_archE1030ELNS1_3gpuE2ELNS1_3repE0EEENS1_30default_config_static_selectorELNS0_4arch9wavefront6targetE1EEEvT1_: ; @_ZN7rocprim17ROCPRIM_400000_NS6detail17trampoline_kernelINS0_14default_configENS1_33run_length_encode_config_selectorIsjNS0_4plusIjEEEEZZNS1_33reduce_by_key_impl_wrapped_configILNS1_25lookback_scan_determinismE0ES3_S7_PKsNS0_17constant_iteratorIjlEEPsPlSF_S6_NS0_8equal_toIsEEEE10hipError_tPvRmT2_T3_mT4_T5_T6_T7_T8_P12ihipStream_tbENKUlT_T0_E_clISt17integral_constantIbLb0EESY_IbLb1EEEEDaSU_SV_EUlSU_E_NS1_11comp_targetILNS1_3genE8ELNS1_11target_archE1030ELNS1_3gpuE2ELNS1_3repE0EEENS1_30default_config_static_selectorELNS0_4arch9wavefront6targetE1EEEvT1_
; %bb.0:
	.section	.rodata,"a",@progbits
	.p2align	6, 0x0
	.amdhsa_kernel _ZN7rocprim17ROCPRIM_400000_NS6detail17trampoline_kernelINS0_14default_configENS1_33run_length_encode_config_selectorIsjNS0_4plusIjEEEEZZNS1_33reduce_by_key_impl_wrapped_configILNS1_25lookback_scan_determinismE0ES3_S7_PKsNS0_17constant_iteratorIjlEEPsPlSF_S6_NS0_8equal_toIsEEEE10hipError_tPvRmT2_T3_mT4_T5_T6_T7_T8_P12ihipStream_tbENKUlT_T0_E_clISt17integral_constantIbLb0EESY_IbLb1EEEEDaSU_SV_EUlSU_E_NS1_11comp_targetILNS1_3genE8ELNS1_11target_archE1030ELNS1_3gpuE2ELNS1_3repE0EEENS1_30default_config_static_selectorELNS0_4arch9wavefront6targetE1EEEvT1_
		.amdhsa_group_segment_fixed_size 0
		.amdhsa_private_segment_fixed_size 0
		.amdhsa_kernarg_size 128
		.amdhsa_user_sgpr_count 6
		.amdhsa_user_sgpr_private_segment_buffer 1
		.amdhsa_user_sgpr_dispatch_ptr 0
		.amdhsa_user_sgpr_queue_ptr 0
		.amdhsa_user_sgpr_kernarg_segment_ptr 1
		.amdhsa_user_sgpr_dispatch_id 0
		.amdhsa_user_sgpr_flat_scratch_init 0
		.amdhsa_user_sgpr_kernarg_preload_length 0
		.amdhsa_user_sgpr_kernarg_preload_offset 0
		.amdhsa_user_sgpr_private_segment_size 0
		.amdhsa_uses_dynamic_stack 0
		.amdhsa_system_sgpr_private_segment_wavefront_offset 0
		.amdhsa_system_sgpr_workgroup_id_x 1
		.amdhsa_system_sgpr_workgroup_id_y 0
		.amdhsa_system_sgpr_workgroup_id_z 0
		.amdhsa_system_sgpr_workgroup_info 0
		.amdhsa_system_vgpr_workitem_id 0
		.amdhsa_next_free_vgpr 1
		.amdhsa_next_free_sgpr 0
		.amdhsa_accum_offset 4
		.amdhsa_reserve_vcc 0
		.amdhsa_reserve_flat_scratch 0
		.amdhsa_float_round_mode_32 0
		.amdhsa_float_round_mode_16_64 0
		.amdhsa_float_denorm_mode_32 3
		.amdhsa_float_denorm_mode_16_64 3
		.amdhsa_dx10_clamp 1
		.amdhsa_ieee_mode 1
		.amdhsa_fp16_overflow 0
		.amdhsa_tg_split 0
		.amdhsa_exception_fp_ieee_invalid_op 0
		.amdhsa_exception_fp_denorm_src 0
		.amdhsa_exception_fp_ieee_div_zero 0
		.amdhsa_exception_fp_ieee_overflow 0
		.amdhsa_exception_fp_ieee_underflow 0
		.amdhsa_exception_fp_ieee_inexact 0
		.amdhsa_exception_int_div_zero 0
	.end_amdhsa_kernel
	.section	.text._ZN7rocprim17ROCPRIM_400000_NS6detail17trampoline_kernelINS0_14default_configENS1_33run_length_encode_config_selectorIsjNS0_4plusIjEEEEZZNS1_33reduce_by_key_impl_wrapped_configILNS1_25lookback_scan_determinismE0ES3_S7_PKsNS0_17constant_iteratorIjlEEPsPlSF_S6_NS0_8equal_toIsEEEE10hipError_tPvRmT2_T3_mT4_T5_T6_T7_T8_P12ihipStream_tbENKUlT_T0_E_clISt17integral_constantIbLb0EESY_IbLb1EEEEDaSU_SV_EUlSU_E_NS1_11comp_targetILNS1_3genE8ELNS1_11target_archE1030ELNS1_3gpuE2ELNS1_3repE0EEENS1_30default_config_static_selectorELNS0_4arch9wavefront6targetE1EEEvT1_,"axG",@progbits,_ZN7rocprim17ROCPRIM_400000_NS6detail17trampoline_kernelINS0_14default_configENS1_33run_length_encode_config_selectorIsjNS0_4plusIjEEEEZZNS1_33reduce_by_key_impl_wrapped_configILNS1_25lookback_scan_determinismE0ES3_S7_PKsNS0_17constant_iteratorIjlEEPsPlSF_S6_NS0_8equal_toIsEEEE10hipError_tPvRmT2_T3_mT4_T5_T6_T7_T8_P12ihipStream_tbENKUlT_T0_E_clISt17integral_constantIbLb0EESY_IbLb1EEEEDaSU_SV_EUlSU_E_NS1_11comp_targetILNS1_3genE8ELNS1_11target_archE1030ELNS1_3gpuE2ELNS1_3repE0EEENS1_30default_config_static_selectorELNS0_4arch9wavefront6targetE1EEEvT1_,comdat
.Lfunc_end615:
	.size	_ZN7rocprim17ROCPRIM_400000_NS6detail17trampoline_kernelINS0_14default_configENS1_33run_length_encode_config_selectorIsjNS0_4plusIjEEEEZZNS1_33reduce_by_key_impl_wrapped_configILNS1_25lookback_scan_determinismE0ES3_S7_PKsNS0_17constant_iteratorIjlEEPsPlSF_S6_NS0_8equal_toIsEEEE10hipError_tPvRmT2_T3_mT4_T5_T6_T7_T8_P12ihipStream_tbENKUlT_T0_E_clISt17integral_constantIbLb0EESY_IbLb1EEEEDaSU_SV_EUlSU_E_NS1_11comp_targetILNS1_3genE8ELNS1_11target_archE1030ELNS1_3gpuE2ELNS1_3repE0EEENS1_30default_config_static_selectorELNS0_4arch9wavefront6targetE1EEEvT1_, .Lfunc_end615-_ZN7rocprim17ROCPRIM_400000_NS6detail17trampoline_kernelINS0_14default_configENS1_33run_length_encode_config_selectorIsjNS0_4plusIjEEEEZZNS1_33reduce_by_key_impl_wrapped_configILNS1_25lookback_scan_determinismE0ES3_S7_PKsNS0_17constant_iteratorIjlEEPsPlSF_S6_NS0_8equal_toIsEEEE10hipError_tPvRmT2_T3_mT4_T5_T6_T7_T8_P12ihipStream_tbENKUlT_T0_E_clISt17integral_constantIbLb0EESY_IbLb1EEEEDaSU_SV_EUlSU_E_NS1_11comp_targetILNS1_3genE8ELNS1_11target_archE1030ELNS1_3gpuE2ELNS1_3repE0EEENS1_30default_config_static_selectorELNS0_4arch9wavefront6targetE1EEEvT1_
                                        ; -- End function
	.section	.AMDGPU.csdata,"",@progbits
; Kernel info:
; codeLenInByte = 0
; NumSgprs: 4
; NumVgprs: 0
; NumAgprs: 0
; TotalNumVgprs: 0
; ScratchSize: 0
; MemoryBound: 0
; FloatMode: 240
; IeeeMode: 1
; LDSByteSize: 0 bytes/workgroup (compile time only)
; SGPRBlocks: 0
; VGPRBlocks: 0
; NumSGPRsForWavesPerEU: 4
; NumVGPRsForWavesPerEU: 1
; AccumOffset: 4
; Occupancy: 8
; WaveLimiterHint : 0
; COMPUTE_PGM_RSRC2:SCRATCH_EN: 0
; COMPUTE_PGM_RSRC2:USER_SGPR: 6
; COMPUTE_PGM_RSRC2:TRAP_HANDLER: 0
; COMPUTE_PGM_RSRC2:TGID_X_EN: 1
; COMPUTE_PGM_RSRC2:TGID_Y_EN: 0
; COMPUTE_PGM_RSRC2:TGID_Z_EN: 0
; COMPUTE_PGM_RSRC2:TIDIG_COMP_CNT: 0
; COMPUTE_PGM_RSRC3_GFX90A:ACCUM_OFFSET: 0
; COMPUTE_PGM_RSRC3_GFX90A:TG_SPLIT: 0
	.section	.text._ZN2at6native8internal12_GLOBAL__N_126adjacent_difference_kernelIPKjEEvlT_Pi,"axG",@progbits,_ZN2at6native8internal12_GLOBAL__N_126adjacent_difference_kernelIPKjEEvlT_Pi,comdat
	.globl	_ZN2at6native8internal12_GLOBAL__N_126adjacent_difference_kernelIPKjEEvlT_Pi ; -- Begin function _ZN2at6native8internal12_GLOBAL__N_126adjacent_difference_kernelIPKjEEvlT_Pi
	.p2align	8
	.type	_ZN2at6native8internal12_GLOBAL__N_126adjacent_difference_kernelIPKjEEvlT_Pi,@function
_ZN2at6native8internal12_GLOBAL__N_126adjacent_difference_kernelIPKjEEvlT_Pi: ; @_ZN2at6native8internal12_GLOBAL__N_126adjacent_difference_kernelIPKjEEvlT_Pi
; %bb.0:
	s_load_dword s7, s[4:5], 0x24
	s_load_dwordx4 s[0:3], s[4:5], 0x0
	s_add_u32 s10, s4, 24
	s_addc_u32 s11, s5, 0
	v_mov_b32_e32 v1, 0
	s_waitcnt lgkmcnt(0)
	s_and_b32 s7, s7, 0xffff
	v_mov_b32_e32 v2, s6
	v_mad_u64_u32 v[4:5], s[8:9], s7, v2, v[0:1]
	v_cmp_gt_i64_e32 vcc, s[0:1], v[4:5]
	s_and_saveexec_b64 s[8:9], vcc
	s_cbranch_execz .LBB616_5
; %bb.1:
	s_load_dword s12, s[10:11], 0x0
	s_load_dwordx2 s[8:9], s[4:5], 0x10
	s_mul_hi_u32 s13, s7, s6
	s_mul_i32 s10, s7, s6
	s_mov_b32 s6, 0
	s_waitcnt lgkmcnt(0)
	s_mul_i32 s11, s12, s7
	v_mov_b32_e32 v2, v1
	v_mov_b32_e32 v3, v4
	s_mov_b64 s[4:5], 0
	v_mov_b32_e32 v6, s9
	v_mov_b32_e32 v7, s6
	;; [unrolled: 1-line block ×4, first 2 shown]
	v_pk_mov_b32 v[4:5], v[0:1], v[0:1] op_sel:[0,1]
	s_branch .LBB616_3
.LBB616_2:                              ;   in Loop: Header=BB616_3 Depth=1
	s_or_b64 exec, exec, s[6:7]
	v_ashrrev_i64 v[10:11], 30, v[2:3]
	v_add_co_u32_e32 v10, vcc, s8, v10
	v_addc_co_u32_e32 v11, vcc, v6, v11, vcc
	v_add_co_u32_e32 v4, vcc, s11, v4
	v_addc_co_u32_e32 v5, vcc, v5, v7, vcc
	global_store_dword v[10:11], v0, off
	v_add_co_u32_e32 v10, vcc, s10, v4
	v_addc_co_u32_e32 v11, vcc, v8, v5, vcc
	v_cmp_le_i64_e32 vcc, s[0:1], v[10:11]
	s_or_b64 s[4:5], vcc, s[4:5]
	v_add_co_u32_e32 v2, vcc, 0, v2
	v_addc_co_u32_e32 v3, vcc, v3, v9, vcc
	s_andn2_b64 exec, exec, s[4:5]
	s_cbranch_execz .LBB616_5
.LBB616_3:                              ; =>This Inner Loop Header: Depth=1
	v_add_u32_e32 v0, s10, v4
	v_cmp_lt_i32_e32 vcc, 0, v0
	v_mov_b32_e32 v0, 0
	s_and_saveexec_b64 s[6:7], vcc
	s_cbranch_execz .LBB616_2
; %bb.4:                                ;   in Loop: Header=BB616_3 Depth=1
	v_add_u32_e32 v12, s10, v4
	v_and_b32_e32 v0, 0x7fffffff, v12
	v_lshlrev_b64 v[10:11], 2, v[0:1]
	v_mov_b32_e32 v14, s3
	v_add_co_u32_e32 v10, vcc, s2, v10
	v_add_u32_e32 v0, -1, v12
	v_addc_co_u32_e32 v11, vcc, v14, v11, vcc
	v_lshlrev_b64 v[12:13], 2, v[0:1]
	v_add_co_u32_e32 v12, vcc, s2, v12
	v_addc_co_u32_e32 v13, vcc, v14, v13, vcc
	global_load_dword v0, v[10:11], off
	global_load_dword v14, v[12:13], off
	s_waitcnt vmcnt(0)
	v_cmp_ne_u32_e32 vcc, v0, v14
	v_cndmask_b32_e64 v0, 0, 1, vcc
	s_branch .LBB616_2
.LBB616_5:
	s_endpgm
	.section	.rodata,"a",@progbits
	.p2align	6, 0x0
	.amdhsa_kernel _ZN2at6native8internal12_GLOBAL__N_126adjacent_difference_kernelIPKjEEvlT_Pi
		.amdhsa_group_segment_fixed_size 0
		.amdhsa_private_segment_fixed_size 0
		.amdhsa_kernarg_size 280
		.amdhsa_user_sgpr_count 6
		.amdhsa_user_sgpr_private_segment_buffer 1
		.amdhsa_user_sgpr_dispatch_ptr 0
		.amdhsa_user_sgpr_queue_ptr 0
		.amdhsa_user_sgpr_kernarg_segment_ptr 1
		.amdhsa_user_sgpr_dispatch_id 0
		.amdhsa_user_sgpr_flat_scratch_init 0
		.amdhsa_user_sgpr_kernarg_preload_length 0
		.amdhsa_user_sgpr_kernarg_preload_offset 0
		.amdhsa_user_sgpr_private_segment_size 0
		.amdhsa_uses_dynamic_stack 0
		.amdhsa_system_sgpr_private_segment_wavefront_offset 0
		.amdhsa_system_sgpr_workgroup_id_x 1
		.amdhsa_system_sgpr_workgroup_id_y 0
		.amdhsa_system_sgpr_workgroup_id_z 0
		.amdhsa_system_sgpr_workgroup_info 0
		.amdhsa_system_vgpr_workitem_id 0
		.amdhsa_next_free_vgpr 15
		.amdhsa_next_free_sgpr 14
		.amdhsa_accum_offset 16
		.amdhsa_reserve_vcc 1
		.amdhsa_reserve_flat_scratch 0
		.amdhsa_float_round_mode_32 0
		.amdhsa_float_round_mode_16_64 0
		.amdhsa_float_denorm_mode_32 3
		.amdhsa_float_denorm_mode_16_64 3
		.amdhsa_dx10_clamp 1
		.amdhsa_ieee_mode 1
		.amdhsa_fp16_overflow 0
		.amdhsa_tg_split 0
		.amdhsa_exception_fp_ieee_invalid_op 0
		.amdhsa_exception_fp_denorm_src 0
		.amdhsa_exception_fp_ieee_div_zero 0
		.amdhsa_exception_fp_ieee_overflow 0
		.amdhsa_exception_fp_ieee_underflow 0
		.amdhsa_exception_fp_ieee_inexact 0
		.amdhsa_exception_int_div_zero 0
	.end_amdhsa_kernel
	.section	.text._ZN2at6native8internal12_GLOBAL__N_126adjacent_difference_kernelIPKjEEvlT_Pi,"axG",@progbits,_ZN2at6native8internal12_GLOBAL__N_126adjacent_difference_kernelIPKjEEvlT_Pi,comdat
.Lfunc_end616:
	.size	_ZN2at6native8internal12_GLOBAL__N_126adjacent_difference_kernelIPKjEEvlT_Pi, .Lfunc_end616-_ZN2at6native8internal12_GLOBAL__N_126adjacent_difference_kernelIPKjEEvlT_Pi
                                        ; -- End function
	.section	.AMDGPU.csdata,"",@progbits
; Kernel info:
; codeLenInByte = 320
; NumSgprs: 18
; NumVgprs: 15
; NumAgprs: 0
; TotalNumVgprs: 15
; ScratchSize: 0
; MemoryBound: 0
; FloatMode: 240
; IeeeMode: 1
; LDSByteSize: 0 bytes/workgroup (compile time only)
; SGPRBlocks: 2
; VGPRBlocks: 1
; NumSGPRsForWavesPerEU: 18
; NumVGPRsForWavesPerEU: 15
; AccumOffset: 16
; Occupancy: 8
; WaveLimiterHint : 0
; COMPUTE_PGM_RSRC2:SCRATCH_EN: 0
; COMPUTE_PGM_RSRC2:USER_SGPR: 6
; COMPUTE_PGM_RSRC2:TRAP_HANDLER: 0
; COMPUTE_PGM_RSRC2:TGID_X_EN: 1
; COMPUTE_PGM_RSRC2:TGID_Y_EN: 0
; COMPUTE_PGM_RSRC2:TGID_Z_EN: 0
; COMPUTE_PGM_RSRC2:TIDIG_COMP_CNT: 0
; COMPUTE_PGM_RSRC3_GFX90A:ACCUM_OFFSET: 3
; COMPUTE_PGM_RSRC3_GFX90A:TG_SPLIT: 0
	.section	.text._ZN7rocprim17ROCPRIM_400000_NS6detail17trampoline_kernelINS0_14default_configENS1_25partition_config_selectorILNS1_17partition_subalgoE8EjNS0_10empty_typeEbEEZZNS1_14partition_implILS5_8ELb0ES3_jPKjPS6_PKS6_NS0_5tupleIJPjS6_EEENSE_IJSB_SB_EEENS0_18inequality_wrapperIN6hipcub16HIPCUB_304000_NS8EqualityEEEPlJS6_EEE10hipError_tPvRmT3_T4_T5_T6_T7_T9_mT8_P12ihipStream_tbDpT10_ENKUlT_T0_E_clISt17integral_constantIbLb0EES17_EEDaS12_S13_EUlS12_E_NS1_11comp_targetILNS1_3genE0ELNS1_11target_archE4294967295ELNS1_3gpuE0ELNS1_3repE0EEENS1_30default_config_static_selectorELNS0_4arch9wavefront6targetE1EEEvT1_,"axG",@progbits,_ZN7rocprim17ROCPRIM_400000_NS6detail17trampoline_kernelINS0_14default_configENS1_25partition_config_selectorILNS1_17partition_subalgoE8EjNS0_10empty_typeEbEEZZNS1_14partition_implILS5_8ELb0ES3_jPKjPS6_PKS6_NS0_5tupleIJPjS6_EEENSE_IJSB_SB_EEENS0_18inequality_wrapperIN6hipcub16HIPCUB_304000_NS8EqualityEEEPlJS6_EEE10hipError_tPvRmT3_T4_T5_T6_T7_T9_mT8_P12ihipStream_tbDpT10_ENKUlT_T0_E_clISt17integral_constantIbLb0EES17_EEDaS12_S13_EUlS12_E_NS1_11comp_targetILNS1_3genE0ELNS1_11target_archE4294967295ELNS1_3gpuE0ELNS1_3repE0EEENS1_30default_config_static_selectorELNS0_4arch9wavefront6targetE1EEEvT1_,comdat
	.protected	_ZN7rocprim17ROCPRIM_400000_NS6detail17trampoline_kernelINS0_14default_configENS1_25partition_config_selectorILNS1_17partition_subalgoE8EjNS0_10empty_typeEbEEZZNS1_14partition_implILS5_8ELb0ES3_jPKjPS6_PKS6_NS0_5tupleIJPjS6_EEENSE_IJSB_SB_EEENS0_18inequality_wrapperIN6hipcub16HIPCUB_304000_NS8EqualityEEEPlJS6_EEE10hipError_tPvRmT3_T4_T5_T6_T7_T9_mT8_P12ihipStream_tbDpT10_ENKUlT_T0_E_clISt17integral_constantIbLb0EES17_EEDaS12_S13_EUlS12_E_NS1_11comp_targetILNS1_3genE0ELNS1_11target_archE4294967295ELNS1_3gpuE0ELNS1_3repE0EEENS1_30default_config_static_selectorELNS0_4arch9wavefront6targetE1EEEvT1_ ; -- Begin function _ZN7rocprim17ROCPRIM_400000_NS6detail17trampoline_kernelINS0_14default_configENS1_25partition_config_selectorILNS1_17partition_subalgoE8EjNS0_10empty_typeEbEEZZNS1_14partition_implILS5_8ELb0ES3_jPKjPS6_PKS6_NS0_5tupleIJPjS6_EEENSE_IJSB_SB_EEENS0_18inequality_wrapperIN6hipcub16HIPCUB_304000_NS8EqualityEEEPlJS6_EEE10hipError_tPvRmT3_T4_T5_T6_T7_T9_mT8_P12ihipStream_tbDpT10_ENKUlT_T0_E_clISt17integral_constantIbLb0EES17_EEDaS12_S13_EUlS12_E_NS1_11comp_targetILNS1_3genE0ELNS1_11target_archE4294967295ELNS1_3gpuE0ELNS1_3repE0EEENS1_30default_config_static_selectorELNS0_4arch9wavefront6targetE1EEEvT1_
	.globl	_ZN7rocprim17ROCPRIM_400000_NS6detail17trampoline_kernelINS0_14default_configENS1_25partition_config_selectorILNS1_17partition_subalgoE8EjNS0_10empty_typeEbEEZZNS1_14partition_implILS5_8ELb0ES3_jPKjPS6_PKS6_NS0_5tupleIJPjS6_EEENSE_IJSB_SB_EEENS0_18inequality_wrapperIN6hipcub16HIPCUB_304000_NS8EqualityEEEPlJS6_EEE10hipError_tPvRmT3_T4_T5_T6_T7_T9_mT8_P12ihipStream_tbDpT10_ENKUlT_T0_E_clISt17integral_constantIbLb0EES17_EEDaS12_S13_EUlS12_E_NS1_11comp_targetILNS1_3genE0ELNS1_11target_archE4294967295ELNS1_3gpuE0ELNS1_3repE0EEENS1_30default_config_static_selectorELNS0_4arch9wavefront6targetE1EEEvT1_
	.p2align	8
	.type	_ZN7rocprim17ROCPRIM_400000_NS6detail17trampoline_kernelINS0_14default_configENS1_25partition_config_selectorILNS1_17partition_subalgoE8EjNS0_10empty_typeEbEEZZNS1_14partition_implILS5_8ELb0ES3_jPKjPS6_PKS6_NS0_5tupleIJPjS6_EEENSE_IJSB_SB_EEENS0_18inequality_wrapperIN6hipcub16HIPCUB_304000_NS8EqualityEEEPlJS6_EEE10hipError_tPvRmT3_T4_T5_T6_T7_T9_mT8_P12ihipStream_tbDpT10_ENKUlT_T0_E_clISt17integral_constantIbLb0EES17_EEDaS12_S13_EUlS12_E_NS1_11comp_targetILNS1_3genE0ELNS1_11target_archE4294967295ELNS1_3gpuE0ELNS1_3repE0EEENS1_30default_config_static_selectorELNS0_4arch9wavefront6targetE1EEEvT1_,@function
_ZN7rocprim17ROCPRIM_400000_NS6detail17trampoline_kernelINS0_14default_configENS1_25partition_config_selectorILNS1_17partition_subalgoE8EjNS0_10empty_typeEbEEZZNS1_14partition_implILS5_8ELb0ES3_jPKjPS6_PKS6_NS0_5tupleIJPjS6_EEENSE_IJSB_SB_EEENS0_18inequality_wrapperIN6hipcub16HIPCUB_304000_NS8EqualityEEEPlJS6_EEE10hipError_tPvRmT3_T4_T5_T6_T7_T9_mT8_P12ihipStream_tbDpT10_ENKUlT_T0_E_clISt17integral_constantIbLb0EES17_EEDaS12_S13_EUlS12_E_NS1_11comp_targetILNS1_3genE0ELNS1_11target_archE4294967295ELNS1_3gpuE0ELNS1_3repE0EEENS1_30default_config_static_selectorELNS0_4arch9wavefront6targetE1EEEvT1_: ; @_ZN7rocprim17ROCPRIM_400000_NS6detail17trampoline_kernelINS0_14default_configENS1_25partition_config_selectorILNS1_17partition_subalgoE8EjNS0_10empty_typeEbEEZZNS1_14partition_implILS5_8ELb0ES3_jPKjPS6_PKS6_NS0_5tupleIJPjS6_EEENSE_IJSB_SB_EEENS0_18inequality_wrapperIN6hipcub16HIPCUB_304000_NS8EqualityEEEPlJS6_EEE10hipError_tPvRmT3_T4_T5_T6_T7_T9_mT8_P12ihipStream_tbDpT10_ENKUlT_T0_E_clISt17integral_constantIbLb0EES17_EEDaS12_S13_EUlS12_E_NS1_11comp_targetILNS1_3genE0ELNS1_11target_archE4294967295ELNS1_3gpuE0ELNS1_3repE0EEENS1_30default_config_static_selectorELNS0_4arch9wavefront6targetE1EEEvT1_
; %bb.0:
	.section	.rodata,"a",@progbits
	.p2align	6, 0x0
	.amdhsa_kernel _ZN7rocprim17ROCPRIM_400000_NS6detail17trampoline_kernelINS0_14default_configENS1_25partition_config_selectorILNS1_17partition_subalgoE8EjNS0_10empty_typeEbEEZZNS1_14partition_implILS5_8ELb0ES3_jPKjPS6_PKS6_NS0_5tupleIJPjS6_EEENSE_IJSB_SB_EEENS0_18inequality_wrapperIN6hipcub16HIPCUB_304000_NS8EqualityEEEPlJS6_EEE10hipError_tPvRmT3_T4_T5_T6_T7_T9_mT8_P12ihipStream_tbDpT10_ENKUlT_T0_E_clISt17integral_constantIbLb0EES17_EEDaS12_S13_EUlS12_E_NS1_11comp_targetILNS1_3genE0ELNS1_11target_archE4294967295ELNS1_3gpuE0ELNS1_3repE0EEENS1_30default_config_static_selectorELNS0_4arch9wavefront6targetE1EEEvT1_
		.amdhsa_group_segment_fixed_size 0
		.amdhsa_private_segment_fixed_size 0
		.amdhsa_kernarg_size 112
		.amdhsa_user_sgpr_count 6
		.amdhsa_user_sgpr_private_segment_buffer 1
		.amdhsa_user_sgpr_dispatch_ptr 0
		.amdhsa_user_sgpr_queue_ptr 0
		.amdhsa_user_sgpr_kernarg_segment_ptr 1
		.amdhsa_user_sgpr_dispatch_id 0
		.amdhsa_user_sgpr_flat_scratch_init 0
		.amdhsa_user_sgpr_kernarg_preload_length 0
		.amdhsa_user_sgpr_kernarg_preload_offset 0
		.amdhsa_user_sgpr_private_segment_size 0
		.amdhsa_uses_dynamic_stack 0
		.amdhsa_system_sgpr_private_segment_wavefront_offset 0
		.amdhsa_system_sgpr_workgroup_id_x 1
		.amdhsa_system_sgpr_workgroup_id_y 0
		.amdhsa_system_sgpr_workgroup_id_z 0
		.amdhsa_system_sgpr_workgroup_info 0
		.amdhsa_system_vgpr_workitem_id 0
		.amdhsa_next_free_vgpr 1
		.amdhsa_next_free_sgpr 0
		.amdhsa_accum_offset 4
		.amdhsa_reserve_vcc 0
		.amdhsa_reserve_flat_scratch 0
		.amdhsa_float_round_mode_32 0
		.amdhsa_float_round_mode_16_64 0
		.amdhsa_float_denorm_mode_32 3
		.amdhsa_float_denorm_mode_16_64 3
		.amdhsa_dx10_clamp 1
		.amdhsa_ieee_mode 1
		.amdhsa_fp16_overflow 0
		.amdhsa_tg_split 0
		.amdhsa_exception_fp_ieee_invalid_op 0
		.amdhsa_exception_fp_denorm_src 0
		.amdhsa_exception_fp_ieee_div_zero 0
		.amdhsa_exception_fp_ieee_overflow 0
		.amdhsa_exception_fp_ieee_underflow 0
		.amdhsa_exception_fp_ieee_inexact 0
		.amdhsa_exception_int_div_zero 0
	.end_amdhsa_kernel
	.section	.text._ZN7rocprim17ROCPRIM_400000_NS6detail17trampoline_kernelINS0_14default_configENS1_25partition_config_selectorILNS1_17partition_subalgoE8EjNS0_10empty_typeEbEEZZNS1_14partition_implILS5_8ELb0ES3_jPKjPS6_PKS6_NS0_5tupleIJPjS6_EEENSE_IJSB_SB_EEENS0_18inequality_wrapperIN6hipcub16HIPCUB_304000_NS8EqualityEEEPlJS6_EEE10hipError_tPvRmT3_T4_T5_T6_T7_T9_mT8_P12ihipStream_tbDpT10_ENKUlT_T0_E_clISt17integral_constantIbLb0EES17_EEDaS12_S13_EUlS12_E_NS1_11comp_targetILNS1_3genE0ELNS1_11target_archE4294967295ELNS1_3gpuE0ELNS1_3repE0EEENS1_30default_config_static_selectorELNS0_4arch9wavefront6targetE1EEEvT1_,"axG",@progbits,_ZN7rocprim17ROCPRIM_400000_NS6detail17trampoline_kernelINS0_14default_configENS1_25partition_config_selectorILNS1_17partition_subalgoE8EjNS0_10empty_typeEbEEZZNS1_14partition_implILS5_8ELb0ES3_jPKjPS6_PKS6_NS0_5tupleIJPjS6_EEENSE_IJSB_SB_EEENS0_18inequality_wrapperIN6hipcub16HIPCUB_304000_NS8EqualityEEEPlJS6_EEE10hipError_tPvRmT3_T4_T5_T6_T7_T9_mT8_P12ihipStream_tbDpT10_ENKUlT_T0_E_clISt17integral_constantIbLb0EES17_EEDaS12_S13_EUlS12_E_NS1_11comp_targetILNS1_3genE0ELNS1_11target_archE4294967295ELNS1_3gpuE0ELNS1_3repE0EEENS1_30default_config_static_selectorELNS0_4arch9wavefront6targetE1EEEvT1_,comdat
.Lfunc_end617:
	.size	_ZN7rocprim17ROCPRIM_400000_NS6detail17trampoline_kernelINS0_14default_configENS1_25partition_config_selectorILNS1_17partition_subalgoE8EjNS0_10empty_typeEbEEZZNS1_14partition_implILS5_8ELb0ES3_jPKjPS6_PKS6_NS0_5tupleIJPjS6_EEENSE_IJSB_SB_EEENS0_18inequality_wrapperIN6hipcub16HIPCUB_304000_NS8EqualityEEEPlJS6_EEE10hipError_tPvRmT3_T4_T5_T6_T7_T9_mT8_P12ihipStream_tbDpT10_ENKUlT_T0_E_clISt17integral_constantIbLb0EES17_EEDaS12_S13_EUlS12_E_NS1_11comp_targetILNS1_3genE0ELNS1_11target_archE4294967295ELNS1_3gpuE0ELNS1_3repE0EEENS1_30default_config_static_selectorELNS0_4arch9wavefront6targetE1EEEvT1_, .Lfunc_end617-_ZN7rocprim17ROCPRIM_400000_NS6detail17trampoline_kernelINS0_14default_configENS1_25partition_config_selectorILNS1_17partition_subalgoE8EjNS0_10empty_typeEbEEZZNS1_14partition_implILS5_8ELb0ES3_jPKjPS6_PKS6_NS0_5tupleIJPjS6_EEENSE_IJSB_SB_EEENS0_18inequality_wrapperIN6hipcub16HIPCUB_304000_NS8EqualityEEEPlJS6_EEE10hipError_tPvRmT3_T4_T5_T6_T7_T9_mT8_P12ihipStream_tbDpT10_ENKUlT_T0_E_clISt17integral_constantIbLb0EES17_EEDaS12_S13_EUlS12_E_NS1_11comp_targetILNS1_3genE0ELNS1_11target_archE4294967295ELNS1_3gpuE0ELNS1_3repE0EEENS1_30default_config_static_selectorELNS0_4arch9wavefront6targetE1EEEvT1_
                                        ; -- End function
	.section	.AMDGPU.csdata,"",@progbits
; Kernel info:
; codeLenInByte = 0
; NumSgprs: 4
; NumVgprs: 0
; NumAgprs: 0
; TotalNumVgprs: 0
; ScratchSize: 0
; MemoryBound: 0
; FloatMode: 240
; IeeeMode: 1
; LDSByteSize: 0 bytes/workgroup (compile time only)
; SGPRBlocks: 0
; VGPRBlocks: 0
; NumSGPRsForWavesPerEU: 4
; NumVGPRsForWavesPerEU: 1
; AccumOffset: 4
; Occupancy: 8
; WaveLimiterHint : 0
; COMPUTE_PGM_RSRC2:SCRATCH_EN: 0
; COMPUTE_PGM_RSRC2:USER_SGPR: 6
; COMPUTE_PGM_RSRC2:TRAP_HANDLER: 0
; COMPUTE_PGM_RSRC2:TGID_X_EN: 1
; COMPUTE_PGM_RSRC2:TGID_Y_EN: 0
; COMPUTE_PGM_RSRC2:TGID_Z_EN: 0
; COMPUTE_PGM_RSRC2:TIDIG_COMP_CNT: 0
; COMPUTE_PGM_RSRC3_GFX90A:ACCUM_OFFSET: 0
; COMPUTE_PGM_RSRC3_GFX90A:TG_SPLIT: 0
	.section	.text._ZN7rocprim17ROCPRIM_400000_NS6detail17trampoline_kernelINS0_14default_configENS1_25partition_config_selectorILNS1_17partition_subalgoE8EjNS0_10empty_typeEbEEZZNS1_14partition_implILS5_8ELb0ES3_jPKjPS6_PKS6_NS0_5tupleIJPjS6_EEENSE_IJSB_SB_EEENS0_18inequality_wrapperIN6hipcub16HIPCUB_304000_NS8EqualityEEEPlJS6_EEE10hipError_tPvRmT3_T4_T5_T6_T7_T9_mT8_P12ihipStream_tbDpT10_ENKUlT_T0_E_clISt17integral_constantIbLb0EES17_EEDaS12_S13_EUlS12_E_NS1_11comp_targetILNS1_3genE5ELNS1_11target_archE942ELNS1_3gpuE9ELNS1_3repE0EEENS1_30default_config_static_selectorELNS0_4arch9wavefront6targetE1EEEvT1_,"axG",@progbits,_ZN7rocprim17ROCPRIM_400000_NS6detail17trampoline_kernelINS0_14default_configENS1_25partition_config_selectorILNS1_17partition_subalgoE8EjNS0_10empty_typeEbEEZZNS1_14partition_implILS5_8ELb0ES3_jPKjPS6_PKS6_NS0_5tupleIJPjS6_EEENSE_IJSB_SB_EEENS0_18inequality_wrapperIN6hipcub16HIPCUB_304000_NS8EqualityEEEPlJS6_EEE10hipError_tPvRmT3_T4_T5_T6_T7_T9_mT8_P12ihipStream_tbDpT10_ENKUlT_T0_E_clISt17integral_constantIbLb0EES17_EEDaS12_S13_EUlS12_E_NS1_11comp_targetILNS1_3genE5ELNS1_11target_archE942ELNS1_3gpuE9ELNS1_3repE0EEENS1_30default_config_static_selectorELNS0_4arch9wavefront6targetE1EEEvT1_,comdat
	.protected	_ZN7rocprim17ROCPRIM_400000_NS6detail17trampoline_kernelINS0_14default_configENS1_25partition_config_selectorILNS1_17partition_subalgoE8EjNS0_10empty_typeEbEEZZNS1_14partition_implILS5_8ELb0ES3_jPKjPS6_PKS6_NS0_5tupleIJPjS6_EEENSE_IJSB_SB_EEENS0_18inequality_wrapperIN6hipcub16HIPCUB_304000_NS8EqualityEEEPlJS6_EEE10hipError_tPvRmT3_T4_T5_T6_T7_T9_mT8_P12ihipStream_tbDpT10_ENKUlT_T0_E_clISt17integral_constantIbLb0EES17_EEDaS12_S13_EUlS12_E_NS1_11comp_targetILNS1_3genE5ELNS1_11target_archE942ELNS1_3gpuE9ELNS1_3repE0EEENS1_30default_config_static_selectorELNS0_4arch9wavefront6targetE1EEEvT1_ ; -- Begin function _ZN7rocprim17ROCPRIM_400000_NS6detail17trampoline_kernelINS0_14default_configENS1_25partition_config_selectorILNS1_17partition_subalgoE8EjNS0_10empty_typeEbEEZZNS1_14partition_implILS5_8ELb0ES3_jPKjPS6_PKS6_NS0_5tupleIJPjS6_EEENSE_IJSB_SB_EEENS0_18inequality_wrapperIN6hipcub16HIPCUB_304000_NS8EqualityEEEPlJS6_EEE10hipError_tPvRmT3_T4_T5_T6_T7_T9_mT8_P12ihipStream_tbDpT10_ENKUlT_T0_E_clISt17integral_constantIbLb0EES17_EEDaS12_S13_EUlS12_E_NS1_11comp_targetILNS1_3genE5ELNS1_11target_archE942ELNS1_3gpuE9ELNS1_3repE0EEENS1_30default_config_static_selectorELNS0_4arch9wavefront6targetE1EEEvT1_
	.globl	_ZN7rocprim17ROCPRIM_400000_NS6detail17trampoline_kernelINS0_14default_configENS1_25partition_config_selectorILNS1_17partition_subalgoE8EjNS0_10empty_typeEbEEZZNS1_14partition_implILS5_8ELb0ES3_jPKjPS6_PKS6_NS0_5tupleIJPjS6_EEENSE_IJSB_SB_EEENS0_18inequality_wrapperIN6hipcub16HIPCUB_304000_NS8EqualityEEEPlJS6_EEE10hipError_tPvRmT3_T4_T5_T6_T7_T9_mT8_P12ihipStream_tbDpT10_ENKUlT_T0_E_clISt17integral_constantIbLb0EES17_EEDaS12_S13_EUlS12_E_NS1_11comp_targetILNS1_3genE5ELNS1_11target_archE942ELNS1_3gpuE9ELNS1_3repE0EEENS1_30default_config_static_selectorELNS0_4arch9wavefront6targetE1EEEvT1_
	.p2align	8
	.type	_ZN7rocprim17ROCPRIM_400000_NS6detail17trampoline_kernelINS0_14default_configENS1_25partition_config_selectorILNS1_17partition_subalgoE8EjNS0_10empty_typeEbEEZZNS1_14partition_implILS5_8ELb0ES3_jPKjPS6_PKS6_NS0_5tupleIJPjS6_EEENSE_IJSB_SB_EEENS0_18inequality_wrapperIN6hipcub16HIPCUB_304000_NS8EqualityEEEPlJS6_EEE10hipError_tPvRmT3_T4_T5_T6_T7_T9_mT8_P12ihipStream_tbDpT10_ENKUlT_T0_E_clISt17integral_constantIbLb0EES17_EEDaS12_S13_EUlS12_E_NS1_11comp_targetILNS1_3genE5ELNS1_11target_archE942ELNS1_3gpuE9ELNS1_3repE0EEENS1_30default_config_static_selectorELNS0_4arch9wavefront6targetE1EEEvT1_,@function
_ZN7rocprim17ROCPRIM_400000_NS6detail17trampoline_kernelINS0_14default_configENS1_25partition_config_selectorILNS1_17partition_subalgoE8EjNS0_10empty_typeEbEEZZNS1_14partition_implILS5_8ELb0ES3_jPKjPS6_PKS6_NS0_5tupleIJPjS6_EEENSE_IJSB_SB_EEENS0_18inequality_wrapperIN6hipcub16HIPCUB_304000_NS8EqualityEEEPlJS6_EEE10hipError_tPvRmT3_T4_T5_T6_T7_T9_mT8_P12ihipStream_tbDpT10_ENKUlT_T0_E_clISt17integral_constantIbLb0EES17_EEDaS12_S13_EUlS12_E_NS1_11comp_targetILNS1_3genE5ELNS1_11target_archE942ELNS1_3gpuE9ELNS1_3repE0EEENS1_30default_config_static_selectorELNS0_4arch9wavefront6targetE1EEEvT1_: ; @_ZN7rocprim17ROCPRIM_400000_NS6detail17trampoline_kernelINS0_14default_configENS1_25partition_config_selectorILNS1_17partition_subalgoE8EjNS0_10empty_typeEbEEZZNS1_14partition_implILS5_8ELb0ES3_jPKjPS6_PKS6_NS0_5tupleIJPjS6_EEENSE_IJSB_SB_EEENS0_18inequality_wrapperIN6hipcub16HIPCUB_304000_NS8EqualityEEEPlJS6_EEE10hipError_tPvRmT3_T4_T5_T6_T7_T9_mT8_P12ihipStream_tbDpT10_ENKUlT_T0_E_clISt17integral_constantIbLb0EES17_EEDaS12_S13_EUlS12_E_NS1_11comp_targetILNS1_3genE5ELNS1_11target_archE942ELNS1_3gpuE9ELNS1_3repE0EEENS1_30default_config_static_selectorELNS0_4arch9wavefront6targetE1EEEvT1_
; %bb.0:
	.section	.rodata,"a",@progbits
	.p2align	6, 0x0
	.amdhsa_kernel _ZN7rocprim17ROCPRIM_400000_NS6detail17trampoline_kernelINS0_14default_configENS1_25partition_config_selectorILNS1_17partition_subalgoE8EjNS0_10empty_typeEbEEZZNS1_14partition_implILS5_8ELb0ES3_jPKjPS6_PKS6_NS0_5tupleIJPjS6_EEENSE_IJSB_SB_EEENS0_18inequality_wrapperIN6hipcub16HIPCUB_304000_NS8EqualityEEEPlJS6_EEE10hipError_tPvRmT3_T4_T5_T6_T7_T9_mT8_P12ihipStream_tbDpT10_ENKUlT_T0_E_clISt17integral_constantIbLb0EES17_EEDaS12_S13_EUlS12_E_NS1_11comp_targetILNS1_3genE5ELNS1_11target_archE942ELNS1_3gpuE9ELNS1_3repE0EEENS1_30default_config_static_selectorELNS0_4arch9wavefront6targetE1EEEvT1_
		.amdhsa_group_segment_fixed_size 0
		.amdhsa_private_segment_fixed_size 0
		.amdhsa_kernarg_size 112
		.amdhsa_user_sgpr_count 6
		.amdhsa_user_sgpr_private_segment_buffer 1
		.amdhsa_user_sgpr_dispatch_ptr 0
		.amdhsa_user_sgpr_queue_ptr 0
		.amdhsa_user_sgpr_kernarg_segment_ptr 1
		.amdhsa_user_sgpr_dispatch_id 0
		.amdhsa_user_sgpr_flat_scratch_init 0
		.amdhsa_user_sgpr_kernarg_preload_length 0
		.amdhsa_user_sgpr_kernarg_preload_offset 0
		.amdhsa_user_sgpr_private_segment_size 0
		.amdhsa_uses_dynamic_stack 0
		.amdhsa_system_sgpr_private_segment_wavefront_offset 0
		.amdhsa_system_sgpr_workgroup_id_x 1
		.amdhsa_system_sgpr_workgroup_id_y 0
		.amdhsa_system_sgpr_workgroup_id_z 0
		.amdhsa_system_sgpr_workgroup_info 0
		.amdhsa_system_vgpr_workitem_id 0
		.amdhsa_next_free_vgpr 1
		.amdhsa_next_free_sgpr 0
		.amdhsa_accum_offset 4
		.amdhsa_reserve_vcc 0
		.amdhsa_reserve_flat_scratch 0
		.amdhsa_float_round_mode_32 0
		.amdhsa_float_round_mode_16_64 0
		.amdhsa_float_denorm_mode_32 3
		.amdhsa_float_denorm_mode_16_64 3
		.amdhsa_dx10_clamp 1
		.amdhsa_ieee_mode 1
		.amdhsa_fp16_overflow 0
		.amdhsa_tg_split 0
		.amdhsa_exception_fp_ieee_invalid_op 0
		.amdhsa_exception_fp_denorm_src 0
		.amdhsa_exception_fp_ieee_div_zero 0
		.amdhsa_exception_fp_ieee_overflow 0
		.amdhsa_exception_fp_ieee_underflow 0
		.amdhsa_exception_fp_ieee_inexact 0
		.amdhsa_exception_int_div_zero 0
	.end_amdhsa_kernel
	.section	.text._ZN7rocprim17ROCPRIM_400000_NS6detail17trampoline_kernelINS0_14default_configENS1_25partition_config_selectorILNS1_17partition_subalgoE8EjNS0_10empty_typeEbEEZZNS1_14partition_implILS5_8ELb0ES3_jPKjPS6_PKS6_NS0_5tupleIJPjS6_EEENSE_IJSB_SB_EEENS0_18inequality_wrapperIN6hipcub16HIPCUB_304000_NS8EqualityEEEPlJS6_EEE10hipError_tPvRmT3_T4_T5_T6_T7_T9_mT8_P12ihipStream_tbDpT10_ENKUlT_T0_E_clISt17integral_constantIbLb0EES17_EEDaS12_S13_EUlS12_E_NS1_11comp_targetILNS1_3genE5ELNS1_11target_archE942ELNS1_3gpuE9ELNS1_3repE0EEENS1_30default_config_static_selectorELNS0_4arch9wavefront6targetE1EEEvT1_,"axG",@progbits,_ZN7rocprim17ROCPRIM_400000_NS6detail17trampoline_kernelINS0_14default_configENS1_25partition_config_selectorILNS1_17partition_subalgoE8EjNS0_10empty_typeEbEEZZNS1_14partition_implILS5_8ELb0ES3_jPKjPS6_PKS6_NS0_5tupleIJPjS6_EEENSE_IJSB_SB_EEENS0_18inequality_wrapperIN6hipcub16HIPCUB_304000_NS8EqualityEEEPlJS6_EEE10hipError_tPvRmT3_T4_T5_T6_T7_T9_mT8_P12ihipStream_tbDpT10_ENKUlT_T0_E_clISt17integral_constantIbLb0EES17_EEDaS12_S13_EUlS12_E_NS1_11comp_targetILNS1_3genE5ELNS1_11target_archE942ELNS1_3gpuE9ELNS1_3repE0EEENS1_30default_config_static_selectorELNS0_4arch9wavefront6targetE1EEEvT1_,comdat
.Lfunc_end618:
	.size	_ZN7rocprim17ROCPRIM_400000_NS6detail17trampoline_kernelINS0_14default_configENS1_25partition_config_selectorILNS1_17partition_subalgoE8EjNS0_10empty_typeEbEEZZNS1_14partition_implILS5_8ELb0ES3_jPKjPS6_PKS6_NS0_5tupleIJPjS6_EEENSE_IJSB_SB_EEENS0_18inequality_wrapperIN6hipcub16HIPCUB_304000_NS8EqualityEEEPlJS6_EEE10hipError_tPvRmT3_T4_T5_T6_T7_T9_mT8_P12ihipStream_tbDpT10_ENKUlT_T0_E_clISt17integral_constantIbLb0EES17_EEDaS12_S13_EUlS12_E_NS1_11comp_targetILNS1_3genE5ELNS1_11target_archE942ELNS1_3gpuE9ELNS1_3repE0EEENS1_30default_config_static_selectorELNS0_4arch9wavefront6targetE1EEEvT1_, .Lfunc_end618-_ZN7rocprim17ROCPRIM_400000_NS6detail17trampoline_kernelINS0_14default_configENS1_25partition_config_selectorILNS1_17partition_subalgoE8EjNS0_10empty_typeEbEEZZNS1_14partition_implILS5_8ELb0ES3_jPKjPS6_PKS6_NS0_5tupleIJPjS6_EEENSE_IJSB_SB_EEENS0_18inequality_wrapperIN6hipcub16HIPCUB_304000_NS8EqualityEEEPlJS6_EEE10hipError_tPvRmT3_T4_T5_T6_T7_T9_mT8_P12ihipStream_tbDpT10_ENKUlT_T0_E_clISt17integral_constantIbLb0EES17_EEDaS12_S13_EUlS12_E_NS1_11comp_targetILNS1_3genE5ELNS1_11target_archE942ELNS1_3gpuE9ELNS1_3repE0EEENS1_30default_config_static_selectorELNS0_4arch9wavefront6targetE1EEEvT1_
                                        ; -- End function
	.section	.AMDGPU.csdata,"",@progbits
; Kernel info:
; codeLenInByte = 0
; NumSgprs: 4
; NumVgprs: 0
; NumAgprs: 0
; TotalNumVgprs: 0
; ScratchSize: 0
; MemoryBound: 0
; FloatMode: 240
; IeeeMode: 1
; LDSByteSize: 0 bytes/workgroup (compile time only)
; SGPRBlocks: 0
; VGPRBlocks: 0
; NumSGPRsForWavesPerEU: 4
; NumVGPRsForWavesPerEU: 1
; AccumOffset: 4
; Occupancy: 8
; WaveLimiterHint : 0
; COMPUTE_PGM_RSRC2:SCRATCH_EN: 0
; COMPUTE_PGM_RSRC2:USER_SGPR: 6
; COMPUTE_PGM_RSRC2:TRAP_HANDLER: 0
; COMPUTE_PGM_RSRC2:TGID_X_EN: 1
; COMPUTE_PGM_RSRC2:TGID_Y_EN: 0
; COMPUTE_PGM_RSRC2:TGID_Z_EN: 0
; COMPUTE_PGM_RSRC2:TIDIG_COMP_CNT: 0
; COMPUTE_PGM_RSRC3_GFX90A:ACCUM_OFFSET: 0
; COMPUTE_PGM_RSRC3_GFX90A:TG_SPLIT: 0
	.section	.text._ZN7rocprim17ROCPRIM_400000_NS6detail17trampoline_kernelINS0_14default_configENS1_25partition_config_selectorILNS1_17partition_subalgoE8EjNS0_10empty_typeEbEEZZNS1_14partition_implILS5_8ELb0ES3_jPKjPS6_PKS6_NS0_5tupleIJPjS6_EEENSE_IJSB_SB_EEENS0_18inequality_wrapperIN6hipcub16HIPCUB_304000_NS8EqualityEEEPlJS6_EEE10hipError_tPvRmT3_T4_T5_T6_T7_T9_mT8_P12ihipStream_tbDpT10_ENKUlT_T0_E_clISt17integral_constantIbLb0EES17_EEDaS12_S13_EUlS12_E_NS1_11comp_targetILNS1_3genE4ELNS1_11target_archE910ELNS1_3gpuE8ELNS1_3repE0EEENS1_30default_config_static_selectorELNS0_4arch9wavefront6targetE1EEEvT1_,"axG",@progbits,_ZN7rocprim17ROCPRIM_400000_NS6detail17trampoline_kernelINS0_14default_configENS1_25partition_config_selectorILNS1_17partition_subalgoE8EjNS0_10empty_typeEbEEZZNS1_14partition_implILS5_8ELb0ES3_jPKjPS6_PKS6_NS0_5tupleIJPjS6_EEENSE_IJSB_SB_EEENS0_18inequality_wrapperIN6hipcub16HIPCUB_304000_NS8EqualityEEEPlJS6_EEE10hipError_tPvRmT3_T4_T5_T6_T7_T9_mT8_P12ihipStream_tbDpT10_ENKUlT_T0_E_clISt17integral_constantIbLb0EES17_EEDaS12_S13_EUlS12_E_NS1_11comp_targetILNS1_3genE4ELNS1_11target_archE910ELNS1_3gpuE8ELNS1_3repE0EEENS1_30default_config_static_selectorELNS0_4arch9wavefront6targetE1EEEvT1_,comdat
	.protected	_ZN7rocprim17ROCPRIM_400000_NS6detail17trampoline_kernelINS0_14default_configENS1_25partition_config_selectorILNS1_17partition_subalgoE8EjNS0_10empty_typeEbEEZZNS1_14partition_implILS5_8ELb0ES3_jPKjPS6_PKS6_NS0_5tupleIJPjS6_EEENSE_IJSB_SB_EEENS0_18inequality_wrapperIN6hipcub16HIPCUB_304000_NS8EqualityEEEPlJS6_EEE10hipError_tPvRmT3_T4_T5_T6_T7_T9_mT8_P12ihipStream_tbDpT10_ENKUlT_T0_E_clISt17integral_constantIbLb0EES17_EEDaS12_S13_EUlS12_E_NS1_11comp_targetILNS1_3genE4ELNS1_11target_archE910ELNS1_3gpuE8ELNS1_3repE0EEENS1_30default_config_static_selectorELNS0_4arch9wavefront6targetE1EEEvT1_ ; -- Begin function _ZN7rocprim17ROCPRIM_400000_NS6detail17trampoline_kernelINS0_14default_configENS1_25partition_config_selectorILNS1_17partition_subalgoE8EjNS0_10empty_typeEbEEZZNS1_14partition_implILS5_8ELb0ES3_jPKjPS6_PKS6_NS0_5tupleIJPjS6_EEENSE_IJSB_SB_EEENS0_18inequality_wrapperIN6hipcub16HIPCUB_304000_NS8EqualityEEEPlJS6_EEE10hipError_tPvRmT3_T4_T5_T6_T7_T9_mT8_P12ihipStream_tbDpT10_ENKUlT_T0_E_clISt17integral_constantIbLb0EES17_EEDaS12_S13_EUlS12_E_NS1_11comp_targetILNS1_3genE4ELNS1_11target_archE910ELNS1_3gpuE8ELNS1_3repE0EEENS1_30default_config_static_selectorELNS0_4arch9wavefront6targetE1EEEvT1_
	.globl	_ZN7rocprim17ROCPRIM_400000_NS6detail17trampoline_kernelINS0_14default_configENS1_25partition_config_selectorILNS1_17partition_subalgoE8EjNS0_10empty_typeEbEEZZNS1_14partition_implILS5_8ELb0ES3_jPKjPS6_PKS6_NS0_5tupleIJPjS6_EEENSE_IJSB_SB_EEENS0_18inequality_wrapperIN6hipcub16HIPCUB_304000_NS8EqualityEEEPlJS6_EEE10hipError_tPvRmT3_T4_T5_T6_T7_T9_mT8_P12ihipStream_tbDpT10_ENKUlT_T0_E_clISt17integral_constantIbLb0EES17_EEDaS12_S13_EUlS12_E_NS1_11comp_targetILNS1_3genE4ELNS1_11target_archE910ELNS1_3gpuE8ELNS1_3repE0EEENS1_30default_config_static_selectorELNS0_4arch9wavefront6targetE1EEEvT1_
	.p2align	8
	.type	_ZN7rocprim17ROCPRIM_400000_NS6detail17trampoline_kernelINS0_14default_configENS1_25partition_config_selectorILNS1_17partition_subalgoE8EjNS0_10empty_typeEbEEZZNS1_14partition_implILS5_8ELb0ES3_jPKjPS6_PKS6_NS0_5tupleIJPjS6_EEENSE_IJSB_SB_EEENS0_18inequality_wrapperIN6hipcub16HIPCUB_304000_NS8EqualityEEEPlJS6_EEE10hipError_tPvRmT3_T4_T5_T6_T7_T9_mT8_P12ihipStream_tbDpT10_ENKUlT_T0_E_clISt17integral_constantIbLb0EES17_EEDaS12_S13_EUlS12_E_NS1_11comp_targetILNS1_3genE4ELNS1_11target_archE910ELNS1_3gpuE8ELNS1_3repE0EEENS1_30default_config_static_selectorELNS0_4arch9wavefront6targetE1EEEvT1_,@function
_ZN7rocprim17ROCPRIM_400000_NS6detail17trampoline_kernelINS0_14default_configENS1_25partition_config_selectorILNS1_17partition_subalgoE8EjNS0_10empty_typeEbEEZZNS1_14partition_implILS5_8ELb0ES3_jPKjPS6_PKS6_NS0_5tupleIJPjS6_EEENSE_IJSB_SB_EEENS0_18inequality_wrapperIN6hipcub16HIPCUB_304000_NS8EqualityEEEPlJS6_EEE10hipError_tPvRmT3_T4_T5_T6_T7_T9_mT8_P12ihipStream_tbDpT10_ENKUlT_T0_E_clISt17integral_constantIbLb0EES17_EEDaS12_S13_EUlS12_E_NS1_11comp_targetILNS1_3genE4ELNS1_11target_archE910ELNS1_3gpuE8ELNS1_3repE0EEENS1_30default_config_static_selectorELNS0_4arch9wavefront6targetE1EEEvT1_: ; @_ZN7rocprim17ROCPRIM_400000_NS6detail17trampoline_kernelINS0_14default_configENS1_25partition_config_selectorILNS1_17partition_subalgoE8EjNS0_10empty_typeEbEEZZNS1_14partition_implILS5_8ELb0ES3_jPKjPS6_PKS6_NS0_5tupleIJPjS6_EEENSE_IJSB_SB_EEENS0_18inequality_wrapperIN6hipcub16HIPCUB_304000_NS8EqualityEEEPlJS6_EEE10hipError_tPvRmT3_T4_T5_T6_T7_T9_mT8_P12ihipStream_tbDpT10_ENKUlT_T0_E_clISt17integral_constantIbLb0EES17_EEDaS12_S13_EUlS12_E_NS1_11comp_targetILNS1_3genE4ELNS1_11target_archE910ELNS1_3gpuE8ELNS1_3repE0EEENS1_30default_config_static_selectorELNS0_4arch9wavefront6targetE1EEEvT1_
; %bb.0:
	s_load_dwordx2 s[8:9], s[4:5], 0x50
	s_load_dwordx4 s[0:3], s[4:5], 0x8
	s_load_dwordx4 s[24:27], s[4:5], 0x40
	s_load_dword s7, s[4:5], 0x68
	s_waitcnt lgkmcnt(0)
	v_mov_b32_e32 v3, s9
	s_lshl_b64 s[10:11], s[2:3], 2
	s_add_u32 s10, s0, s10
	s_mul_i32 s9, s7, 0xa00
	s_addc_u32 s11, s1, s11
	s_add_i32 s1, s9, s2
	s_add_i32 s12, s7, -1
	s_sub_i32 s7, s8, s1
	v_mov_b32_e32 v2, s8
	s_add_u32 s8, s2, s9
	s_addc_u32 s9, s3, 0
	s_cmp_eq_u32 s6, s12
	s_load_dwordx2 s[22:23], s[26:27], 0x0
	v_cmp_ge_u64_e32 vcc, s[8:9], v[2:3]
	s_cselect_b64 s[26:27], -1, 0
	s_mul_i32 s0, s6, 0xa00
	s_mov_b32 s1, 0
	s_and_b64 s[30:31], s[26:27], vcc
	s_xor_b64 s[28:29], s[30:31], -1
	s_lshl_b64 s[0:1], s[0:1], 2
	s_add_u32 s0, s10, s0
	s_mov_b64 s[8:9], -1
	s_addc_u32 s1, s11, s1
	s_and_b64 vcc, exec, s[28:29]
	s_cbranch_vccz .LBB619_2
; %bb.1:
	v_lshlrev_b32_e32 v1, 2, v0
	v_mov_b32_e32 v2, s1
	v_add_co_u32_e32 v4, vcc, s0, v1
	v_addc_co_u32_e32 v5, vcc, 0, v2, vcc
	v_add_co_u32_e32 v2, vcc, 0x1000, v4
	v_addc_co_u32_e32 v3, vcc, 0, v5, vcc
	global_load_dword v6, v1, s[0:1]
	global_load_dword v7, v1, s[0:1] offset:1024
	global_load_dword v8, v1, s[0:1] offset:2048
	;; [unrolled: 1-line block ×3, first 2 shown]
	global_load_dword v10, v[2:3], off
	global_load_dword v11, v[2:3], off offset:1024
	global_load_dword v12, v[2:3], off offset:2048
	;; [unrolled: 1-line block ×3, first 2 shown]
	v_add_co_u32_e32 v2, vcc, 0x2000, v4
	v_addc_co_u32_e32 v3, vcc, 0, v5, vcc
	global_load_dword v4, v[2:3], off
	global_load_dword v5, v[2:3], off offset:1024
	s_mov_b64 s[8:9], 0
	s_waitcnt vmcnt(8)
	ds_write2st64_b32 v1, v6, v7 offset1:4
	s_waitcnt vmcnt(6)
	ds_write2st64_b32 v1, v8, v9 offset0:8 offset1:12
	s_waitcnt vmcnt(4)
	ds_write2st64_b32 v1, v10, v11 offset0:16 offset1:20
	;; [unrolled: 2-line block ×4, first 2 shown]
	s_waitcnt lgkmcnt(0)
	s_barrier
.LBB619_2:
	s_andn2_b64 vcc, exec, s[8:9]
	s_addk_i32 s7, 0xa00
	s_cbranch_vccnz .LBB619_24
; %bb.3:
	v_cmp_gt_u32_e32 vcc, s7, v0
                                        ; implicit-def: $vgpr2_vgpr3_vgpr4_vgpr5_vgpr6_vgpr7_vgpr8_vgpr9_vgpr10_vgpr11
	s_and_saveexec_b64 s[8:9], vcc
	s_cbranch_execz .LBB619_5
; %bb.4:
	v_lshlrev_b32_e32 v1, 2, v0
	global_load_dword v2, v1, s[0:1]
.LBB619_5:
	s_or_b64 exec, exec, s[8:9]
	v_or_b32_e32 v1, 0x100, v0
	v_cmp_gt_u32_e32 vcc, s7, v1
	s_and_saveexec_b64 s[8:9], vcc
	s_cbranch_execz .LBB619_7
; %bb.6:
	v_lshlrev_b32_e32 v1, 2, v0
	global_load_dword v3, v1, s[0:1] offset:1024
.LBB619_7:
	s_or_b64 exec, exec, s[8:9]
	v_or_b32_e32 v1, 0x200, v0
	v_cmp_gt_u32_e32 vcc, s7, v1
	s_and_saveexec_b64 s[8:9], vcc
	s_cbranch_execz .LBB619_9
; %bb.8:
	v_lshlrev_b32_e32 v1, 2, v0
	global_load_dword v4, v1, s[0:1] offset:2048
.LBB619_9:
	;; [unrolled: 9-line block ×3, first 2 shown]
	s_or_b64 exec, exec, s[8:9]
	v_or_b32_e32 v1, 0x400, v0
	v_cmp_gt_u32_e32 vcc, s7, v1
	s_and_saveexec_b64 s[8:9], vcc
	s_cbranch_execz .LBB619_13
; %bb.12:
	v_lshlrev_b32_e32 v1, 2, v1
	global_load_dword v6, v1, s[0:1]
.LBB619_13:
	s_or_b64 exec, exec, s[8:9]
	v_or_b32_e32 v1, 0x500, v0
	v_cmp_gt_u32_e32 vcc, s7, v1
	s_and_saveexec_b64 s[8:9], vcc
	s_cbranch_execz .LBB619_15
; %bb.14:
	v_lshlrev_b32_e32 v1, 2, v1
	global_load_dword v7, v1, s[0:1]
.LBB619_15:
	s_or_b64 exec, exec, s[8:9]
	v_or_b32_e32 v1, 0x600, v0
	v_cmp_gt_u32_e32 vcc, s7, v1
	s_and_saveexec_b64 s[8:9], vcc
	s_cbranch_execz .LBB619_17
; %bb.16:
	v_lshlrev_b32_e32 v1, 2, v1
	global_load_dword v8, v1, s[0:1]
.LBB619_17:
	s_or_b64 exec, exec, s[8:9]
	v_or_b32_e32 v1, 0x700, v0
	v_cmp_gt_u32_e32 vcc, s7, v1
	s_and_saveexec_b64 s[8:9], vcc
	s_cbranch_execz .LBB619_19
; %bb.18:
	v_lshlrev_b32_e32 v1, 2, v1
	global_load_dword v9, v1, s[0:1]
.LBB619_19:
	s_or_b64 exec, exec, s[8:9]
	v_or_b32_e32 v1, 0x800, v0
	v_cmp_gt_u32_e32 vcc, s7, v1
	s_and_saveexec_b64 s[8:9], vcc
	s_cbranch_execz .LBB619_21
; %bb.20:
	v_lshlrev_b32_e32 v1, 2, v1
	global_load_dword v10, v1, s[0:1]
.LBB619_21:
	s_or_b64 exec, exec, s[8:9]
	v_or_b32_e32 v1, 0x900, v0
	v_cmp_gt_u32_e32 vcc, s7, v1
	s_and_saveexec_b64 s[8:9], vcc
	s_cbranch_execz .LBB619_23
; %bb.22:
	v_lshlrev_b32_e32 v1, 2, v1
	global_load_dword v11, v1, s[0:1]
.LBB619_23:
	s_or_b64 exec, exec, s[8:9]
	v_lshlrev_b32_e32 v1, 2, v0
	s_waitcnt vmcnt(0)
	ds_write2st64_b32 v1, v2, v3 offset1:4
	ds_write2st64_b32 v1, v4, v5 offset0:8 offset1:12
	ds_write2st64_b32 v1, v6, v7 offset0:16 offset1:20
	;; [unrolled: 1-line block ×4, first 2 shown]
	s_waitcnt lgkmcnt(0)
	s_barrier
.LBB619_24:
	v_mul_u32_u24_e32 v25, 10, v0
	v_lshlrev_b32_e32 v1, 2, v25
	s_waitcnt lgkmcnt(0)
	ds_read2_b64 v[6:9], v1 offset1:1
	ds_read2_b64 v[2:5], v1 offset0:2 offset1:3
	ds_read_b64 v[14:15], v1 offset:32
	s_cmp_lg_u32 s6, 0
	s_cselect_b64 s[34:35], -1, 0
	s_cmp_lg_u64 s[2:3], 0
	s_cselect_b64 s[2:3], -1, 0
	s_or_b64 s[2:3], s[34:35], s[2:3]
	v_or_b32_e32 v26, 1, v25
	v_mad_u32_u24 v24, v0, 10, 2
	v_mad_u32_u24 v23, v0, 10, 3
	;; [unrolled: 1-line block ×8, first 2 shown]
	s_mov_b64 s[36:37], 0
	s_and_b64 vcc, exec, s[2:3]
	s_waitcnt lgkmcnt(0)
	s_barrier
	s_cbranch_vccz .LBB619_29
; %bb.25:
	s_add_u32 s0, s0, -4
	s_addc_u32 s1, s1, -1
	s_load_dword s8, s[0:1], 0x0
	v_lshlrev_b32_e32 v10, 2, v0
	s_and_b64 vcc, exec, s[28:29]
	ds_write_b32 v10, v15
	s_cbranch_vccz .LBB619_31
; %bb.26:
	v_cmp_ne_u32_e32 vcc, 0, v0
	s_waitcnt lgkmcnt(0)
	v_mov_b32_e32 v11, s8
	s_barrier
	s_and_saveexec_b64 s[0:1], vcc
	s_cbranch_execz .LBB619_28
; %bb.27:
	v_add_u32_e32 v11, -4, v10
	ds_read_b32 v11, v11
.LBB619_28:
	s_or_b64 exec, exec, s[0:1]
	v_cmp_ne_u32_e32 vcc, v14, v15
	v_cndmask_b32_e64 v27, 0, 1, vcc
	v_cmp_ne_u32_e32 vcc, v5, v14
	v_cndmask_b32_e64 v28, 0, 1, vcc
	;; [unrolled: 2-line block ×9, first 2 shown]
	s_waitcnt lgkmcnt(0)
	v_cmp_ne_u32_e64 s[0:1], v11, v6
	v_lshlrev_b16_e32 v11, 8, v16
	v_or_b32_sdwa v11, v31, v11 dst_sel:WORD_1 dst_unused:UNUSED_PAD src0_sel:DWORD src1_sel:DWORD
	v_lshlrev_b16_e32 v16, 8, v32
	v_or_b32_e32 v16, v16, v11
	v_lshlrev_b16_e32 v11, 8, v29
	v_lshlrev_b16_e32 v12, 8, v12
	v_or_b32_e32 v11, v30, v11
	v_or_b32_sdwa v12, v17, v12 dst_sel:WORD_1 dst_unused:UNUSED_PAD src0_sel:DWORD src1_sel:DWORD
	v_or_b32_sdwa v17, v11, v12 dst_sel:DWORD dst_unused:UNUSED_PAD src0_sel:WORD_0 src1_sel:DWORD
	s_branch .LBB619_35
.LBB619_29:
                                        ; implicit-def: $sgpr0_sgpr1
                                        ; implicit-def: $vgpr27
                                        ; implicit-def: $vgpr28
                                        ; implicit-def: $vgpr17
	s_branch .LBB619_36
.LBB619_30:
                                        ; implicit-def: $vgpr10_vgpr11_vgpr12
	s_and_saveexec_b64 s[2:3], s[36:37]
	s_cbranch_execnz .LBB619_44
	s_branch .LBB619_45
.LBB619_31:
                                        ; implicit-def: $sgpr0_sgpr1
                                        ; implicit-def: $vgpr27
                                        ; implicit-def: $vgpr28
                                        ; implicit-def: $vgpr17
	s_cbranch_execz .LBB619_35
; %bb.32:
	v_cmp_ne_u32_e32 vcc, 0, v0
	s_waitcnt lgkmcnt(0)
	v_mov_b32_e32 v11, s8
	s_barrier
	s_and_saveexec_b64 s[0:1], vcc
	s_cbranch_execz .LBB619_34
; %bb.33:
	v_add_u32_e32 v10, -4, v10
	ds_read_b32 v11, v10
.LBB619_34:
	s_or_b64 exec, exec, s[0:1]
	v_cmp_gt_u32_e32 vcc, s7, v13
	v_cmp_ne_u32_e64 s[0:1], v14, v15
	s_and_b64 s[0:1], vcc, s[0:1]
	v_cndmask_b32_e64 v27, 0, 1, s[0:1]
	v_cmp_gt_u32_e32 vcc, s7, v18
	v_cmp_ne_u32_e64 s[0:1], v5, v14
	s_and_b64 s[0:1], vcc, s[0:1]
	v_cndmask_b32_e64 v28, 0, 1, s[0:1]
	;; [unrolled: 4-line block ×9, first 2 shown]
	s_waitcnt lgkmcnt(0)
	v_cmp_ne_u32_e64 s[0:1], v11, v6
	v_lshlrev_b16_e32 v11, 8, v16
	v_or_b32_sdwa v11, v30, v11 dst_sel:WORD_1 dst_unused:UNUSED_PAD src0_sel:DWORD src1_sel:DWORD
	v_lshlrev_b16_e32 v16, 8, v31
	v_or_b32_e32 v16, v16, v11
	v_lshlrev_b16_e32 v11, 8, v17
	v_lshlrev_b16_e32 v10, 8, v10
	v_cmp_gt_u32_e32 vcc, s7, v25
	v_or_b32_e32 v11, v29, v11
	v_or_b32_sdwa v10, v12, v10 dst_sel:WORD_1 dst_unused:UNUSED_PAD src0_sel:DWORD src1_sel:DWORD
	s_and_b64 s[0:1], vcc, s[0:1]
	v_or_b32_sdwa v17, v11, v10 dst_sel:DWORD dst_unused:UNUSED_PAD src0_sel:WORD_0 src1_sel:DWORD
.LBB619_35:
	s_mov_b64 s[36:37], -1
	s_cbranch_execnz .LBB619_30
.LBB619_36:
	s_movk_i32 s0, 0xffdc
	v_mad_i32_i24 v29, v0, s0, v1
	s_and_b64 vcc, exec, s[28:29]
	v_cmp_ne_u32_e64 s[0:1], v14, v15
	v_cmp_ne_u32_e64 s[2:3], v5, v14
	;; [unrolled: 1-line block ×3, first 2 shown]
	s_waitcnt lgkmcnt(0)
	v_cmp_ne_u32_e64 s[8:9], v3, v4
	v_cmp_ne_u32_e64 s[10:11], v2, v3
	;; [unrolled: 1-line block ×6, first 2 shown]
	ds_write_b32 v29, v15
	s_cbranch_vccz .LBB619_40
; %bb.37:
	v_cndmask_b32_e64 v10, 0, 1, s[20:21]
	v_cndmask_b32_e64 v12, 0, 1, s[10:11]
	;; [unrolled: 1-line block ×4, first 2 shown]
	v_lshlrev_b16_e32 v12, 8, v12
	v_lshlrev_b16_e32 v10, 8, v10
	v_cndmask_b32_e64 v27, 0, 1, s[0:1]
	v_or_b32_e32 v12, v16, v12
	v_or_b32_sdwa v10, v11, v10 dst_sel:WORD_1 dst_unused:UNUSED_PAD src0_sel:DWORD src1_sel:DWORD
	v_cndmask_b32_e64 v28, 0, 1, s[2:3]
	v_or_b32_sdwa v17, v12, v10 dst_sel:DWORD dst_unused:UNUSED_PAD src0_sel:WORD_0 src1_sel:DWORD
	v_lshlrev_b16_e32 v10, 8, v27
	v_cndmask_b32_e64 v30, 0, 1, s[14:15]
	v_cndmask_b32_e64 v32, 0, 1, s[18:19]
	v_or_b32_e32 v10, v28, v10
	v_cndmask_b32_e64 v31, 0, 1, s[16:17]
	v_and_b32_e32 v12, 0xffff, v10
	v_lshlrev_b16_e32 v10, 8, v30
	v_lshlrev_b16_e32 v11, 8, v32
	v_or_b32_sdwa v10, v31, v10 dst_sel:WORD_1 dst_unused:UNUSED_PAD src0_sel:DWORD src1_sel:DWORD
	v_or_b32_e32 v11, 1, v11
	v_or_b32_sdwa v16, v11, v10 dst_sel:DWORD dst_unused:UNUSED_PAD src0_sel:WORD_0 src1_sel:DWORD
	v_cmp_ne_u32_e32 vcc, 0, v0
	s_waitcnt lgkmcnt(0)
	s_barrier
	s_waitcnt lgkmcnt(0)
                                        ; implicit-def: $sgpr0_sgpr1
	s_and_saveexec_b64 s[2:3], vcc
	s_xor_b64 s[2:3], exec, s[2:3]
	s_cbranch_execz .LBB619_39
; %bb.38:
	v_add_u32_e32 v10, -4, v29
	ds_read_b32 v10, v10
	s_or_b64 s[36:37], s[36:37], exec
	s_waitcnt lgkmcnt(0)
	v_cmp_ne_u32_e32 vcc, v10, v6
	s_and_b64 s[0:1], vcc, exec
                                        ; implicit-def: $vgpr10_vgpr11_vgpr12
.LBB619_39:
	s_or_b64 exec, exec, s[2:3]
	s_branch .LBB619_43
.LBB619_40:
                                        ; implicit-def: $sgpr0_sgpr1
                                        ; implicit-def: $vgpr27
                                        ; implicit-def: $vgpr28
                                        ; implicit-def: $vgpr17
                                        ; implicit-def: $vgpr10_vgpr11_vgpr12
	s_cbranch_execz .LBB619_43
; %bb.41:
	v_cmp_gt_u32_e32 vcc, s7, v13
	v_cmp_ne_u32_e64 s[0:1], v14, v15
	s_and_b64 s[0:1], vcc, s[0:1]
	v_cndmask_b32_e64 v27, 0, 1, s[0:1]
	v_cmp_gt_u32_e32 vcc, s7, v18
	v_cmp_ne_u32_e64 s[0:1], v5, v14
	s_and_b64 s[0:1], vcc, s[0:1]
	v_cndmask_b32_e64 v28, 0, 1, s[0:1]
	v_cmp_gt_u32_e32 vcc, s7, v19
	v_cmp_ne_u32_e64 s[0:1], v4, v5
	s_and_b64 s[0:1], vcc, s[0:1]
	v_cndmask_b32_e64 v10, 0, 1, s[0:1]
	v_cmp_gt_u32_e32 vcc, s7, v20
	v_cmp_ne_u32_e64 s[0:1], v3, v4
	s_and_b64 s[0:1], vcc, s[0:1]
	v_cndmask_b32_e64 v11, 0, 1, s[0:1]
	v_cmp_gt_u32_e32 vcc, s7, v21
	v_cmp_ne_u32_e64 s[0:1], v2, v3
	s_and_b64 s[0:1], vcc, s[0:1]
	v_cndmask_b32_e64 v12, 0, 1, s[0:1]
	v_cmp_gt_u32_e32 vcc, s7, v22
	v_cmp_ne_u32_e64 s[0:1], v9, v2
	s_and_b64 s[0:1], vcc, s[0:1]
	v_cndmask_b32_e64 v16, 0, 1, s[0:1]
	v_cmp_gt_u32_e32 vcc, s7, v23
	v_cmp_ne_u32_e64 s[0:1], v8, v9
	s_and_b64 s[0:1], vcc, s[0:1]
	v_cndmask_b32_e64 v30, 0, 1, s[0:1]
	v_cmp_gt_u32_e32 vcc, s7, v24
	v_cmp_ne_u32_e64 s[0:1], v7, v8
	s_and_b64 s[0:1], vcc, s[0:1]
	v_lshlrev_b16_e32 v12, 8, v12
	v_lshlrev_b16_e32 v10, 8, v10
	v_cndmask_b32_e64 v31, 0, 1, s[0:1]
	v_cmp_gt_u32_e32 vcc, s7, v26
	v_cmp_ne_u32_e64 s[0:1], v6, v7
	v_or_b32_e32 v12, v16, v12
	v_or_b32_sdwa v10, v11, v10 dst_sel:WORD_1 dst_unused:UNUSED_PAD src0_sel:DWORD src1_sel:DWORD
	s_and_b64 s[0:1], vcc, s[0:1]
	v_or_b32_sdwa v17, v12, v10 dst_sel:DWORD dst_unused:UNUSED_PAD src0_sel:WORD_0 src1_sel:DWORD
	v_lshlrev_b16_e32 v10, 8, v27
	v_cndmask_b32_e64 v32, 0, 1, s[0:1]
	v_or_b32_e32 v10, v28, v10
	v_and_b32_e32 v12, 0xffff, v10
	v_lshlrev_b16_e32 v10, 8, v30
	v_lshlrev_b16_e32 v11, 8, v32
	v_or_b32_sdwa v10, v31, v10 dst_sel:WORD_1 dst_unused:UNUSED_PAD src0_sel:DWORD src1_sel:DWORD
	v_or_b32_e32 v11, 1, v11
	v_or_b32_sdwa v16, v11, v10 dst_sel:DWORD dst_unused:UNUSED_PAD src0_sel:WORD_0 src1_sel:DWORD
	v_cmp_ne_u32_e32 vcc, 0, v0
	s_waitcnt lgkmcnt(0)
	s_barrier
	s_waitcnt lgkmcnt(0)
                                        ; implicit-def: $sgpr0_sgpr1
	s_and_saveexec_b64 s[2:3], vcc
	s_cbranch_execz .LBB619_156
; %bb.42:
	v_add_u32_e32 v10, -4, v29
	ds_read_b32 v10, v10
	v_cmp_gt_u32_e32 vcc, s7, v25
	s_or_b64 s[36:37], s[36:37], exec
	s_waitcnt lgkmcnt(0)
	v_cmp_ne_u32_e64 s[0:1], v10, v6
	s_and_b64 s[0:1], vcc, s[0:1]
	s_and_b64 s[0:1], s[0:1], exec
                                        ; implicit-def: $vgpr10_vgpr11_vgpr12
	s_or_b64 exec, exec, s[2:3]
.LBB619_43:
	s_and_saveexec_b64 s[2:3], s[36:37]
	s_cbranch_execz .LBB619_45
.LBB619_44:
	v_lshlrev_b16_e32 v11, 8, v27
	v_or_b32_sdwa v11, v28, v11 dst_sel:DWORD dst_unused:UNUSED_PAD src0_sel:BYTE_0 src1_sel:DWORD
	v_cndmask_b32_e64 v10, 0, 1, s[0:1]
	s_movk_i32 s0, 0xff
	v_and_b32_e32 v12, 0xffff, v11
	v_lshrrev_b32_e32 v11, 24, v16
	v_lshlrev_b16_e32 v11, 8, v11
	v_and_b32_sdwa v27, v16, s0 dst_sel:DWORD dst_unused:UNUSED_PAD src0_sel:WORD_1 src1_sel:DWORD
	v_or_b32_sdwa v11, v27, v11 dst_sel:WORD_1 dst_unused:UNUSED_PAD src0_sel:DWORD src1_sel:DWORD
	v_mov_b32_e32 v27, 8
	v_lshrrev_b32_sdwa v16, v27, v16 dst_sel:BYTE_1 dst_unused:UNUSED_PAD src0_sel:DWORD src1_sel:DWORD
	v_or_b32_e32 v10, v10, v16
	v_or_b32_sdwa v16, v10, v11 dst_sel:DWORD dst_unused:UNUSED_PAD src0_sel:WORD_0 src1_sel:DWORD
.LBB619_45:
	s_or_b64 exec, exec, s[2:3]
	s_load_dwordx2 s[20:21], s[4:5], 0x60
	s_andn2_b64 vcc, exec, s[30:31]
	s_cbranch_vccnz .LBB619_47
; %bb.46:
	v_and_b32_e32 v11, 0xffff0000, v16
	v_cmp_gt_u32_e32 vcc, s7, v25
	v_cndmask_b32_e32 v11, v11, v16, vcc
	v_and_b32_e32 v11, 0xffff00ff, v11
	v_cmp_gt_u32_e32 vcc, s7, v26
	v_cndmask_b32_e32 v11, v11, v16, vcc
	v_lshrrev_b32_e32 v25, 24, v11
	s_mov_b32 s0, 0x40c0100
	v_perm_b32 v11, v25, v11, s0
	v_cmp_gt_u32_e32 vcc, s7, v24
	v_cndmask_b32_e32 v11, v11, v16, vcc
	v_and_b32_e32 v11, 0xffffff, v11
	v_cmp_gt_u32_e32 vcc, s7, v23
	v_cndmask_b32_e32 v11, v11, v16, vcc
	v_and_b32_e32 v23, 0xffffff00, v17
	;; [unrolled: 3-line block ×3, first 2 shown]
	v_cndmask_b32_e32 v11, v11, v16, vcc
	v_cmp_gt_u32_e32 vcc, s7, v21
	v_cndmask_b32_e32 v21, v22, v17, vcc
	v_lshrrev_b32_e32 v22, 24, v21
	v_and_b32_e32 v10, 0xffff0000, v12
	v_cndmask_b32_e32 v11, v11, v16, vcc
	v_perm_b32 v21, v22, v21, s0
	v_cmp_gt_u32_e32 vcc, s7, v20
	v_cmp_gt_u32_e64 s[0:1], s7, v18
	v_cmp_gt_u32_e64 s[2:3], s7, v13
	v_cndmask_b32_e32 v20, v21, v17, vcc
	v_cndmask_b32_e32 v11, v11, v16, vcc
	v_cmp_gt_u32_e32 vcc, s7, v19
	v_cndmask_b32_e64 v10, v10, v12, s[0:1]
	s_or_b64 s[0:1], s[2:3], s[0:1]
	s_or_b64 vcc, s[0:1], vcc
	v_and_b32_e32 v10, 0xffff00ff, v10
	v_cndmask_b32_e32 v11, v11, v16, vcc
	s_mov_b32 s0, 0x3020104
	v_cndmask_b32_e64 v10, v10, v12, s[2:3]
	v_perm_b32 v16, v11, v11, s0
	v_mov_b32_e32 v11, 8
	v_lshrrev_b32_sdwa v11, v11, v10 dst_sel:BYTE_1 dst_unused:UNUSED_PAD src0_sel:DWORD src1_sel:DWORD
	v_and_b32_e32 v19, 0xffffff, v20
	v_or_b32_sdwa v10, v10, v11 dst_sel:DWORD dst_unused:UNUSED_PAD src0_sel:BYTE_0 src1_sel:DWORD
	v_cndmask_b32_e32 v17, v19, v17, vcc
	v_and_b32_e32 v12, 0xffff, v10
.LBB619_47:
	v_alignbit_b32 v10, v17, v16, 24
	v_bfe_u32 v27, v16, 16, 8
	v_and_b32_e32 v29, 0xff, v10
	v_add_u32_sdwa v11, v16, v16 dst_sel:DWORD dst_unused:UNUSED_PAD src0_sel:BYTE_1 src1_sel:BYTE_0
	v_and_b32_e32 v31, 0xff, v17
	v_bfe_u32 v33, v17, 8, 8
	v_add3_u32 v11, v11, v27, v29
	v_bfe_u32 v35, v17, 16, 8
	v_lshrrev_b32_e32 v13, 24, v17
	v_add3_u32 v11, v11, v31, v33
	v_and_b32_e32 v37, 0xff, v12
	v_bfe_u32 v10, v12, 8, 8
	v_add3_u32 v11, v11, v35, v13
	v_add3_u32 v42, v11, v37, v10
	v_mbcnt_lo_u32_b32 v10, -1, 0
	v_mbcnt_hi_u32_b32 v39, -1, v10
	v_and_b32_e32 v10, 15, v39
	v_cmp_eq_u32_e64 s[14:15], 0, v10
	v_cmp_lt_u32_e64 s[12:13], 1, v10
	v_cmp_lt_u32_e64 s[10:11], 3, v10
	s_waitcnt lgkmcnt(0)
	v_cmp_lt_u32_e64 s[8:9], 7, v10
	v_and_b32_e32 v10, 16, v39
	v_cmp_eq_u32_e64 s[18:19], 0, v10
	v_or_b32_e32 v10, 63, v0
	v_cmp_lt_u32_e64 s[0:1], 31, v39
	v_lshrrev_b32_e32 v41, 6, v0
	v_cmp_eq_u32_e64 s[2:3], v10, v0
	s_and_b64 vcc, exec, s[34:35]
	s_barrier
	s_cbranch_vccz .LBB619_74
; %bb.48:
	v_mov_b32_dpp v10, v42 row_shr:1 row_mask:0xf bank_mask:0xf
	v_cndmask_b32_e64 v10, v10, 0, s[14:15]
	v_add_u32_e32 v10, v10, v42
	s_nop 1
	v_mov_b32_dpp v11, v10 row_shr:2 row_mask:0xf bank_mask:0xf
	v_cndmask_b32_e64 v11, 0, v11, s[12:13]
	v_add_u32_e32 v10, v10, v11
	s_nop 1
	;; [unrolled: 4-line block ×4, first 2 shown]
	v_mov_b32_dpp v11, v10 row_bcast:15 row_mask:0xf bank_mask:0xf
	v_cndmask_b32_e64 v11, v11, 0, s[18:19]
	v_add_u32_e32 v10, v10, v11
	s_nop 1
	v_mov_b32_dpp v11, v10 row_bcast:31 row_mask:0xf bank_mask:0xf
	v_cndmask_b32_e64 v11, 0, v11, s[0:1]
	v_add_u32_e32 v10, v10, v11
	s_and_saveexec_b64 s[16:17], s[2:3]
	s_cbranch_execz .LBB619_50
; %bb.49:
	v_lshlrev_b32_e32 v11, 2, v41
	ds_write_b32 v11, v10
.LBB619_50:
	s_or_b64 exec, exec, s[16:17]
	v_cmp_gt_u32_e32 vcc, 4, v0
	s_waitcnt lgkmcnt(0)
	s_barrier
	s_and_saveexec_b64 s[16:17], vcc
	s_cbranch_execz .LBB619_52
; %bb.51:
	v_lshlrev_b32_e32 v11, 2, v0
	ds_read_b32 v18, v11
	v_and_b32_e32 v19, 3, v39
	v_cmp_ne_u32_e32 vcc, 0, v19
	s_waitcnt lgkmcnt(0)
	v_mov_b32_dpp v20, v18 row_shr:1 row_mask:0xf bank_mask:0xf
	v_cndmask_b32_e32 v20, 0, v20, vcc
	v_add_u32_e32 v18, v20, v18
	v_cmp_lt_u32_e32 vcc, 1, v19
	s_nop 0
	v_mov_b32_dpp v20, v18 row_shr:2 row_mask:0xf bank_mask:0xf
	v_cndmask_b32_e32 v19, 0, v20, vcc
	v_add_u32_e32 v18, v18, v19
	ds_write_b32 v11, v18
.LBB619_52:
	s_or_b64 exec, exec, s[16:17]
	v_cmp_gt_u32_e32 vcc, 64, v0
	v_cmp_lt_u32_e64 s[16:17], 63, v0
	s_waitcnt lgkmcnt(0)
	s_barrier
	s_waitcnt lgkmcnt(0)
                                        ; implicit-def: $vgpr26
	s_and_saveexec_b64 s[30:31], s[16:17]
	s_cbranch_execz .LBB619_54
; %bb.53:
	v_lshl_add_u32 v11, v41, 2, -4
	ds_read_b32 v26, v11
	s_waitcnt lgkmcnt(0)
	v_add_u32_e32 v10, v26, v10
.LBB619_54:
	s_or_b64 exec, exec, s[30:31]
	v_add_u32_e32 v11, -1, v39
	v_and_b32_e32 v18, 64, v39
	v_cmp_lt_i32_e64 s[16:17], v11, v18
	v_cndmask_b32_e64 v11, v11, v39, s[16:17]
	v_lshlrev_b32_e32 v11, 2, v11
	ds_bpermute_b32 v28, v11, v10
	v_cmp_eq_u32_e64 s[16:17], 0, v39
	s_and_saveexec_b64 s[30:31], vcc
	s_cbranch_execz .LBB619_73
; %bb.55:
	v_mov_b32_e32 v23, 0
	ds_read_b32 v10, v23 offset:12
	s_and_saveexec_b64 s[34:35], s[16:17]
	s_cbranch_execz .LBB619_57
; %bb.56:
	s_add_i32 s36, s6, 64
	s_mov_b32 s37, 0
	s_lshl_b64 s[36:37], s[36:37], 3
	s_add_u32 s36, s20, s36
	v_mov_b32_e32 v11, 1
	s_addc_u32 s37, s21, s37
	s_waitcnt lgkmcnt(0)
	global_store_dwordx2 v23, v[10:11], s[36:37]
.LBB619_57:
	s_or_b64 exec, exec, s[34:35]
	v_xad_u32 v18, v39, -1, s6
	v_add_u32_e32 v22, 64, v18
	v_lshlrev_b64 v[20:21], 3, v[22:23]
	v_mov_b32_e32 v11, s21
	v_add_co_u32_e32 v24, vcc, s20, v20
	v_addc_co_u32_e32 v25, vcc, v11, v21, vcc
	global_load_dwordx2 v[20:21], v[24:25], off glc
	s_waitcnt vmcnt(0)
	v_cmp_eq_u16_sdwa s[36:37], v21, v23 src0_sel:BYTE_0 src1_sel:DWORD
	s_and_saveexec_b64 s[34:35], s[36:37]
	s_cbranch_execz .LBB619_61
; %bb.58:
	s_mov_b64 s[36:37], 0
	v_mov_b32_e32 v11, 0
.LBB619_59:                             ; =>This Inner Loop Header: Depth=1
	global_load_dwordx2 v[20:21], v[24:25], off glc
	s_waitcnt vmcnt(0)
	v_cmp_ne_u16_sdwa s[38:39], v21, v11 src0_sel:BYTE_0 src1_sel:DWORD
	s_or_b64 s[36:37], s[38:39], s[36:37]
	s_andn2_b64 exec, exec, s[36:37]
	s_cbranch_execnz .LBB619_59
; %bb.60:
	s_or_b64 exec, exec, s[36:37]
.LBB619_61:
	s_or_b64 exec, exec, s[34:35]
	v_and_b32_e32 v32, 63, v39
	v_mov_b32_e32 v30, 2
	v_cmp_ne_u32_e32 vcc, 63, v32
	v_cmp_eq_u16_sdwa s[34:35], v21, v30 src0_sel:BYTE_0 src1_sel:DWORD
	v_lshlrev_b64 v[22:23], v39, -1
	v_addc_co_u32_e32 v24, vcc, 0, v39, vcc
	v_and_b32_e32 v11, s35, v23
	v_lshlrev_b32_e32 v34, 2, v24
	v_or_b32_e32 v11, 0x80000000, v11
	ds_bpermute_b32 v24, v34, v20
	v_and_b32_e32 v19, s34, v22
	v_ffbl_b32_e32 v11, v11
	v_add_u32_e32 v11, 32, v11
	v_ffbl_b32_e32 v19, v19
	v_min_u32_e32 v11, v19, v11
	v_cmp_lt_u32_e32 vcc, v32, v11
	s_waitcnt lgkmcnt(0)
	v_cndmask_b32_e32 v19, 0, v24, vcc
	v_cmp_gt_u32_e32 vcc, 62, v32
	v_add_u32_e32 v19, v19, v20
	v_cndmask_b32_e64 v20, 0, 1, vcc
	v_lshlrev_b32_e32 v20, 1, v20
	v_add_lshl_u32 v36, v20, v39, 2
	ds_bpermute_b32 v20, v36, v19
	v_add_u32_e32 v38, 2, v32
	v_cmp_le_u32_e32 vcc, v38, v11
	v_add_u32_e32 v43, 4, v32
	v_add_u32_e32 v45, 8, v32
	s_waitcnt lgkmcnt(0)
	v_cndmask_b32_e32 v20, 0, v20, vcc
	v_cmp_gt_u32_e32 vcc, 60, v32
	v_add_u32_e32 v19, v19, v20
	v_cndmask_b32_e64 v20, 0, 1, vcc
	v_lshlrev_b32_e32 v20, 2, v20
	v_add_lshl_u32 v40, v20, v39, 2
	ds_bpermute_b32 v20, v40, v19
	v_cmp_le_u32_e32 vcc, v43, v11
	v_add_u32_e32 v47, 16, v32
	v_add_u32_e32 v49, 32, v32
	s_waitcnt lgkmcnt(0)
	v_cndmask_b32_e32 v20, 0, v20, vcc
	v_cmp_gt_u32_e32 vcc, 56, v32
	v_add_u32_e32 v19, v19, v20
	v_cndmask_b32_e64 v20, 0, 1, vcc
	v_lshlrev_b32_e32 v20, 3, v20
	v_add_lshl_u32 v44, v20, v39, 2
	ds_bpermute_b32 v20, v44, v19
	v_cmp_le_u32_e32 vcc, v45, v11
	s_waitcnt lgkmcnt(0)
	v_cndmask_b32_e32 v20, 0, v20, vcc
	v_cmp_gt_u32_e32 vcc, 48, v32
	v_add_u32_e32 v19, v19, v20
	v_cndmask_b32_e64 v20, 0, 1, vcc
	v_lshlrev_b32_e32 v20, 4, v20
	v_add_lshl_u32 v46, v20, v39, 2
	ds_bpermute_b32 v20, v46, v19
	v_cmp_le_u32_e32 vcc, v47, v11
	;; [unrolled: 9-line block ×3, first 2 shown]
	s_waitcnt lgkmcnt(0)
	v_cndmask_b32_e32 v11, 0, v20, vcc
	v_add_u32_e32 v20, v19, v11
	v_mov_b32_e32 v19, 0
	s_branch .LBB619_63
.LBB619_62:                             ;   in Loop: Header=BB619_63 Depth=1
	s_or_b64 exec, exec, s[34:35]
	v_cmp_eq_u16_sdwa s[34:35], v21, v30 src0_sel:BYTE_0 src1_sel:DWORD
	v_and_b32_e32 v24, s35, v23
	v_or_b32_e32 v24, 0x80000000, v24
	ds_bpermute_b32 v50, v34, v20
	v_and_b32_e32 v25, s34, v22
	v_ffbl_b32_e32 v24, v24
	v_add_u32_e32 v24, 32, v24
	v_ffbl_b32_e32 v25, v25
	v_min_u32_e32 v24, v25, v24
	v_cmp_lt_u32_e32 vcc, v32, v24
	s_waitcnt lgkmcnt(0)
	v_cndmask_b32_e32 v25, 0, v50, vcc
	v_add_u32_e32 v20, v25, v20
	ds_bpermute_b32 v25, v36, v20
	v_cmp_le_u32_e32 vcc, v38, v24
	v_subrev_u32_e32 v18, 64, v18
	s_waitcnt lgkmcnt(0)
	v_cndmask_b32_e32 v25, 0, v25, vcc
	v_add_u32_e32 v20, v20, v25
	ds_bpermute_b32 v25, v40, v20
	v_cmp_le_u32_e32 vcc, v43, v24
	s_waitcnt lgkmcnt(0)
	v_cndmask_b32_e32 v25, 0, v25, vcc
	v_add_u32_e32 v20, v20, v25
	ds_bpermute_b32 v25, v44, v20
	v_cmp_le_u32_e32 vcc, v45, v24
	;; [unrolled: 5-line block ×4, first 2 shown]
	s_waitcnt lgkmcnt(0)
	v_cndmask_b32_e32 v24, 0, v25, vcc
	v_add3_u32 v20, v24, v11, v20
.LBB619_63:                             ; =>This Loop Header: Depth=1
                                        ;     Child Loop BB619_66 Depth 2
	v_cmp_ne_u16_sdwa s[34:35], v21, v30 src0_sel:BYTE_0 src1_sel:DWORD
	v_cndmask_b32_e64 v11, 0, 1, s[34:35]
	;;#ASMSTART
	;;#ASMEND
	v_cmp_ne_u32_e32 vcc, 0, v11
	s_cmp_lg_u64 vcc, exec
	v_mov_b32_e32 v11, v20
	s_cbranch_scc1 .LBB619_68
; %bb.64:                               ;   in Loop: Header=BB619_63 Depth=1
	v_lshlrev_b64 v[20:21], 3, v[18:19]
	v_mov_b32_e32 v25, s21
	v_add_co_u32_e32 v24, vcc, s20, v20
	v_addc_co_u32_e32 v25, vcc, v25, v21, vcc
	global_load_dwordx2 v[20:21], v[24:25], off glc
	s_waitcnt vmcnt(0)
	v_cmp_eq_u16_sdwa s[36:37], v21, v19 src0_sel:BYTE_0 src1_sel:DWORD
	s_and_saveexec_b64 s[34:35], s[36:37]
	s_cbranch_execz .LBB619_62
; %bb.65:                               ;   in Loop: Header=BB619_63 Depth=1
	s_mov_b64 s[36:37], 0
.LBB619_66:                             ;   Parent Loop BB619_63 Depth=1
                                        ; =>  This Inner Loop Header: Depth=2
	global_load_dwordx2 v[20:21], v[24:25], off glc
	s_waitcnt vmcnt(0)
	v_cmp_ne_u16_sdwa s[38:39], v21, v19 src0_sel:BYTE_0 src1_sel:DWORD
	s_or_b64 s[36:37], s[38:39], s[36:37]
	s_andn2_b64 exec, exec, s[36:37]
	s_cbranch_execnz .LBB619_66
; %bb.67:                               ;   in Loop: Header=BB619_63 Depth=1
	s_or_b64 exec, exec, s[36:37]
	s_branch .LBB619_62
.LBB619_68:                             ;   in Loop: Header=BB619_63 Depth=1
                                        ; implicit-def: $vgpr20
                                        ; implicit-def: $vgpr21
	s_cbranch_execz .LBB619_63
; %bb.69:
	s_and_saveexec_b64 s[34:35], s[16:17]
	s_cbranch_execz .LBB619_71
; %bb.70:
	s_add_i32 s6, s6, 64
	s_mov_b32 s7, 0
	s_lshl_b64 s[6:7], s[6:7], 3
	s_add_u32 s6, s20, s6
	v_add_u32_e32 v18, v11, v10
	v_mov_b32_e32 v19, 2
	s_addc_u32 s7, s21, s7
	v_mov_b32_e32 v20, 0
	global_store_dwordx2 v20, v[18:19], s[6:7]
	ds_write_b64 v20, v[10:11] offset:10240
.LBB619_71:
	s_or_b64 exec, exec, s[34:35]
	v_cmp_eq_u32_e32 vcc, 0, v0
	s_and_b64 exec, exec, vcc
	s_cbranch_execz .LBB619_73
; %bb.72:
	v_mov_b32_e32 v10, 0
	ds_write_b32 v10, v11 offset:12
.LBB619_73:
	s_or_b64 exec, exec, s[30:31]
	v_mov_b32_e32 v10, 0
	s_waitcnt lgkmcnt(0)
	s_barrier
	ds_read_b32 v11, v10 offset:12
	v_cndmask_b32_e64 v18, v28, v26, s[16:17]
	v_cmp_ne_u32_e32 vcc, 0, v0
	v_cndmask_b32_e32 v18, 0, v18, vcc
	s_waitcnt lgkmcnt(0)
	v_add_u32_e32 v40, v11, v18
	v_add_u32_sdwa v38, v40, v16 dst_sel:DWORD dst_unused:UNUSED_PAD src0_sel:DWORD src1_sel:BYTE_0
	v_add_u32_sdwa v36, v38, v16 dst_sel:DWORD dst_unused:UNUSED_PAD src0_sel:DWORD src1_sel:BYTE_1
	v_add_u32_e32 v34, v36, v27
	v_add_u32_e32 v32, v34, v29
	s_barrier
	ds_read_b64 v[10:11], v10 offset:10240
	v_add_u32_e32 v30, v32, v31
	v_add_u32_e32 v28, v30, v33
	;; [unrolled: 1-line block ×5, first 2 shown]
	s_waitcnt lgkmcnt(0)
	v_mov_b32_e32 v18, v11
	s_load_dwordx2 s[4:5], s[4:5], 0x28
	v_lshrrev_b64 v[24:25], 24, v[16:17]
	s_branch .LBB619_84
.LBB619_74:
                                        ; implicit-def: $vgpr18
                                        ; implicit-def: $vgpr10
                                        ; implicit-def: $vgpr20
                                        ; implicit-def: $vgpr22
                                        ; implicit-def: $vgpr26
                                        ; implicit-def: $vgpr28
                                        ; implicit-def: $vgpr30
                                        ; implicit-def: $vgpr32
                                        ; implicit-def: $vgpr34
                                        ; implicit-def: $vgpr36
                                        ; implicit-def: $vgpr38
                                        ; implicit-def: $vgpr40
	s_load_dwordx2 s[4:5], s[4:5], 0x28
	v_lshrrev_b64 v[24:25], 24, v[16:17]
	s_cbranch_execz .LBB619_84
; %bb.75:
	v_mov_b32_dpp v10, v42 row_shr:1 row_mask:0xf bank_mask:0xf
	v_cndmask_b32_e64 v10, v10, 0, s[14:15]
	v_add_u32_e32 v10, v10, v42
	s_nop 1
	v_mov_b32_dpp v11, v10 row_shr:2 row_mask:0xf bank_mask:0xf
	v_cndmask_b32_e64 v11, 0, v11, s[12:13]
	v_add_u32_e32 v10, v10, v11
	s_nop 1
	;; [unrolled: 4-line block ×4, first 2 shown]
	v_mov_b32_dpp v11, v10 row_bcast:15 row_mask:0xf bank_mask:0xf
	v_cndmask_b32_e64 v11, v11, 0, s[18:19]
	v_add_u32_e32 v10, v10, v11
	s_nop 1
	v_mov_b32_dpp v11, v10 row_bcast:31 row_mask:0xf bank_mask:0xf
	v_cndmask_b32_e64 v11, 0, v11, s[0:1]
	v_add_u32_e32 v10, v10, v11
	s_and_saveexec_b64 s[0:1], s[2:3]
	s_cbranch_execz .LBB619_77
; %bb.76:
	v_lshlrev_b32_e32 v11, 2, v41
	ds_write_b32 v11, v10
.LBB619_77:
	s_or_b64 exec, exec, s[0:1]
	v_cmp_gt_u32_e32 vcc, 4, v0
	s_waitcnt lgkmcnt(0)
	s_barrier
	s_and_saveexec_b64 s[0:1], vcc
	s_cbranch_execz .LBB619_79
; %bb.78:
	s_movk_i32 s2, 0xffdc
	v_mad_i32_i24 v1, v0, s2, v1
	ds_read_b32 v11, v1
	v_and_b32_e32 v18, 3, v39
	v_cmp_ne_u32_e32 vcc, 0, v18
	s_waitcnt lgkmcnt(0)
	v_mov_b32_dpp v19, v11 row_shr:1 row_mask:0xf bank_mask:0xf
	v_cndmask_b32_e32 v19, 0, v19, vcc
	v_add_u32_e32 v11, v19, v11
	v_cmp_lt_u32_e32 vcc, 1, v18
	s_nop 0
	v_mov_b32_dpp v19, v11 row_shr:2 row_mask:0xf bank_mask:0xf
	v_cndmask_b32_e32 v18, 0, v19, vcc
	v_add_u32_e32 v11, v11, v18
	ds_write_b32 v1, v11
.LBB619_79:
	s_or_b64 exec, exec, s[0:1]
	v_cmp_lt_u32_e32 vcc, 63, v0
	v_mov_b32_e32 v11, 0
	v_mov_b32_e32 v1, 0
	s_waitcnt lgkmcnt(0)
	s_barrier
	s_and_saveexec_b64 s[0:1], vcc
	s_cbranch_execz .LBB619_81
; %bb.80:
	v_lshl_add_u32 v1, v41, 2, -4
	ds_read_b32 v1, v1
.LBB619_81:
	s_or_b64 exec, exec, s[0:1]
	v_add_u32_e32 v18, -1, v39
	v_and_b32_e32 v19, 64, v39
	v_cmp_lt_i32_e32 vcc, v18, v19
	v_cndmask_b32_e32 v18, v18, v39, vcc
	s_waitcnt lgkmcnt(0)
	v_add_u32_e32 v10, v1, v10
	v_lshlrev_b32_e32 v18, 2, v18
	ds_bpermute_b32 v18, v18, v10
	ds_read_b32 v10, v11 offset:12
	v_cmp_eq_u32_e32 vcc, 0, v0
	s_and_saveexec_b64 s[0:1], vcc
	s_cbranch_execz .LBB619_83
; %bb.82:
	v_mov_b32_e32 v19, 0
	v_mov_b32_e32 v11, 2
	s_waitcnt lgkmcnt(0)
	global_store_dwordx2 v19, v[10:11], s[20:21] offset:512
.LBB619_83:
	s_or_b64 exec, exec, s[0:1]
	v_cmp_eq_u32_e64 s[0:1], 0, v39
	s_waitcnt lgkmcnt(1)
	v_cndmask_b32_e64 v1, v18, v1, s[0:1]
	v_cndmask_b32_e64 v40, v1, 0, vcc
	v_add_u32_sdwa v38, v40, v16 dst_sel:DWORD dst_unused:UNUSED_PAD src0_sel:DWORD src1_sel:BYTE_0
	v_add_u32_sdwa v36, v38, v16 dst_sel:DWORD dst_unused:UNUSED_PAD src0_sel:DWORD src1_sel:BYTE_1
	v_add_u32_e32 v34, v36, v27
	v_add_u32_e32 v32, v34, v29
	;; [unrolled: 1-line block ×6, first 2 shown]
	v_mov_b32_e32 v18, 0
	v_add_u32_e32 v20, v22, v37
	s_waitcnt lgkmcnt(0)
	s_barrier
.LBB619_84:
	s_movk_i32 s0, 0x101
	v_cmp_gt_u32_e32 vcc, s0, v10
	v_lshrrev_b32_e32 v19, 8, v16
	v_lshrrev_b32_e32 v11, 8, v17
	;; [unrolled: 1-line block ×3, first 2 shown]
	s_mov_b64 s[0:1], -1
	s_cbranch_vccnz .LBB619_88
; %bb.85:
	s_and_b64 vcc, exec, s[0:1]
	s_cbranch_vccnz .LBB619_119
.LBB619_86:
	v_cmp_eq_u32_e32 vcc, 0, v0
	s_and_b64 s[0:1], vcc, s[26:27]
	s_and_saveexec_b64 s[2:3], s[0:1]
	s_cbranch_execnz .LBB619_155
.LBB619_87:
	s_endpgm
.LBB619_88:
	v_add_u32_e32 v21, v18, v10
	s_lshl_b64 s[0:1], s[22:23], 2
	s_waitcnt lgkmcnt(0)
	s_add_u32 s2, s4, s0
	v_cmp_lt_u32_e32 vcc, v40, v21
	s_addc_u32 s3, s5, s1
	s_or_b64 s[6:7], s[28:29], vcc
	s_and_saveexec_b64 s[0:1], s[6:7]
	s_cbranch_execz .LBB619_91
; %bb.89:
	v_and_b32_e32 v23, 1, v16
	v_cmp_eq_u32_e32 vcc, 1, v23
	s_and_b64 exec, exec, vcc
	s_cbranch_execz .LBB619_91
; %bb.90:
	v_mov_b32_e32 v41, 0
	v_lshlrev_b64 v[42:43], 2, v[40:41]
	v_mov_b32_e32 v23, s3
	v_add_co_u32_e32 v42, vcc, s2, v42
	v_addc_co_u32_e32 v43, vcc, v23, v43, vcc
	global_store_dword v[42:43], v6, off
.LBB619_91:
	s_or_b64 exec, exec, s[0:1]
	v_cmp_lt_u32_e32 vcc, v38, v21
	s_or_b64 s[6:7], s[28:29], vcc
	s_and_saveexec_b64 s[0:1], s[6:7]
	s_cbranch_execz .LBB619_94
; %bb.92:
	v_and_b32_e32 v23, 1, v19
	v_cmp_eq_u32_e32 vcc, 1, v23
	s_and_b64 exec, exec, vcc
	s_cbranch_execz .LBB619_94
; %bb.93:
	v_mov_b32_e32 v39, 0
	v_lshlrev_b64 v[42:43], 2, v[38:39]
	v_mov_b32_e32 v23, s3
	v_add_co_u32_e32 v42, vcc, s2, v42
	v_addc_co_u32_e32 v43, vcc, v23, v43, vcc
	global_store_dword v[42:43], v7, off
.LBB619_94:
	s_or_b64 exec, exec, s[0:1]
	v_cmp_lt_u32_e32 vcc, v36, v21
	s_or_b64 s[6:7], s[28:29], vcc
	s_and_saveexec_b64 s[0:1], s[6:7]
	s_cbranch_execz .LBB619_97
; %bb.95:
	v_mov_b32_e32 v23, 1
	v_and_b32_sdwa v23, v23, v16 dst_sel:DWORD dst_unused:UNUSED_PAD src0_sel:DWORD src1_sel:WORD_1
	v_cmp_eq_u32_e32 vcc, 1, v23
	s_and_b64 exec, exec, vcc
	s_cbranch_execz .LBB619_97
; %bb.96:
	v_mov_b32_e32 v37, 0
	v_lshlrev_b64 v[42:43], 2, v[36:37]
	v_mov_b32_e32 v23, s3
	v_add_co_u32_e32 v42, vcc, s2, v42
	v_addc_co_u32_e32 v43, vcc, v23, v43, vcc
	global_store_dword v[42:43], v8, off
.LBB619_97:
	s_or_b64 exec, exec, s[0:1]
	v_cmp_lt_u32_e32 vcc, v34, v21
	s_or_b64 s[6:7], s[28:29], vcc
	s_and_saveexec_b64 s[0:1], s[6:7]
	s_cbranch_execz .LBB619_100
; %bb.98:
	v_and_b32_e32 v23, 1, v24
	v_cmp_eq_u32_e32 vcc, 1, v23
	s_and_b64 exec, exec, vcc
	s_cbranch_execz .LBB619_100
; %bb.99:
	v_mov_b32_e32 v35, 0
	v_lshlrev_b64 v[42:43], 2, v[34:35]
	v_mov_b32_e32 v23, s3
	v_add_co_u32_e32 v42, vcc, s2, v42
	v_addc_co_u32_e32 v43, vcc, v23, v43, vcc
	global_store_dword v[42:43], v9, off
.LBB619_100:
	s_or_b64 exec, exec, s[0:1]
	v_cmp_lt_u32_e32 vcc, v32, v21
	s_or_b64 s[6:7], s[28:29], vcc
	s_and_saveexec_b64 s[0:1], s[6:7]
	s_cbranch_execz .LBB619_103
; %bb.101:
	v_and_b32_e32 v23, 1, v17
	v_cmp_eq_u32_e32 vcc, 1, v23
	s_and_b64 exec, exec, vcc
	s_cbranch_execz .LBB619_103
; %bb.102:
	v_mov_b32_e32 v33, 0
	v_lshlrev_b64 v[42:43], 2, v[32:33]
	v_mov_b32_e32 v23, s3
	v_add_co_u32_e32 v42, vcc, s2, v42
	v_addc_co_u32_e32 v43, vcc, v23, v43, vcc
	global_store_dword v[42:43], v2, off
.LBB619_103:
	;; [unrolled: 18-line block ×3, first 2 shown]
	s_or_b64 exec, exec, s[0:1]
	v_cmp_lt_u32_e32 vcc, v28, v21
	s_or_b64 s[6:7], s[28:29], vcc
	s_and_saveexec_b64 s[0:1], s[6:7]
	s_cbranch_execz .LBB619_109
; %bb.107:
	v_mov_b32_e32 v23, 1
	v_and_b32_sdwa v23, v23, v17 dst_sel:DWORD dst_unused:UNUSED_PAD src0_sel:DWORD src1_sel:WORD_1
	v_cmp_eq_u32_e32 vcc, 1, v23
	s_and_b64 exec, exec, vcc
	s_cbranch_execz .LBB619_109
; %bb.108:
	v_mov_b32_e32 v29, 0
	v_lshlrev_b64 v[42:43], 2, v[28:29]
	v_mov_b32_e32 v23, s3
	v_add_co_u32_e32 v42, vcc, s2, v42
	v_addc_co_u32_e32 v43, vcc, v23, v43, vcc
	global_store_dword v[42:43], v4, off
.LBB619_109:
	s_or_b64 exec, exec, s[0:1]
	v_cmp_lt_u32_e32 vcc, v26, v21
	s_or_b64 s[6:7], s[28:29], vcc
	s_and_saveexec_b64 s[0:1], s[6:7]
	s_cbranch_execz .LBB619_112
; %bb.110:
	v_and_b32_e32 v23, 1, v13
	v_cmp_eq_u32_e32 vcc, 1, v23
	s_and_b64 exec, exec, vcc
	s_cbranch_execz .LBB619_112
; %bb.111:
	v_mov_b32_e32 v27, 0
	v_lshlrev_b64 v[42:43], 2, v[26:27]
	v_mov_b32_e32 v23, s3
	v_add_co_u32_e32 v42, vcc, s2, v42
	v_addc_co_u32_e32 v43, vcc, v23, v43, vcc
	global_store_dword v[42:43], v5, off
.LBB619_112:
	s_or_b64 exec, exec, s[0:1]
	v_cmp_lt_u32_e32 vcc, v22, v21
	s_or_b64 s[6:7], s[28:29], vcc
	s_and_saveexec_b64 s[0:1], s[6:7]
	s_cbranch_execz .LBB619_115
; %bb.113:
	v_and_b32_e32 v23, 1, v12
	v_cmp_eq_u32_e32 vcc, 1, v23
	s_and_b64 exec, exec, vcc
	s_cbranch_execz .LBB619_115
; %bb.114:
	v_mov_b32_e32 v23, 0
	v_lshlrev_b64 v[42:43], 2, v[22:23]
	v_mov_b32_e32 v23, s3
	v_add_co_u32_e32 v42, vcc, s2, v42
	v_addc_co_u32_e32 v43, vcc, v23, v43, vcc
	global_store_dword v[42:43], v14, off
.LBB619_115:
	;; [unrolled: 18-line block ×3, first 2 shown]
	s_or_b64 exec, exec, s[0:1]
	s_branch .LBB619_86
.LBB619_119:
	v_and_b32_e32 v21, 1, v16
	v_cmp_eq_u32_e32 vcc, 1, v21
	s_and_saveexec_b64 s[0:1], vcc
	s_cbranch_execz .LBB619_121
; %bb.120:
	v_sub_u32_e32 v21, v40, v18
	v_lshlrev_b32_e32 v21, 2, v21
	ds_write_b32 v21, v6
.LBB619_121:
	s_or_b64 exec, exec, s[0:1]
	v_and_b32_e32 v6, 1, v19
	v_cmp_eq_u32_e32 vcc, 1, v6
	s_and_saveexec_b64 s[0:1], vcc
	s_cbranch_execz .LBB619_123
; %bb.122:
	v_sub_u32_e32 v6, v38, v18
	v_lshlrev_b32_e32 v6, 2, v6
	ds_write_b32 v6, v7
.LBB619_123:
	s_or_b64 exec, exec, s[0:1]
	v_mov_b32_e32 v6, 1
	v_and_b32_sdwa v6, v6, v16 dst_sel:DWORD dst_unused:UNUSED_PAD src0_sel:DWORD src1_sel:WORD_1
	v_cmp_eq_u32_e32 vcc, 1, v6
	s_and_saveexec_b64 s[0:1], vcc
	s_cbranch_execz .LBB619_125
; %bb.124:
	v_sub_u32_e32 v6, v36, v18
	v_lshlrev_b32_e32 v6, 2, v6
	ds_write_b32 v6, v8
.LBB619_125:
	s_or_b64 exec, exec, s[0:1]
	v_and_b32_e32 v6, 1, v24
	v_cmp_eq_u32_e32 vcc, 1, v6
	s_and_saveexec_b64 s[0:1], vcc
	s_cbranch_execz .LBB619_127
; %bb.126:
	v_sub_u32_e32 v6, v34, v18
	v_lshlrev_b32_e32 v6, 2, v6
	ds_write_b32 v6, v9
.LBB619_127:
	s_or_b64 exec, exec, s[0:1]
	v_and_b32_e32 v6, 1, v17
	v_cmp_eq_u32_e32 vcc, 1, v6
	s_and_saveexec_b64 s[0:1], vcc
	s_cbranch_execz .LBB619_129
; %bb.128:
	v_sub_u32_e32 v6, v32, v18
	v_lshlrev_b32_e32 v6, 2, v6
	ds_write_b32 v6, v2
.LBB619_129:
	s_or_b64 exec, exec, s[0:1]
	v_and_b32_e32 v2, 1, v11
	v_cmp_eq_u32_e32 vcc, 1, v2
	s_and_saveexec_b64 s[0:1], vcc
	s_cbranch_execz .LBB619_131
; %bb.130:
	v_sub_u32_e32 v2, v30, v18
	v_lshlrev_b32_e32 v2, 2, v2
	ds_write_b32 v2, v3
.LBB619_131:
	s_or_b64 exec, exec, s[0:1]
	v_mov_b32_e32 v2, 1
	v_and_b32_sdwa v2, v2, v17 dst_sel:DWORD dst_unused:UNUSED_PAD src0_sel:DWORD src1_sel:WORD_1
	v_cmp_eq_u32_e32 vcc, 1, v2
	s_and_saveexec_b64 s[0:1], vcc
	s_cbranch_execz .LBB619_133
; %bb.132:
	v_sub_u32_e32 v2, v28, v18
	v_lshlrev_b32_e32 v2, 2, v2
	ds_write_b32 v2, v4
.LBB619_133:
	s_or_b64 exec, exec, s[0:1]
	v_and_b32_e32 v2, 1, v13
	v_cmp_eq_u32_e32 vcc, 1, v2
	s_and_saveexec_b64 s[0:1], vcc
	s_cbranch_execz .LBB619_135
; %bb.134:
	v_sub_u32_e32 v2, v26, v18
	v_lshlrev_b32_e32 v2, 2, v2
	ds_write_b32 v2, v5
.LBB619_135:
	s_or_b64 exec, exec, s[0:1]
	v_and_b32_e32 v2, 1, v12
	;; [unrolled: 10-line block ×3, first 2 shown]
	v_cmp_eq_u32_e32 vcc, 1, v1
	s_and_saveexec_b64 s[0:1], vcc
	s_cbranch_execz .LBB619_139
; %bb.138:
	v_sub_u32_e32 v1, v20, v18
	v_lshlrev_b32_e32 v1, 2, v1
	ds_write_b32 v1, v15
.LBB619_139:
	s_or_b64 exec, exec, s[0:1]
	v_cmp_lt_u32_e32 vcc, v0, v10
	s_waitcnt lgkmcnt(0)
	s_barrier
	s_and_saveexec_b64 s[6:7], vcc
	s_cbranch_execz .LBB619_154
; %bb.140:
	s_lshl_b64 s[0:1], s[22:23], 2
	v_mov_b32_e32 v19, 0
	s_add_u32 s0, s4, s0
	s_addc_u32 s1, s5, s1
	v_lshlrev_b64 v[2:3], 2, v[18:19]
	v_mov_b32_e32 v1, s1
	v_add_co_u32_e32 v6, vcc, s0, v2
	v_addc_co_u32_e32 v7, vcc, v1, v3, vcc
	v_xad_u32 v1, v0, -1, v10
	s_movk_i32 s0, 0x1700
	v_cmp_gt_u32_e32 vcc, s0, v1
	s_movk_i32 s0, 0x16ff
	v_cmp_lt_u32_e64 s[0:1], s0, v1
	v_mov_b32_e32 v2, v0
	s_and_saveexec_b64 s[4:5], s[0:1]
	s_cbranch_execz .LBB619_151
; %bb.141:
	v_sub_u32_e32 v2, v0, v10
	v_or_b32_e32 v2, 0xff, v2
	v_cmp_ge_u32_e64 s[0:1], v2, v0
	s_mov_b64 s[2:3], -1
	v_mov_b32_e32 v2, v0
	s_and_saveexec_b64 s[8:9], s[0:1]
	s_cbranch_execz .LBB619_150
; %bb.142:
	v_lshrrev_b32_e32 v8, 8, v1
	v_add_u32_e32 v2, -1, v8
	v_or_b32_e32 v1, 0x100, v0
	v_lshrrev_b32_e32 v3, 1, v2
	v_add_u32_e32 v11, 1, v3
	v_cmp_lt_u32_e64 s[0:1], 13, v2
	v_mov_b32_e32 v14, 0
	v_lshlrev_b32_e32 v9, 2, v0
	v_pk_mov_b32 v[2:3], v[0:1], v[0:1] op_sel:[0,1]
	s_and_saveexec_b64 s[10:11], s[0:1]
	s_cbranch_execz .LBB619_146
; %bb.143:
	v_and_b32_e32 v12, -8, v11
	s_mov_b32 s14, 0
	s_mov_b64 s[12:13], 0
	v_mov_b32_e32 v5, 0
	v_mov_b32_e32 v13, v9
	v_pk_mov_b32 v[2:3], v[0:1], v[0:1] op_sel:[0,1]
.LBB619_144:                            ; =>This Inner Loop Header: Depth=1
	v_mov_b32_e32 v4, v2
	v_add_u32_e32 v12, -8, v12
	v_lshlrev_b64 v[46:47], 2, v[4:5]
	v_mov_b32_e32 v4, v3
	ds_read2st64_b32 v[16:17], v13 offset1:4
	s_add_i32 s14, s14, 16
	v_cmp_eq_u32_e64 s[0:1], 0, v12
	v_lshlrev_b64 v[50:51], 2, v[4:5]
	v_add_u32_e32 v4, 0x200, v2
	s_or_b64 s[12:13], s[0:1], s[12:13]
	v_add_co_u32_e64 v50, s[0:1], v6, v50
	v_add_u32_e32 v14, 0x200, v3
	ds_read2st64_b32 v[20:21], v13 offset0:8 offset1:12
	v_mov_b32_e32 v15, v5
	ds_read2st64_b32 v[24:25], v13 offset0:16 offset1:20
	v_add_co_u32_e64 v46, s[2:3], v6, v46
	v_addc_co_u32_e64 v51, s[0:1], v7, v51, s[0:1]
	v_lshlrev_b64 v[52:53], 2, v[4:5]
	v_lshlrev_b64 v[48:49], 2, v[14:15]
	v_addc_co_u32_e64 v47, s[2:3], v7, v47, s[2:3]
	v_add_u32_e32 v4, 0x400, v2
	v_add_co_u32_e64 v52, s[0:1], v6, v52
	v_add_u32_e32 v22, 0x400, v3
	v_mov_b32_e32 v23, v5
	ds_read2st64_b32 v[28:29], v13 offset0:24 offset1:28
	v_add_co_u32_e64 v48, s[2:3], v6, v48
	v_addc_co_u32_e64 v53, s[0:1], v7, v53, s[0:1]
	v_lshlrev_b64 v[54:55], 2, v[4:5]
	ds_read2st64_b32 v[32:33], v13 offset0:32 offset1:36
	ds_read2st64_b32 v[36:37], v13 offset0:40 offset1:44
	;; [unrolled: 1-line block ×4, first 2 shown]
	v_lshlrev_b64 v[22:23], 2, v[22:23]
	v_addc_co_u32_e64 v49, s[2:3], v7, v49, s[2:3]
	v_add_u32_e32 v4, 0x600, v2
	s_waitcnt lgkmcnt(7)
	global_store_dword v[46:47], v16, off
	global_store_dword v[50:51], v17, off
	s_waitcnt lgkmcnt(6)
	global_store_dword v[52:53], v20, off
	global_store_dword v[48:49], v21, off
	v_add_co_u32_e64 v16, s[0:1], v6, v54
	v_add_u32_e32 v26, 0x600, v3
	v_mov_b32_e32 v27, v5
	v_add_co_u32_e64 v22, s[2:3], v6, v22
	v_addc_co_u32_e64 v17, s[0:1], v7, v55, s[0:1]
	v_lshlrev_b64 v[20:21], 2, v[4:5]
	v_lshlrev_b64 v[26:27], 2, v[26:27]
	v_addc_co_u32_e64 v23, s[2:3], v7, v23, s[2:3]
	v_add_u32_e32 v4, 0x800, v2
	s_waitcnt lgkmcnt(5)
	global_store_dword v[16:17], v24, off
	global_store_dword v[22:23], v25, off
	v_add_co_u32_e64 v16, s[0:1], v6, v20
	v_add_u32_e32 v30, 0x800, v3
	v_mov_b32_e32 v31, v5
	v_add_co_u32_e64 v26, s[2:3], v6, v26
	v_addc_co_u32_e64 v17, s[0:1], v7, v21, s[0:1]
	v_lshlrev_b64 v[20:21], 2, v[4:5]
	v_lshlrev_b64 v[30:31], 2, v[30:31]
	v_addc_co_u32_e64 v27, s[2:3], v7, v27, s[2:3]
	v_add_u32_e32 v4, 0xa00, v2
	;; [unrolled: 12-line block ×4, first 2 shown]
	s_waitcnt lgkmcnt(2)
	global_store_dword v[16:17], v36, off
	global_store_dword v[34:35], v37, off
	v_add_co_u32_e64 v16, s[0:1], v6, v20
	v_add_u32_e32 v42, 0xe00, v3
	v_mov_b32_e32 v43, v5
	v_add_co_u32_e64 v38, s[2:3], v6, v38
	v_addc_co_u32_e64 v17, s[0:1], v7, v21, s[0:1]
	v_lshlrev_b64 v[20:21], 2, v[4:5]
	v_lshlrev_b64 v[42:43], 2, v[42:43]
	v_addc_co_u32_e64 v39, s[2:3], v7, v39, s[2:3]
	s_waitcnt lgkmcnt(1)
	global_store_dword v[16:17], v40, off
	global_store_dword v[38:39], v41, off
	v_add_co_u32_e64 v16, s[0:1], v6, v20
	v_add_u32_e32 v13, 0x4000, v13
	v_add_u32_e32 v3, 0x1000, v3
	v_mov_b32_e32 v14, s14
	v_add_co_u32_e64 v42, s[2:3], v6, v42
	v_add_u32_e32 v2, 0x1000, v2
	v_addc_co_u32_e64 v17, s[0:1], v7, v21, s[0:1]
	v_addc_co_u32_e64 v43, s[2:3], v7, v43, s[2:3]
	s_waitcnt lgkmcnt(0)
	global_store_dword v[16:17], v44, off
	global_store_dword v[42:43], v45, off
	s_andn2_b64 exec, exec, s[12:13]
	s_cbranch_execnz .LBB619_144
; %bb.145:
	s_or_b64 exec, exec, s[12:13]
.LBB619_146:
	s_or_b64 exec, exec, s[10:11]
	v_and_b32_e32 v1, 7, v11
	v_cmp_ne_u32_e64 s[0:1], 0, v1
	s_and_saveexec_b64 s[10:11], s[0:1]
	s_cbranch_execz .LBB619_149
; %bb.147:
	v_lshl_or_b32 v9, v14, 10, v9
	s_mov_b64 s[12:13], 0
	v_mov_b32_e32 v5, 0
.LBB619_148:                            ; =>This Inner Loop Header: Depth=1
	ds_read2st64_b32 v[12:13], v9 offset1:4
	v_mov_b32_e32 v4, v2
	v_add_u32_e32 v1, -1, v1
	v_lshlrev_b64 v[14:15], 2, v[4:5]
	v_mov_b32_e32 v4, v3
	v_cmp_eq_u32_e64 s[0:1], 0, v1
	v_add_co_u32_e64 v14, s[2:3], v6, v14
	v_lshlrev_b64 v[16:17], 2, v[4:5]
	v_add_u32_e32 v2, 0x200, v2
	v_add_u32_e32 v9, 0x800, v9
	;; [unrolled: 1-line block ×3, first 2 shown]
	v_addc_co_u32_e64 v15, s[2:3], v7, v15, s[2:3]
	s_or_b64 s[12:13], s[0:1], s[12:13]
	v_add_co_u32_e64 v16, s[0:1], v6, v16
	v_addc_co_u32_e64 v17, s[0:1], v7, v17, s[0:1]
	s_waitcnt lgkmcnt(0)
	global_store_dword v[14:15], v12, off
	global_store_dword v[16:17], v13, off
	s_andn2_b64 exec, exec, s[12:13]
	s_cbranch_execnz .LBB619_148
.LBB619_149:
	s_or_b64 exec, exec, s[10:11]
	v_add_u32_e32 v1, 1, v8
	v_and_b32_e32 v3, 0x1fffffe, v1
	v_cmp_ne_u32_e64 s[0:1], v1, v3
	v_lshl_or_b32 v2, v3, 8, v0
	s_orn2_b64 s[2:3], s[0:1], exec
.LBB619_150:
	s_or_b64 exec, exec, s[8:9]
	s_andn2_b64 s[0:1], vcc, exec
	s_and_b64 s[2:3], s[2:3], exec
	s_or_b64 vcc, s[0:1], s[2:3]
.LBB619_151:
	s_or_b64 exec, exec, s[4:5]
	s_and_b64 exec, exec, vcc
	s_cbranch_execz .LBB619_154
; %bb.152:
	v_lshlrev_b32_e32 v1, 2, v2
	s_mov_b64 s[0:1], 0
	v_mov_b32_e32 v3, 0
.LBB619_153:                            ; =>This Inner Loop Header: Depth=1
	ds_read_b32 v8, v1
	v_lshlrev_b64 v[4:5], 2, v[2:3]
	v_add_co_u32_e32 v4, vcc, v6, v4
	v_add_u32_e32 v2, 0x100, v2
	v_addc_co_u32_e32 v5, vcc, v7, v5, vcc
	v_cmp_ge_u32_e32 vcc, v2, v10
	v_add_u32_e32 v1, 0x400, v1
	s_or_b64 s[0:1], vcc, s[0:1]
	s_waitcnt lgkmcnt(0)
	global_store_dword v[4:5], v8, off
	s_andn2_b64 exec, exec, s[0:1]
	s_cbranch_execnz .LBB619_153
.LBB619_154:
	s_or_b64 exec, exec, s[6:7]
	v_cmp_eq_u32_e32 vcc, 0, v0
	s_and_b64 s[0:1], vcc, s[26:27]
	s_and_saveexec_b64 s[2:3], s[0:1]
	s_cbranch_execz .LBB619_87
.LBB619_155:
	v_mov_b32_e32 v0, s23
	v_add_co_u32_e32 v1, vcc, s22, v10
	v_addc_co_u32_e32 v3, vcc, 0, v0, vcc
	v_add_co_u32_e32 v0, vcc, v1, v18
	v_mov_b32_e32 v2, 0
	v_addc_co_u32_e32 v1, vcc, 0, v3, vcc
	global_store_dwordx2 v2, v[0:1], s[24:25]
	s_endpgm
.LBB619_156:
	s_or_b64 exec, exec, s[2:3]
	s_and_saveexec_b64 s[2:3], s[36:37]
	s_cbranch_execnz .LBB619_44
	s_branch .LBB619_45
	.section	.rodata,"a",@progbits
	.p2align	6, 0x0
	.amdhsa_kernel _ZN7rocprim17ROCPRIM_400000_NS6detail17trampoline_kernelINS0_14default_configENS1_25partition_config_selectorILNS1_17partition_subalgoE8EjNS0_10empty_typeEbEEZZNS1_14partition_implILS5_8ELb0ES3_jPKjPS6_PKS6_NS0_5tupleIJPjS6_EEENSE_IJSB_SB_EEENS0_18inequality_wrapperIN6hipcub16HIPCUB_304000_NS8EqualityEEEPlJS6_EEE10hipError_tPvRmT3_T4_T5_T6_T7_T9_mT8_P12ihipStream_tbDpT10_ENKUlT_T0_E_clISt17integral_constantIbLb0EES17_EEDaS12_S13_EUlS12_E_NS1_11comp_targetILNS1_3genE4ELNS1_11target_archE910ELNS1_3gpuE8ELNS1_3repE0EEENS1_30default_config_static_selectorELNS0_4arch9wavefront6targetE1EEEvT1_
		.amdhsa_group_segment_fixed_size 10248
		.amdhsa_private_segment_fixed_size 0
		.amdhsa_kernarg_size 112
		.amdhsa_user_sgpr_count 6
		.amdhsa_user_sgpr_private_segment_buffer 1
		.amdhsa_user_sgpr_dispatch_ptr 0
		.amdhsa_user_sgpr_queue_ptr 0
		.amdhsa_user_sgpr_kernarg_segment_ptr 1
		.amdhsa_user_sgpr_dispatch_id 0
		.amdhsa_user_sgpr_flat_scratch_init 0
		.amdhsa_user_sgpr_kernarg_preload_length 0
		.amdhsa_user_sgpr_kernarg_preload_offset 0
		.amdhsa_user_sgpr_private_segment_size 0
		.amdhsa_uses_dynamic_stack 0
		.amdhsa_system_sgpr_private_segment_wavefront_offset 0
		.amdhsa_system_sgpr_workgroup_id_x 1
		.amdhsa_system_sgpr_workgroup_id_y 0
		.amdhsa_system_sgpr_workgroup_id_z 0
		.amdhsa_system_sgpr_workgroup_info 0
		.amdhsa_system_vgpr_workitem_id 0
		.amdhsa_next_free_vgpr 56
		.amdhsa_next_free_sgpr 40
		.amdhsa_accum_offset 56
		.amdhsa_reserve_vcc 1
		.amdhsa_reserve_flat_scratch 0
		.amdhsa_float_round_mode_32 0
		.amdhsa_float_round_mode_16_64 0
		.amdhsa_float_denorm_mode_32 3
		.amdhsa_float_denorm_mode_16_64 3
		.amdhsa_dx10_clamp 1
		.amdhsa_ieee_mode 1
		.amdhsa_fp16_overflow 0
		.amdhsa_tg_split 0
		.amdhsa_exception_fp_ieee_invalid_op 0
		.amdhsa_exception_fp_denorm_src 0
		.amdhsa_exception_fp_ieee_div_zero 0
		.amdhsa_exception_fp_ieee_overflow 0
		.amdhsa_exception_fp_ieee_underflow 0
		.amdhsa_exception_fp_ieee_inexact 0
		.amdhsa_exception_int_div_zero 0
	.end_amdhsa_kernel
	.section	.text._ZN7rocprim17ROCPRIM_400000_NS6detail17trampoline_kernelINS0_14default_configENS1_25partition_config_selectorILNS1_17partition_subalgoE8EjNS0_10empty_typeEbEEZZNS1_14partition_implILS5_8ELb0ES3_jPKjPS6_PKS6_NS0_5tupleIJPjS6_EEENSE_IJSB_SB_EEENS0_18inequality_wrapperIN6hipcub16HIPCUB_304000_NS8EqualityEEEPlJS6_EEE10hipError_tPvRmT3_T4_T5_T6_T7_T9_mT8_P12ihipStream_tbDpT10_ENKUlT_T0_E_clISt17integral_constantIbLb0EES17_EEDaS12_S13_EUlS12_E_NS1_11comp_targetILNS1_3genE4ELNS1_11target_archE910ELNS1_3gpuE8ELNS1_3repE0EEENS1_30default_config_static_selectorELNS0_4arch9wavefront6targetE1EEEvT1_,"axG",@progbits,_ZN7rocprim17ROCPRIM_400000_NS6detail17trampoline_kernelINS0_14default_configENS1_25partition_config_selectorILNS1_17partition_subalgoE8EjNS0_10empty_typeEbEEZZNS1_14partition_implILS5_8ELb0ES3_jPKjPS6_PKS6_NS0_5tupleIJPjS6_EEENSE_IJSB_SB_EEENS0_18inequality_wrapperIN6hipcub16HIPCUB_304000_NS8EqualityEEEPlJS6_EEE10hipError_tPvRmT3_T4_T5_T6_T7_T9_mT8_P12ihipStream_tbDpT10_ENKUlT_T0_E_clISt17integral_constantIbLb0EES17_EEDaS12_S13_EUlS12_E_NS1_11comp_targetILNS1_3genE4ELNS1_11target_archE910ELNS1_3gpuE8ELNS1_3repE0EEENS1_30default_config_static_selectorELNS0_4arch9wavefront6targetE1EEEvT1_,comdat
.Lfunc_end619:
	.size	_ZN7rocprim17ROCPRIM_400000_NS6detail17trampoline_kernelINS0_14default_configENS1_25partition_config_selectorILNS1_17partition_subalgoE8EjNS0_10empty_typeEbEEZZNS1_14partition_implILS5_8ELb0ES3_jPKjPS6_PKS6_NS0_5tupleIJPjS6_EEENSE_IJSB_SB_EEENS0_18inequality_wrapperIN6hipcub16HIPCUB_304000_NS8EqualityEEEPlJS6_EEE10hipError_tPvRmT3_T4_T5_T6_T7_T9_mT8_P12ihipStream_tbDpT10_ENKUlT_T0_E_clISt17integral_constantIbLb0EES17_EEDaS12_S13_EUlS12_E_NS1_11comp_targetILNS1_3genE4ELNS1_11target_archE910ELNS1_3gpuE8ELNS1_3repE0EEENS1_30default_config_static_selectorELNS0_4arch9wavefront6targetE1EEEvT1_, .Lfunc_end619-_ZN7rocprim17ROCPRIM_400000_NS6detail17trampoline_kernelINS0_14default_configENS1_25partition_config_selectorILNS1_17partition_subalgoE8EjNS0_10empty_typeEbEEZZNS1_14partition_implILS5_8ELb0ES3_jPKjPS6_PKS6_NS0_5tupleIJPjS6_EEENSE_IJSB_SB_EEENS0_18inequality_wrapperIN6hipcub16HIPCUB_304000_NS8EqualityEEEPlJS6_EEE10hipError_tPvRmT3_T4_T5_T6_T7_T9_mT8_P12ihipStream_tbDpT10_ENKUlT_T0_E_clISt17integral_constantIbLb0EES17_EEDaS12_S13_EUlS12_E_NS1_11comp_targetILNS1_3genE4ELNS1_11target_archE910ELNS1_3gpuE8ELNS1_3repE0EEENS1_30default_config_static_selectorELNS0_4arch9wavefront6targetE1EEEvT1_
                                        ; -- End function
	.section	.AMDGPU.csdata,"",@progbits
; Kernel info:
; codeLenInByte = 7268
; NumSgprs: 44
; NumVgprs: 56
; NumAgprs: 0
; TotalNumVgprs: 56
; ScratchSize: 0
; MemoryBound: 0
; FloatMode: 240
; IeeeMode: 1
; LDSByteSize: 10248 bytes/workgroup (compile time only)
; SGPRBlocks: 5
; VGPRBlocks: 6
; NumSGPRsForWavesPerEU: 44
; NumVGPRsForWavesPerEU: 56
; AccumOffset: 56
; Occupancy: 6
; WaveLimiterHint : 1
; COMPUTE_PGM_RSRC2:SCRATCH_EN: 0
; COMPUTE_PGM_RSRC2:USER_SGPR: 6
; COMPUTE_PGM_RSRC2:TRAP_HANDLER: 0
; COMPUTE_PGM_RSRC2:TGID_X_EN: 1
; COMPUTE_PGM_RSRC2:TGID_Y_EN: 0
; COMPUTE_PGM_RSRC2:TGID_Z_EN: 0
; COMPUTE_PGM_RSRC2:TIDIG_COMP_CNT: 0
; COMPUTE_PGM_RSRC3_GFX90A:ACCUM_OFFSET: 13
; COMPUTE_PGM_RSRC3_GFX90A:TG_SPLIT: 0
	.section	.text._ZN7rocprim17ROCPRIM_400000_NS6detail17trampoline_kernelINS0_14default_configENS1_25partition_config_selectorILNS1_17partition_subalgoE8EjNS0_10empty_typeEbEEZZNS1_14partition_implILS5_8ELb0ES3_jPKjPS6_PKS6_NS0_5tupleIJPjS6_EEENSE_IJSB_SB_EEENS0_18inequality_wrapperIN6hipcub16HIPCUB_304000_NS8EqualityEEEPlJS6_EEE10hipError_tPvRmT3_T4_T5_T6_T7_T9_mT8_P12ihipStream_tbDpT10_ENKUlT_T0_E_clISt17integral_constantIbLb0EES17_EEDaS12_S13_EUlS12_E_NS1_11comp_targetILNS1_3genE3ELNS1_11target_archE908ELNS1_3gpuE7ELNS1_3repE0EEENS1_30default_config_static_selectorELNS0_4arch9wavefront6targetE1EEEvT1_,"axG",@progbits,_ZN7rocprim17ROCPRIM_400000_NS6detail17trampoline_kernelINS0_14default_configENS1_25partition_config_selectorILNS1_17partition_subalgoE8EjNS0_10empty_typeEbEEZZNS1_14partition_implILS5_8ELb0ES3_jPKjPS6_PKS6_NS0_5tupleIJPjS6_EEENSE_IJSB_SB_EEENS0_18inequality_wrapperIN6hipcub16HIPCUB_304000_NS8EqualityEEEPlJS6_EEE10hipError_tPvRmT3_T4_T5_T6_T7_T9_mT8_P12ihipStream_tbDpT10_ENKUlT_T0_E_clISt17integral_constantIbLb0EES17_EEDaS12_S13_EUlS12_E_NS1_11comp_targetILNS1_3genE3ELNS1_11target_archE908ELNS1_3gpuE7ELNS1_3repE0EEENS1_30default_config_static_selectorELNS0_4arch9wavefront6targetE1EEEvT1_,comdat
	.protected	_ZN7rocprim17ROCPRIM_400000_NS6detail17trampoline_kernelINS0_14default_configENS1_25partition_config_selectorILNS1_17partition_subalgoE8EjNS0_10empty_typeEbEEZZNS1_14partition_implILS5_8ELb0ES3_jPKjPS6_PKS6_NS0_5tupleIJPjS6_EEENSE_IJSB_SB_EEENS0_18inequality_wrapperIN6hipcub16HIPCUB_304000_NS8EqualityEEEPlJS6_EEE10hipError_tPvRmT3_T4_T5_T6_T7_T9_mT8_P12ihipStream_tbDpT10_ENKUlT_T0_E_clISt17integral_constantIbLb0EES17_EEDaS12_S13_EUlS12_E_NS1_11comp_targetILNS1_3genE3ELNS1_11target_archE908ELNS1_3gpuE7ELNS1_3repE0EEENS1_30default_config_static_selectorELNS0_4arch9wavefront6targetE1EEEvT1_ ; -- Begin function _ZN7rocprim17ROCPRIM_400000_NS6detail17trampoline_kernelINS0_14default_configENS1_25partition_config_selectorILNS1_17partition_subalgoE8EjNS0_10empty_typeEbEEZZNS1_14partition_implILS5_8ELb0ES3_jPKjPS6_PKS6_NS0_5tupleIJPjS6_EEENSE_IJSB_SB_EEENS0_18inequality_wrapperIN6hipcub16HIPCUB_304000_NS8EqualityEEEPlJS6_EEE10hipError_tPvRmT3_T4_T5_T6_T7_T9_mT8_P12ihipStream_tbDpT10_ENKUlT_T0_E_clISt17integral_constantIbLb0EES17_EEDaS12_S13_EUlS12_E_NS1_11comp_targetILNS1_3genE3ELNS1_11target_archE908ELNS1_3gpuE7ELNS1_3repE0EEENS1_30default_config_static_selectorELNS0_4arch9wavefront6targetE1EEEvT1_
	.globl	_ZN7rocprim17ROCPRIM_400000_NS6detail17trampoline_kernelINS0_14default_configENS1_25partition_config_selectorILNS1_17partition_subalgoE8EjNS0_10empty_typeEbEEZZNS1_14partition_implILS5_8ELb0ES3_jPKjPS6_PKS6_NS0_5tupleIJPjS6_EEENSE_IJSB_SB_EEENS0_18inequality_wrapperIN6hipcub16HIPCUB_304000_NS8EqualityEEEPlJS6_EEE10hipError_tPvRmT3_T4_T5_T6_T7_T9_mT8_P12ihipStream_tbDpT10_ENKUlT_T0_E_clISt17integral_constantIbLb0EES17_EEDaS12_S13_EUlS12_E_NS1_11comp_targetILNS1_3genE3ELNS1_11target_archE908ELNS1_3gpuE7ELNS1_3repE0EEENS1_30default_config_static_selectorELNS0_4arch9wavefront6targetE1EEEvT1_
	.p2align	8
	.type	_ZN7rocprim17ROCPRIM_400000_NS6detail17trampoline_kernelINS0_14default_configENS1_25partition_config_selectorILNS1_17partition_subalgoE8EjNS0_10empty_typeEbEEZZNS1_14partition_implILS5_8ELb0ES3_jPKjPS6_PKS6_NS0_5tupleIJPjS6_EEENSE_IJSB_SB_EEENS0_18inequality_wrapperIN6hipcub16HIPCUB_304000_NS8EqualityEEEPlJS6_EEE10hipError_tPvRmT3_T4_T5_T6_T7_T9_mT8_P12ihipStream_tbDpT10_ENKUlT_T0_E_clISt17integral_constantIbLb0EES17_EEDaS12_S13_EUlS12_E_NS1_11comp_targetILNS1_3genE3ELNS1_11target_archE908ELNS1_3gpuE7ELNS1_3repE0EEENS1_30default_config_static_selectorELNS0_4arch9wavefront6targetE1EEEvT1_,@function
_ZN7rocprim17ROCPRIM_400000_NS6detail17trampoline_kernelINS0_14default_configENS1_25partition_config_selectorILNS1_17partition_subalgoE8EjNS0_10empty_typeEbEEZZNS1_14partition_implILS5_8ELb0ES3_jPKjPS6_PKS6_NS0_5tupleIJPjS6_EEENSE_IJSB_SB_EEENS0_18inequality_wrapperIN6hipcub16HIPCUB_304000_NS8EqualityEEEPlJS6_EEE10hipError_tPvRmT3_T4_T5_T6_T7_T9_mT8_P12ihipStream_tbDpT10_ENKUlT_T0_E_clISt17integral_constantIbLb0EES17_EEDaS12_S13_EUlS12_E_NS1_11comp_targetILNS1_3genE3ELNS1_11target_archE908ELNS1_3gpuE7ELNS1_3repE0EEENS1_30default_config_static_selectorELNS0_4arch9wavefront6targetE1EEEvT1_: ; @_ZN7rocprim17ROCPRIM_400000_NS6detail17trampoline_kernelINS0_14default_configENS1_25partition_config_selectorILNS1_17partition_subalgoE8EjNS0_10empty_typeEbEEZZNS1_14partition_implILS5_8ELb0ES3_jPKjPS6_PKS6_NS0_5tupleIJPjS6_EEENSE_IJSB_SB_EEENS0_18inequality_wrapperIN6hipcub16HIPCUB_304000_NS8EqualityEEEPlJS6_EEE10hipError_tPvRmT3_T4_T5_T6_T7_T9_mT8_P12ihipStream_tbDpT10_ENKUlT_T0_E_clISt17integral_constantIbLb0EES17_EEDaS12_S13_EUlS12_E_NS1_11comp_targetILNS1_3genE3ELNS1_11target_archE908ELNS1_3gpuE7ELNS1_3repE0EEENS1_30default_config_static_selectorELNS0_4arch9wavefront6targetE1EEEvT1_
; %bb.0:
	.section	.rodata,"a",@progbits
	.p2align	6, 0x0
	.amdhsa_kernel _ZN7rocprim17ROCPRIM_400000_NS6detail17trampoline_kernelINS0_14default_configENS1_25partition_config_selectorILNS1_17partition_subalgoE8EjNS0_10empty_typeEbEEZZNS1_14partition_implILS5_8ELb0ES3_jPKjPS6_PKS6_NS0_5tupleIJPjS6_EEENSE_IJSB_SB_EEENS0_18inequality_wrapperIN6hipcub16HIPCUB_304000_NS8EqualityEEEPlJS6_EEE10hipError_tPvRmT3_T4_T5_T6_T7_T9_mT8_P12ihipStream_tbDpT10_ENKUlT_T0_E_clISt17integral_constantIbLb0EES17_EEDaS12_S13_EUlS12_E_NS1_11comp_targetILNS1_3genE3ELNS1_11target_archE908ELNS1_3gpuE7ELNS1_3repE0EEENS1_30default_config_static_selectorELNS0_4arch9wavefront6targetE1EEEvT1_
		.amdhsa_group_segment_fixed_size 0
		.amdhsa_private_segment_fixed_size 0
		.amdhsa_kernarg_size 112
		.amdhsa_user_sgpr_count 6
		.amdhsa_user_sgpr_private_segment_buffer 1
		.amdhsa_user_sgpr_dispatch_ptr 0
		.amdhsa_user_sgpr_queue_ptr 0
		.amdhsa_user_sgpr_kernarg_segment_ptr 1
		.amdhsa_user_sgpr_dispatch_id 0
		.amdhsa_user_sgpr_flat_scratch_init 0
		.amdhsa_user_sgpr_kernarg_preload_length 0
		.amdhsa_user_sgpr_kernarg_preload_offset 0
		.amdhsa_user_sgpr_private_segment_size 0
		.amdhsa_uses_dynamic_stack 0
		.amdhsa_system_sgpr_private_segment_wavefront_offset 0
		.amdhsa_system_sgpr_workgroup_id_x 1
		.amdhsa_system_sgpr_workgroup_id_y 0
		.amdhsa_system_sgpr_workgroup_id_z 0
		.amdhsa_system_sgpr_workgroup_info 0
		.amdhsa_system_vgpr_workitem_id 0
		.amdhsa_next_free_vgpr 1
		.amdhsa_next_free_sgpr 0
		.amdhsa_accum_offset 4
		.amdhsa_reserve_vcc 0
		.amdhsa_reserve_flat_scratch 0
		.amdhsa_float_round_mode_32 0
		.amdhsa_float_round_mode_16_64 0
		.amdhsa_float_denorm_mode_32 3
		.amdhsa_float_denorm_mode_16_64 3
		.amdhsa_dx10_clamp 1
		.amdhsa_ieee_mode 1
		.amdhsa_fp16_overflow 0
		.amdhsa_tg_split 0
		.amdhsa_exception_fp_ieee_invalid_op 0
		.amdhsa_exception_fp_denorm_src 0
		.amdhsa_exception_fp_ieee_div_zero 0
		.amdhsa_exception_fp_ieee_overflow 0
		.amdhsa_exception_fp_ieee_underflow 0
		.amdhsa_exception_fp_ieee_inexact 0
		.amdhsa_exception_int_div_zero 0
	.end_amdhsa_kernel
	.section	.text._ZN7rocprim17ROCPRIM_400000_NS6detail17trampoline_kernelINS0_14default_configENS1_25partition_config_selectorILNS1_17partition_subalgoE8EjNS0_10empty_typeEbEEZZNS1_14partition_implILS5_8ELb0ES3_jPKjPS6_PKS6_NS0_5tupleIJPjS6_EEENSE_IJSB_SB_EEENS0_18inequality_wrapperIN6hipcub16HIPCUB_304000_NS8EqualityEEEPlJS6_EEE10hipError_tPvRmT3_T4_T5_T6_T7_T9_mT8_P12ihipStream_tbDpT10_ENKUlT_T0_E_clISt17integral_constantIbLb0EES17_EEDaS12_S13_EUlS12_E_NS1_11comp_targetILNS1_3genE3ELNS1_11target_archE908ELNS1_3gpuE7ELNS1_3repE0EEENS1_30default_config_static_selectorELNS0_4arch9wavefront6targetE1EEEvT1_,"axG",@progbits,_ZN7rocprim17ROCPRIM_400000_NS6detail17trampoline_kernelINS0_14default_configENS1_25partition_config_selectorILNS1_17partition_subalgoE8EjNS0_10empty_typeEbEEZZNS1_14partition_implILS5_8ELb0ES3_jPKjPS6_PKS6_NS0_5tupleIJPjS6_EEENSE_IJSB_SB_EEENS0_18inequality_wrapperIN6hipcub16HIPCUB_304000_NS8EqualityEEEPlJS6_EEE10hipError_tPvRmT3_T4_T5_T6_T7_T9_mT8_P12ihipStream_tbDpT10_ENKUlT_T0_E_clISt17integral_constantIbLb0EES17_EEDaS12_S13_EUlS12_E_NS1_11comp_targetILNS1_3genE3ELNS1_11target_archE908ELNS1_3gpuE7ELNS1_3repE0EEENS1_30default_config_static_selectorELNS0_4arch9wavefront6targetE1EEEvT1_,comdat
.Lfunc_end620:
	.size	_ZN7rocprim17ROCPRIM_400000_NS6detail17trampoline_kernelINS0_14default_configENS1_25partition_config_selectorILNS1_17partition_subalgoE8EjNS0_10empty_typeEbEEZZNS1_14partition_implILS5_8ELb0ES3_jPKjPS6_PKS6_NS0_5tupleIJPjS6_EEENSE_IJSB_SB_EEENS0_18inequality_wrapperIN6hipcub16HIPCUB_304000_NS8EqualityEEEPlJS6_EEE10hipError_tPvRmT3_T4_T5_T6_T7_T9_mT8_P12ihipStream_tbDpT10_ENKUlT_T0_E_clISt17integral_constantIbLb0EES17_EEDaS12_S13_EUlS12_E_NS1_11comp_targetILNS1_3genE3ELNS1_11target_archE908ELNS1_3gpuE7ELNS1_3repE0EEENS1_30default_config_static_selectorELNS0_4arch9wavefront6targetE1EEEvT1_, .Lfunc_end620-_ZN7rocprim17ROCPRIM_400000_NS6detail17trampoline_kernelINS0_14default_configENS1_25partition_config_selectorILNS1_17partition_subalgoE8EjNS0_10empty_typeEbEEZZNS1_14partition_implILS5_8ELb0ES3_jPKjPS6_PKS6_NS0_5tupleIJPjS6_EEENSE_IJSB_SB_EEENS0_18inequality_wrapperIN6hipcub16HIPCUB_304000_NS8EqualityEEEPlJS6_EEE10hipError_tPvRmT3_T4_T5_T6_T7_T9_mT8_P12ihipStream_tbDpT10_ENKUlT_T0_E_clISt17integral_constantIbLb0EES17_EEDaS12_S13_EUlS12_E_NS1_11comp_targetILNS1_3genE3ELNS1_11target_archE908ELNS1_3gpuE7ELNS1_3repE0EEENS1_30default_config_static_selectorELNS0_4arch9wavefront6targetE1EEEvT1_
                                        ; -- End function
	.section	.AMDGPU.csdata,"",@progbits
; Kernel info:
; codeLenInByte = 0
; NumSgprs: 4
; NumVgprs: 0
; NumAgprs: 0
; TotalNumVgprs: 0
; ScratchSize: 0
; MemoryBound: 0
; FloatMode: 240
; IeeeMode: 1
; LDSByteSize: 0 bytes/workgroup (compile time only)
; SGPRBlocks: 0
; VGPRBlocks: 0
; NumSGPRsForWavesPerEU: 4
; NumVGPRsForWavesPerEU: 1
; AccumOffset: 4
; Occupancy: 8
; WaveLimiterHint : 0
; COMPUTE_PGM_RSRC2:SCRATCH_EN: 0
; COMPUTE_PGM_RSRC2:USER_SGPR: 6
; COMPUTE_PGM_RSRC2:TRAP_HANDLER: 0
; COMPUTE_PGM_RSRC2:TGID_X_EN: 1
; COMPUTE_PGM_RSRC2:TGID_Y_EN: 0
; COMPUTE_PGM_RSRC2:TGID_Z_EN: 0
; COMPUTE_PGM_RSRC2:TIDIG_COMP_CNT: 0
; COMPUTE_PGM_RSRC3_GFX90A:ACCUM_OFFSET: 0
; COMPUTE_PGM_RSRC3_GFX90A:TG_SPLIT: 0
	.section	.text._ZN7rocprim17ROCPRIM_400000_NS6detail17trampoline_kernelINS0_14default_configENS1_25partition_config_selectorILNS1_17partition_subalgoE8EjNS0_10empty_typeEbEEZZNS1_14partition_implILS5_8ELb0ES3_jPKjPS6_PKS6_NS0_5tupleIJPjS6_EEENSE_IJSB_SB_EEENS0_18inequality_wrapperIN6hipcub16HIPCUB_304000_NS8EqualityEEEPlJS6_EEE10hipError_tPvRmT3_T4_T5_T6_T7_T9_mT8_P12ihipStream_tbDpT10_ENKUlT_T0_E_clISt17integral_constantIbLb0EES17_EEDaS12_S13_EUlS12_E_NS1_11comp_targetILNS1_3genE2ELNS1_11target_archE906ELNS1_3gpuE6ELNS1_3repE0EEENS1_30default_config_static_selectorELNS0_4arch9wavefront6targetE1EEEvT1_,"axG",@progbits,_ZN7rocprim17ROCPRIM_400000_NS6detail17trampoline_kernelINS0_14default_configENS1_25partition_config_selectorILNS1_17partition_subalgoE8EjNS0_10empty_typeEbEEZZNS1_14partition_implILS5_8ELb0ES3_jPKjPS6_PKS6_NS0_5tupleIJPjS6_EEENSE_IJSB_SB_EEENS0_18inequality_wrapperIN6hipcub16HIPCUB_304000_NS8EqualityEEEPlJS6_EEE10hipError_tPvRmT3_T4_T5_T6_T7_T9_mT8_P12ihipStream_tbDpT10_ENKUlT_T0_E_clISt17integral_constantIbLb0EES17_EEDaS12_S13_EUlS12_E_NS1_11comp_targetILNS1_3genE2ELNS1_11target_archE906ELNS1_3gpuE6ELNS1_3repE0EEENS1_30default_config_static_selectorELNS0_4arch9wavefront6targetE1EEEvT1_,comdat
	.protected	_ZN7rocprim17ROCPRIM_400000_NS6detail17trampoline_kernelINS0_14default_configENS1_25partition_config_selectorILNS1_17partition_subalgoE8EjNS0_10empty_typeEbEEZZNS1_14partition_implILS5_8ELb0ES3_jPKjPS6_PKS6_NS0_5tupleIJPjS6_EEENSE_IJSB_SB_EEENS0_18inequality_wrapperIN6hipcub16HIPCUB_304000_NS8EqualityEEEPlJS6_EEE10hipError_tPvRmT3_T4_T5_T6_T7_T9_mT8_P12ihipStream_tbDpT10_ENKUlT_T0_E_clISt17integral_constantIbLb0EES17_EEDaS12_S13_EUlS12_E_NS1_11comp_targetILNS1_3genE2ELNS1_11target_archE906ELNS1_3gpuE6ELNS1_3repE0EEENS1_30default_config_static_selectorELNS0_4arch9wavefront6targetE1EEEvT1_ ; -- Begin function _ZN7rocprim17ROCPRIM_400000_NS6detail17trampoline_kernelINS0_14default_configENS1_25partition_config_selectorILNS1_17partition_subalgoE8EjNS0_10empty_typeEbEEZZNS1_14partition_implILS5_8ELb0ES3_jPKjPS6_PKS6_NS0_5tupleIJPjS6_EEENSE_IJSB_SB_EEENS0_18inequality_wrapperIN6hipcub16HIPCUB_304000_NS8EqualityEEEPlJS6_EEE10hipError_tPvRmT3_T4_T5_T6_T7_T9_mT8_P12ihipStream_tbDpT10_ENKUlT_T0_E_clISt17integral_constantIbLb0EES17_EEDaS12_S13_EUlS12_E_NS1_11comp_targetILNS1_3genE2ELNS1_11target_archE906ELNS1_3gpuE6ELNS1_3repE0EEENS1_30default_config_static_selectorELNS0_4arch9wavefront6targetE1EEEvT1_
	.globl	_ZN7rocprim17ROCPRIM_400000_NS6detail17trampoline_kernelINS0_14default_configENS1_25partition_config_selectorILNS1_17partition_subalgoE8EjNS0_10empty_typeEbEEZZNS1_14partition_implILS5_8ELb0ES3_jPKjPS6_PKS6_NS0_5tupleIJPjS6_EEENSE_IJSB_SB_EEENS0_18inequality_wrapperIN6hipcub16HIPCUB_304000_NS8EqualityEEEPlJS6_EEE10hipError_tPvRmT3_T4_T5_T6_T7_T9_mT8_P12ihipStream_tbDpT10_ENKUlT_T0_E_clISt17integral_constantIbLb0EES17_EEDaS12_S13_EUlS12_E_NS1_11comp_targetILNS1_3genE2ELNS1_11target_archE906ELNS1_3gpuE6ELNS1_3repE0EEENS1_30default_config_static_selectorELNS0_4arch9wavefront6targetE1EEEvT1_
	.p2align	8
	.type	_ZN7rocprim17ROCPRIM_400000_NS6detail17trampoline_kernelINS0_14default_configENS1_25partition_config_selectorILNS1_17partition_subalgoE8EjNS0_10empty_typeEbEEZZNS1_14partition_implILS5_8ELb0ES3_jPKjPS6_PKS6_NS0_5tupleIJPjS6_EEENSE_IJSB_SB_EEENS0_18inequality_wrapperIN6hipcub16HIPCUB_304000_NS8EqualityEEEPlJS6_EEE10hipError_tPvRmT3_T4_T5_T6_T7_T9_mT8_P12ihipStream_tbDpT10_ENKUlT_T0_E_clISt17integral_constantIbLb0EES17_EEDaS12_S13_EUlS12_E_NS1_11comp_targetILNS1_3genE2ELNS1_11target_archE906ELNS1_3gpuE6ELNS1_3repE0EEENS1_30default_config_static_selectorELNS0_4arch9wavefront6targetE1EEEvT1_,@function
_ZN7rocprim17ROCPRIM_400000_NS6detail17trampoline_kernelINS0_14default_configENS1_25partition_config_selectorILNS1_17partition_subalgoE8EjNS0_10empty_typeEbEEZZNS1_14partition_implILS5_8ELb0ES3_jPKjPS6_PKS6_NS0_5tupleIJPjS6_EEENSE_IJSB_SB_EEENS0_18inequality_wrapperIN6hipcub16HIPCUB_304000_NS8EqualityEEEPlJS6_EEE10hipError_tPvRmT3_T4_T5_T6_T7_T9_mT8_P12ihipStream_tbDpT10_ENKUlT_T0_E_clISt17integral_constantIbLb0EES17_EEDaS12_S13_EUlS12_E_NS1_11comp_targetILNS1_3genE2ELNS1_11target_archE906ELNS1_3gpuE6ELNS1_3repE0EEENS1_30default_config_static_selectorELNS0_4arch9wavefront6targetE1EEEvT1_: ; @_ZN7rocprim17ROCPRIM_400000_NS6detail17trampoline_kernelINS0_14default_configENS1_25partition_config_selectorILNS1_17partition_subalgoE8EjNS0_10empty_typeEbEEZZNS1_14partition_implILS5_8ELb0ES3_jPKjPS6_PKS6_NS0_5tupleIJPjS6_EEENSE_IJSB_SB_EEENS0_18inequality_wrapperIN6hipcub16HIPCUB_304000_NS8EqualityEEEPlJS6_EEE10hipError_tPvRmT3_T4_T5_T6_T7_T9_mT8_P12ihipStream_tbDpT10_ENKUlT_T0_E_clISt17integral_constantIbLb0EES17_EEDaS12_S13_EUlS12_E_NS1_11comp_targetILNS1_3genE2ELNS1_11target_archE906ELNS1_3gpuE6ELNS1_3repE0EEENS1_30default_config_static_selectorELNS0_4arch9wavefront6targetE1EEEvT1_
; %bb.0:
	.section	.rodata,"a",@progbits
	.p2align	6, 0x0
	.amdhsa_kernel _ZN7rocprim17ROCPRIM_400000_NS6detail17trampoline_kernelINS0_14default_configENS1_25partition_config_selectorILNS1_17partition_subalgoE8EjNS0_10empty_typeEbEEZZNS1_14partition_implILS5_8ELb0ES3_jPKjPS6_PKS6_NS0_5tupleIJPjS6_EEENSE_IJSB_SB_EEENS0_18inequality_wrapperIN6hipcub16HIPCUB_304000_NS8EqualityEEEPlJS6_EEE10hipError_tPvRmT3_T4_T5_T6_T7_T9_mT8_P12ihipStream_tbDpT10_ENKUlT_T0_E_clISt17integral_constantIbLb0EES17_EEDaS12_S13_EUlS12_E_NS1_11comp_targetILNS1_3genE2ELNS1_11target_archE906ELNS1_3gpuE6ELNS1_3repE0EEENS1_30default_config_static_selectorELNS0_4arch9wavefront6targetE1EEEvT1_
		.amdhsa_group_segment_fixed_size 0
		.amdhsa_private_segment_fixed_size 0
		.amdhsa_kernarg_size 112
		.amdhsa_user_sgpr_count 6
		.amdhsa_user_sgpr_private_segment_buffer 1
		.amdhsa_user_sgpr_dispatch_ptr 0
		.amdhsa_user_sgpr_queue_ptr 0
		.amdhsa_user_sgpr_kernarg_segment_ptr 1
		.amdhsa_user_sgpr_dispatch_id 0
		.amdhsa_user_sgpr_flat_scratch_init 0
		.amdhsa_user_sgpr_kernarg_preload_length 0
		.amdhsa_user_sgpr_kernarg_preload_offset 0
		.amdhsa_user_sgpr_private_segment_size 0
		.amdhsa_uses_dynamic_stack 0
		.amdhsa_system_sgpr_private_segment_wavefront_offset 0
		.amdhsa_system_sgpr_workgroup_id_x 1
		.amdhsa_system_sgpr_workgroup_id_y 0
		.amdhsa_system_sgpr_workgroup_id_z 0
		.amdhsa_system_sgpr_workgroup_info 0
		.amdhsa_system_vgpr_workitem_id 0
		.amdhsa_next_free_vgpr 1
		.amdhsa_next_free_sgpr 0
		.amdhsa_accum_offset 4
		.amdhsa_reserve_vcc 0
		.amdhsa_reserve_flat_scratch 0
		.amdhsa_float_round_mode_32 0
		.amdhsa_float_round_mode_16_64 0
		.amdhsa_float_denorm_mode_32 3
		.amdhsa_float_denorm_mode_16_64 3
		.amdhsa_dx10_clamp 1
		.amdhsa_ieee_mode 1
		.amdhsa_fp16_overflow 0
		.amdhsa_tg_split 0
		.amdhsa_exception_fp_ieee_invalid_op 0
		.amdhsa_exception_fp_denorm_src 0
		.amdhsa_exception_fp_ieee_div_zero 0
		.amdhsa_exception_fp_ieee_overflow 0
		.amdhsa_exception_fp_ieee_underflow 0
		.amdhsa_exception_fp_ieee_inexact 0
		.amdhsa_exception_int_div_zero 0
	.end_amdhsa_kernel
	.section	.text._ZN7rocprim17ROCPRIM_400000_NS6detail17trampoline_kernelINS0_14default_configENS1_25partition_config_selectorILNS1_17partition_subalgoE8EjNS0_10empty_typeEbEEZZNS1_14partition_implILS5_8ELb0ES3_jPKjPS6_PKS6_NS0_5tupleIJPjS6_EEENSE_IJSB_SB_EEENS0_18inequality_wrapperIN6hipcub16HIPCUB_304000_NS8EqualityEEEPlJS6_EEE10hipError_tPvRmT3_T4_T5_T6_T7_T9_mT8_P12ihipStream_tbDpT10_ENKUlT_T0_E_clISt17integral_constantIbLb0EES17_EEDaS12_S13_EUlS12_E_NS1_11comp_targetILNS1_3genE2ELNS1_11target_archE906ELNS1_3gpuE6ELNS1_3repE0EEENS1_30default_config_static_selectorELNS0_4arch9wavefront6targetE1EEEvT1_,"axG",@progbits,_ZN7rocprim17ROCPRIM_400000_NS6detail17trampoline_kernelINS0_14default_configENS1_25partition_config_selectorILNS1_17partition_subalgoE8EjNS0_10empty_typeEbEEZZNS1_14partition_implILS5_8ELb0ES3_jPKjPS6_PKS6_NS0_5tupleIJPjS6_EEENSE_IJSB_SB_EEENS0_18inequality_wrapperIN6hipcub16HIPCUB_304000_NS8EqualityEEEPlJS6_EEE10hipError_tPvRmT3_T4_T5_T6_T7_T9_mT8_P12ihipStream_tbDpT10_ENKUlT_T0_E_clISt17integral_constantIbLb0EES17_EEDaS12_S13_EUlS12_E_NS1_11comp_targetILNS1_3genE2ELNS1_11target_archE906ELNS1_3gpuE6ELNS1_3repE0EEENS1_30default_config_static_selectorELNS0_4arch9wavefront6targetE1EEEvT1_,comdat
.Lfunc_end621:
	.size	_ZN7rocprim17ROCPRIM_400000_NS6detail17trampoline_kernelINS0_14default_configENS1_25partition_config_selectorILNS1_17partition_subalgoE8EjNS0_10empty_typeEbEEZZNS1_14partition_implILS5_8ELb0ES3_jPKjPS6_PKS6_NS0_5tupleIJPjS6_EEENSE_IJSB_SB_EEENS0_18inequality_wrapperIN6hipcub16HIPCUB_304000_NS8EqualityEEEPlJS6_EEE10hipError_tPvRmT3_T4_T5_T6_T7_T9_mT8_P12ihipStream_tbDpT10_ENKUlT_T0_E_clISt17integral_constantIbLb0EES17_EEDaS12_S13_EUlS12_E_NS1_11comp_targetILNS1_3genE2ELNS1_11target_archE906ELNS1_3gpuE6ELNS1_3repE0EEENS1_30default_config_static_selectorELNS0_4arch9wavefront6targetE1EEEvT1_, .Lfunc_end621-_ZN7rocprim17ROCPRIM_400000_NS6detail17trampoline_kernelINS0_14default_configENS1_25partition_config_selectorILNS1_17partition_subalgoE8EjNS0_10empty_typeEbEEZZNS1_14partition_implILS5_8ELb0ES3_jPKjPS6_PKS6_NS0_5tupleIJPjS6_EEENSE_IJSB_SB_EEENS0_18inequality_wrapperIN6hipcub16HIPCUB_304000_NS8EqualityEEEPlJS6_EEE10hipError_tPvRmT3_T4_T5_T6_T7_T9_mT8_P12ihipStream_tbDpT10_ENKUlT_T0_E_clISt17integral_constantIbLb0EES17_EEDaS12_S13_EUlS12_E_NS1_11comp_targetILNS1_3genE2ELNS1_11target_archE906ELNS1_3gpuE6ELNS1_3repE0EEENS1_30default_config_static_selectorELNS0_4arch9wavefront6targetE1EEEvT1_
                                        ; -- End function
	.section	.AMDGPU.csdata,"",@progbits
; Kernel info:
; codeLenInByte = 0
; NumSgprs: 4
; NumVgprs: 0
; NumAgprs: 0
; TotalNumVgprs: 0
; ScratchSize: 0
; MemoryBound: 0
; FloatMode: 240
; IeeeMode: 1
; LDSByteSize: 0 bytes/workgroup (compile time only)
; SGPRBlocks: 0
; VGPRBlocks: 0
; NumSGPRsForWavesPerEU: 4
; NumVGPRsForWavesPerEU: 1
; AccumOffset: 4
; Occupancy: 8
; WaveLimiterHint : 0
; COMPUTE_PGM_RSRC2:SCRATCH_EN: 0
; COMPUTE_PGM_RSRC2:USER_SGPR: 6
; COMPUTE_PGM_RSRC2:TRAP_HANDLER: 0
; COMPUTE_PGM_RSRC2:TGID_X_EN: 1
; COMPUTE_PGM_RSRC2:TGID_Y_EN: 0
; COMPUTE_PGM_RSRC2:TGID_Z_EN: 0
; COMPUTE_PGM_RSRC2:TIDIG_COMP_CNT: 0
; COMPUTE_PGM_RSRC3_GFX90A:ACCUM_OFFSET: 0
; COMPUTE_PGM_RSRC3_GFX90A:TG_SPLIT: 0
	.section	.text._ZN7rocprim17ROCPRIM_400000_NS6detail17trampoline_kernelINS0_14default_configENS1_25partition_config_selectorILNS1_17partition_subalgoE8EjNS0_10empty_typeEbEEZZNS1_14partition_implILS5_8ELb0ES3_jPKjPS6_PKS6_NS0_5tupleIJPjS6_EEENSE_IJSB_SB_EEENS0_18inequality_wrapperIN6hipcub16HIPCUB_304000_NS8EqualityEEEPlJS6_EEE10hipError_tPvRmT3_T4_T5_T6_T7_T9_mT8_P12ihipStream_tbDpT10_ENKUlT_T0_E_clISt17integral_constantIbLb0EES17_EEDaS12_S13_EUlS12_E_NS1_11comp_targetILNS1_3genE10ELNS1_11target_archE1200ELNS1_3gpuE4ELNS1_3repE0EEENS1_30default_config_static_selectorELNS0_4arch9wavefront6targetE1EEEvT1_,"axG",@progbits,_ZN7rocprim17ROCPRIM_400000_NS6detail17trampoline_kernelINS0_14default_configENS1_25partition_config_selectorILNS1_17partition_subalgoE8EjNS0_10empty_typeEbEEZZNS1_14partition_implILS5_8ELb0ES3_jPKjPS6_PKS6_NS0_5tupleIJPjS6_EEENSE_IJSB_SB_EEENS0_18inequality_wrapperIN6hipcub16HIPCUB_304000_NS8EqualityEEEPlJS6_EEE10hipError_tPvRmT3_T4_T5_T6_T7_T9_mT8_P12ihipStream_tbDpT10_ENKUlT_T0_E_clISt17integral_constantIbLb0EES17_EEDaS12_S13_EUlS12_E_NS1_11comp_targetILNS1_3genE10ELNS1_11target_archE1200ELNS1_3gpuE4ELNS1_3repE0EEENS1_30default_config_static_selectorELNS0_4arch9wavefront6targetE1EEEvT1_,comdat
	.protected	_ZN7rocprim17ROCPRIM_400000_NS6detail17trampoline_kernelINS0_14default_configENS1_25partition_config_selectorILNS1_17partition_subalgoE8EjNS0_10empty_typeEbEEZZNS1_14partition_implILS5_8ELb0ES3_jPKjPS6_PKS6_NS0_5tupleIJPjS6_EEENSE_IJSB_SB_EEENS0_18inequality_wrapperIN6hipcub16HIPCUB_304000_NS8EqualityEEEPlJS6_EEE10hipError_tPvRmT3_T4_T5_T6_T7_T9_mT8_P12ihipStream_tbDpT10_ENKUlT_T0_E_clISt17integral_constantIbLb0EES17_EEDaS12_S13_EUlS12_E_NS1_11comp_targetILNS1_3genE10ELNS1_11target_archE1200ELNS1_3gpuE4ELNS1_3repE0EEENS1_30default_config_static_selectorELNS0_4arch9wavefront6targetE1EEEvT1_ ; -- Begin function _ZN7rocprim17ROCPRIM_400000_NS6detail17trampoline_kernelINS0_14default_configENS1_25partition_config_selectorILNS1_17partition_subalgoE8EjNS0_10empty_typeEbEEZZNS1_14partition_implILS5_8ELb0ES3_jPKjPS6_PKS6_NS0_5tupleIJPjS6_EEENSE_IJSB_SB_EEENS0_18inequality_wrapperIN6hipcub16HIPCUB_304000_NS8EqualityEEEPlJS6_EEE10hipError_tPvRmT3_T4_T5_T6_T7_T9_mT8_P12ihipStream_tbDpT10_ENKUlT_T0_E_clISt17integral_constantIbLb0EES17_EEDaS12_S13_EUlS12_E_NS1_11comp_targetILNS1_3genE10ELNS1_11target_archE1200ELNS1_3gpuE4ELNS1_3repE0EEENS1_30default_config_static_selectorELNS0_4arch9wavefront6targetE1EEEvT1_
	.globl	_ZN7rocprim17ROCPRIM_400000_NS6detail17trampoline_kernelINS0_14default_configENS1_25partition_config_selectorILNS1_17partition_subalgoE8EjNS0_10empty_typeEbEEZZNS1_14partition_implILS5_8ELb0ES3_jPKjPS6_PKS6_NS0_5tupleIJPjS6_EEENSE_IJSB_SB_EEENS0_18inequality_wrapperIN6hipcub16HIPCUB_304000_NS8EqualityEEEPlJS6_EEE10hipError_tPvRmT3_T4_T5_T6_T7_T9_mT8_P12ihipStream_tbDpT10_ENKUlT_T0_E_clISt17integral_constantIbLb0EES17_EEDaS12_S13_EUlS12_E_NS1_11comp_targetILNS1_3genE10ELNS1_11target_archE1200ELNS1_3gpuE4ELNS1_3repE0EEENS1_30default_config_static_selectorELNS0_4arch9wavefront6targetE1EEEvT1_
	.p2align	8
	.type	_ZN7rocprim17ROCPRIM_400000_NS6detail17trampoline_kernelINS0_14default_configENS1_25partition_config_selectorILNS1_17partition_subalgoE8EjNS0_10empty_typeEbEEZZNS1_14partition_implILS5_8ELb0ES3_jPKjPS6_PKS6_NS0_5tupleIJPjS6_EEENSE_IJSB_SB_EEENS0_18inequality_wrapperIN6hipcub16HIPCUB_304000_NS8EqualityEEEPlJS6_EEE10hipError_tPvRmT3_T4_T5_T6_T7_T9_mT8_P12ihipStream_tbDpT10_ENKUlT_T0_E_clISt17integral_constantIbLb0EES17_EEDaS12_S13_EUlS12_E_NS1_11comp_targetILNS1_3genE10ELNS1_11target_archE1200ELNS1_3gpuE4ELNS1_3repE0EEENS1_30default_config_static_selectorELNS0_4arch9wavefront6targetE1EEEvT1_,@function
_ZN7rocprim17ROCPRIM_400000_NS6detail17trampoline_kernelINS0_14default_configENS1_25partition_config_selectorILNS1_17partition_subalgoE8EjNS0_10empty_typeEbEEZZNS1_14partition_implILS5_8ELb0ES3_jPKjPS6_PKS6_NS0_5tupleIJPjS6_EEENSE_IJSB_SB_EEENS0_18inequality_wrapperIN6hipcub16HIPCUB_304000_NS8EqualityEEEPlJS6_EEE10hipError_tPvRmT3_T4_T5_T6_T7_T9_mT8_P12ihipStream_tbDpT10_ENKUlT_T0_E_clISt17integral_constantIbLb0EES17_EEDaS12_S13_EUlS12_E_NS1_11comp_targetILNS1_3genE10ELNS1_11target_archE1200ELNS1_3gpuE4ELNS1_3repE0EEENS1_30default_config_static_selectorELNS0_4arch9wavefront6targetE1EEEvT1_: ; @_ZN7rocprim17ROCPRIM_400000_NS6detail17trampoline_kernelINS0_14default_configENS1_25partition_config_selectorILNS1_17partition_subalgoE8EjNS0_10empty_typeEbEEZZNS1_14partition_implILS5_8ELb0ES3_jPKjPS6_PKS6_NS0_5tupleIJPjS6_EEENSE_IJSB_SB_EEENS0_18inequality_wrapperIN6hipcub16HIPCUB_304000_NS8EqualityEEEPlJS6_EEE10hipError_tPvRmT3_T4_T5_T6_T7_T9_mT8_P12ihipStream_tbDpT10_ENKUlT_T0_E_clISt17integral_constantIbLb0EES17_EEDaS12_S13_EUlS12_E_NS1_11comp_targetILNS1_3genE10ELNS1_11target_archE1200ELNS1_3gpuE4ELNS1_3repE0EEENS1_30default_config_static_selectorELNS0_4arch9wavefront6targetE1EEEvT1_
; %bb.0:
	.section	.rodata,"a",@progbits
	.p2align	6, 0x0
	.amdhsa_kernel _ZN7rocprim17ROCPRIM_400000_NS6detail17trampoline_kernelINS0_14default_configENS1_25partition_config_selectorILNS1_17partition_subalgoE8EjNS0_10empty_typeEbEEZZNS1_14partition_implILS5_8ELb0ES3_jPKjPS6_PKS6_NS0_5tupleIJPjS6_EEENSE_IJSB_SB_EEENS0_18inequality_wrapperIN6hipcub16HIPCUB_304000_NS8EqualityEEEPlJS6_EEE10hipError_tPvRmT3_T4_T5_T6_T7_T9_mT8_P12ihipStream_tbDpT10_ENKUlT_T0_E_clISt17integral_constantIbLb0EES17_EEDaS12_S13_EUlS12_E_NS1_11comp_targetILNS1_3genE10ELNS1_11target_archE1200ELNS1_3gpuE4ELNS1_3repE0EEENS1_30default_config_static_selectorELNS0_4arch9wavefront6targetE1EEEvT1_
		.amdhsa_group_segment_fixed_size 0
		.amdhsa_private_segment_fixed_size 0
		.amdhsa_kernarg_size 112
		.amdhsa_user_sgpr_count 6
		.amdhsa_user_sgpr_private_segment_buffer 1
		.amdhsa_user_sgpr_dispatch_ptr 0
		.amdhsa_user_sgpr_queue_ptr 0
		.amdhsa_user_sgpr_kernarg_segment_ptr 1
		.amdhsa_user_sgpr_dispatch_id 0
		.amdhsa_user_sgpr_flat_scratch_init 0
		.amdhsa_user_sgpr_kernarg_preload_length 0
		.amdhsa_user_sgpr_kernarg_preload_offset 0
		.amdhsa_user_sgpr_private_segment_size 0
		.amdhsa_uses_dynamic_stack 0
		.amdhsa_system_sgpr_private_segment_wavefront_offset 0
		.amdhsa_system_sgpr_workgroup_id_x 1
		.amdhsa_system_sgpr_workgroup_id_y 0
		.amdhsa_system_sgpr_workgroup_id_z 0
		.amdhsa_system_sgpr_workgroup_info 0
		.amdhsa_system_vgpr_workitem_id 0
		.amdhsa_next_free_vgpr 1
		.amdhsa_next_free_sgpr 0
		.amdhsa_accum_offset 4
		.amdhsa_reserve_vcc 0
		.amdhsa_reserve_flat_scratch 0
		.amdhsa_float_round_mode_32 0
		.amdhsa_float_round_mode_16_64 0
		.amdhsa_float_denorm_mode_32 3
		.amdhsa_float_denorm_mode_16_64 3
		.amdhsa_dx10_clamp 1
		.amdhsa_ieee_mode 1
		.amdhsa_fp16_overflow 0
		.amdhsa_tg_split 0
		.amdhsa_exception_fp_ieee_invalid_op 0
		.amdhsa_exception_fp_denorm_src 0
		.amdhsa_exception_fp_ieee_div_zero 0
		.amdhsa_exception_fp_ieee_overflow 0
		.amdhsa_exception_fp_ieee_underflow 0
		.amdhsa_exception_fp_ieee_inexact 0
		.amdhsa_exception_int_div_zero 0
	.end_amdhsa_kernel
	.section	.text._ZN7rocprim17ROCPRIM_400000_NS6detail17trampoline_kernelINS0_14default_configENS1_25partition_config_selectorILNS1_17partition_subalgoE8EjNS0_10empty_typeEbEEZZNS1_14partition_implILS5_8ELb0ES3_jPKjPS6_PKS6_NS0_5tupleIJPjS6_EEENSE_IJSB_SB_EEENS0_18inequality_wrapperIN6hipcub16HIPCUB_304000_NS8EqualityEEEPlJS6_EEE10hipError_tPvRmT3_T4_T5_T6_T7_T9_mT8_P12ihipStream_tbDpT10_ENKUlT_T0_E_clISt17integral_constantIbLb0EES17_EEDaS12_S13_EUlS12_E_NS1_11comp_targetILNS1_3genE10ELNS1_11target_archE1200ELNS1_3gpuE4ELNS1_3repE0EEENS1_30default_config_static_selectorELNS0_4arch9wavefront6targetE1EEEvT1_,"axG",@progbits,_ZN7rocprim17ROCPRIM_400000_NS6detail17trampoline_kernelINS0_14default_configENS1_25partition_config_selectorILNS1_17partition_subalgoE8EjNS0_10empty_typeEbEEZZNS1_14partition_implILS5_8ELb0ES3_jPKjPS6_PKS6_NS0_5tupleIJPjS6_EEENSE_IJSB_SB_EEENS0_18inequality_wrapperIN6hipcub16HIPCUB_304000_NS8EqualityEEEPlJS6_EEE10hipError_tPvRmT3_T4_T5_T6_T7_T9_mT8_P12ihipStream_tbDpT10_ENKUlT_T0_E_clISt17integral_constantIbLb0EES17_EEDaS12_S13_EUlS12_E_NS1_11comp_targetILNS1_3genE10ELNS1_11target_archE1200ELNS1_3gpuE4ELNS1_3repE0EEENS1_30default_config_static_selectorELNS0_4arch9wavefront6targetE1EEEvT1_,comdat
.Lfunc_end622:
	.size	_ZN7rocprim17ROCPRIM_400000_NS6detail17trampoline_kernelINS0_14default_configENS1_25partition_config_selectorILNS1_17partition_subalgoE8EjNS0_10empty_typeEbEEZZNS1_14partition_implILS5_8ELb0ES3_jPKjPS6_PKS6_NS0_5tupleIJPjS6_EEENSE_IJSB_SB_EEENS0_18inequality_wrapperIN6hipcub16HIPCUB_304000_NS8EqualityEEEPlJS6_EEE10hipError_tPvRmT3_T4_T5_T6_T7_T9_mT8_P12ihipStream_tbDpT10_ENKUlT_T0_E_clISt17integral_constantIbLb0EES17_EEDaS12_S13_EUlS12_E_NS1_11comp_targetILNS1_3genE10ELNS1_11target_archE1200ELNS1_3gpuE4ELNS1_3repE0EEENS1_30default_config_static_selectorELNS0_4arch9wavefront6targetE1EEEvT1_, .Lfunc_end622-_ZN7rocprim17ROCPRIM_400000_NS6detail17trampoline_kernelINS0_14default_configENS1_25partition_config_selectorILNS1_17partition_subalgoE8EjNS0_10empty_typeEbEEZZNS1_14partition_implILS5_8ELb0ES3_jPKjPS6_PKS6_NS0_5tupleIJPjS6_EEENSE_IJSB_SB_EEENS0_18inequality_wrapperIN6hipcub16HIPCUB_304000_NS8EqualityEEEPlJS6_EEE10hipError_tPvRmT3_T4_T5_T6_T7_T9_mT8_P12ihipStream_tbDpT10_ENKUlT_T0_E_clISt17integral_constantIbLb0EES17_EEDaS12_S13_EUlS12_E_NS1_11comp_targetILNS1_3genE10ELNS1_11target_archE1200ELNS1_3gpuE4ELNS1_3repE0EEENS1_30default_config_static_selectorELNS0_4arch9wavefront6targetE1EEEvT1_
                                        ; -- End function
	.section	.AMDGPU.csdata,"",@progbits
; Kernel info:
; codeLenInByte = 0
; NumSgprs: 4
; NumVgprs: 0
; NumAgprs: 0
; TotalNumVgprs: 0
; ScratchSize: 0
; MemoryBound: 0
; FloatMode: 240
; IeeeMode: 1
; LDSByteSize: 0 bytes/workgroup (compile time only)
; SGPRBlocks: 0
; VGPRBlocks: 0
; NumSGPRsForWavesPerEU: 4
; NumVGPRsForWavesPerEU: 1
; AccumOffset: 4
; Occupancy: 8
; WaveLimiterHint : 0
; COMPUTE_PGM_RSRC2:SCRATCH_EN: 0
; COMPUTE_PGM_RSRC2:USER_SGPR: 6
; COMPUTE_PGM_RSRC2:TRAP_HANDLER: 0
; COMPUTE_PGM_RSRC2:TGID_X_EN: 1
; COMPUTE_PGM_RSRC2:TGID_Y_EN: 0
; COMPUTE_PGM_RSRC2:TGID_Z_EN: 0
; COMPUTE_PGM_RSRC2:TIDIG_COMP_CNT: 0
; COMPUTE_PGM_RSRC3_GFX90A:ACCUM_OFFSET: 0
; COMPUTE_PGM_RSRC3_GFX90A:TG_SPLIT: 0
	.section	.text._ZN7rocprim17ROCPRIM_400000_NS6detail17trampoline_kernelINS0_14default_configENS1_25partition_config_selectorILNS1_17partition_subalgoE8EjNS0_10empty_typeEbEEZZNS1_14partition_implILS5_8ELb0ES3_jPKjPS6_PKS6_NS0_5tupleIJPjS6_EEENSE_IJSB_SB_EEENS0_18inequality_wrapperIN6hipcub16HIPCUB_304000_NS8EqualityEEEPlJS6_EEE10hipError_tPvRmT3_T4_T5_T6_T7_T9_mT8_P12ihipStream_tbDpT10_ENKUlT_T0_E_clISt17integral_constantIbLb0EES17_EEDaS12_S13_EUlS12_E_NS1_11comp_targetILNS1_3genE9ELNS1_11target_archE1100ELNS1_3gpuE3ELNS1_3repE0EEENS1_30default_config_static_selectorELNS0_4arch9wavefront6targetE1EEEvT1_,"axG",@progbits,_ZN7rocprim17ROCPRIM_400000_NS6detail17trampoline_kernelINS0_14default_configENS1_25partition_config_selectorILNS1_17partition_subalgoE8EjNS0_10empty_typeEbEEZZNS1_14partition_implILS5_8ELb0ES3_jPKjPS6_PKS6_NS0_5tupleIJPjS6_EEENSE_IJSB_SB_EEENS0_18inequality_wrapperIN6hipcub16HIPCUB_304000_NS8EqualityEEEPlJS6_EEE10hipError_tPvRmT3_T4_T5_T6_T7_T9_mT8_P12ihipStream_tbDpT10_ENKUlT_T0_E_clISt17integral_constantIbLb0EES17_EEDaS12_S13_EUlS12_E_NS1_11comp_targetILNS1_3genE9ELNS1_11target_archE1100ELNS1_3gpuE3ELNS1_3repE0EEENS1_30default_config_static_selectorELNS0_4arch9wavefront6targetE1EEEvT1_,comdat
	.protected	_ZN7rocprim17ROCPRIM_400000_NS6detail17trampoline_kernelINS0_14default_configENS1_25partition_config_selectorILNS1_17partition_subalgoE8EjNS0_10empty_typeEbEEZZNS1_14partition_implILS5_8ELb0ES3_jPKjPS6_PKS6_NS0_5tupleIJPjS6_EEENSE_IJSB_SB_EEENS0_18inequality_wrapperIN6hipcub16HIPCUB_304000_NS8EqualityEEEPlJS6_EEE10hipError_tPvRmT3_T4_T5_T6_T7_T9_mT8_P12ihipStream_tbDpT10_ENKUlT_T0_E_clISt17integral_constantIbLb0EES17_EEDaS12_S13_EUlS12_E_NS1_11comp_targetILNS1_3genE9ELNS1_11target_archE1100ELNS1_3gpuE3ELNS1_3repE0EEENS1_30default_config_static_selectorELNS0_4arch9wavefront6targetE1EEEvT1_ ; -- Begin function _ZN7rocprim17ROCPRIM_400000_NS6detail17trampoline_kernelINS0_14default_configENS1_25partition_config_selectorILNS1_17partition_subalgoE8EjNS0_10empty_typeEbEEZZNS1_14partition_implILS5_8ELb0ES3_jPKjPS6_PKS6_NS0_5tupleIJPjS6_EEENSE_IJSB_SB_EEENS0_18inequality_wrapperIN6hipcub16HIPCUB_304000_NS8EqualityEEEPlJS6_EEE10hipError_tPvRmT3_T4_T5_T6_T7_T9_mT8_P12ihipStream_tbDpT10_ENKUlT_T0_E_clISt17integral_constantIbLb0EES17_EEDaS12_S13_EUlS12_E_NS1_11comp_targetILNS1_3genE9ELNS1_11target_archE1100ELNS1_3gpuE3ELNS1_3repE0EEENS1_30default_config_static_selectorELNS0_4arch9wavefront6targetE1EEEvT1_
	.globl	_ZN7rocprim17ROCPRIM_400000_NS6detail17trampoline_kernelINS0_14default_configENS1_25partition_config_selectorILNS1_17partition_subalgoE8EjNS0_10empty_typeEbEEZZNS1_14partition_implILS5_8ELb0ES3_jPKjPS6_PKS6_NS0_5tupleIJPjS6_EEENSE_IJSB_SB_EEENS0_18inequality_wrapperIN6hipcub16HIPCUB_304000_NS8EqualityEEEPlJS6_EEE10hipError_tPvRmT3_T4_T5_T6_T7_T9_mT8_P12ihipStream_tbDpT10_ENKUlT_T0_E_clISt17integral_constantIbLb0EES17_EEDaS12_S13_EUlS12_E_NS1_11comp_targetILNS1_3genE9ELNS1_11target_archE1100ELNS1_3gpuE3ELNS1_3repE0EEENS1_30default_config_static_selectorELNS0_4arch9wavefront6targetE1EEEvT1_
	.p2align	8
	.type	_ZN7rocprim17ROCPRIM_400000_NS6detail17trampoline_kernelINS0_14default_configENS1_25partition_config_selectorILNS1_17partition_subalgoE8EjNS0_10empty_typeEbEEZZNS1_14partition_implILS5_8ELb0ES3_jPKjPS6_PKS6_NS0_5tupleIJPjS6_EEENSE_IJSB_SB_EEENS0_18inequality_wrapperIN6hipcub16HIPCUB_304000_NS8EqualityEEEPlJS6_EEE10hipError_tPvRmT3_T4_T5_T6_T7_T9_mT8_P12ihipStream_tbDpT10_ENKUlT_T0_E_clISt17integral_constantIbLb0EES17_EEDaS12_S13_EUlS12_E_NS1_11comp_targetILNS1_3genE9ELNS1_11target_archE1100ELNS1_3gpuE3ELNS1_3repE0EEENS1_30default_config_static_selectorELNS0_4arch9wavefront6targetE1EEEvT1_,@function
_ZN7rocprim17ROCPRIM_400000_NS6detail17trampoline_kernelINS0_14default_configENS1_25partition_config_selectorILNS1_17partition_subalgoE8EjNS0_10empty_typeEbEEZZNS1_14partition_implILS5_8ELb0ES3_jPKjPS6_PKS6_NS0_5tupleIJPjS6_EEENSE_IJSB_SB_EEENS0_18inequality_wrapperIN6hipcub16HIPCUB_304000_NS8EqualityEEEPlJS6_EEE10hipError_tPvRmT3_T4_T5_T6_T7_T9_mT8_P12ihipStream_tbDpT10_ENKUlT_T0_E_clISt17integral_constantIbLb0EES17_EEDaS12_S13_EUlS12_E_NS1_11comp_targetILNS1_3genE9ELNS1_11target_archE1100ELNS1_3gpuE3ELNS1_3repE0EEENS1_30default_config_static_selectorELNS0_4arch9wavefront6targetE1EEEvT1_: ; @_ZN7rocprim17ROCPRIM_400000_NS6detail17trampoline_kernelINS0_14default_configENS1_25partition_config_selectorILNS1_17partition_subalgoE8EjNS0_10empty_typeEbEEZZNS1_14partition_implILS5_8ELb0ES3_jPKjPS6_PKS6_NS0_5tupleIJPjS6_EEENSE_IJSB_SB_EEENS0_18inequality_wrapperIN6hipcub16HIPCUB_304000_NS8EqualityEEEPlJS6_EEE10hipError_tPvRmT3_T4_T5_T6_T7_T9_mT8_P12ihipStream_tbDpT10_ENKUlT_T0_E_clISt17integral_constantIbLb0EES17_EEDaS12_S13_EUlS12_E_NS1_11comp_targetILNS1_3genE9ELNS1_11target_archE1100ELNS1_3gpuE3ELNS1_3repE0EEENS1_30default_config_static_selectorELNS0_4arch9wavefront6targetE1EEEvT1_
; %bb.0:
	.section	.rodata,"a",@progbits
	.p2align	6, 0x0
	.amdhsa_kernel _ZN7rocprim17ROCPRIM_400000_NS6detail17trampoline_kernelINS0_14default_configENS1_25partition_config_selectorILNS1_17partition_subalgoE8EjNS0_10empty_typeEbEEZZNS1_14partition_implILS5_8ELb0ES3_jPKjPS6_PKS6_NS0_5tupleIJPjS6_EEENSE_IJSB_SB_EEENS0_18inequality_wrapperIN6hipcub16HIPCUB_304000_NS8EqualityEEEPlJS6_EEE10hipError_tPvRmT3_T4_T5_T6_T7_T9_mT8_P12ihipStream_tbDpT10_ENKUlT_T0_E_clISt17integral_constantIbLb0EES17_EEDaS12_S13_EUlS12_E_NS1_11comp_targetILNS1_3genE9ELNS1_11target_archE1100ELNS1_3gpuE3ELNS1_3repE0EEENS1_30default_config_static_selectorELNS0_4arch9wavefront6targetE1EEEvT1_
		.amdhsa_group_segment_fixed_size 0
		.amdhsa_private_segment_fixed_size 0
		.amdhsa_kernarg_size 112
		.amdhsa_user_sgpr_count 6
		.amdhsa_user_sgpr_private_segment_buffer 1
		.amdhsa_user_sgpr_dispatch_ptr 0
		.amdhsa_user_sgpr_queue_ptr 0
		.amdhsa_user_sgpr_kernarg_segment_ptr 1
		.amdhsa_user_sgpr_dispatch_id 0
		.amdhsa_user_sgpr_flat_scratch_init 0
		.amdhsa_user_sgpr_kernarg_preload_length 0
		.amdhsa_user_sgpr_kernarg_preload_offset 0
		.amdhsa_user_sgpr_private_segment_size 0
		.amdhsa_uses_dynamic_stack 0
		.amdhsa_system_sgpr_private_segment_wavefront_offset 0
		.amdhsa_system_sgpr_workgroup_id_x 1
		.amdhsa_system_sgpr_workgroup_id_y 0
		.amdhsa_system_sgpr_workgroup_id_z 0
		.amdhsa_system_sgpr_workgroup_info 0
		.amdhsa_system_vgpr_workitem_id 0
		.amdhsa_next_free_vgpr 1
		.amdhsa_next_free_sgpr 0
		.amdhsa_accum_offset 4
		.amdhsa_reserve_vcc 0
		.amdhsa_reserve_flat_scratch 0
		.amdhsa_float_round_mode_32 0
		.amdhsa_float_round_mode_16_64 0
		.amdhsa_float_denorm_mode_32 3
		.amdhsa_float_denorm_mode_16_64 3
		.amdhsa_dx10_clamp 1
		.amdhsa_ieee_mode 1
		.amdhsa_fp16_overflow 0
		.amdhsa_tg_split 0
		.amdhsa_exception_fp_ieee_invalid_op 0
		.amdhsa_exception_fp_denorm_src 0
		.amdhsa_exception_fp_ieee_div_zero 0
		.amdhsa_exception_fp_ieee_overflow 0
		.amdhsa_exception_fp_ieee_underflow 0
		.amdhsa_exception_fp_ieee_inexact 0
		.amdhsa_exception_int_div_zero 0
	.end_amdhsa_kernel
	.section	.text._ZN7rocprim17ROCPRIM_400000_NS6detail17trampoline_kernelINS0_14default_configENS1_25partition_config_selectorILNS1_17partition_subalgoE8EjNS0_10empty_typeEbEEZZNS1_14partition_implILS5_8ELb0ES3_jPKjPS6_PKS6_NS0_5tupleIJPjS6_EEENSE_IJSB_SB_EEENS0_18inequality_wrapperIN6hipcub16HIPCUB_304000_NS8EqualityEEEPlJS6_EEE10hipError_tPvRmT3_T4_T5_T6_T7_T9_mT8_P12ihipStream_tbDpT10_ENKUlT_T0_E_clISt17integral_constantIbLb0EES17_EEDaS12_S13_EUlS12_E_NS1_11comp_targetILNS1_3genE9ELNS1_11target_archE1100ELNS1_3gpuE3ELNS1_3repE0EEENS1_30default_config_static_selectorELNS0_4arch9wavefront6targetE1EEEvT1_,"axG",@progbits,_ZN7rocprim17ROCPRIM_400000_NS6detail17trampoline_kernelINS0_14default_configENS1_25partition_config_selectorILNS1_17partition_subalgoE8EjNS0_10empty_typeEbEEZZNS1_14partition_implILS5_8ELb0ES3_jPKjPS6_PKS6_NS0_5tupleIJPjS6_EEENSE_IJSB_SB_EEENS0_18inequality_wrapperIN6hipcub16HIPCUB_304000_NS8EqualityEEEPlJS6_EEE10hipError_tPvRmT3_T4_T5_T6_T7_T9_mT8_P12ihipStream_tbDpT10_ENKUlT_T0_E_clISt17integral_constantIbLb0EES17_EEDaS12_S13_EUlS12_E_NS1_11comp_targetILNS1_3genE9ELNS1_11target_archE1100ELNS1_3gpuE3ELNS1_3repE0EEENS1_30default_config_static_selectorELNS0_4arch9wavefront6targetE1EEEvT1_,comdat
.Lfunc_end623:
	.size	_ZN7rocprim17ROCPRIM_400000_NS6detail17trampoline_kernelINS0_14default_configENS1_25partition_config_selectorILNS1_17partition_subalgoE8EjNS0_10empty_typeEbEEZZNS1_14partition_implILS5_8ELb0ES3_jPKjPS6_PKS6_NS0_5tupleIJPjS6_EEENSE_IJSB_SB_EEENS0_18inequality_wrapperIN6hipcub16HIPCUB_304000_NS8EqualityEEEPlJS6_EEE10hipError_tPvRmT3_T4_T5_T6_T7_T9_mT8_P12ihipStream_tbDpT10_ENKUlT_T0_E_clISt17integral_constantIbLb0EES17_EEDaS12_S13_EUlS12_E_NS1_11comp_targetILNS1_3genE9ELNS1_11target_archE1100ELNS1_3gpuE3ELNS1_3repE0EEENS1_30default_config_static_selectorELNS0_4arch9wavefront6targetE1EEEvT1_, .Lfunc_end623-_ZN7rocprim17ROCPRIM_400000_NS6detail17trampoline_kernelINS0_14default_configENS1_25partition_config_selectorILNS1_17partition_subalgoE8EjNS0_10empty_typeEbEEZZNS1_14partition_implILS5_8ELb0ES3_jPKjPS6_PKS6_NS0_5tupleIJPjS6_EEENSE_IJSB_SB_EEENS0_18inequality_wrapperIN6hipcub16HIPCUB_304000_NS8EqualityEEEPlJS6_EEE10hipError_tPvRmT3_T4_T5_T6_T7_T9_mT8_P12ihipStream_tbDpT10_ENKUlT_T0_E_clISt17integral_constantIbLb0EES17_EEDaS12_S13_EUlS12_E_NS1_11comp_targetILNS1_3genE9ELNS1_11target_archE1100ELNS1_3gpuE3ELNS1_3repE0EEENS1_30default_config_static_selectorELNS0_4arch9wavefront6targetE1EEEvT1_
                                        ; -- End function
	.section	.AMDGPU.csdata,"",@progbits
; Kernel info:
; codeLenInByte = 0
; NumSgprs: 4
; NumVgprs: 0
; NumAgprs: 0
; TotalNumVgprs: 0
; ScratchSize: 0
; MemoryBound: 0
; FloatMode: 240
; IeeeMode: 1
; LDSByteSize: 0 bytes/workgroup (compile time only)
; SGPRBlocks: 0
; VGPRBlocks: 0
; NumSGPRsForWavesPerEU: 4
; NumVGPRsForWavesPerEU: 1
; AccumOffset: 4
; Occupancy: 8
; WaveLimiterHint : 0
; COMPUTE_PGM_RSRC2:SCRATCH_EN: 0
; COMPUTE_PGM_RSRC2:USER_SGPR: 6
; COMPUTE_PGM_RSRC2:TRAP_HANDLER: 0
; COMPUTE_PGM_RSRC2:TGID_X_EN: 1
; COMPUTE_PGM_RSRC2:TGID_Y_EN: 0
; COMPUTE_PGM_RSRC2:TGID_Z_EN: 0
; COMPUTE_PGM_RSRC2:TIDIG_COMP_CNT: 0
; COMPUTE_PGM_RSRC3_GFX90A:ACCUM_OFFSET: 0
; COMPUTE_PGM_RSRC3_GFX90A:TG_SPLIT: 0
	.section	.text._ZN7rocprim17ROCPRIM_400000_NS6detail17trampoline_kernelINS0_14default_configENS1_25partition_config_selectorILNS1_17partition_subalgoE8EjNS0_10empty_typeEbEEZZNS1_14partition_implILS5_8ELb0ES3_jPKjPS6_PKS6_NS0_5tupleIJPjS6_EEENSE_IJSB_SB_EEENS0_18inequality_wrapperIN6hipcub16HIPCUB_304000_NS8EqualityEEEPlJS6_EEE10hipError_tPvRmT3_T4_T5_T6_T7_T9_mT8_P12ihipStream_tbDpT10_ENKUlT_T0_E_clISt17integral_constantIbLb0EES17_EEDaS12_S13_EUlS12_E_NS1_11comp_targetILNS1_3genE8ELNS1_11target_archE1030ELNS1_3gpuE2ELNS1_3repE0EEENS1_30default_config_static_selectorELNS0_4arch9wavefront6targetE1EEEvT1_,"axG",@progbits,_ZN7rocprim17ROCPRIM_400000_NS6detail17trampoline_kernelINS0_14default_configENS1_25partition_config_selectorILNS1_17partition_subalgoE8EjNS0_10empty_typeEbEEZZNS1_14partition_implILS5_8ELb0ES3_jPKjPS6_PKS6_NS0_5tupleIJPjS6_EEENSE_IJSB_SB_EEENS0_18inequality_wrapperIN6hipcub16HIPCUB_304000_NS8EqualityEEEPlJS6_EEE10hipError_tPvRmT3_T4_T5_T6_T7_T9_mT8_P12ihipStream_tbDpT10_ENKUlT_T0_E_clISt17integral_constantIbLb0EES17_EEDaS12_S13_EUlS12_E_NS1_11comp_targetILNS1_3genE8ELNS1_11target_archE1030ELNS1_3gpuE2ELNS1_3repE0EEENS1_30default_config_static_selectorELNS0_4arch9wavefront6targetE1EEEvT1_,comdat
	.protected	_ZN7rocprim17ROCPRIM_400000_NS6detail17trampoline_kernelINS0_14default_configENS1_25partition_config_selectorILNS1_17partition_subalgoE8EjNS0_10empty_typeEbEEZZNS1_14partition_implILS5_8ELb0ES3_jPKjPS6_PKS6_NS0_5tupleIJPjS6_EEENSE_IJSB_SB_EEENS0_18inequality_wrapperIN6hipcub16HIPCUB_304000_NS8EqualityEEEPlJS6_EEE10hipError_tPvRmT3_T4_T5_T6_T7_T9_mT8_P12ihipStream_tbDpT10_ENKUlT_T0_E_clISt17integral_constantIbLb0EES17_EEDaS12_S13_EUlS12_E_NS1_11comp_targetILNS1_3genE8ELNS1_11target_archE1030ELNS1_3gpuE2ELNS1_3repE0EEENS1_30default_config_static_selectorELNS0_4arch9wavefront6targetE1EEEvT1_ ; -- Begin function _ZN7rocprim17ROCPRIM_400000_NS6detail17trampoline_kernelINS0_14default_configENS1_25partition_config_selectorILNS1_17partition_subalgoE8EjNS0_10empty_typeEbEEZZNS1_14partition_implILS5_8ELb0ES3_jPKjPS6_PKS6_NS0_5tupleIJPjS6_EEENSE_IJSB_SB_EEENS0_18inequality_wrapperIN6hipcub16HIPCUB_304000_NS8EqualityEEEPlJS6_EEE10hipError_tPvRmT3_T4_T5_T6_T7_T9_mT8_P12ihipStream_tbDpT10_ENKUlT_T0_E_clISt17integral_constantIbLb0EES17_EEDaS12_S13_EUlS12_E_NS1_11comp_targetILNS1_3genE8ELNS1_11target_archE1030ELNS1_3gpuE2ELNS1_3repE0EEENS1_30default_config_static_selectorELNS0_4arch9wavefront6targetE1EEEvT1_
	.globl	_ZN7rocprim17ROCPRIM_400000_NS6detail17trampoline_kernelINS0_14default_configENS1_25partition_config_selectorILNS1_17partition_subalgoE8EjNS0_10empty_typeEbEEZZNS1_14partition_implILS5_8ELb0ES3_jPKjPS6_PKS6_NS0_5tupleIJPjS6_EEENSE_IJSB_SB_EEENS0_18inequality_wrapperIN6hipcub16HIPCUB_304000_NS8EqualityEEEPlJS6_EEE10hipError_tPvRmT3_T4_T5_T6_T7_T9_mT8_P12ihipStream_tbDpT10_ENKUlT_T0_E_clISt17integral_constantIbLb0EES17_EEDaS12_S13_EUlS12_E_NS1_11comp_targetILNS1_3genE8ELNS1_11target_archE1030ELNS1_3gpuE2ELNS1_3repE0EEENS1_30default_config_static_selectorELNS0_4arch9wavefront6targetE1EEEvT1_
	.p2align	8
	.type	_ZN7rocprim17ROCPRIM_400000_NS6detail17trampoline_kernelINS0_14default_configENS1_25partition_config_selectorILNS1_17partition_subalgoE8EjNS0_10empty_typeEbEEZZNS1_14partition_implILS5_8ELb0ES3_jPKjPS6_PKS6_NS0_5tupleIJPjS6_EEENSE_IJSB_SB_EEENS0_18inequality_wrapperIN6hipcub16HIPCUB_304000_NS8EqualityEEEPlJS6_EEE10hipError_tPvRmT3_T4_T5_T6_T7_T9_mT8_P12ihipStream_tbDpT10_ENKUlT_T0_E_clISt17integral_constantIbLb0EES17_EEDaS12_S13_EUlS12_E_NS1_11comp_targetILNS1_3genE8ELNS1_11target_archE1030ELNS1_3gpuE2ELNS1_3repE0EEENS1_30default_config_static_selectorELNS0_4arch9wavefront6targetE1EEEvT1_,@function
_ZN7rocprim17ROCPRIM_400000_NS6detail17trampoline_kernelINS0_14default_configENS1_25partition_config_selectorILNS1_17partition_subalgoE8EjNS0_10empty_typeEbEEZZNS1_14partition_implILS5_8ELb0ES3_jPKjPS6_PKS6_NS0_5tupleIJPjS6_EEENSE_IJSB_SB_EEENS0_18inequality_wrapperIN6hipcub16HIPCUB_304000_NS8EqualityEEEPlJS6_EEE10hipError_tPvRmT3_T4_T5_T6_T7_T9_mT8_P12ihipStream_tbDpT10_ENKUlT_T0_E_clISt17integral_constantIbLb0EES17_EEDaS12_S13_EUlS12_E_NS1_11comp_targetILNS1_3genE8ELNS1_11target_archE1030ELNS1_3gpuE2ELNS1_3repE0EEENS1_30default_config_static_selectorELNS0_4arch9wavefront6targetE1EEEvT1_: ; @_ZN7rocprim17ROCPRIM_400000_NS6detail17trampoline_kernelINS0_14default_configENS1_25partition_config_selectorILNS1_17partition_subalgoE8EjNS0_10empty_typeEbEEZZNS1_14partition_implILS5_8ELb0ES3_jPKjPS6_PKS6_NS0_5tupleIJPjS6_EEENSE_IJSB_SB_EEENS0_18inequality_wrapperIN6hipcub16HIPCUB_304000_NS8EqualityEEEPlJS6_EEE10hipError_tPvRmT3_T4_T5_T6_T7_T9_mT8_P12ihipStream_tbDpT10_ENKUlT_T0_E_clISt17integral_constantIbLb0EES17_EEDaS12_S13_EUlS12_E_NS1_11comp_targetILNS1_3genE8ELNS1_11target_archE1030ELNS1_3gpuE2ELNS1_3repE0EEENS1_30default_config_static_selectorELNS0_4arch9wavefront6targetE1EEEvT1_
; %bb.0:
	.section	.rodata,"a",@progbits
	.p2align	6, 0x0
	.amdhsa_kernel _ZN7rocprim17ROCPRIM_400000_NS6detail17trampoline_kernelINS0_14default_configENS1_25partition_config_selectorILNS1_17partition_subalgoE8EjNS0_10empty_typeEbEEZZNS1_14partition_implILS5_8ELb0ES3_jPKjPS6_PKS6_NS0_5tupleIJPjS6_EEENSE_IJSB_SB_EEENS0_18inequality_wrapperIN6hipcub16HIPCUB_304000_NS8EqualityEEEPlJS6_EEE10hipError_tPvRmT3_T4_T5_T6_T7_T9_mT8_P12ihipStream_tbDpT10_ENKUlT_T0_E_clISt17integral_constantIbLb0EES17_EEDaS12_S13_EUlS12_E_NS1_11comp_targetILNS1_3genE8ELNS1_11target_archE1030ELNS1_3gpuE2ELNS1_3repE0EEENS1_30default_config_static_selectorELNS0_4arch9wavefront6targetE1EEEvT1_
		.amdhsa_group_segment_fixed_size 0
		.amdhsa_private_segment_fixed_size 0
		.amdhsa_kernarg_size 112
		.amdhsa_user_sgpr_count 6
		.amdhsa_user_sgpr_private_segment_buffer 1
		.amdhsa_user_sgpr_dispatch_ptr 0
		.amdhsa_user_sgpr_queue_ptr 0
		.amdhsa_user_sgpr_kernarg_segment_ptr 1
		.amdhsa_user_sgpr_dispatch_id 0
		.amdhsa_user_sgpr_flat_scratch_init 0
		.amdhsa_user_sgpr_kernarg_preload_length 0
		.amdhsa_user_sgpr_kernarg_preload_offset 0
		.amdhsa_user_sgpr_private_segment_size 0
		.amdhsa_uses_dynamic_stack 0
		.amdhsa_system_sgpr_private_segment_wavefront_offset 0
		.amdhsa_system_sgpr_workgroup_id_x 1
		.amdhsa_system_sgpr_workgroup_id_y 0
		.amdhsa_system_sgpr_workgroup_id_z 0
		.amdhsa_system_sgpr_workgroup_info 0
		.amdhsa_system_vgpr_workitem_id 0
		.amdhsa_next_free_vgpr 1
		.amdhsa_next_free_sgpr 0
		.amdhsa_accum_offset 4
		.amdhsa_reserve_vcc 0
		.amdhsa_reserve_flat_scratch 0
		.amdhsa_float_round_mode_32 0
		.amdhsa_float_round_mode_16_64 0
		.amdhsa_float_denorm_mode_32 3
		.amdhsa_float_denorm_mode_16_64 3
		.amdhsa_dx10_clamp 1
		.amdhsa_ieee_mode 1
		.amdhsa_fp16_overflow 0
		.amdhsa_tg_split 0
		.amdhsa_exception_fp_ieee_invalid_op 0
		.amdhsa_exception_fp_denorm_src 0
		.amdhsa_exception_fp_ieee_div_zero 0
		.amdhsa_exception_fp_ieee_overflow 0
		.amdhsa_exception_fp_ieee_underflow 0
		.amdhsa_exception_fp_ieee_inexact 0
		.amdhsa_exception_int_div_zero 0
	.end_amdhsa_kernel
	.section	.text._ZN7rocprim17ROCPRIM_400000_NS6detail17trampoline_kernelINS0_14default_configENS1_25partition_config_selectorILNS1_17partition_subalgoE8EjNS0_10empty_typeEbEEZZNS1_14partition_implILS5_8ELb0ES3_jPKjPS6_PKS6_NS0_5tupleIJPjS6_EEENSE_IJSB_SB_EEENS0_18inequality_wrapperIN6hipcub16HIPCUB_304000_NS8EqualityEEEPlJS6_EEE10hipError_tPvRmT3_T4_T5_T6_T7_T9_mT8_P12ihipStream_tbDpT10_ENKUlT_T0_E_clISt17integral_constantIbLb0EES17_EEDaS12_S13_EUlS12_E_NS1_11comp_targetILNS1_3genE8ELNS1_11target_archE1030ELNS1_3gpuE2ELNS1_3repE0EEENS1_30default_config_static_selectorELNS0_4arch9wavefront6targetE1EEEvT1_,"axG",@progbits,_ZN7rocprim17ROCPRIM_400000_NS6detail17trampoline_kernelINS0_14default_configENS1_25partition_config_selectorILNS1_17partition_subalgoE8EjNS0_10empty_typeEbEEZZNS1_14partition_implILS5_8ELb0ES3_jPKjPS6_PKS6_NS0_5tupleIJPjS6_EEENSE_IJSB_SB_EEENS0_18inequality_wrapperIN6hipcub16HIPCUB_304000_NS8EqualityEEEPlJS6_EEE10hipError_tPvRmT3_T4_T5_T6_T7_T9_mT8_P12ihipStream_tbDpT10_ENKUlT_T0_E_clISt17integral_constantIbLb0EES17_EEDaS12_S13_EUlS12_E_NS1_11comp_targetILNS1_3genE8ELNS1_11target_archE1030ELNS1_3gpuE2ELNS1_3repE0EEENS1_30default_config_static_selectorELNS0_4arch9wavefront6targetE1EEEvT1_,comdat
.Lfunc_end624:
	.size	_ZN7rocprim17ROCPRIM_400000_NS6detail17trampoline_kernelINS0_14default_configENS1_25partition_config_selectorILNS1_17partition_subalgoE8EjNS0_10empty_typeEbEEZZNS1_14partition_implILS5_8ELb0ES3_jPKjPS6_PKS6_NS0_5tupleIJPjS6_EEENSE_IJSB_SB_EEENS0_18inequality_wrapperIN6hipcub16HIPCUB_304000_NS8EqualityEEEPlJS6_EEE10hipError_tPvRmT3_T4_T5_T6_T7_T9_mT8_P12ihipStream_tbDpT10_ENKUlT_T0_E_clISt17integral_constantIbLb0EES17_EEDaS12_S13_EUlS12_E_NS1_11comp_targetILNS1_3genE8ELNS1_11target_archE1030ELNS1_3gpuE2ELNS1_3repE0EEENS1_30default_config_static_selectorELNS0_4arch9wavefront6targetE1EEEvT1_, .Lfunc_end624-_ZN7rocprim17ROCPRIM_400000_NS6detail17trampoline_kernelINS0_14default_configENS1_25partition_config_selectorILNS1_17partition_subalgoE8EjNS0_10empty_typeEbEEZZNS1_14partition_implILS5_8ELb0ES3_jPKjPS6_PKS6_NS0_5tupleIJPjS6_EEENSE_IJSB_SB_EEENS0_18inequality_wrapperIN6hipcub16HIPCUB_304000_NS8EqualityEEEPlJS6_EEE10hipError_tPvRmT3_T4_T5_T6_T7_T9_mT8_P12ihipStream_tbDpT10_ENKUlT_T0_E_clISt17integral_constantIbLb0EES17_EEDaS12_S13_EUlS12_E_NS1_11comp_targetILNS1_3genE8ELNS1_11target_archE1030ELNS1_3gpuE2ELNS1_3repE0EEENS1_30default_config_static_selectorELNS0_4arch9wavefront6targetE1EEEvT1_
                                        ; -- End function
	.section	.AMDGPU.csdata,"",@progbits
; Kernel info:
; codeLenInByte = 0
; NumSgprs: 4
; NumVgprs: 0
; NumAgprs: 0
; TotalNumVgprs: 0
; ScratchSize: 0
; MemoryBound: 0
; FloatMode: 240
; IeeeMode: 1
; LDSByteSize: 0 bytes/workgroup (compile time only)
; SGPRBlocks: 0
; VGPRBlocks: 0
; NumSGPRsForWavesPerEU: 4
; NumVGPRsForWavesPerEU: 1
; AccumOffset: 4
; Occupancy: 8
; WaveLimiterHint : 0
; COMPUTE_PGM_RSRC2:SCRATCH_EN: 0
; COMPUTE_PGM_RSRC2:USER_SGPR: 6
; COMPUTE_PGM_RSRC2:TRAP_HANDLER: 0
; COMPUTE_PGM_RSRC2:TGID_X_EN: 1
; COMPUTE_PGM_RSRC2:TGID_Y_EN: 0
; COMPUTE_PGM_RSRC2:TGID_Z_EN: 0
; COMPUTE_PGM_RSRC2:TIDIG_COMP_CNT: 0
; COMPUTE_PGM_RSRC3_GFX90A:ACCUM_OFFSET: 0
; COMPUTE_PGM_RSRC3_GFX90A:TG_SPLIT: 0
	.section	.text._ZN7rocprim17ROCPRIM_400000_NS6detail17trampoline_kernelINS0_14default_configENS1_25partition_config_selectorILNS1_17partition_subalgoE8EjNS0_10empty_typeEbEEZZNS1_14partition_implILS5_8ELb0ES3_jPKjPS6_PKS6_NS0_5tupleIJPjS6_EEENSE_IJSB_SB_EEENS0_18inequality_wrapperIN6hipcub16HIPCUB_304000_NS8EqualityEEEPlJS6_EEE10hipError_tPvRmT3_T4_T5_T6_T7_T9_mT8_P12ihipStream_tbDpT10_ENKUlT_T0_E_clISt17integral_constantIbLb1EES17_EEDaS12_S13_EUlS12_E_NS1_11comp_targetILNS1_3genE0ELNS1_11target_archE4294967295ELNS1_3gpuE0ELNS1_3repE0EEENS1_30default_config_static_selectorELNS0_4arch9wavefront6targetE1EEEvT1_,"axG",@progbits,_ZN7rocprim17ROCPRIM_400000_NS6detail17trampoline_kernelINS0_14default_configENS1_25partition_config_selectorILNS1_17partition_subalgoE8EjNS0_10empty_typeEbEEZZNS1_14partition_implILS5_8ELb0ES3_jPKjPS6_PKS6_NS0_5tupleIJPjS6_EEENSE_IJSB_SB_EEENS0_18inequality_wrapperIN6hipcub16HIPCUB_304000_NS8EqualityEEEPlJS6_EEE10hipError_tPvRmT3_T4_T5_T6_T7_T9_mT8_P12ihipStream_tbDpT10_ENKUlT_T0_E_clISt17integral_constantIbLb1EES17_EEDaS12_S13_EUlS12_E_NS1_11comp_targetILNS1_3genE0ELNS1_11target_archE4294967295ELNS1_3gpuE0ELNS1_3repE0EEENS1_30default_config_static_selectorELNS0_4arch9wavefront6targetE1EEEvT1_,comdat
	.protected	_ZN7rocprim17ROCPRIM_400000_NS6detail17trampoline_kernelINS0_14default_configENS1_25partition_config_selectorILNS1_17partition_subalgoE8EjNS0_10empty_typeEbEEZZNS1_14partition_implILS5_8ELb0ES3_jPKjPS6_PKS6_NS0_5tupleIJPjS6_EEENSE_IJSB_SB_EEENS0_18inequality_wrapperIN6hipcub16HIPCUB_304000_NS8EqualityEEEPlJS6_EEE10hipError_tPvRmT3_T4_T5_T6_T7_T9_mT8_P12ihipStream_tbDpT10_ENKUlT_T0_E_clISt17integral_constantIbLb1EES17_EEDaS12_S13_EUlS12_E_NS1_11comp_targetILNS1_3genE0ELNS1_11target_archE4294967295ELNS1_3gpuE0ELNS1_3repE0EEENS1_30default_config_static_selectorELNS0_4arch9wavefront6targetE1EEEvT1_ ; -- Begin function _ZN7rocprim17ROCPRIM_400000_NS6detail17trampoline_kernelINS0_14default_configENS1_25partition_config_selectorILNS1_17partition_subalgoE8EjNS0_10empty_typeEbEEZZNS1_14partition_implILS5_8ELb0ES3_jPKjPS6_PKS6_NS0_5tupleIJPjS6_EEENSE_IJSB_SB_EEENS0_18inequality_wrapperIN6hipcub16HIPCUB_304000_NS8EqualityEEEPlJS6_EEE10hipError_tPvRmT3_T4_T5_T6_T7_T9_mT8_P12ihipStream_tbDpT10_ENKUlT_T0_E_clISt17integral_constantIbLb1EES17_EEDaS12_S13_EUlS12_E_NS1_11comp_targetILNS1_3genE0ELNS1_11target_archE4294967295ELNS1_3gpuE0ELNS1_3repE0EEENS1_30default_config_static_selectorELNS0_4arch9wavefront6targetE1EEEvT1_
	.globl	_ZN7rocprim17ROCPRIM_400000_NS6detail17trampoline_kernelINS0_14default_configENS1_25partition_config_selectorILNS1_17partition_subalgoE8EjNS0_10empty_typeEbEEZZNS1_14partition_implILS5_8ELb0ES3_jPKjPS6_PKS6_NS0_5tupleIJPjS6_EEENSE_IJSB_SB_EEENS0_18inequality_wrapperIN6hipcub16HIPCUB_304000_NS8EqualityEEEPlJS6_EEE10hipError_tPvRmT3_T4_T5_T6_T7_T9_mT8_P12ihipStream_tbDpT10_ENKUlT_T0_E_clISt17integral_constantIbLb1EES17_EEDaS12_S13_EUlS12_E_NS1_11comp_targetILNS1_3genE0ELNS1_11target_archE4294967295ELNS1_3gpuE0ELNS1_3repE0EEENS1_30default_config_static_selectorELNS0_4arch9wavefront6targetE1EEEvT1_
	.p2align	8
	.type	_ZN7rocprim17ROCPRIM_400000_NS6detail17trampoline_kernelINS0_14default_configENS1_25partition_config_selectorILNS1_17partition_subalgoE8EjNS0_10empty_typeEbEEZZNS1_14partition_implILS5_8ELb0ES3_jPKjPS6_PKS6_NS0_5tupleIJPjS6_EEENSE_IJSB_SB_EEENS0_18inequality_wrapperIN6hipcub16HIPCUB_304000_NS8EqualityEEEPlJS6_EEE10hipError_tPvRmT3_T4_T5_T6_T7_T9_mT8_P12ihipStream_tbDpT10_ENKUlT_T0_E_clISt17integral_constantIbLb1EES17_EEDaS12_S13_EUlS12_E_NS1_11comp_targetILNS1_3genE0ELNS1_11target_archE4294967295ELNS1_3gpuE0ELNS1_3repE0EEENS1_30default_config_static_selectorELNS0_4arch9wavefront6targetE1EEEvT1_,@function
_ZN7rocprim17ROCPRIM_400000_NS6detail17trampoline_kernelINS0_14default_configENS1_25partition_config_selectorILNS1_17partition_subalgoE8EjNS0_10empty_typeEbEEZZNS1_14partition_implILS5_8ELb0ES3_jPKjPS6_PKS6_NS0_5tupleIJPjS6_EEENSE_IJSB_SB_EEENS0_18inequality_wrapperIN6hipcub16HIPCUB_304000_NS8EqualityEEEPlJS6_EEE10hipError_tPvRmT3_T4_T5_T6_T7_T9_mT8_P12ihipStream_tbDpT10_ENKUlT_T0_E_clISt17integral_constantIbLb1EES17_EEDaS12_S13_EUlS12_E_NS1_11comp_targetILNS1_3genE0ELNS1_11target_archE4294967295ELNS1_3gpuE0ELNS1_3repE0EEENS1_30default_config_static_selectorELNS0_4arch9wavefront6targetE1EEEvT1_: ; @_ZN7rocprim17ROCPRIM_400000_NS6detail17trampoline_kernelINS0_14default_configENS1_25partition_config_selectorILNS1_17partition_subalgoE8EjNS0_10empty_typeEbEEZZNS1_14partition_implILS5_8ELb0ES3_jPKjPS6_PKS6_NS0_5tupleIJPjS6_EEENSE_IJSB_SB_EEENS0_18inequality_wrapperIN6hipcub16HIPCUB_304000_NS8EqualityEEEPlJS6_EEE10hipError_tPvRmT3_T4_T5_T6_T7_T9_mT8_P12ihipStream_tbDpT10_ENKUlT_T0_E_clISt17integral_constantIbLb1EES17_EEDaS12_S13_EUlS12_E_NS1_11comp_targetILNS1_3genE0ELNS1_11target_archE4294967295ELNS1_3gpuE0ELNS1_3repE0EEENS1_30default_config_static_selectorELNS0_4arch9wavefront6targetE1EEEvT1_
; %bb.0:
	.section	.rodata,"a",@progbits
	.p2align	6, 0x0
	.amdhsa_kernel _ZN7rocprim17ROCPRIM_400000_NS6detail17trampoline_kernelINS0_14default_configENS1_25partition_config_selectorILNS1_17partition_subalgoE8EjNS0_10empty_typeEbEEZZNS1_14partition_implILS5_8ELb0ES3_jPKjPS6_PKS6_NS0_5tupleIJPjS6_EEENSE_IJSB_SB_EEENS0_18inequality_wrapperIN6hipcub16HIPCUB_304000_NS8EqualityEEEPlJS6_EEE10hipError_tPvRmT3_T4_T5_T6_T7_T9_mT8_P12ihipStream_tbDpT10_ENKUlT_T0_E_clISt17integral_constantIbLb1EES17_EEDaS12_S13_EUlS12_E_NS1_11comp_targetILNS1_3genE0ELNS1_11target_archE4294967295ELNS1_3gpuE0ELNS1_3repE0EEENS1_30default_config_static_selectorELNS0_4arch9wavefront6targetE1EEEvT1_
		.amdhsa_group_segment_fixed_size 0
		.amdhsa_private_segment_fixed_size 0
		.amdhsa_kernarg_size 128
		.amdhsa_user_sgpr_count 6
		.amdhsa_user_sgpr_private_segment_buffer 1
		.amdhsa_user_sgpr_dispatch_ptr 0
		.amdhsa_user_sgpr_queue_ptr 0
		.amdhsa_user_sgpr_kernarg_segment_ptr 1
		.amdhsa_user_sgpr_dispatch_id 0
		.amdhsa_user_sgpr_flat_scratch_init 0
		.amdhsa_user_sgpr_kernarg_preload_length 0
		.amdhsa_user_sgpr_kernarg_preload_offset 0
		.amdhsa_user_sgpr_private_segment_size 0
		.amdhsa_uses_dynamic_stack 0
		.amdhsa_system_sgpr_private_segment_wavefront_offset 0
		.amdhsa_system_sgpr_workgroup_id_x 1
		.amdhsa_system_sgpr_workgroup_id_y 0
		.amdhsa_system_sgpr_workgroup_id_z 0
		.amdhsa_system_sgpr_workgroup_info 0
		.amdhsa_system_vgpr_workitem_id 0
		.amdhsa_next_free_vgpr 1
		.amdhsa_next_free_sgpr 0
		.amdhsa_accum_offset 4
		.amdhsa_reserve_vcc 0
		.amdhsa_reserve_flat_scratch 0
		.amdhsa_float_round_mode_32 0
		.amdhsa_float_round_mode_16_64 0
		.amdhsa_float_denorm_mode_32 3
		.amdhsa_float_denorm_mode_16_64 3
		.amdhsa_dx10_clamp 1
		.amdhsa_ieee_mode 1
		.amdhsa_fp16_overflow 0
		.amdhsa_tg_split 0
		.amdhsa_exception_fp_ieee_invalid_op 0
		.amdhsa_exception_fp_denorm_src 0
		.amdhsa_exception_fp_ieee_div_zero 0
		.amdhsa_exception_fp_ieee_overflow 0
		.amdhsa_exception_fp_ieee_underflow 0
		.amdhsa_exception_fp_ieee_inexact 0
		.amdhsa_exception_int_div_zero 0
	.end_amdhsa_kernel
	.section	.text._ZN7rocprim17ROCPRIM_400000_NS6detail17trampoline_kernelINS0_14default_configENS1_25partition_config_selectorILNS1_17partition_subalgoE8EjNS0_10empty_typeEbEEZZNS1_14partition_implILS5_8ELb0ES3_jPKjPS6_PKS6_NS0_5tupleIJPjS6_EEENSE_IJSB_SB_EEENS0_18inequality_wrapperIN6hipcub16HIPCUB_304000_NS8EqualityEEEPlJS6_EEE10hipError_tPvRmT3_T4_T5_T6_T7_T9_mT8_P12ihipStream_tbDpT10_ENKUlT_T0_E_clISt17integral_constantIbLb1EES17_EEDaS12_S13_EUlS12_E_NS1_11comp_targetILNS1_3genE0ELNS1_11target_archE4294967295ELNS1_3gpuE0ELNS1_3repE0EEENS1_30default_config_static_selectorELNS0_4arch9wavefront6targetE1EEEvT1_,"axG",@progbits,_ZN7rocprim17ROCPRIM_400000_NS6detail17trampoline_kernelINS0_14default_configENS1_25partition_config_selectorILNS1_17partition_subalgoE8EjNS0_10empty_typeEbEEZZNS1_14partition_implILS5_8ELb0ES3_jPKjPS6_PKS6_NS0_5tupleIJPjS6_EEENSE_IJSB_SB_EEENS0_18inequality_wrapperIN6hipcub16HIPCUB_304000_NS8EqualityEEEPlJS6_EEE10hipError_tPvRmT3_T4_T5_T6_T7_T9_mT8_P12ihipStream_tbDpT10_ENKUlT_T0_E_clISt17integral_constantIbLb1EES17_EEDaS12_S13_EUlS12_E_NS1_11comp_targetILNS1_3genE0ELNS1_11target_archE4294967295ELNS1_3gpuE0ELNS1_3repE0EEENS1_30default_config_static_selectorELNS0_4arch9wavefront6targetE1EEEvT1_,comdat
.Lfunc_end625:
	.size	_ZN7rocprim17ROCPRIM_400000_NS6detail17trampoline_kernelINS0_14default_configENS1_25partition_config_selectorILNS1_17partition_subalgoE8EjNS0_10empty_typeEbEEZZNS1_14partition_implILS5_8ELb0ES3_jPKjPS6_PKS6_NS0_5tupleIJPjS6_EEENSE_IJSB_SB_EEENS0_18inequality_wrapperIN6hipcub16HIPCUB_304000_NS8EqualityEEEPlJS6_EEE10hipError_tPvRmT3_T4_T5_T6_T7_T9_mT8_P12ihipStream_tbDpT10_ENKUlT_T0_E_clISt17integral_constantIbLb1EES17_EEDaS12_S13_EUlS12_E_NS1_11comp_targetILNS1_3genE0ELNS1_11target_archE4294967295ELNS1_3gpuE0ELNS1_3repE0EEENS1_30default_config_static_selectorELNS0_4arch9wavefront6targetE1EEEvT1_, .Lfunc_end625-_ZN7rocprim17ROCPRIM_400000_NS6detail17trampoline_kernelINS0_14default_configENS1_25partition_config_selectorILNS1_17partition_subalgoE8EjNS0_10empty_typeEbEEZZNS1_14partition_implILS5_8ELb0ES3_jPKjPS6_PKS6_NS0_5tupleIJPjS6_EEENSE_IJSB_SB_EEENS0_18inequality_wrapperIN6hipcub16HIPCUB_304000_NS8EqualityEEEPlJS6_EEE10hipError_tPvRmT3_T4_T5_T6_T7_T9_mT8_P12ihipStream_tbDpT10_ENKUlT_T0_E_clISt17integral_constantIbLb1EES17_EEDaS12_S13_EUlS12_E_NS1_11comp_targetILNS1_3genE0ELNS1_11target_archE4294967295ELNS1_3gpuE0ELNS1_3repE0EEENS1_30default_config_static_selectorELNS0_4arch9wavefront6targetE1EEEvT1_
                                        ; -- End function
	.section	.AMDGPU.csdata,"",@progbits
; Kernel info:
; codeLenInByte = 0
; NumSgprs: 4
; NumVgprs: 0
; NumAgprs: 0
; TotalNumVgprs: 0
; ScratchSize: 0
; MemoryBound: 0
; FloatMode: 240
; IeeeMode: 1
; LDSByteSize: 0 bytes/workgroup (compile time only)
; SGPRBlocks: 0
; VGPRBlocks: 0
; NumSGPRsForWavesPerEU: 4
; NumVGPRsForWavesPerEU: 1
; AccumOffset: 4
; Occupancy: 8
; WaveLimiterHint : 0
; COMPUTE_PGM_RSRC2:SCRATCH_EN: 0
; COMPUTE_PGM_RSRC2:USER_SGPR: 6
; COMPUTE_PGM_RSRC2:TRAP_HANDLER: 0
; COMPUTE_PGM_RSRC2:TGID_X_EN: 1
; COMPUTE_PGM_RSRC2:TGID_Y_EN: 0
; COMPUTE_PGM_RSRC2:TGID_Z_EN: 0
; COMPUTE_PGM_RSRC2:TIDIG_COMP_CNT: 0
; COMPUTE_PGM_RSRC3_GFX90A:ACCUM_OFFSET: 0
; COMPUTE_PGM_RSRC3_GFX90A:TG_SPLIT: 0
	.section	.text._ZN7rocprim17ROCPRIM_400000_NS6detail17trampoline_kernelINS0_14default_configENS1_25partition_config_selectorILNS1_17partition_subalgoE8EjNS0_10empty_typeEbEEZZNS1_14partition_implILS5_8ELb0ES3_jPKjPS6_PKS6_NS0_5tupleIJPjS6_EEENSE_IJSB_SB_EEENS0_18inequality_wrapperIN6hipcub16HIPCUB_304000_NS8EqualityEEEPlJS6_EEE10hipError_tPvRmT3_T4_T5_T6_T7_T9_mT8_P12ihipStream_tbDpT10_ENKUlT_T0_E_clISt17integral_constantIbLb1EES17_EEDaS12_S13_EUlS12_E_NS1_11comp_targetILNS1_3genE5ELNS1_11target_archE942ELNS1_3gpuE9ELNS1_3repE0EEENS1_30default_config_static_selectorELNS0_4arch9wavefront6targetE1EEEvT1_,"axG",@progbits,_ZN7rocprim17ROCPRIM_400000_NS6detail17trampoline_kernelINS0_14default_configENS1_25partition_config_selectorILNS1_17partition_subalgoE8EjNS0_10empty_typeEbEEZZNS1_14partition_implILS5_8ELb0ES3_jPKjPS6_PKS6_NS0_5tupleIJPjS6_EEENSE_IJSB_SB_EEENS0_18inequality_wrapperIN6hipcub16HIPCUB_304000_NS8EqualityEEEPlJS6_EEE10hipError_tPvRmT3_T4_T5_T6_T7_T9_mT8_P12ihipStream_tbDpT10_ENKUlT_T0_E_clISt17integral_constantIbLb1EES17_EEDaS12_S13_EUlS12_E_NS1_11comp_targetILNS1_3genE5ELNS1_11target_archE942ELNS1_3gpuE9ELNS1_3repE0EEENS1_30default_config_static_selectorELNS0_4arch9wavefront6targetE1EEEvT1_,comdat
	.protected	_ZN7rocprim17ROCPRIM_400000_NS6detail17trampoline_kernelINS0_14default_configENS1_25partition_config_selectorILNS1_17partition_subalgoE8EjNS0_10empty_typeEbEEZZNS1_14partition_implILS5_8ELb0ES3_jPKjPS6_PKS6_NS0_5tupleIJPjS6_EEENSE_IJSB_SB_EEENS0_18inequality_wrapperIN6hipcub16HIPCUB_304000_NS8EqualityEEEPlJS6_EEE10hipError_tPvRmT3_T4_T5_T6_T7_T9_mT8_P12ihipStream_tbDpT10_ENKUlT_T0_E_clISt17integral_constantIbLb1EES17_EEDaS12_S13_EUlS12_E_NS1_11comp_targetILNS1_3genE5ELNS1_11target_archE942ELNS1_3gpuE9ELNS1_3repE0EEENS1_30default_config_static_selectorELNS0_4arch9wavefront6targetE1EEEvT1_ ; -- Begin function _ZN7rocprim17ROCPRIM_400000_NS6detail17trampoline_kernelINS0_14default_configENS1_25partition_config_selectorILNS1_17partition_subalgoE8EjNS0_10empty_typeEbEEZZNS1_14partition_implILS5_8ELb0ES3_jPKjPS6_PKS6_NS0_5tupleIJPjS6_EEENSE_IJSB_SB_EEENS0_18inequality_wrapperIN6hipcub16HIPCUB_304000_NS8EqualityEEEPlJS6_EEE10hipError_tPvRmT3_T4_T5_T6_T7_T9_mT8_P12ihipStream_tbDpT10_ENKUlT_T0_E_clISt17integral_constantIbLb1EES17_EEDaS12_S13_EUlS12_E_NS1_11comp_targetILNS1_3genE5ELNS1_11target_archE942ELNS1_3gpuE9ELNS1_3repE0EEENS1_30default_config_static_selectorELNS0_4arch9wavefront6targetE1EEEvT1_
	.globl	_ZN7rocprim17ROCPRIM_400000_NS6detail17trampoline_kernelINS0_14default_configENS1_25partition_config_selectorILNS1_17partition_subalgoE8EjNS0_10empty_typeEbEEZZNS1_14partition_implILS5_8ELb0ES3_jPKjPS6_PKS6_NS0_5tupleIJPjS6_EEENSE_IJSB_SB_EEENS0_18inequality_wrapperIN6hipcub16HIPCUB_304000_NS8EqualityEEEPlJS6_EEE10hipError_tPvRmT3_T4_T5_T6_T7_T9_mT8_P12ihipStream_tbDpT10_ENKUlT_T0_E_clISt17integral_constantIbLb1EES17_EEDaS12_S13_EUlS12_E_NS1_11comp_targetILNS1_3genE5ELNS1_11target_archE942ELNS1_3gpuE9ELNS1_3repE0EEENS1_30default_config_static_selectorELNS0_4arch9wavefront6targetE1EEEvT1_
	.p2align	8
	.type	_ZN7rocprim17ROCPRIM_400000_NS6detail17trampoline_kernelINS0_14default_configENS1_25partition_config_selectorILNS1_17partition_subalgoE8EjNS0_10empty_typeEbEEZZNS1_14partition_implILS5_8ELb0ES3_jPKjPS6_PKS6_NS0_5tupleIJPjS6_EEENSE_IJSB_SB_EEENS0_18inequality_wrapperIN6hipcub16HIPCUB_304000_NS8EqualityEEEPlJS6_EEE10hipError_tPvRmT3_T4_T5_T6_T7_T9_mT8_P12ihipStream_tbDpT10_ENKUlT_T0_E_clISt17integral_constantIbLb1EES17_EEDaS12_S13_EUlS12_E_NS1_11comp_targetILNS1_3genE5ELNS1_11target_archE942ELNS1_3gpuE9ELNS1_3repE0EEENS1_30default_config_static_selectorELNS0_4arch9wavefront6targetE1EEEvT1_,@function
_ZN7rocprim17ROCPRIM_400000_NS6detail17trampoline_kernelINS0_14default_configENS1_25partition_config_selectorILNS1_17partition_subalgoE8EjNS0_10empty_typeEbEEZZNS1_14partition_implILS5_8ELb0ES3_jPKjPS6_PKS6_NS0_5tupleIJPjS6_EEENSE_IJSB_SB_EEENS0_18inequality_wrapperIN6hipcub16HIPCUB_304000_NS8EqualityEEEPlJS6_EEE10hipError_tPvRmT3_T4_T5_T6_T7_T9_mT8_P12ihipStream_tbDpT10_ENKUlT_T0_E_clISt17integral_constantIbLb1EES17_EEDaS12_S13_EUlS12_E_NS1_11comp_targetILNS1_3genE5ELNS1_11target_archE942ELNS1_3gpuE9ELNS1_3repE0EEENS1_30default_config_static_selectorELNS0_4arch9wavefront6targetE1EEEvT1_: ; @_ZN7rocprim17ROCPRIM_400000_NS6detail17trampoline_kernelINS0_14default_configENS1_25partition_config_selectorILNS1_17partition_subalgoE8EjNS0_10empty_typeEbEEZZNS1_14partition_implILS5_8ELb0ES3_jPKjPS6_PKS6_NS0_5tupleIJPjS6_EEENSE_IJSB_SB_EEENS0_18inequality_wrapperIN6hipcub16HIPCUB_304000_NS8EqualityEEEPlJS6_EEE10hipError_tPvRmT3_T4_T5_T6_T7_T9_mT8_P12ihipStream_tbDpT10_ENKUlT_T0_E_clISt17integral_constantIbLb1EES17_EEDaS12_S13_EUlS12_E_NS1_11comp_targetILNS1_3genE5ELNS1_11target_archE942ELNS1_3gpuE9ELNS1_3repE0EEENS1_30default_config_static_selectorELNS0_4arch9wavefront6targetE1EEEvT1_
; %bb.0:
	.section	.rodata,"a",@progbits
	.p2align	6, 0x0
	.amdhsa_kernel _ZN7rocprim17ROCPRIM_400000_NS6detail17trampoline_kernelINS0_14default_configENS1_25partition_config_selectorILNS1_17partition_subalgoE8EjNS0_10empty_typeEbEEZZNS1_14partition_implILS5_8ELb0ES3_jPKjPS6_PKS6_NS0_5tupleIJPjS6_EEENSE_IJSB_SB_EEENS0_18inequality_wrapperIN6hipcub16HIPCUB_304000_NS8EqualityEEEPlJS6_EEE10hipError_tPvRmT3_T4_T5_T6_T7_T9_mT8_P12ihipStream_tbDpT10_ENKUlT_T0_E_clISt17integral_constantIbLb1EES17_EEDaS12_S13_EUlS12_E_NS1_11comp_targetILNS1_3genE5ELNS1_11target_archE942ELNS1_3gpuE9ELNS1_3repE0EEENS1_30default_config_static_selectorELNS0_4arch9wavefront6targetE1EEEvT1_
		.amdhsa_group_segment_fixed_size 0
		.amdhsa_private_segment_fixed_size 0
		.amdhsa_kernarg_size 128
		.amdhsa_user_sgpr_count 6
		.amdhsa_user_sgpr_private_segment_buffer 1
		.amdhsa_user_sgpr_dispatch_ptr 0
		.amdhsa_user_sgpr_queue_ptr 0
		.amdhsa_user_sgpr_kernarg_segment_ptr 1
		.amdhsa_user_sgpr_dispatch_id 0
		.amdhsa_user_sgpr_flat_scratch_init 0
		.amdhsa_user_sgpr_kernarg_preload_length 0
		.amdhsa_user_sgpr_kernarg_preload_offset 0
		.amdhsa_user_sgpr_private_segment_size 0
		.amdhsa_uses_dynamic_stack 0
		.amdhsa_system_sgpr_private_segment_wavefront_offset 0
		.amdhsa_system_sgpr_workgroup_id_x 1
		.amdhsa_system_sgpr_workgroup_id_y 0
		.amdhsa_system_sgpr_workgroup_id_z 0
		.amdhsa_system_sgpr_workgroup_info 0
		.amdhsa_system_vgpr_workitem_id 0
		.amdhsa_next_free_vgpr 1
		.amdhsa_next_free_sgpr 0
		.amdhsa_accum_offset 4
		.amdhsa_reserve_vcc 0
		.amdhsa_reserve_flat_scratch 0
		.amdhsa_float_round_mode_32 0
		.amdhsa_float_round_mode_16_64 0
		.amdhsa_float_denorm_mode_32 3
		.amdhsa_float_denorm_mode_16_64 3
		.amdhsa_dx10_clamp 1
		.amdhsa_ieee_mode 1
		.amdhsa_fp16_overflow 0
		.amdhsa_tg_split 0
		.amdhsa_exception_fp_ieee_invalid_op 0
		.amdhsa_exception_fp_denorm_src 0
		.amdhsa_exception_fp_ieee_div_zero 0
		.amdhsa_exception_fp_ieee_overflow 0
		.amdhsa_exception_fp_ieee_underflow 0
		.amdhsa_exception_fp_ieee_inexact 0
		.amdhsa_exception_int_div_zero 0
	.end_amdhsa_kernel
	.section	.text._ZN7rocprim17ROCPRIM_400000_NS6detail17trampoline_kernelINS0_14default_configENS1_25partition_config_selectorILNS1_17partition_subalgoE8EjNS0_10empty_typeEbEEZZNS1_14partition_implILS5_8ELb0ES3_jPKjPS6_PKS6_NS0_5tupleIJPjS6_EEENSE_IJSB_SB_EEENS0_18inequality_wrapperIN6hipcub16HIPCUB_304000_NS8EqualityEEEPlJS6_EEE10hipError_tPvRmT3_T4_T5_T6_T7_T9_mT8_P12ihipStream_tbDpT10_ENKUlT_T0_E_clISt17integral_constantIbLb1EES17_EEDaS12_S13_EUlS12_E_NS1_11comp_targetILNS1_3genE5ELNS1_11target_archE942ELNS1_3gpuE9ELNS1_3repE0EEENS1_30default_config_static_selectorELNS0_4arch9wavefront6targetE1EEEvT1_,"axG",@progbits,_ZN7rocprim17ROCPRIM_400000_NS6detail17trampoline_kernelINS0_14default_configENS1_25partition_config_selectorILNS1_17partition_subalgoE8EjNS0_10empty_typeEbEEZZNS1_14partition_implILS5_8ELb0ES3_jPKjPS6_PKS6_NS0_5tupleIJPjS6_EEENSE_IJSB_SB_EEENS0_18inequality_wrapperIN6hipcub16HIPCUB_304000_NS8EqualityEEEPlJS6_EEE10hipError_tPvRmT3_T4_T5_T6_T7_T9_mT8_P12ihipStream_tbDpT10_ENKUlT_T0_E_clISt17integral_constantIbLb1EES17_EEDaS12_S13_EUlS12_E_NS1_11comp_targetILNS1_3genE5ELNS1_11target_archE942ELNS1_3gpuE9ELNS1_3repE0EEENS1_30default_config_static_selectorELNS0_4arch9wavefront6targetE1EEEvT1_,comdat
.Lfunc_end626:
	.size	_ZN7rocprim17ROCPRIM_400000_NS6detail17trampoline_kernelINS0_14default_configENS1_25partition_config_selectorILNS1_17partition_subalgoE8EjNS0_10empty_typeEbEEZZNS1_14partition_implILS5_8ELb0ES3_jPKjPS6_PKS6_NS0_5tupleIJPjS6_EEENSE_IJSB_SB_EEENS0_18inequality_wrapperIN6hipcub16HIPCUB_304000_NS8EqualityEEEPlJS6_EEE10hipError_tPvRmT3_T4_T5_T6_T7_T9_mT8_P12ihipStream_tbDpT10_ENKUlT_T0_E_clISt17integral_constantIbLb1EES17_EEDaS12_S13_EUlS12_E_NS1_11comp_targetILNS1_3genE5ELNS1_11target_archE942ELNS1_3gpuE9ELNS1_3repE0EEENS1_30default_config_static_selectorELNS0_4arch9wavefront6targetE1EEEvT1_, .Lfunc_end626-_ZN7rocprim17ROCPRIM_400000_NS6detail17trampoline_kernelINS0_14default_configENS1_25partition_config_selectorILNS1_17partition_subalgoE8EjNS0_10empty_typeEbEEZZNS1_14partition_implILS5_8ELb0ES3_jPKjPS6_PKS6_NS0_5tupleIJPjS6_EEENSE_IJSB_SB_EEENS0_18inequality_wrapperIN6hipcub16HIPCUB_304000_NS8EqualityEEEPlJS6_EEE10hipError_tPvRmT3_T4_T5_T6_T7_T9_mT8_P12ihipStream_tbDpT10_ENKUlT_T0_E_clISt17integral_constantIbLb1EES17_EEDaS12_S13_EUlS12_E_NS1_11comp_targetILNS1_3genE5ELNS1_11target_archE942ELNS1_3gpuE9ELNS1_3repE0EEENS1_30default_config_static_selectorELNS0_4arch9wavefront6targetE1EEEvT1_
                                        ; -- End function
	.section	.AMDGPU.csdata,"",@progbits
; Kernel info:
; codeLenInByte = 0
; NumSgprs: 4
; NumVgprs: 0
; NumAgprs: 0
; TotalNumVgprs: 0
; ScratchSize: 0
; MemoryBound: 0
; FloatMode: 240
; IeeeMode: 1
; LDSByteSize: 0 bytes/workgroup (compile time only)
; SGPRBlocks: 0
; VGPRBlocks: 0
; NumSGPRsForWavesPerEU: 4
; NumVGPRsForWavesPerEU: 1
; AccumOffset: 4
; Occupancy: 8
; WaveLimiterHint : 0
; COMPUTE_PGM_RSRC2:SCRATCH_EN: 0
; COMPUTE_PGM_RSRC2:USER_SGPR: 6
; COMPUTE_PGM_RSRC2:TRAP_HANDLER: 0
; COMPUTE_PGM_RSRC2:TGID_X_EN: 1
; COMPUTE_PGM_RSRC2:TGID_Y_EN: 0
; COMPUTE_PGM_RSRC2:TGID_Z_EN: 0
; COMPUTE_PGM_RSRC2:TIDIG_COMP_CNT: 0
; COMPUTE_PGM_RSRC3_GFX90A:ACCUM_OFFSET: 0
; COMPUTE_PGM_RSRC3_GFX90A:TG_SPLIT: 0
	.section	.text._ZN7rocprim17ROCPRIM_400000_NS6detail17trampoline_kernelINS0_14default_configENS1_25partition_config_selectorILNS1_17partition_subalgoE8EjNS0_10empty_typeEbEEZZNS1_14partition_implILS5_8ELb0ES3_jPKjPS6_PKS6_NS0_5tupleIJPjS6_EEENSE_IJSB_SB_EEENS0_18inequality_wrapperIN6hipcub16HIPCUB_304000_NS8EqualityEEEPlJS6_EEE10hipError_tPvRmT3_T4_T5_T6_T7_T9_mT8_P12ihipStream_tbDpT10_ENKUlT_T0_E_clISt17integral_constantIbLb1EES17_EEDaS12_S13_EUlS12_E_NS1_11comp_targetILNS1_3genE4ELNS1_11target_archE910ELNS1_3gpuE8ELNS1_3repE0EEENS1_30default_config_static_selectorELNS0_4arch9wavefront6targetE1EEEvT1_,"axG",@progbits,_ZN7rocprim17ROCPRIM_400000_NS6detail17trampoline_kernelINS0_14default_configENS1_25partition_config_selectorILNS1_17partition_subalgoE8EjNS0_10empty_typeEbEEZZNS1_14partition_implILS5_8ELb0ES3_jPKjPS6_PKS6_NS0_5tupleIJPjS6_EEENSE_IJSB_SB_EEENS0_18inequality_wrapperIN6hipcub16HIPCUB_304000_NS8EqualityEEEPlJS6_EEE10hipError_tPvRmT3_T4_T5_T6_T7_T9_mT8_P12ihipStream_tbDpT10_ENKUlT_T0_E_clISt17integral_constantIbLb1EES17_EEDaS12_S13_EUlS12_E_NS1_11comp_targetILNS1_3genE4ELNS1_11target_archE910ELNS1_3gpuE8ELNS1_3repE0EEENS1_30default_config_static_selectorELNS0_4arch9wavefront6targetE1EEEvT1_,comdat
	.protected	_ZN7rocprim17ROCPRIM_400000_NS6detail17trampoline_kernelINS0_14default_configENS1_25partition_config_selectorILNS1_17partition_subalgoE8EjNS0_10empty_typeEbEEZZNS1_14partition_implILS5_8ELb0ES3_jPKjPS6_PKS6_NS0_5tupleIJPjS6_EEENSE_IJSB_SB_EEENS0_18inequality_wrapperIN6hipcub16HIPCUB_304000_NS8EqualityEEEPlJS6_EEE10hipError_tPvRmT3_T4_T5_T6_T7_T9_mT8_P12ihipStream_tbDpT10_ENKUlT_T0_E_clISt17integral_constantIbLb1EES17_EEDaS12_S13_EUlS12_E_NS1_11comp_targetILNS1_3genE4ELNS1_11target_archE910ELNS1_3gpuE8ELNS1_3repE0EEENS1_30default_config_static_selectorELNS0_4arch9wavefront6targetE1EEEvT1_ ; -- Begin function _ZN7rocprim17ROCPRIM_400000_NS6detail17trampoline_kernelINS0_14default_configENS1_25partition_config_selectorILNS1_17partition_subalgoE8EjNS0_10empty_typeEbEEZZNS1_14partition_implILS5_8ELb0ES3_jPKjPS6_PKS6_NS0_5tupleIJPjS6_EEENSE_IJSB_SB_EEENS0_18inequality_wrapperIN6hipcub16HIPCUB_304000_NS8EqualityEEEPlJS6_EEE10hipError_tPvRmT3_T4_T5_T6_T7_T9_mT8_P12ihipStream_tbDpT10_ENKUlT_T0_E_clISt17integral_constantIbLb1EES17_EEDaS12_S13_EUlS12_E_NS1_11comp_targetILNS1_3genE4ELNS1_11target_archE910ELNS1_3gpuE8ELNS1_3repE0EEENS1_30default_config_static_selectorELNS0_4arch9wavefront6targetE1EEEvT1_
	.globl	_ZN7rocprim17ROCPRIM_400000_NS6detail17trampoline_kernelINS0_14default_configENS1_25partition_config_selectorILNS1_17partition_subalgoE8EjNS0_10empty_typeEbEEZZNS1_14partition_implILS5_8ELb0ES3_jPKjPS6_PKS6_NS0_5tupleIJPjS6_EEENSE_IJSB_SB_EEENS0_18inequality_wrapperIN6hipcub16HIPCUB_304000_NS8EqualityEEEPlJS6_EEE10hipError_tPvRmT3_T4_T5_T6_T7_T9_mT8_P12ihipStream_tbDpT10_ENKUlT_T0_E_clISt17integral_constantIbLb1EES17_EEDaS12_S13_EUlS12_E_NS1_11comp_targetILNS1_3genE4ELNS1_11target_archE910ELNS1_3gpuE8ELNS1_3repE0EEENS1_30default_config_static_selectorELNS0_4arch9wavefront6targetE1EEEvT1_
	.p2align	8
	.type	_ZN7rocprim17ROCPRIM_400000_NS6detail17trampoline_kernelINS0_14default_configENS1_25partition_config_selectorILNS1_17partition_subalgoE8EjNS0_10empty_typeEbEEZZNS1_14partition_implILS5_8ELb0ES3_jPKjPS6_PKS6_NS0_5tupleIJPjS6_EEENSE_IJSB_SB_EEENS0_18inequality_wrapperIN6hipcub16HIPCUB_304000_NS8EqualityEEEPlJS6_EEE10hipError_tPvRmT3_T4_T5_T6_T7_T9_mT8_P12ihipStream_tbDpT10_ENKUlT_T0_E_clISt17integral_constantIbLb1EES17_EEDaS12_S13_EUlS12_E_NS1_11comp_targetILNS1_3genE4ELNS1_11target_archE910ELNS1_3gpuE8ELNS1_3repE0EEENS1_30default_config_static_selectorELNS0_4arch9wavefront6targetE1EEEvT1_,@function
_ZN7rocprim17ROCPRIM_400000_NS6detail17trampoline_kernelINS0_14default_configENS1_25partition_config_selectorILNS1_17partition_subalgoE8EjNS0_10empty_typeEbEEZZNS1_14partition_implILS5_8ELb0ES3_jPKjPS6_PKS6_NS0_5tupleIJPjS6_EEENSE_IJSB_SB_EEENS0_18inequality_wrapperIN6hipcub16HIPCUB_304000_NS8EqualityEEEPlJS6_EEE10hipError_tPvRmT3_T4_T5_T6_T7_T9_mT8_P12ihipStream_tbDpT10_ENKUlT_T0_E_clISt17integral_constantIbLb1EES17_EEDaS12_S13_EUlS12_E_NS1_11comp_targetILNS1_3genE4ELNS1_11target_archE910ELNS1_3gpuE8ELNS1_3repE0EEENS1_30default_config_static_selectorELNS0_4arch9wavefront6targetE1EEEvT1_: ; @_ZN7rocprim17ROCPRIM_400000_NS6detail17trampoline_kernelINS0_14default_configENS1_25partition_config_selectorILNS1_17partition_subalgoE8EjNS0_10empty_typeEbEEZZNS1_14partition_implILS5_8ELb0ES3_jPKjPS6_PKS6_NS0_5tupleIJPjS6_EEENSE_IJSB_SB_EEENS0_18inequality_wrapperIN6hipcub16HIPCUB_304000_NS8EqualityEEEPlJS6_EEE10hipError_tPvRmT3_T4_T5_T6_T7_T9_mT8_P12ihipStream_tbDpT10_ENKUlT_T0_E_clISt17integral_constantIbLb1EES17_EEDaS12_S13_EUlS12_E_NS1_11comp_targetILNS1_3genE4ELNS1_11target_archE910ELNS1_3gpuE8ELNS1_3repE0EEENS1_30default_config_static_selectorELNS0_4arch9wavefront6targetE1EEEvT1_
; %bb.0:
	s_load_dwordx2 s[28:29], s[4:5], 0x28
	s_load_dwordx4 s[24:27], s[4:5], 0x40
	s_load_dwordx2 s[6:7], s[4:5], 0x50
	s_load_dwordx2 s[30:31], s[4:5], 0x60
	v_cmp_ne_u32_e64 s[2:3], 0, v0
	v_cmp_eq_u32_e64 s[0:1], 0, v0
	s_and_saveexec_b64 s[8:9], s[0:1]
	s_cbranch_execz .LBB627_4
; %bb.1:
	s_mov_b64 s[12:13], exec
	v_mbcnt_lo_u32_b32 v1, s12, 0
	v_mbcnt_hi_u32_b32 v1, s13, v1
	v_cmp_eq_u32_e32 vcc, 0, v1
                                        ; implicit-def: $vgpr2
	s_and_saveexec_b64 s[10:11], vcc
	s_cbranch_execz .LBB627_3
; %bb.2:
	s_load_dwordx2 s[14:15], s[4:5], 0x70
	s_bcnt1_i32_b64 s12, s[12:13]
	v_mov_b32_e32 v2, 0
	v_mov_b32_e32 v3, s12
	s_waitcnt lgkmcnt(0)
	global_atomic_add v2, v2, v3, s[14:15] glc
.LBB627_3:
	s_or_b64 exec, exec, s[10:11]
	s_waitcnt vmcnt(0)
	v_readfirstlane_b32 s10, v2
	v_add_u32_e32 v1, s10, v1
	v_mov_b32_e32 v2, 0
	ds_write_b32 v2, v1
.LBB627_4:
	s_or_b64 exec, exec, s[8:9]
	v_mov_b32_e32 v3, 0
	s_load_dwordx4 s[8:11], s[4:5], 0x8
	s_load_dword s12, s[4:5], 0x68
	s_waitcnt lgkmcnt(0)
	s_barrier
	ds_read_b32 v1, v3
	s_waitcnt lgkmcnt(0)
	s_barrier
	global_load_dwordx2 v[14:15], v3, s[26:27]
	s_lshl_b64 s[4:5], s[10:11], 2
	v_mov_b32_e32 v5, s7
	s_add_u32 s7, s8, s4
	s_movk_i32 s4, 0xa00
	v_mul_lo_u32 v2, v1, s4
	s_mul_i32 s4, s12, 0xa00
	s_addc_u32 s8, s9, s5
	s_add_i32 s5, s4, s10
	s_add_i32 s9, s12, -1
	s_sub_i32 s40, s6, s5
	s_add_u32 s4, s10, s4
	v_readfirstlane_b32 s33, v1
	s_addc_u32 s5, s11, 0
	v_mov_b32_e32 v4, s6
	s_cmp_eq_u32 s33, s9
	v_cmp_ge_u64_e32 vcc, s[4:5], v[4:5]
	s_cselect_b64 s[22:23], -1, 0
	v_lshlrev_b64 v[2:3], 2, v[2:3]
	s_and_b64 s[34:35], vcc, s[22:23]
	v_mov_b32_e32 v1, s8
	v_add_co_u32_e32 v12, vcc, s7, v2
	s_xor_b64 s[26:27], s[34:35], -1
	v_addc_co_u32_e32 v13, vcc, v1, v3, vcc
	s_mov_b64 s[4:5], -1
	s_and_b64 vcc, exec, s[26:27]
	s_cbranch_vccz .LBB627_6
; %bb.5:
	v_lshlrev_b32_e32 v1, 2, v0
	v_add_co_u32_e32 v4, vcc, v12, v1
	v_addc_co_u32_e32 v5, vcc, 0, v13, vcc
	v_add_co_u32_e32 v2, vcc, 0x1000, v4
	v_readfirstlane_b32 s4, v12
	v_readfirstlane_b32 s5, v13
	v_addc_co_u32_e32 v3, vcc, 0, v5, vcc
	s_nop 3
	global_load_dword v6, v1, s[4:5]
	global_load_dword v7, v1, s[4:5] offset:1024
	global_load_dword v8, v1, s[4:5] offset:2048
	;; [unrolled: 1-line block ×3, first 2 shown]
	global_load_dword v10, v[2:3], off
	global_load_dword v11, v[2:3], off offset:1024
	global_load_dword v16, v[2:3], off offset:2048
	global_load_dword v17, v[2:3], off offset:3072
	v_add_co_u32_e32 v2, vcc, 0x2000, v4
	v_addc_co_u32_e32 v3, vcc, 0, v5, vcc
	global_load_dword v4, v[2:3], off
	global_load_dword v5, v[2:3], off offset:1024
	s_mov_b64 s[4:5], 0
	s_waitcnt vmcnt(8)
	ds_write2st64_b32 v1, v6, v7 offset1:4
	s_waitcnt vmcnt(6)
	ds_write2st64_b32 v1, v8, v9 offset0:8 offset1:12
	s_waitcnt vmcnt(4)
	ds_write2st64_b32 v1, v10, v11 offset0:16 offset1:20
	;; [unrolled: 2-line block ×4, first 2 shown]
	s_waitcnt lgkmcnt(0)
	s_barrier
.LBB627_6:
	s_andn2_b64 vcc, exec, s[4:5]
	s_addk_i32 s40, 0xa00
	s_cbranch_vccnz .LBB627_28
; %bb.7:
	v_cmp_gt_u32_e32 vcc, s40, v0
                                        ; implicit-def: $vgpr2_vgpr3_vgpr4_vgpr5_vgpr6_vgpr7_vgpr8_vgpr9_vgpr10_vgpr11
	s_and_saveexec_b64 s[4:5], vcc
	s_cbranch_execz .LBB627_9
; %bb.8:
	v_lshlrev_b32_e32 v1, 2, v0
	v_readfirstlane_b32 s6, v12
	v_readfirstlane_b32 s7, v13
	s_nop 4
	global_load_dword v2, v1, s[6:7]
.LBB627_9:
	s_or_b64 exec, exec, s[4:5]
	v_or_b32_e32 v1, 0x100, v0
	v_cmp_gt_u32_e32 vcc, s40, v1
	s_and_saveexec_b64 s[4:5], vcc
	s_cbranch_execz .LBB627_11
; %bb.10:
	v_lshlrev_b32_e32 v1, 2, v0
	v_readfirstlane_b32 s6, v12
	v_readfirstlane_b32 s7, v13
	s_nop 4
	global_load_dword v3, v1, s[6:7] offset:1024
.LBB627_11:
	s_or_b64 exec, exec, s[4:5]
	v_or_b32_e32 v1, 0x200, v0
	v_cmp_gt_u32_e32 vcc, s40, v1
	s_and_saveexec_b64 s[4:5], vcc
	s_cbranch_execz .LBB627_13
; %bb.12:
	v_lshlrev_b32_e32 v1, 2, v0
	v_readfirstlane_b32 s6, v12
	v_readfirstlane_b32 s7, v13
	s_nop 4
	global_load_dword v4, v1, s[6:7] offset:2048
.LBB627_13:
	;; [unrolled: 12-line block ×3, first 2 shown]
	s_or_b64 exec, exec, s[4:5]
	v_or_b32_e32 v1, 0x400, v0
	v_cmp_gt_u32_e32 vcc, s40, v1
	s_and_saveexec_b64 s[4:5], vcc
	s_cbranch_execz .LBB627_17
; %bb.16:
	v_lshlrev_b32_e32 v1, 2, v1
	v_readfirstlane_b32 s6, v12
	v_readfirstlane_b32 s7, v13
	s_nop 4
	global_load_dword v6, v1, s[6:7]
.LBB627_17:
	s_or_b64 exec, exec, s[4:5]
	v_or_b32_e32 v1, 0x500, v0
	v_cmp_gt_u32_e32 vcc, s40, v1
	s_and_saveexec_b64 s[4:5], vcc
	s_cbranch_execz .LBB627_19
; %bb.18:
	v_lshlrev_b32_e32 v1, 2, v1
	v_readfirstlane_b32 s6, v12
	v_readfirstlane_b32 s7, v13
	s_nop 4
	global_load_dword v7, v1, s[6:7]
.LBB627_19:
	;; [unrolled: 12-line block ×6, first 2 shown]
	s_or_b64 exec, exec, s[4:5]
	v_lshlrev_b32_e32 v1, 2, v0
	s_waitcnt vmcnt(0)
	ds_write2st64_b32 v1, v2, v3 offset1:4
	ds_write2st64_b32 v1, v4, v5 offset0:8 offset1:12
	ds_write2st64_b32 v1, v6, v7 offset0:16 offset1:20
	;; [unrolled: 1-line block ×4, first 2 shown]
	s_waitcnt lgkmcnt(0)
	s_barrier
.LBB627_28:
	v_mul_u32_u24_e32 v28, 10, v0
	v_lshlrev_b32_e32 v1, 2, v28
	ds_read2_b64 v[6:9], v1 offset1:1
	ds_read2_b64 v[2:5], v1 offset0:2 offset1:3
	ds_read_b64 v[16:17], v1 offset:32
	s_cmp_lg_u32 s33, 0
	s_cselect_b64 s[36:37], -1, 0
	s_cmp_lg_u64 s[10:11], 0
	s_cselect_b64 s[4:5], -1, 0
	s_or_b64 s[4:5], s[4:5], s[36:37]
	v_or_b32_e32 v29, 1, v28
	v_mad_u32_u24 v27, v0, 10, 2
	v_mad_u32_u24 v26, v0, 10, 3
	;; [unrolled: 1-line block ×8, first 2 shown]
	s_mov_b64 s[38:39], 0
	s_and_b64 vcc, exec, s[4:5]
	s_waitcnt lgkmcnt(0)
	s_barrier
	s_cbranch_vccz .LBB627_33
; %bb.29:
	global_load_dword v10, v[12:13], off offset:-4
	v_lshlrev_b32_e32 v11, 2, v0
	s_and_b64 vcc, exec, s[26:27]
	ds_write_b32 v11, v17
	s_cbranch_vccz .LBB627_35
; %bb.30:
	s_waitcnt vmcnt(0)
	v_mov_b32_e32 v12, v10
	s_waitcnt lgkmcnt(0)
	s_barrier
	s_and_saveexec_b64 s[4:5], s[2:3]
	s_cbranch_execz .LBB627_32
; %bb.31:
	v_add_u32_e32 v12, -4, v11
	ds_read_b32 v12, v12
.LBB627_32:
	s_or_b64 exec, exec, s[4:5]
	v_cmp_ne_u32_e32 vcc, v16, v17
	v_cndmask_b32_e64 v13, 0, 1, vcc
	v_cmp_ne_u32_e32 vcc, v5, v16
	v_cndmask_b32_e64 v30, 0, 1, vcc
	;; [unrolled: 2-line block ×9, first 2 shown]
	s_waitcnt lgkmcnt(0)
	v_cmp_ne_u32_e64 s[4:5], v12, v6
	v_lshlrev_b16_e32 v12, 8, v18
	v_or_b32_sdwa v12, v34, v12 dst_sel:WORD_1 dst_unused:UNUSED_PAD src0_sel:DWORD src1_sel:DWORD
	v_lshlrev_b16_e32 v18, 8, v35
	v_or_b32_e32 v18, v18, v12
	v_lshlrev_b16_e32 v12, 8, v32
	v_lshlrev_b16_e32 v19, 8, v19
	v_or_b32_e32 v12, v33, v12
	v_or_b32_sdwa v19, v31, v19 dst_sel:WORD_1 dst_unused:UNUSED_PAD src0_sel:DWORD src1_sel:DWORD
	v_or_b32_sdwa v19, v12, v19 dst_sel:DWORD dst_unused:UNUSED_PAD src0_sel:WORD_0 src1_sel:DWORD
	s_branch .LBB627_39
.LBB627_33:
                                        ; implicit-def: $sgpr4_sgpr5
                                        ; implicit-def: $vgpr13
                                        ; implicit-def: $vgpr30
                                        ; implicit-def: $vgpr19
	s_branch .LBB627_40
.LBB627_34:
                                        ; implicit-def: $vgpr10_vgpr11_vgpr12
	s_and_saveexec_b64 s[2:3], s[38:39]
	s_cbranch_execnz .LBB627_48
	s_branch .LBB627_49
.LBB627_35:
                                        ; implicit-def: $sgpr4_sgpr5
                                        ; implicit-def: $vgpr13
                                        ; implicit-def: $vgpr30
                                        ; implicit-def: $vgpr19
	s_cbranch_execz .LBB627_39
; %bb.36:
	s_waitcnt lgkmcnt(0)
	s_barrier
	s_and_saveexec_b64 s[4:5], s[2:3]
	s_cbranch_execz .LBB627_38
; %bb.37:
	s_waitcnt vmcnt(0)
	v_add_u32_e32 v10, -4, v11
	ds_read_b32 v10, v10
.LBB627_38:
	s_or_b64 exec, exec, s[4:5]
	v_cmp_gt_u32_e32 vcc, s40, v20
	v_cmp_ne_u32_e64 s[4:5], v16, v17
	s_and_b64 s[4:5], vcc, s[4:5]
	v_cndmask_b32_e64 v13, 0, 1, s[4:5]
	v_cmp_gt_u32_e32 vcc, s40, v21
	v_cmp_ne_u32_e64 s[4:5], v5, v16
	s_and_b64 s[4:5], vcc, s[4:5]
	v_cndmask_b32_e64 v30, 0, 1, s[4:5]
	;; [unrolled: 4-line block ×9, first 2 shown]
	s_waitcnt vmcnt(0) lgkmcnt(0)
	v_cmp_ne_u32_e64 s[4:5], v10, v6
	v_lshlrev_b16_e32 v10, 8, v18
	v_or_b32_sdwa v10, v32, v10 dst_sel:WORD_1 dst_unused:UNUSED_PAD src0_sel:DWORD src1_sel:DWORD
	v_lshlrev_b16_e32 v18, 8, v33
	v_or_b32_e32 v18, v18, v10
	v_lshlrev_b16_e32 v10, 8, v19
	v_lshlrev_b16_e32 v11, 8, v11
	v_cmp_gt_u32_e32 vcc, s40, v28
	v_or_b32_e32 v10, v31, v10
	v_or_b32_sdwa v11, v12, v11 dst_sel:WORD_1 dst_unused:UNUSED_PAD src0_sel:DWORD src1_sel:DWORD
	s_and_b64 s[4:5], vcc, s[4:5]
	v_or_b32_sdwa v19, v10, v11 dst_sel:DWORD dst_unused:UNUSED_PAD src0_sel:WORD_0 src1_sel:DWORD
.LBB627_39:
	s_mov_b64 s[38:39], -1
	s_cbranch_execnz .LBB627_34
.LBB627_40:
	s_movk_i32 s4, 0xffdc
	v_mad_i32_i24 v31, v0, s4, v1
	s_and_b64 vcc, exec, s[26:27]
	v_cmp_ne_u32_e64 s[4:5], v16, v17
	v_cmp_ne_u32_e64 s[6:7], v5, v16
	;; [unrolled: 1-line block ×9, first 2 shown]
	ds_write_b32 v31, v17
	s_cbranch_vccz .LBB627_44
; %bb.41:
	s_waitcnt vmcnt(0)
	v_cndmask_b32_e64 v10, 0, 1, s[8:9]
	v_cndmask_b32_e64 v12, 0, 1, s[12:13]
	;; [unrolled: 1-line block ×4, first 2 shown]
	v_lshlrev_b16_e32 v12, 8, v12
	v_lshlrev_b16_e32 v10, 8, v10
	v_cndmask_b32_e64 v13, 0, 1, s[4:5]
	v_or_b32_e32 v12, v18, v12
	v_or_b32_sdwa v10, v11, v10 dst_sel:WORD_1 dst_unused:UNUSED_PAD src0_sel:DWORD src1_sel:DWORD
	v_cndmask_b32_e64 v30, 0, 1, s[6:7]
	v_or_b32_sdwa v19, v12, v10 dst_sel:DWORD dst_unused:UNUSED_PAD src0_sel:WORD_0 src1_sel:DWORD
	v_lshlrev_b16_e32 v10, 8, v13
	v_cndmask_b32_e64 v32, 0, 1, s[16:17]
	v_cndmask_b32_e64 v34, 0, 1, s[20:21]
	v_or_b32_e32 v10, v30, v10
	v_cndmask_b32_e64 v33, 0, 1, s[18:19]
	v_and_b32_e32 v12, 0xffff, v10
	v_lshlrev_b16_e32 v10, 8, v32
	v_lshlrev_b16_e32 v11, 8, v34
	v_or_b32_sdwa v10, v33, v10 dst_sel:WORD_1 dst_unused:UNUSED_PAD src0_sel:DWORD src1_sel:DWORD
	v_or_b32_e32 v11, 1, v11
	v_or_b32_sdwa v18, v11, v10 dst_sel:DWORD dst_unused:UNUSED_PAD src0_sel:WORD_0 src1_sel:DWORD
	s_waitcnt lgkmcnt(0)
	s_barrier
	s_waitcnt lgkmcnt(0)
                                        ; implicit-def: $sgpr4_sgpr5
	s_and_saveexec_b64 s[6:7], s[2:3]
	s_xor_b64 s[6:7], exec, s[6:7]
	s_cbranch_execz .LBB627_43
; %bb.42:
	v_add_u32_e32 v10, -4, v31
	ds_read_b32 v10, v10
	s_or_b64 s[38:39], s[38:39], exec
	s_waitcnt lgkmcnt(0)
	v_cmp_ne_u32_e32 vcc, v10, v6
	s_and_b64 s[4:5], vcc, exec
                                        ; implicit-def: $vgpr10_vgpr11_vgpr12
.LBB627_43:
	s_or_b64 exec, exec, s[6:7]
	s_branch .LBB627_47
.LBB627_44:
                                        ; implicit-def: $sgpr4_sgpr5
                                        ; implicit-def: $vgpr13
                                        ; implicit-def: $vgpr30
                                        ; implicit-def: $vgpr19
                                        ; implicit-def: $vgpr10_vgpr11_vgpr12
	s_cbranch_execz .LBB627_47
; %bb.45:
	v_cmp_gt_u32_e32 vcc, s40, v20
	v_cmp_ne_u32_e64 s[4:5], v16, v17
	s_and_b64 s[4:5], vcc, s[4:5]
	v_cndmask_b32_e64 v13, 0, 1, s[4:5]
	v_cmp_gt_u32_e32 vcc, s40, v21
	v_cmp_ne_u32_e64 s[4:5], v5, v16
	s_and_b64 s[4:5], vcc, s[4:5]
	v_cndmask_b32_e64 v30, 0, 1, s[4:5]
	v_cmp_gt_u32_e32 vcc, s40, v22
	v_cmp_ne_u32_e64 s[4:5], v4, v5
	s_and_b64 s[4:5], vcc, s[4:5]
	s_waitcnt vmcnt(0)
	v_cndmask_b32_e64 v10, 0, 1, s[4:5]
	v_cmp_gt_u32_e32 vcc, s40, v23
	v_cmp_ne_u32_e64 s[4:5], v3, v4
	s_and_b64 s[4:5], vcc, s[4:5]
	v_cndmask_b32_e64 v11, 0, 1, s[4:5]
	v_cmp_gt_u32_e32 vcc, s40, v24
	v_cmp_ne_u32_e64 s[4:5], v2, v3
	s_and_b64 s[4:5], vcc, s[4:5]
	;; [unrolled: 4-line block ×5, first 2 shown]
	v_lshlrev_b16_e32 v12, 8, v12
	v_lshlrev_b16_e32 v10, 8, v10
	v_cndmask_b32_e64 v33, 0, 1, s[4:5]
	v_cmp_gt_u32_e32 vcc, s40, v29
	v_cmp_ne_u32_e64 s[4:5], v6, v7
	v_or_b32_e32 v12, v18, v12
	v_or_b32_sdwa v10, v11, v10 dst_sel:WORD_1 dst_unused:UNUSED_PAD src0_sel:DWORD src1_sel:DWORD
	s_and_b64 s[4:5], vcc, s[4:5]
	v_or_b32_sdwa v19, v12, v10 dst_sel:DWORD dst_unused:UNUSED_PAD src0_sel:WORD_0 src1_sel:DWORD
	v_lshlrev_b16_e32 v10, 8, v13
	v_cndmask_b32_e64 v34, 0, 1, s[4:5]
	v_or_b32_e32 v10, v30, v10
	v_and_b32_e32 v12, 0xffff, v10
	v_lshlrev_b16_e32 v10, 8, v32
	v_lshlrev_b16_e32 v11, 8, v34
	v_or_b32_sdwa v10, v33, v10 dst_sel:WORD_1 dst_unused:UNUSED_PAD src0_sel:DWORD src1_sel:DWORD
	v_or_b32_e32 v11, 1, v11
	v_or_b32_sdwa v18, v11, v10 dst_sel:DWORD dst_unused:UNUSED_PAD src0_sel:WORD_0 src1_sel:DWORD
	s_waitcnt lgkmcnt(0)
	s_barrier
	s_waitcnt lgkmcnt(0)
                                        ; implicit-def: $sgpr4_sgpr5
	s_and_saveexec_b64 s[6:7], s[2:3]
	s_cbranch_execz .LBB627_164
; %bb.46:
	v_add_u32_e32 v10, -4, v31
	ds_read_b32 v10, v10
	v_cmp_gt_u32_e32 vcc, s40, v28
	s_or_b64 s[38:39], s[38:39], exec
	s_waitcnt lgkmcnt(0)
	v_cmp_ne_u32_e64 s[2:3], v10, v6
	s_and_b64 s[2:3], vcc, s[2:3]
	s_and_b64 s[4:5], s[2:3], exec
                                        ; implicit-def: $vgpr10_vgpr11_vgpr12
	s_or_b64 exec, exec, s[6:7]
.LBB627_47:
	s_and_saveexec_b64 s[2:3], s[38:39]
	s_cbranch_execz .LBB627_49
.LBB627_48:
	v_lshlrev_b16_e32 v11, 8, v13
	v_or_b32_sdwa v11, v30, v11 dst_sel:DWORD dst_unused:UNUSED_PAD src0_sel:BYTE_0 src1_sel:DWORD
	s_waitcnt vmcnt(0)
	v_cndmask_b32_e64 v10, 0, 1, s[4:5]
	s_movk_i32 s4, 0xff
	v_and_b32_e32 v12, 0xffff, v11
	v_lshrrev_b32_e32 v11, 24, v18
	v_lshlrev_b16_e32 v11, 8, v11
	v_and_b32_sdwa v13, v18, s4 dst_sel:DWORD dst_unused:UNUSED_PAD src0_sel:WORD_1 src1_sel:DWORD
	v_or_b32_sdwa v11, v13, v11 dst_sel:WORD_1 dst_unused:UNUSED_PAD src0_sel:DWORD src1_sel:DWORD
	v_mov_b32_e32 v13, 8
	v_lshrrev_b32_sdwa v13, v13, v18 dst_sel:BYTE_1 dst_unused:UNUSED_PAD src0_sel:DWORD src1_sel:DWORD
	v_or_b32_e32 v10, v10, v13
	v_or_b32_sdwa v18, v10, v11 dst_sel:DWORD dst_unused:UNUSED_PAD src0_sel:WORD_0 src1_sel:DWORD
.LBB627_49:
	s_or_b64 exec, exec, s[2:3]
	s_andn2_b64 vcc, exec, s[34:35]
	s_cbranch_vccnz .LBB627_51
; %bb.50:
	v_and_b32_e32 v11, 0xffff0000, v18
	v_cmp_gt_u32_e32 vcc, s40, v28
	v_cndmask_b32_e32 v11, v11, v18, vcc
	v_and_b32_e32 v11, 0xffff00ff, v11
	v_cmp_gt_u32_e32 vcc, s40, v29
	v_cndmask_b32_e32 v11, v11, v18, vcc
	v_lshrrev_b32_e32 v13, 24, v11
	s_mov_b32 s2, 0x40c0100
	v_perm_b32 v11, v13, v11, s2
	v_cmp_gt_u32_e32 vcc, s40, v27
	v_cndmask_b32_e32 v11, v11, v18, vcc
	v_and_b32_e32 v11, 0xffffff, v11
	v_cmp_gt_u32_e32 vcc, s40, v26
	v_cndmask_b32_e32 v11, v11, v18, vcc
	v_and_b32_e32 v13, 0xffffff00, v19
	v_cmp_gt_u32_e32 vcc, s40, v25
	v_cndmask_b32_e32 v13, v13, v19, vcc
	v_and_b32_e32 v13, 0xffff00ff, v13
	v_cndmask_b32_e32 v11, v11, v18, vcc
	v_cmp_gt_u32_e32 vcc, s40, v24
	v_cndmask_b32_e32 v13, v13, v19, vcc
	v_lshrrev_b32_e32 v24, 24, v13
	s_waitcnt vmcnt(0)
	v_and_b32_e32 v10, 0xffff0000, v12
	v_cndmask_b32_e32 v11, v11, v18, vcc
	v_perm_b32 v13, v24, v13, s2
	v_cmp_gt_u32_e32 vcc, s40, v23
	v_cmp_gt_u32_e64 s[2:3], s40, v21
	v_cmp_gt_u32_e64 s[4:5], s40, v20
	v_cndmask_b32_e32 v13, v13, v19, vcc
	v_cndmask_b32_e32 v11, v11, v18, vcc
	v_cmp_gt_u32_e32 vcc, s40, v22
	v_cndmask_b32_e64 v10, v10, v12, s[2:3]
	s_or_b64 s[2:3], s[4:5], s[2:3]
	s_or_b64 vcc, s[2:3], vcc
	v_and_b32_e32 v10, 0xffff00ff, v10
	v_cndmask_b32_e32 v11, v11, v18, vcc
	s_mov_b32 s2, 0x3020104
	v_cndmask_b32_e64 v10, v10, v12, s[4:5]
	v_perm_b32 v18, v11, v11, s2
	v_mov_b32_e32 v11, 8
	v_lshrrev_b32_sdwa v11, v11, v10 dst_sel:BYTE_1 dst_unused:UNUSED_PAD src0_sel:DWORD src1_sel:DWORD
	v_and_b32_e32 v13, 0xffffff, v13
	v_or_b32_sdwa v10, v10, v11 dst_sel:DWORD dst_unused:UNUSED_PAD src0_sel:BYTE_0 src1_sel:DWORD
	v_cndmask_b32_e32 v19, v13, v19, vcc
	v_and_b32_e32 v12, 0xffff, v10
.LBB627_51:
	s_waitcnt vmcnt(0)
	v_alignbit_b32 v10, v19, v18, 24
	v_bfe_u32 v29, v18, 16, 8
	v_and_b32_e32 v31, 0xff, v10
	v_add_u32_sdwa v11, v18, v18 dst_sel:DWORD dst_unused:UNUSED_PAD src0_sel:BYTE_1 src1_sel:BYTE_0
	v_and_b32_e32 v33, 0xff, v19
	v_bfe_u32 v35, v19, 8, 8
	v_add3_u32 v11, v11, v29, v31
	v_bfe_u32 v37, v19, 16, 8
	v_lshrrev_b32_e32 v13, 24, v19
	v_add3_u32 v11, v11, v33, v35
	v_and_b32_e32 v39, 0xff, v12
	v_bfe_u32 v10, v12, 8, 8
	v_add3_u32 v11, v11, v37, v13
	v_add3_u32 v44, v11, v39, v10
	v_mbcnt_lo_u32_b32 v10, -1, 0
	v_mbcnt_hi_u32_b32 v41, -1, v10
	v_and_b32_e32 v10, 15, v41
	v_cmp_eq_u32_e64 s[14:15], 0, v10
	v_cmp_lt_u32_e64 s[12:13], 1, v10
	v_cmp_lt_u32_e64 s[10:11], 3, v10
	;; [unrolled: 1-line block ×3, first 2 shown]
	v_and_b32_e32 v10, 16, v41
	v_cmp_eq_u32_e64 s[6:7], 0, v10
	v_or_b32_e32 v10, 63, v0
	v_cmp_lt_u32_e64 s[2:3], 31, v41
	v_lshrrev_b32_e32 v43, 6, v0
	v_cmp_eq_u32_e64 s[4:5], v10, v0
	s_and_b64 vcc, exec, s[36:37]
	s_waitcnt lgkmcnt(0)
	s_barrier
	s_cbranch_vccz .LBB627_82
; %bb.52:
	v_mov_b32_dpp v10, v44 row_shr:1 row_mask:0xf bank_mask:0xf
	v_cndmask_b32_e64 v10, v10, 0, s[14:15]
	v_add_u32_e32 v10, v10, v44
	s_nop 1
	v_mov_b32_dpp v11, v10 row_shr:2 row_mask:0xf bank_mask:0xf
	v_cndmask_b32_e64 v11, 0, v11, s[12:13]
	v_add_u32_e32 v10, v10, v11
	s_nop 1
	;; [unrolled: 4-line block ×4, first 2 shown]
	v_mov_b32_dpp v11, v10 row_bcast:15 row_mask:0xf bank_mask:0xf
	v_cndmask_b32_e64 v11, v11, 0, s[6:7]
	v_add_u32_e32 v10, v10, v11
	s_nop 1
	v_mov_b32_dpp v11, v10 row_bcast:31 row_mask:0xf bank_mask:0xf
	v_cndmask_b32_e64 v11, 0, v11, s[2:3]
	v_add_u32_e32 v10, v10, v11
	s_and_saveexec_b64 s[16:17], s[4:5]
	s_cbranch_execz .LBB627_54
; %bb.53:
	v_lshlrev_b32_e32 v11, 2, v43
	ds_write_b32 v11, v10
.LBB627_54:
	s_or_b64 exec, exec, s[16:17]
	v_cmp_gt_u32_e32 vcc, 4, v0
	s_waitcnt lgkmcnt(0)
	s_barrier
	s_and_saveexec_b64 s[16:17], vcc
	s_cbranch_execz .LBB627_56
; %bb.55:
	v_lshlrev_b32_e32 v11, 2, v0
	ds_read_b32 v20, v11
	v_and_b32_e32 v21, 3, v41
	v_cmp_ne_u32_e32 vcc, 0, v21
	s_waitcnt lgkmcnt(0)
	v_mov_b32_dpp v22, v20 row_shr:1 row_mask:0xf bank_mask:0xf
	v_cndmask_b32_e32 v22, 0, v22, vcc
	v_add_u32_e32 v20, v22, v20
	v_cmp_lt_u32_e32 vcc, 1, v21
	s_nop 0
	v_mov_b32_dpp v22, v20 row_shr:2 row_mask:0xf bank_mask:0xf
	v_cndmask_b32_e32 v21, 0, v22, vcc
	v_add_u32_e32 v20, v20, v21
	ds_write_b32 v11, v20
.LBB627_56:
	s_or_b64 exec, exec, s[16:17]
	v_cmp_gt_u32_e32 vcc, 64, v0
	v_cmp_lt_u32_e64 s[16:17], 63, v0
	s_waitcnt lgkmcnt(0)
	s_barrier
	s_waitcnt lgkmcnt(0)
                                        ; implicit-def: $vgpr28
	s_and_saveexec_b64 s[18:19], s[16:17]
	s_cbranch_execz .LBB627_58
; %bb.57:
	v_lshl_add_u32 v11, v43, 2, -4
	ds_read_b32 v28, v11
	s_waitcnt lgkmcnt(0)
	v_add_u32_e32 v10, v28, v10
.LBB627_58:
	s_or_b64 exec, exec, s[18:19]
	v_add_u32_e32 v11, -1, v41
	v_and_b32_e32 v20, 64, v41
	v_cmp_lt_i32_e64 s[16:17], v11, v20
	v_cndmask_b32_e64 v11, v11, v41, s[16:17]
	v_lshlrev_b32_e32 v11, 2, v11
	ds_bpermute_b32 v30, v11, v10
	v_cmp_eq_u32_e64 s[16:17], 0, v41
	s_and_saveexec_b64 s[18:19], vcc
	s_cbranch_execz .LBB627_81
; %bb.59:
	v_mov_b32_e32 v27, 0
	ds_read_b32 v10, v27 offset:12
	s_and_saveexec_b64 s[20:21], s[16:17]
	s_cbranch_execz .LBB627_61
; %bb.60:
	s_add_i32 s34, s33, 64
	s_mov_b32 s35, 0
	s_lshl_b64 s[34:35], s[34:35], 3
	s_add_u32 s34, s30, s34
	v_mov_b32_e32 v11, 1
	s_addc_u32 s35, s31, s35
	s_waitcnt lgkmcnt(0)
	global_store_dwordx2 v27, v[10:11], s[34:35]
.LBB627_61:
	s_or_b64 exec, exec, s[20:21]
	v_xad_u32 v20, v41, -1, s33
	v_add_u32_e32 v26, 64, v20
	v_lshlrev_b64 v[22:23], 3, v[26:27]
	v_mov_b32_e32 v11, s31
	v_add_co_u32_e32 v22, vcc, s30, v22
	v_addc_co_u32_e32 v23, vcc, v11, v23, vcc
	global_load_dwordx2 v[24:25], v[22:23], off glc
	s_waitcnt vmcnt(0)
	v_cmp_eq_u16_sdwa s[34:35], v25, v27 src0_sel:BYTE_0 src1_sel:DWORD
	s_and_saveexec_b64 s[20:21], s[34:35]
	s_cbranch_execz .LBB627_67
; %bb.62:
	s_mov_b32 s36, 1
	s_mov_b64 s[34:35], 0
	v_mov_b32_e32 v11, 0
.LBB627_63:                             ; =>This Loop Header: Depth=1
                                        ;     Child Loop BB627_64 Depth 2
	s_max_u32 s37, s36, 1
.LBB627_64:                             ;   Parent Loop BB627_63 Depth=1
                                        ; =>  This Inner Loop Header: Depth=2
	s_add_i32 s37, s37, -1
	s_cmp_eq_u32 s37, 0
	s_sleep 1
	s_cbranch_scc0 .LBB627_64
; %bb.65:                               ;   in Loop: Header=BB627_63 Depth=1
	global_load_dwordx2 v[24:25], v[22:23], off glc
	s_cmp_lt_u32 s36, 32
	s_cselect_b64 s[38:39], -1, 0
	s_cmp_lg_u64 s[38:39], 0
	s_addc_u32 s36, s36, 0
	s_waitcnt vmcnt(0)
	v_cmp_ne_u16_sdwa s[38:39], v25, v11 src0_sel:BYTE_0 src1_sel:DWORD
	s_or_b64 s[34:35], s[38:39], s[34:35]
	s_andn2_b64 exec, exec, s[34:35]
	s_cbranch_execnz .LBB627_63
; %bb.66:
	s_or_b64 exec, exec, s[34:35]
.LBB627_67:
	s_or_b64 exec, exec, s[20:21]
	v_and_b32_e32 v34, 63, v41
	v_mov_b32_e32 v32, 2
	v_cmp_ne_u32_e32 vcc, 63, v34
	v_cmp_eq_u16_sdwa s[20:21], v25, v32 src0_sel:BYTE_0 src1_sel:DWORD
	v_lshlrev_b64 v[22:23], v41, -1
	v_addc_co_u32_e32 v26, vcc, 0, v41, vcc
	v_and_b32_e32 v11, s21, v23
	v_lshlrev_b32_e32 v36, 2, v26
	v_or_b32_e32 v11, 0x80000000, v11
	ds_bpermute_b32 v26, v36, v24
	v_and_b32_e32 v21, s20, v22
	v_ffbl_b32_e32 v11, v11
	v_add_u32_e32 v11, 32, v11
	v_ffbl_b32_e32 v21, v21
	v_min_u32_e32 v11, v21, v11
	v_cmp_lt_u32_e32 vcc, v34, v11
	s_waitcnt lgkmcnt(0)
	v_cndmask_b32_e32 v21, 0, v26, vcc
	v_cmp_gt_u32_e32 vcc, 62, v34
	v_add_u32_e32 v21, v21, v24
	v_cndmask_b32_e64 v24, 0, 1, vcc
	v_lshlrev_b32_e32 v24, 1, v24
	v_add_lshl_u32 v38, v24, v41, 2
	ds_bpermute_b32 v24, v38, v21
	v_add_u32_e32 v40, 2, v34
	v_cmp_le_u32_e32 vcc, v40, v11
	v_add_u32_e32 v45, 4, v34
	v_add_u32_e32 v47, 8, v34
	s_waitcnt lgkmcnt(0)
	v_cndmask_b32_e32 v24, 0, v24, vcc
	v_cmp_gt_u32_e32 vcc, 60, v34
	v_add_u32_e32 v21, v21, v24
	v_cndmask_b32_e64 v24, 0, 1, vcc
	v_lshlrev_b32_e32 v24, 2, v24
	v_add_lshl_u32 v42, v24, v41, 2
	ds_bpermute_b32 v24, v42, v21
	v_cmp_le_u32_e32 vcc, v45, v11
	v_add_u32_e32 v49, 16, v34
	v_add_u32_e32 v51, 32, v34
	s_waitcnt lgkmcnt(0)
	v_cndmask_b32_e32 v24, 0, v24, vcc
	v_cmp_gt_u32_e32 vcc, 56, v34
	v_add_u32_e32 v21, v21, v24
	v_cndmask_b32_e64 v24, 0, 1, vcc
	v_lshlrev_b32_e32 v24, 3, v24
	v_add_lshl_u32 v46, v24, v41, 2
	ds_bpermute_b32 v24, v46, v21
	v_cmp_le_u32_e32 vcc, v47, v11
	s_waitcnt lgkmcnt(0)
	v_cndmask_b32_e32 v24, 0, v24, vcc
	v_cmp_gt_u32_e32 vcc, 48, v34
	v_add_u32_e32 v21, v21, v24
	v_cndmask_b32_e64 v24, 0, 1, vcc
	v_lshlrev_b32_e32 v24, 4, v24
	v_add_lshl_u32 v48, v24, v41, 2
	ds_bpermute_b32 v24, v48, v21
	v_cmp_le_u32_e32 vcc, v49, v11
	;; [unrolled: 9-line block ×3, first 2 shown]
	s_waitcnt lgkmcnt(0)
	v_cndmask_b32_e32 v11, 0, v24, vcc
	v_add_u32_e32 v24, v21, v11
	v_mov_b32_e32 v21, 0
	s_branch .LBB627_69
.LBB627_68:                             ;   in Loop: Header=BB627_69 Depth=1
	s_or_b64 exec, exec, s[20:21]
	v_cmp_eq_u16_sdwa s[20:21], v25, v32 src0_sel:BYTE_0 src1_sel:DWORD
	v_and_b32_e32 v26, s21, v23
	v_or_b32_e32 v26, 0x80000000, v26
	ds_bpermute_b32 v52, v36, v24
	v_and_b32_e32 v27, s20, v22
	v_ffbl_b32_e32 v26, v26
	v_add_u32_e32 v26, 32, v26
	v_ffbl_b32_e32 v27, v27
	v_min_u32_e32 v26, v27, v26
	v_cmp_lt_u32_e32 vcc, v34, v26
	s_waitcnt lgkmcnt(0)
	v_cndmask_b32_e32 v27, 0, v52, vcc
	v_add_u32_e32 v24, v27, v24
	ds_bpermute_b32 v27, v38, v24
	v_cmp_le_u32_e32 vcc, v40, v26
	v_subrev_u32_e32 v20, 64, v20
	s_waitcnt lgkmcnt(0)
	v_cndmask_b32_e32 v27, 0, v27, vcc
	v_add_u32_e32 v24, v24, v27
	ds_bpermute_b32 v27, v42, v24
	v_cmp_le_u32_e32 vcc, v45, v26
	s_waitcnt lgkmcnt(0)
	v_cndmask_b32_e32 v27, 0, v27, vcc
	v_add_u32_e32 v24, v24, v27
	ds_bpermute_b32 v27, v46, v24
	v_cmp_le_u32_e32 vcc, v47, v26
	;; [unrolled: 5-line block ×4, first 2 shown]
	s_waitcnt lgkmcnt(0)
	v_cndmask_b32_e32 v26, 0, v27, vcc
	v_add3_u32 v24, v26, v11, v24
.LBB627_69:                             ; =>This Loop Header: Depth=1
                                        ;     Child Loop BB627_72 Depth 2
                                        ;       Child Loop BB627_73 Depth 3
	v_cmp_ne_u16_sdwa s[20:21], v25, v32 src0_sel:BYTE_0 src1_sel:DWORD
	v_cndmask_b32_e64 v11, 0, 1, s[20:21]
	;;#ASMSTART
	;;#ASMEND
	v_cmp_ne_u32_e32 vcc, 0, v11
	s_cmp_lg_u64 vcc, exec
	v_mov_b32_e32 v11, v24
	s_cbranch_scc1 .LBB627_76
; %bb.70:                               ;   in Loop: Header=BB627_69 Depth=1
	v_lshlrev_b64 v[24:25], 3, v[20:21]
	v_mov_b32_e32 v27, s31
	v_add_co_u32_e32 v26, vcc, s30, v24
	v_addc_co_u32_e32 v27, vcc, v27, v25, vcc
	global_load_dwordx2 v[24:25], v[26:27], off glc
	s_waitcnt vmcnt(0)
	v_cmp_eq_u16_sdwa s[34:35], v25, v21 src0_sel:BYTE_0 src1_sel:DWORD
	s_and_saveexec_b64 s[20:21], s[34:35]
	s_cbranch_execz .LBB627_68
; %bb.71:                               ;   in Loop: Header=BB627_69 Depth=1
	s_mov_b32 s36, 1
	s_mov_b64 s[34:35], 0
.LBB627_72:                             ;   Parent Loop BB627_69 Depth=1
                                        ; =>  This Loop Header: Depth=2
                                        ;       Child Loop BB627_73 Depth 3
	s_max_u32 s37, s36, 1
.LBB627_73:                             ;   Parent Loop BB627_69 Depth=1
                                        ;     Parent Loop BB627_72 Depth=2
                                        ; =>    This Inner Loop Header: Depth=3
	s_add_i32 s37, s37, -1
	s_cmp_eq_u32 s37, 0
	s_sleep 1
	s_cbranch_scc0 .LBB627_73
; %bb.74:                               ;   in Loop: Header=BB627_72 Depth=2
	global_load_dwordx2 v[24:25], v[26:27], off glc
	s_cmp_lt_u32 s36, 32
	s_cselect_b64 s[38:39], -1, 0
	s_cmp_lg_u64 s[38:39], 0
	s_addc_u32 s36, s36, 0
	s_waitcnt vmcnt(0)
	v_cmp_ne_u16_sdwa s[38:39], v25, v21 src0_sel:BYTE_0 src1_sel:DWORD
	s_or_b64 s[34:35], s[38:39], s[34:35]
	s_andn2_b64 exec, exec, s[34:35]
	s_cbranch_execnz .LBB627_72
; %bb.75:                               ;   in Loop: Header=BB627_69 Depth=1
	s_or_b64 exec, exec, s[34:35]
	s_branch .LBB627_68
.LBB627_76:                             ;   in Loop: Header=BB627_69 Depth=1
                                        ; implicit-def: $vgpr24
                                        ; implicit-def: $vgpr25
	s_cbranch_execz .LBB627_69
; %bb.77:
	s_and_saveexec_b64 s[20:21], s[16:17]
	s_cbranch_execz .LBB627_79
; %bb.78:
	s_add_i32 s34, s33, 64
	s_mov_b32 s35, 0
	s_lshl_b64 s[34:35], s[34:35], 3
	s_add_u32 s34, s30, s34
	v_add_u32_e32 v20, v11, v10
	v_mov_b32_e32 v21, 2
	s_addc_u32 s35, s31, s35
	v_mov_b32_e32 v22, 0
	global_store_dwordx2 v22, v[20:21], s[34:35]
	ds_write_b64 v22, v[10:11] offset:10240
.LBB627_79:
	s_or_b64 exec, exec, s[20:21]
	s_and_b64 exec, exec, s[0:1]
	s_cbranch_execz .LBB627_81
; %bb.80:
	v_mov_b32_e32 v10, 0
	ds_write_b32 v10, v11 offset:12
.LBB627_81:
	s_or_b64 exec, exec, s[18:19]
	v_mov_b32_e32 v10, 0
	s_waitcnt lgkmcnt(0)
	s_barrier
	ds_read_b32 v11, v10 offset:12
	v_cndmask_b32_e64 v20, v30, v28, s[16:17]
	v_cndmask_b32_e64 v20, v20, 0, s[0:1]
	s_waitcnt lgkmcnt(0)
	s_barrier
	v_add_u32_e32 v42, v11, v20
	v_add_u32_sdwa v40, v42, v18 dst_sel:DWORD dst_unused:UNUSED_PAD src0_sel:DWORD src1_sel:BYTE_0
	v_add_u32_sdwa v38, v40, v18 dst_sel:DWORD dst_unused:UNUSED_PAD src0_sel:DWORD src1_sel:BYTE_1
	v_add_u32_e32 v36, v38, v29
	v_add_u32_e32 v34, v36, v31
	ds_read_b64 v[10:11], v10 offset:10240
	v_add_u32_e32 v32, v34, v33
	v_add_u32_e32 v30, v32, v35
	;; [unrolled: 1-line block ×5, first 2 shown]
	s_waitcnt lgkmcnt(0)
	v_mov_b32_e32 v20, v11
	v_lshrrev_b64 v[26:27], 24, v[18:19]
	s_branch .LBB627_92
.LBB627_82:
                                        ; implicit-def: $vgpr20
                                        ; implicit-def: $vgpr10
                                        ; implicit-def: $vgpr22
                                        ; implicit-def: $vgpr24
                                        ; implicit-def: $vgpr28
                                        ; implicit-def: $vgpr30
                                        ; implicit-def: $vgpr32
                                        ; implicit-def: $vgpr34
                                        ; implicit-def: $vgpr36
                                        ; implicit-def: $vgpr38
                                        ; implicit-def: $vgpr40
                                        ; implicit-def: $vgpr42
	v_lshrrev_b64 v[26:27], 24, v[18:19]
	s_cbranch_execz .LBB627_92
; %bb.83:
	v_mov_b32_dpp v10, v44 row_shr:1 row_mask:0xf bank_mask:0xf
	v_cndmask_b32_e64 v10, v10, 0, s[14:15]
	v_add_u32_e32 v10, v10, v44
	s_nop 1
	v_mov_b32_dpp v11, v10 row_shr:2 row_mask:0xf bank_mask:0xf
	v_cndmask_b32_e64 v11, 0, v11, s[12:13]
	v_add_u32_e32 v10, v10, v11
	s_nop 1
	;; [unrolled: 4-line block ×4, first 2 shown]
	v_mov_b32_dpp v11, v10 row_bcast:15 row_mask:0xf bank_mask:0xf
	v_cndmask_b32_e64 v11, v11, 0, s[6:7]
	v_add_u32_e32 v10, v10, v11
	s_nop 1
	v_mov_b32_dpp v11, v10 row_bcast:31 row_mask:0xf bank_mask:0xf
	v_cndmask_b32_e64 v11, 0, v11, s[2:3]
	v_add_u32_e32 v10, v10, v11
	s_and_saveexec_b64 s[2:3], s[4:5]
	s_cbranch_execz .LBB627_85
; %bb.84:
	v_lshlrev_b32_e32 v11, 2, v43
	ds_write_b32 v11, v10
.LBB627_85:
	s_or_b64 exec, exec, s[2:3]
	v_cmp_gt_u32_e32 vcc, 4, v0
	s_waitcnt lgkmcnt(0)
	s_barrier
	s_and_saveexec_b64 s[2:3], vcc
	s_cbranch_execz .LBB627_87
; %bb.86:
	s_movk_i32 s4, 0xffdc
	v_mad_i32_i24 v1, v0, s4, v1
	ds_read_b32 v11, v1
	v_and_b32_e32 v20, 3, v41
	v_cmp_ne_u32_e32 vcc, 0, v20
	s_waitcnt lgkmcnt(0)
	v_mov_b32_dpp v21, v11 row_shr:1 row_mask:0xf bank_mask:0xf
	v_cndmask_b32_e32 v21, 0, v21, vcc
	v_add_u32_e32 v11, v21, v11
	v_cmp_lt_u32_e32 vcc, 1, v20
	s_nop 0
	v_mov_b32_dpp v21, v11 row_shr:2 row_mask:0xf bank_mask:0xf
	v_cndmask_b32_e32 v20, 0, v21, vcc
	v_add_u32_e32 v11, v11, v20
	ds_write_b32 v1, v11
.LBB627_87:
	s_or_b64 exec, exec, s[2:3]
	v_cmp_lt_u32_e32 vcc, 63, v0
	v_mov_b32_e32 v11, 0
	v_mov_b32_e32 v1, 0
	s_waitcnt lgkmcnt(0)
	s_barrier
	s_and_saveexec_b64 s[2:3], vcc
	s_cbranch_execz .LBB627_89
; %bb.88:
	v_lshl_add_u32 v1, v43, 2, -4
	ds_read_b32 v1, v1
.LBB627_89:
	s_or_b64 exec, exec, s[2:3]
	v_add_u32_e32 v20, -1, v41
	v_and_b32_e32 v21, 64, v41
	v_cmp_lt_i32_e32 vcc, v20, v21
	v_cndmask_b32_e32 v20, v20, v41, vcc
	s_waitcnt lgkmcnt(0)
	v_add_u32_e32 v10, v1, v10
	v_lshlrev_b32_e32 v20, 2, v20
	ds_bpermute_b32 v20, v20, v10
	ds_read_b32 v10, v11 offset:12
	s_and_saveexec_b64 s[2:3], s[0:1]
	s_cbranch_execz .LBB627_91
; %bb.90:
	v_mov_b32_e32 v21, 0
	v_mov_b32_e32 v11, 2
	s_waitcnt lgkmcnt(0)
	global_store_dwordx2 v21, v[10:11], s[30:31] offset:512
.LBB627_91:
	s_or_b64 exec, exec, s[2:3]
	v_cmp_eq_u32_e32 vcc, 0, v41
	s_waitcnt lgkmcnt(1)
	v_cndmask_b32_e32 v1, v20, v1, vcc
	v_cndmask_b32_e64 v42, v1, 0, s[0:1]
	v_add_u32_sdwa v40, v42, v18 dst_sel:DWORD dst_unused:UNUSED_PAD src0_sel:DWORD src1_sel:BYTE_0
	v_add_u32_sdwa v38, v40, v18 dst_sel:DWORD dst_unused:UNUSED_PAD src0_sel:DWORD src1_sel:BYTE_1
	v_add_u32_e32 v36, v38, v29
	v_add_u32_e32 v34, v36, v31
	;; [unrolled: 1-line block ×6, first 2 shown]
	v_mov_b32_e32 v20, 0
	v_add_u32_e32 v22, v24, v39
	s_waitcnt lgkmcnt(0)
	s_barrier
.LBB627_92:
	s_movk_i32 s2, 0x101
	v_cmp_gt_u32_e32 vcc, s2, v10
	v_lshrrev_b32_e32 v21, 8, v18
	v_lshrrev_b32_e32 v11, 8, v19
	v_lshrrev_b32_e32 v1, 8, v12
	s_mov_b64 s[2:3], -1
	s_cbranch_vccnz .LBB627_96
; %bb.93:
	s_and_b64 vcc, exec, s[2:3]
	s_cbranch_vccnz .LBB627_127
.LBB627_94:
	s_and_b64 s[0:1], s[0:1], s[22:23]
	s_and_saveexec_b64 s[2:3], s[0:1]
	s_cbranch_execnz .LBB627_163
.LBB627_95:
	s_endpgm
.LBB627_96:
	v_lshlrev_b64 v[44:45], 2, v[14:15]
	v_mov_b32_e32 v25, s29
	v_add_co_u32_e32 v27, vcc, s28, v44
	v_add_u32_e32 v23, v20, v10
	v_addc_co_u32_e32 v44, vcc, v25, v45, vcc
	v_cmp_lt_u32_e32 vcc, v42, v23
	s_or_b64 s[4:5], s[26:27], vcc
	s_and_saveexec_b64 s[2:3], s[4:5]
	s_cbranch_execz .LBB627_99
; %bb.97:
	v_and_b32_e32 v25, 1, v18
	v_cmp_eq_u32_e32 vcc, 1, v25
	s_and_b64 exec, exec, vcc
	s_cbranch_execz .LBB627_99
; %bb.98:
	v_mov_b32_e32 v43, 0
	v_lshlrev_b64 v[46:47], 2, v[42:43]
	v_add_co_u32_e32 v46, vcc, v27, v46
	v_addc_co_u32_e32 v47, vcc, v44, v47, vcc
	global_store_dword v[46:47], v6, off
.LBB627_99:
	s_or_b64 exec, exec, s[2:3]
	v_cmp_lt_u32_e32 vcc, v40, v23
	s_or_b64 s[4:5], s[26:27], vcc
	s_and_saveexec_b64 s[2:3], s[4:5]
	s_cbranch_execz .LBB627_102
; %bb.100:
	v_and_b32_e32 v25, 1, v21
	v_cmp_eq_u32_e32 vcc, 1, v25
	s_and_b64 exec, exec, vcc
	s_cbranch_execz .LBB627_102
; %bb.101:
	v_mov_b32_e32 v41, 0
	v_lshlrev_b64 v[46:47], 2, v[40:41]
	v_add_co_u32_e32 v46, vcc, v27, v46
	v_addc_co_u32_e32 v47, vcc, v44, v47, vcc
	global_store_dword v[46:47], v7, off
.LBB627_102:
	s_or_b64 exec, exec, s[2:3]
	v_cmp_lt_u32_e32 vcc, v38, v23
	s_or_b64 s[4:5], s[26:27], vcc
	s_and_saveexec_b64 s[2:3], s[4:5]
	s_cbranch_execz .LBB627_105
; %bb.103:
	v_mov_b32_e32 v25, 1
	v_and_b32_sdwa v25, v25, v18 dst_sel:DWORD dst_unused:UNUSED_PAD src0_sel:DWORD src1_sel:WORD_1
	v_cmp_eq_u32_e32 vcc, 1, v25
	s_and_b64 exec, exec, vcc
	s_cbranch_execz .LBB627_105
; %bb.104:
	v_mov_b32_e32 v39, 0
	v_lshlrev_b64 v[46:47], 2, v[38:39]
	v_add_co_u32_e32 v46, vcc, v27, v46
	v_addc_co_u32_e32 v47, vcc, v44, v47, vcc
	global_store_dword v[46:47], v8, off
.LBB627_105:
	s_or_b64 exec, exec, s[2:3]
	v_cmp_lt_u32_e32 vcc, v36, v23
	s_or_b64 s[4:5], s[26:27], vcc
	s_and_saveexec_b64 s[2:3], s[4:5]
	s_cbranch_execz .LBB627_108
; %bb.106:
	v_and_b32_e32 v25, 1, v26
	v_cmp_eq_u32_e32 vcc, 1, v25
	s_and_b64 exec, exec, vcc
	s_cbranch_execz .LBB627_108
; %bb.107:
	v_mov_b32_e32 v37, 0
	v_lshlrev_b64 v[46:47], 2, v[36:37]
	v_add_co_u32_e32 v46, vcc, v27, v46
	v_addc_co_u32_e32 v47, vcc, v44, v47, vcc
	global_store_dword v[46:47], v9, off
.LBB627_108:
	s_or_b64 exec, exec, s[2:3]
	v_cmp_lt_u32_e32 vcc, v34, v23
	s_or_b64 s[4:5], s[26:27], vcc
	s_and_saveexec_b64 s[2:3], s[4:5]
	s_cbranch_execz .LBB627_111
; %bb.109:
	v_and_b32_e32 v25, 1, v19
	v_cmp_eq_u32_e32 vcc, 1, v25
	s_and_b64 exec, exec, vcc
	s_cbranch_execz .LBB627_111
; %bb.110:
	v_mov_b32_e32 v35, 0
	v_lshlrev_b64 v[46:47], 2, v[34:35]
	v_add_co_u32_e32 v46, vcc, v27, v46
	v_addc_co_u32_e32 v47, vcc, v44, v47, vcc
	global_store_dword v[46:47], v2, off
.LBB627_111:
	;; [unrolled: 17-line block ×3, first 2 shown]
	s_or_b64 exec, exec, s[2:3]
	v_cmp_lt_u32_e32 vcc, v30, v23
	s_or_b64 s[4:5], s[26:27], vcc
	s_and_saveexec_b64 s[2:3], s[4:5]
	s_cbranch_execz .LBB627_117
; %bb.115:
	v_mov_b32_e32 v25, 1
	v_and_b32_sdwa v25, v25, v19 dst_sel:DWORD dst_unused:UNUSED_PAD src0_sel:DWORD src1_sel:WORD_1
	v_cmp_eq_u32_e32 vcc, 1, v25
	s_and_b64 exec, exec, vcc
	s_cbranch_execz .LBB627_117
; %bb.116:
	v_mov_b32_e32 v31, 0
	v_lshlrev_b64 v[46:47], 2, v[30:31]
	v_add_co_u32_e32 v46, vcc, v27, v46
	v_addc_co_u32_e32 v47, vcc, v44, v47, vcc
	global_store_dword v[46:47], v4, off
.LBB627_117:
	s_or_b64 exec, exec, s[2:3]
	v_cmp_lt_u32_e32 vcc, v28, v23
	s_or_b64 s[4:5], s[26:27], vcc
	s_and_saveexec_b64 s[2:3], s[4:5]
	s_cbranch_execz .LBB627_120
; %bb.118:
	v_and_b32_e32 v25, 1, v13
	v_cmp_eq_u32_e32 vcc, 1, v25
	s_and_b64 exec, exec, vcc
	s_cbranch_execz .LBB627_120
; %bb.119:
	v_mov_b32_e32 v29, 0
	v_lshlrev_b64 v[46:47], 2, v[28:29]
	v_add_co_u32_e32 v46, vcc, v27, v46
	v_addc_co_u32_e32 v47, vcc, v44, v47, vcc
	global_store_dword v[46:47], v5, off
.LBB627_120:
	s_or_b64 exec, exec, s[2:3]
	v_cmp_lt_u32_e32 vcc, v24, v23
	s_or_b64 s[4:5], s[26:27], vcc
	s_and_saveexec_b64 s[2:3], s[4:5]
	s_cbranch_execz .LBB627_123
; %bb.121:
	v_and_b32_e32 v25, 1, v12
	v_cmp_eq_u32_e32 vcc, 1, v25
	s_and_b64 exec, exec, vcc
	s_cbranch_execz .LBB627_123
; %bb.122:
	v_mov_b32_e32 v25, 0
	v_lshlrev_b64 v[46:47], 2, v[24:25]
	v_add_co_u32_e32 v46, vcc, v27, v46
	v_addc_co_u32_e32 v47, vcc, v44, v47, vcc
	global_store_dword v[46:47], v16, off
.LBB627_123:
	;; [unrolled: 17-line block ×3, first 2 shown]
	s_or_b64 exec, exec, s[2:3]
	s_branch .LBB627_94
.LBB627_127:
	v_and_b32_e32 v23, 1, v18
	v_cmp_eq_u32_e32 vcc, 1, v23
	s_and_saveexec_b64 s[2:3], vcc
	s_cbranch_execz .LBB627_129
; %bb.128:
	v_sub_u32_e32 v23, v42, v20
	v_lshlrev_b32_e32 v23, 2, v23
	ds_write_b32 v23, v6
.LBB627_129:
	s_or_b64 exec, exec, s[2:3]
	v_and_b32_e32 v6, 1, v21
	v_cmp_eq_u32_e32 vcc, 1, v6
	s_and_saveexec_b64 s[2:3], vcc
	s_cbranch_execz .LBB627_131
; %bb.130:
	v_sub_u32_e32 v6, v40, v20
	v_lshlrev_b32_e32 v6, 2, v6
	ds_write_b32 v6, v7
.LBB627_131:
	s_or_b64 exec, exec, s[2:3]
	v_mov_b32_e32 v6, 1
	v_and_b32_sdwa v6, v6, v18 dst_sel:DWORD dst_unused:UNUSED_PAD src0_sel:DWORD src1_sel:WORD_1
	v_cmp_eq_u32_e32 vcc, 1, v6
	s_and_saveexec_b64 s[2:3], vcc
	s_cbranch_execz .LBB627_133
; %bb.132:
	v_sub_u32_e32 v6, v38, v20
	v_lshlrev_b32_e32 v6, 2, v6
	ds_write_b32 v6, v8
.LBB627_133:
	s_or_b64 exec, exec, s[2:3]
	v_and_b32_e32 v6, 1, v26
	v_cmp_eq_u32_e32 vcc, 1, v6
	s_and_saveexec_b64 s[2:3], vcc
	s_cbranch_execz .LBB627_135
; %bb.134:
	v_sub_u32_e32 v6, v36, v20
	v_lshlrev_b32_e32 v6, 2, v6
	ds_write_b32 v6, v9
.LBB627_135:
	s_or_b64 exec, exec, s[2:3]
	v_and_b32_e32 v6, 1, v19
	v_cmp_eq_u32_e32 vcc, 1, v6
	s_and_saveexec_b64 s[2:3], vcc
	s_cbranch_execz .LBB627_137
; %bb.136:
	v_sub_u32_e32 v6, v34, v20
	v_lshlrev_b32_e32 v6, 2, v6
	ds_write_b32 v6, v2
.LBB627_137:
	s_or_b64 exec, exec, s[2:3]
	v_and_b32_e32 v2, 1, v11
	v_cmp_eq_u32_e32 vcc, 1, v2
	s_and_saveexec_b64 s[2:3], vcc
	s_cbranch_execz .LBB627_139
; %bb.138:
	v_sub_u32_e32 v2, v32, v20
	v_lshlrev_b32_e32 v2, 2, v2
	ds_write_b32 v2, v3
.LBB627_139:
	s_or_b64 exec, exec, s[2:3]
	v_mov_b32_e32 v2, 1
	v_and_b32_sdwa v2, v2, v19 dst_sel:DWORD dst_unused:UNUSED_PAD src0_sel:DWORD src1_sel:WORD_1
	v_cmp_eq_u32_e32 vcc, 1, v2
	s_and_saveexec_b64 s[2:3], vcc
	s_cbranch_execz .LBB627_141
; %bb.140:
	v_sub_u32_e32 v2, v30, v20
	v_lshlrev_b32_e32 v2, 2, v2
	ds_write_b32 v2, v4
.LBB627_141:
	s_or_b64 exec, exec, s[2:3]
	v_and_b32_e32 v2, 1, v13
	v_cmp_eq_u32_e32 vcc, 1, v2
	s_and_saveexec_b64 s[2:3], vcc
	s_cbranch_execz .LBB627_143
; %bb.142:
	v_sub_u32_e32 v2, v28, v20
	v_lshlrev_b32_e32 v2, 2, v2
	ds_write_b32 v2, v5
.LBB627_143:
	s_or_b64 exec, exec, s[2:3]
	v_and_b32_e32 v2, 1, v12
	;; [unrolled: 10-line block ×3, first 2 shown]
	v_cmp_eq_u32_e32 vcc, 1, v1
	s_and_saveexec_b64 s[2:3], vcc
	s_cbranch_execz .LBB627_147
; %bb.146:
	v_sub_u32_e32 v1, v22, v20
	v_lshlrev_b32_e32 v1, 2, v1
	ds_write_b32 v1, v17
.LBB627_147:
	s_or_b64 exec, exec, s[2:3]
	v_cmp_lt_u32_e32 vcc, v0, v10
	s_waitcnt lgkmcnt(0)
	s_barrier
	s_and_saveexec_b64 s[6:7], vcc
	s_cbranch_execz .LBB627_162
; %bb.148:
	v_lshlrev_b64 v[2:3], 2, v[14:15]
	v_mov_b32_e32 v21, 0
	v_mov_b32_e32 v1, s29
	v_add_co_u32_e32 v4, vcc, s28, v2
	v_addc_co_u32_e32 v1, vcc, v1, v3, vcc
	v_lshlrev_b64 v[2:3], 2, v[20:21]
	v_add_co_u32_e32 v6, vcc, v4, v2
	v_addc_co_u32_e32 v7, vcc, v1, v3, vcc
	v_xad_u32 v1, v0, -1, v10
	s_movk_i32 s2, 0x1700
	v_cmp_gt_u32_e32 vcc, s2, v1
	s_movk_i32 s2, 0x16ff
	v_cmp_lt_u32_e64 s[2:3], s2, v1
	s_and_saveexec_b64 s[8:9], s[2:3]
	s_cbranch_execz .LBB627_159
; %bb.149:
	v_sub_u32_e32 v2, v0, v10
	v_or_b32_e32 v2, 0xff, v2
	v_cmp_ge_u32_e64 s[2:3], v2, v0
	s_mov_b64 s[4:5], -1
	s_and_saveexec_b64 s[10:11], s[2:3]
	s_cbranch_execz .LBB627_158
; %bb.150:
	v_lshrrev_b32_e32 v8, 8, v1
	v_add_u32_e32 v2, -1, v8
	v_or_b32_e32 v1, 0x100, v0
	v_lshrrev_b32_e32 v3, 1, v2
	v_add_u32_e32 v11, 1, v3
	v_cmp_lt_u32_e64 s[2:3], 13, v2
	v_mov_b32_e32 v16, 0
	v_lshlrev_b32_e32 v9, 2, v0
	v_pk_mov_b32 v[2:3], v[0:1], v[0:1] op_sel:[0,1]
	s_and_saveexec_b64 s[12:13], s[2:3]
	s_cbranch_execz .LBB627_154
; %bb.151:
	v_and_b32_e32 v12, -8, v11
	s_mov_b32 s16, 0
	s_mov_b64 s[14:15], 0
	v_mov_b32_e32 v5, 0
	v_mov_b32_e32 v13, v9
	v_pk_mov_b32 v[2:3], v[0:1], v[0:1] op_sel:[0,1]
.LBB627_152:                            ; =>This Inner Loop Header: Depth=1
	v_mov_b32_e32 v4, v2
	v_add_u32_e32 v12, -8, v12
	v_lshlrev_b64 v[48:49], 2, v[4:5]
	v_mov_b32_e32 v4, v3
	ds_read2st64_b32 v[18:19], v13 offset1:4
	s_add_i32 s16, s16, 16
	v_cmp_eq_u32_e64 s[2:3], 0, v12
	v_lshlrev_b64 v[52:53], 2, v[4:5]
	v_add_u32_e32 v4, 0x200, v2
	s_or_b64 s[14:15], s[2:3], s[14:15]
	v_add_co_u32_e64 v52, s[2:3], v6, v52
	v_add_u32_e32 v16, 0x200, v3
	ds_read2st64_b32 v[22:23], v13 offset0:8 offset1:12
	v_mov_b32_e32 v17, v5
	ds_read2st64_b32 v[26:27], v13 offset0:16 offset1:20
	v_add_co_u32_e64 v48, s[4:5], v6, v48
	v_addc_co_u32_e64 v53, s[2:3], v7, v53, s[2:3]
	v_lshlrev_b64 v[54:55], 2, v[4:5]
	v_lshlrev_b64 v[50:51], 2, v[16:17]
	v_addc_co_u32_e64 v49, s[4:5], v7, v49, s[4:5]
	v_add_u32_e32 v4, 0x400, v2
	v_add_co_u32_e64 v54, s[2:3], v6, v54
	v_add_u32_e32 v24, 0x400, v3
	v_mov_b32_e32 v25, v5
	ds_read2st64_b32 v[30:31], v13 offset0:24 offset1:28
	v_add_co_u32_e64 v50, s[4:5], v6, v50
	v_addc_co_u32_e64 v55, s[2:3], v7, v55, s[2:3]
	v_lshlrev_b64 v[56:57], 2, v[4:5]
	ds_read2st64_b32 v[34:35], v13 offset0:32 offset1:36
	ds_read2st64_b32 v[38:39], v13 offset0:40 offset1:44
	;; [unrolled: 1-line block ×4, first 2 shown]
	v_lshlrev_b64 v[24:25], 2, v[24:25]
	v_addc_co_u32_e64 v51, s[4:5], v7, v51, s[4:5]
	v_add_u32_e32 v4, 0x600, v2
	s_waitcnt lgkmcnt(7)
	global_store_dword v[48:49], v18, off
	global_store_dword v[52:53], v19, off
	s_waitcnt lgkmcnt(6)
	global_store_dword v[54:55], v22, off
	global_store_dword v[50:51], v23, off
	v_add_co_u32_e64 v18, s[2:3], v6, v56
	v_add_u32_e32 v28, 0x600, v3
	v_mov_b32_e32 v29, v5
	v_add_co_u32_e64 v24, s[4:5], v6, v24
	v_addc_co_u32_e64 v19, s[2:3], v7, v57, s[2:3]
	v_lshlrev_b64 v[22:23], 2, v[4:5]
	v_lshlrev_b64 v[28:29], 2, v[28:29]
	v_addc_co_u32_e64 v25, s[4:5], v7, v25, s[4:5]
	v_add_u32_e32 v4, 0x800, v2
	s_waitcnt lgkmcnt(5)
	global_store_dword v[18:19], v26, off
	global_store_dword v[24:25], v27, off
	v_add_co_u32_e64 v18, s[2:3], v6, v22
	v_add_u32_e32 v32, 0x800, v3
	v_mov_b32_e32 v33, v5
	v_add_co_u32_e64 v28, s[4:5], v6, v28
	v_addc_co_u32_e64 v19, s[2:3], v7, v23, s[2:3]
	v_lshlrev_b64 v[22:23], 2, v[4:5]
	v_lshlrev_b64 v[32:33], 2, v[32:33]
	v_addc_co_u32_e64 v29, s[4:5], v7, v29, s[4:5]
	v_add_u32_e32 v4, 0xa00, v2
	;; [unrolled: 12-line block ×4, first 2 shown]
	s_waitcnt lgkmcnt(2)
	global_store_dword v[18:19], v38, off
	global_store_dword v[36:37], v39, off
	v_add_co_u32_e64 v18, s[2:3], v6, v22
	v_add_u32_e32 v44, 0xe00, v3
	v_mov_b32_e32 v45, v5
	v_add_co_u32_e64 v40, s[4:5], v6, v40
	v_addc_co_u32_e64 v19, s[2:3], v7, v23, s[2:3]
	v_lshlrev_b64 v[22:23], 2, v[4:5]
	v_lshlrev_b64 v[44:45], 2, v[44:45]
	v_addc_co_u32_e64 v41, s[4:5], v7, v41, s[4:5]
	s_waitcnt lgkmcnt(1)
	global_store_dword v[18:19], v42, off
	global_store_dword v[40:41], v43, off
	v_add_co_u32_e64 v18, s[2:3], v6, v22
	v_add_u32_e32 v13, 0x4000, v13
	v_add_u32_e32 v3, 0x1000, v3
	v_mov_b32_e32 v16, s16
	v_add_co_u32_e64 v44, s[4:5], v6, v44
	v_add_u32_e32 v2, 0x1000, v2
	v_addc_co_u32_e64 v19, s[2:3], v7, v23, s[2:3]
	v_addc_co_u32_e64 v45, s[4:5], v7, v45, s[4:5]
	s_waitcnt lgkmcnt(0)
	global_store_dword v[18:19], v46, off
	global_store_dword v[44:45], v47, off
	s_andn2_b64 exec, exec, s[14:15]
	s_cbranch_execnz .LBB627_152
; %bb.153:
	s_or_b64 exec, exec, s[14:15]
.LBB627_154:
	s_or_b64 exec, exec, s[12:13]
	v_and_b32_e32 v1, 7, v11
	v_cmp_ne_u32_e64 s[2:3], 0, v1
	s_and_saveexec_b64 s[12:13], s[2:3]
	s_cbranch_execz .LBB627_157
; %bb.155:
	v_lshl_or_b32 v9, v16, 10, v9
	s_mov_b64 s[14:15], 0
	v_mov_b32_e32 v5, 0
.LBB627_156:                            ; =>This Inner Loop Header: Depth=1
	ds_read2st64_b32 v[12:13], v9 offset1:4
	v_mov_b32_e32 v4, v2
	v_add_u32_e32 v1, -1, v1
	v_lshlrev_b64 v[16:17], 2, v[4:5]
	v_mov_b32_e32 v4, v3
	v_cmp_eq_u32_e64 s[2:3], 0, v1
	v_add_co_u32_e64 v16, s[4:5], v6, v16
	v_lshlrev_b64 v[18:19], 2, v[4:5]
	v_add_u32_e32 v2, 0x200, v2
	v_add_u32_e32 v9, 0x800, v9
	;; [unrolled: 1-line block ×3, first 2 shown]
	v_addc_co_u32_e64 v17, s[4:5], v7, v17, s[4:5]
	s_or_b64 s[14:15], s[2:3], s[14:15]
	v_add_co_u32_e64 v18, s[2:3], v6, v18
	v_addc_co_u32_e64 v19, s[2:3], v7, v19, s[2:3]
	s_waitcnt lgkmcnt(0)
	global_store_dword v[16:17], v12, off
	global_store_dword v[18:19], v13, off
	s_andn2_b64 exec, exec, s[14:15]
	s_cbranch_execnz .LBB627_156
.LBB627_157:
	s_or_b64 exec, exec, s[12:13]
	v_add_u32_e32 v1, 1, v8
	v_and_b32_e32 v2, 0x1fffffe, v1
	v_cmp_ne_u32_e64 s[2:3], v1, v2
	v_lshl_or_b32 v0, v2, 8, v0
	s_orn2_b64 s[4:5], s[2:3], exec
.LBB627_158:
	s_or_b64 exec, exec, s[10:11]
	s_andn2_b64 s[2:3], vcc, exec
	s_and_b64 s[4:5], s[4:5], exec
	s_or_b64 vcc, s[2:3], s[4:5]
.LBB627_159:
	s_or_b64 exec, exec, s[8:9]
	s_and_b64 exec, exec, vcc
	s_cbranch_execz .LBB627_162
; %bb.160:
	v_lshlrev_b32_e32 v2, 2, v0
	s_mov_b64 s[2:3], 0
	v_mov_b32_e32 v1, 0
.LBB627_161:                            ; =>This Inner Loop Header: Depth=1
	ds_read_b32 v3, v2
	v_lshlrev_b64 v[4:5], 2, v[0:1]
	v_add_co_u32_e32 v4, vcc, v6, v4
	v_add_u32_e32 v0, 0x100, v0
	v_addc_co_u32_e32 v5, vcc, v7, v5, vcc
	v_cmp_ge_u32_e32 vcc, v0, v10
	v_add_u32_e32 v2, 0x400, v2
	s_or_b64 s[2:3], vcc, s[2:3]
	s_waitcnt lgkmcnt(0)
	global_store_dword v[4:5], v3, off
	s_andn2_b64 exec, exec, s[2:3]
	s_cbranch_execnz .LBB627_161
.LBB627_162:
	s_or_b64 exec, exec, s[6:7]
	s_and_b64 s[0:1], s[0:1], s[22:23]
	s_and_saveexec_b64 s[2:3], s[0:1]
	s_cbranch_execz .LBB627_95
.LBB627_163:
	v_add_co_u32_e32 v0, vcc, v14, v10
	v_addc_co_u32_e32 v1, vcc, 0, v15, vcc
	v_add_co_u32_e32 v0, vcc, v0, v20
	v_mov_b32_e32 v2, 0
	v_addc_co_u32_e32 v1, vcc, 0, v1, vcc
	global_store_dwordx2 v2, v[0:1], s[24:25]
	s_endpgm
.LBB627_164:
	s_or_b64 exec, exec, s[6:7]
	s_and_saveexec_b64 s[2:3], s[38:39]
	s_cbranch_execnz .LBB627_48
	s_branch .LBB627_49
	.section	.rodata,"a",@progbits
	.p2align	6, 0x0
	.amdhsa_kernel _ZN7rocprim17ROCPRIM_400000_NS6detail17trampoline_kernelINS0_14default_configENS1_25partition_config_selectorILNS1_17partition_subalgoE8EjNS0_10empty_typeEbEEZZNS1_14partition_implILS5_8ELb0ES3_jPKjPS6_PKS6_NS0_5tupleIJPjS6_EEENSE_IJSB_SB_EEENS0_18inequality_wrapperIN6hipcub16HIPCUB_304000_NS8EqualityEEEPlJS6_EEE10hipError_tPvRmT3_T4_T5_T6_T7_T9_mT8_P12ihipStream_tbDpT10_ENKUlT_T0_E_clISt17integral_constantIbLb1EES17_EEDaS12_S13_EUlS12_E_NS1_11comp_targetILNS1_3genE4ELNS1_11target_archE910ELNS1_3gpuE8ELNS1_3repE0EEENS1_30default_config_static_selectorELNS0_4arch9wavefront6targetE1EEEvT1_
		.amdhsa_group_segment_fixed_size 10248
		.amdhsa_private_segment_fixed_size 0
		.amdhsa_kernarg_size 128
		.amdhsa_user_sgpr_count 6
		.amdhsa_user_sgpr_private_segment_buffer 1
		.amdhsa_user_sgpr_dispatch_ptr 0
		.amdhsa_user_sgpr_queue_ptr 0
		.amdhsa_user_sgpr_kernarg_segment_ptr 1
		.amdhsa_user_sgpr_dispatch_id 0
		.amdhsa_user_sgpr_flat_scratch_init 0
		.amdhsa_user_sgpr_kernarg_preload_length 0
		.amdhsa_user_sgpr_kernarg_preload_offset 0
		.amdhsa_user_sgpr_private_segment_size 0
		.amdhsa_uses_dynamic_stack 0
		.amdhsa_system_sgpr_private_segment_wavefront_offset 0
		.amdhsa_system_sgpr_workgroup_id_x 1
		.amdhsa_system_sgpr_workgroup_id_y 0
		.amdhsa_system_sgpr_workgroup_id_z 0
		.amdhsa_system_sgpr_workgroup_info 0
		.amdhsa_system_vgpr_workitem_id 0
		.amdhsa_next_free_vgpr 58
		.amdhsa_next_free_sgpr 41
		.amdhsa_accum_offset 60
		.amdhsa_reserve_vcc 1
		.amdhsa_reserve_flat_scratch 0
		.amdhsa_float_round_mode_32 0
		.amdhsa_float_round_mode_16_64 0
		.amdhsa_float_denorm_mode_32 3
		.amdhsa_float_denorm_mode_16_64 3
		.amdhsa_dx10_clamp 1
		.amdhsa_ieee_mode 1
		.amdhsa_fp16_overflow 0
		.amdhsa_tg_split 0
		.amdhsa_exception_fp_ieee_invalid_op 0
		.amdhsa_exception_fp_denorm_src 0
		.amdhsa_exception_fp_ieee_div_zero 0
		.amdhsa_exception_fp_ieee_overflow 0
		.amdhsa_exception_fp_ieee_underflow 0
		.amdhsa_exception_fp_ieee_inexact 0
		.amdhsa_exception_int_div_zero 0
	.end_amdhsa_kernel
	.section	.text._ZN7rocprim17ROCPRIM_400000_NS6detail17trampoline_kernelINS0_14default_configENS1_25partition_config_selectorILNS1_17partition_subalgoE8EjNS0_10empty_typeEbEEZZNS1_14partition_implILS5_8ELb0ES3_jPKjPS6_PKS6_NS0_5tupleIJPjS6_EEENSE_IJSB_SB_EEENS0_18inequality_wrapperIN6hipcub16HIPCUB_304000_NS8EqualityEEEPlJS6_EEE10hipError_tPvRmT3_T4_T5_T6_T7_T9_mT8_P12ihipStream_tbDpT10_ENKUlT_T0_E_clISt17integral_constantIbLb1EES17_EEDaS12_S13_EUlS12_E_NS1_11comp_targetILNS1_3genE4ELNS1_11target_archE910ELNS1_3gpuE8ELNS1_3repE0EEENS1_30default_config_static_selectorELNS0_4arch9wavefront6targetE1EEEvT1_,"axG",@progbits,_ZN7rocprim17ROCPRIM_400000_NS6detail17trampoline_kernelINS0_14default_configENS1_25partition_config_selectorILNS1_17partition_subalgoE8EjNS0_10empty_typeEbEEZZNS1_14partition_implILS5_8ELb0ES3_jPKjPS6_PKS6_NS0_5tupleIJPjS6_EEENSE_IJSB_SB_EEENS0_18inequality_wrapperIN6hipcub16HIPCUB_304000_NS8EqualityEEEPlJS6_EEE10hipError_tPvRmT3_T4_T5_T6_T7_T9_mT8_P12ihipStream_tbDpT10_ENKUlT_T0_E_clISt17integral_constantIbLb1EES17_EEDaS12_S13_EUlS12_E_NS1_11comp_targetILNS1_3genE4ELNS1_11target_archE910ELNS1_3gpuE8ELNS1_3repE0EEENS1_30default_config_static_selectorELNS0_4arch9wavefront6targetE1EEEvT1_,comdat
.Lfunc_end627:
	.size	_ZN7rocprim17ROCPRIM_400000_NS6detail17trampoline_kernelINS0_14default_configENS1_25partition_config_selectorILNS1_17partition_subalgoE8EjNS0_10empty_typeEbEEZZNS1_14partition_implILS5_8ELb0ES3_jPKjPS6_PKS6_NS0_5tupleIJPjS6_EEENSE_IJSB_SB_EEENS0_18inequality_wrapperIN6hipcub16HIPCUB_304000_NS8EqualityEEEPlJS6_EEE10hipError_tPvRmT3_T4_T5_T6_T7_T9_mT8_P12ihipStream_tbDpT10_ENKUlT_T0_E_clISt17integral_constantIbLb1EES17_EEDaS12_S13_EUlS12_E_NS1_11comp_targetILNS1_3genE4ELNS1_11target_archE910ELNS1_3gpuE8ELNS1_3repE0EEENS1_30default_config_static_selectorELNS0_4arch9wavefront6targetE1EEEvT1_, .Lfunc_end627-_ZN7rocprim17ROCPRIM_400000_NS6detail17trampoline_kernelINS0_14default_configENS1_25partition_config_selectorILNS1_17partition_subalgoE8EjNS0_10empty_typeEbEEZZNS1_14partition_implILS5_8ELb0ES3_jPKjPS6_PKS6_NS0_5tupleIJPjS6_EEENSE_IJSB_SB_EEENS0_18inequality_wrapperIN6hipcub16HIPCUB_304000_NS8EqualityEEEPlJS6_EEE10hipError_tPvRmT3_T4_T5_T6_T7_T9_mT8_P12ihipStream_tbDpT10_ENKUlT_T0_E_clISt17integral_constantIbLb1EES17_EEDaS12_S13_EUlS12_E_NS1_11comp_targetILNS1_3genE4ELNS1_11target_archE910ELNS1_3gpuE8ELNS1_3repE0EEENS1_30default_config_static_selectorELNS0_4arch9wavefront6targetE1EEEvT1_
                                        ; -- End function
	.section	.AMDGPU.csdata,"",@progbits
; Kernel info:
; codeLenInByte = 7548
; NumSgprs: 45
; NumVgprs: 58
; NumAgprs: 0
; TotalNumVgprs: 58
; ScratchSize: 0
; MemoryBound: 0
; FloatMode: 240
; IeeeMode: 1
; LDSByteSize: 10248 bytes/workgroup (compile time only)
; SGPRBlocks: 5
; VGPRBlocks: 7
; NumSGPRsForWavesPerEU: 45
; NumVGPRsForWavesPerEU: 58
; AccumOffset: 60
; Occupancy: 6
; WaveLimiterHint : 1
; COMPUTE_PGM_RSRC2:SCRATCH_EN: 0
; COMPUTE_PGM_RSRC2:USER_SGPR: 6
; COMPUTE_PGM_RSRC2:TRAP_HANDLER: 0
; COMPUTE_PGM_RSRC2:TGID_X_EN: 1
; COMPUTE_PGM_RSRC2:TGID_Y_EN: 0
; COMPUTE_PGM_RSRC2:TGID_Z_EN: 0
; COMPUTE_PGM_RSRC2:TIDIG_COMP_CNT: 0
; COMPUTE_PGM_RSRC3_GFX90A:ACCUM_OFFSET: 14
; COMPUTE_PGM_RSRC3_GFX90A:TG_SPLIT: 0
	.section	.text._ZN7rocprim17ROCPRIM_400000_NS6detail17trampoline_kernelINS0_14default_configENS1_25partition_config_selectorILNS1_17partition_subalgoE8EjNS0_10empty_typeEbEEZZNS1_14partition_implILS5_8ELb0ES3_jPKjPS6_PKS6_NS0_5tupleIJPjS6_EEENSE_IJSB_SB_EEENS0_18inequality_wrapperIN6hipcub16HIPCUB_304000_NS8EqualityEEEPlJS6_EEE10hipError_tPvRmT3_T4_T5_T6_T7_T9_mT8_P12ihipStream_tbDpT10_ENKUlT_T0_E_clISt17integral_constantIbLb1EES17_EEDaS12_S13_EUlS12_E_NS1_11comp_targetILNS1_3genE3ELNS1_11target_archE908ELNS1_3gpuE7ELNS1_3repE0EEENS1_30default_config_static_selectorELNS0_4arch9wavefront6targetE1EEEvT1_,"axG",@progbits,_ZN7rocprim17ROCPRIM_400000_NS6detail17trampoline_kernelINS0_14default_configENS1_25partition_config_selectorILNS1_17partition_subalgoE8EjNS0_10empty_typeEbEEZZNS1_14partition_implILS5_8ELb0ES3_jPKjPS6_PKS6_NS0_5tupleIJPjS6_EEENSE_IJSB_SB_EEENS0_18inequality_wrapperIN6hipcub16HIPCUB_304000_NS8EqualityEEEPlJS6_EEE10hipError_tPvRmT3_T4_T5_T6_T7_T9_mT8_P12ihipStream_tbDpT10_ENKUlT_T0_E_clISt17integral_constantIbLb1EES17_EEDaS12_S13_EUlS12_E_NS1_11comp_targetILNS1_3genE3ELNS1_11target_archE908ELNS1_3gpuE7ELNS1_3repE0EEENS1_30default_config_static_selectorELNS0_4arch9wavefront6targetE1EEEvT1_,comdat
	.protected	_ZN7rocprim17ROCPRIM_400000_NS6detail17trampoline_kernelINS0_14default_configENS1_25partition_config_selectorILNS1_17partition_subalgoE8EjNS0_10empty_typeEbEEZZNS1_14partition_implILS5_8ELb0ES3_jPKjPS6_PKS6_NS0_5tupleIJPjS6_EEENSE_IJSB_SB_EEENS0_18inequality_wrapperIN6hipcub16HIPCUB_304000_NS8EqualityEEEPlJS6_EEE10hipError_tPvRmT3_T4_T5_T6_T7_T9_mT8_P12ihipStream_tbDpT10_ENKUlT_T0_E_clISt17integral_constantIbLb1EES17_EEDaS12_S13_EUlS12_E_NS1_11comp_targetILNS1_3genE3ELNS1_11target_archE908ELNS1_3gpuE7ELNS1_3repE0EEENS1_30default_config_static_selectorELNS0_4arch9wavefront6targetE1EEEvT1_ ; -- Begin function _ZN7rocprim17ROCPRIM_400000_NS6detail17trampoline_kernelINS0_14default_configENS1_25partition_config_selectorILNS1_17partition_subalgoE8EjNS0_10empty_typeEbEEZZNS1_14partition_implILS5_8ELb0ES3_jPKjPS6_PKS6_NS0_5tupleIJPjS6_EEENSE_IJSB_SB_EEENS0_18inequality_wrapperIN6hipcub16HIPCUB_304000_NS8EqualityEEEPlJS6_EEE10hipError_tPvRmT3_T4_T5_T6_T7_T9_mT8_P12ihipStream_tbDpT10_ENKUlT_T0_E_clISt17integral_constantIbLb1EES17_EEDaS12_S13_EUlS12_E_NS1_11comp_targetILNS1_3genE3ELNS1_11target_archE908ELNS1_3gpuE7ELNS1_3repE0EEENS1_30default_config_static_selectorELNS0_4arch9wavefront6targetE1EEEvT1_
	.globl	_ZN7rocprim17ROCPRIM_400000_NS6detail17trampoline_kernelINS0_14default_configENS1_25partition_config_selectorILNS1_17partition_subalgoE8EjNS0_10empty_typeEbEEZZNS1_14partition_implILS5_8ELb0ES3_jPKjPS6_PKS6_NS0_5tupleIJPjS6_EEENSE_IJSB_SB_EEENS0_18inequality_wrapperIN6hipcub16HIPCUB_304000_NS8EqualityEEEPlJS6_EEE10hipError_tPvRmT3_T4_T5_T6_T7_T9_mT8_P12ihipStream_tbDpT10_ENKUlT_T0_E_clISt17integral_constantIbLb1EES17_EEDaS12_S13_EUlS12_E_NS1_11comp_targetILNS1_3genE3ELNS1_11target_archE908ELNS1_3gpuE7ELNS1_3repE0EEENS1_30default_config_static_selectorELNS0_4arch9wavefront6targetE1EEEvT1_
	.p2align	8
	.type	_ZN7rocprim17ROCPRIM_400000_NS6detail17trampoline_kernelINS0_14default_configENS1_25partition_config_selectorILNS1_17partition_subalgoE8EjNS0_10empty_typeEbEEZZNS1_14partition_implILS5_8ELb0ES3_jPKjPS6_PKS6_NS0_5tupleIJPjS6_EEENSE_IJSB_SB_EEENS0_18inequality_wrapperIN6hipcub16HIPCUB_304000_NS8EqualityEEEPlJS6_EEE10hipError_tPvRmT3_T4_T5_T6_T7_T9_mT8_P12ihipStream_tbDpT10_ENKUlT_T0_E_clISt17integral_constantIbLb1EES17_EEDaS12_S13_EUlS12_E_NS1_11comp_targetILNS1_3genE3ELNS1_11target_archE908ELNS1_3gpuE7ELNS1_3repE0EEENS1_30default_config_static_selectorELNS0_4arch9wavefront6targetE1EEEvT1_,@function
_ZN7rocprim17ROCPRIM_400000_NS6detail17trampoline_kernelINS0_14default_configENS1_25partition_config_selectorILNS1_17partition_subalgoE8EjNS0_10empty_typeEbEEZZNS1_14partition_implILS5_8ELb0ES3_jPKjPS6_PKS6_NS0_5tupleIJPjS6_EEENSE_IJSB_SB_EEENS0_18inequality_wrapperIN6hipcub16HIPCUB_304000_NS8EqualityEEEPlJS6_EEE10hipError_tPvRmT3_T4_T5_T6_T7_T9_mT8_P12ihipStream_tbDpT10_ENKUlT_T0_E_clISt17integral_constantIbLb1EES17_EEDaS12_S13_EUlS12_E_NS1_11comp_targetILNS1_3genE3ELNS1_11target_archE908ELNS1_3gpuE7ELNS1_3repE0EEENS1_30default_config_static_selectorELNS0_4arch9wavefront6targetE1EEEvT1_: ; @_ZN7rocprim17ROCPRIM_400000_NS6detail17trampoline_kernelINS0_14default_configENS1_25partition_config_selectorILNS1_17partition_subalgoE8EjNS0_10empty_typeEbEEZZNS1_14partition_implILS5_8ELb0ES3_jPKjPS6_PKS6_NS0_5tupleIJPjS6_EEENSE_IJSB_SB_EEENS0_18inequality_wrapperIN6hipcub16HIPCUB_304000_NS8EqualityEEEPlJS6_EEE10hipError_tPvRmT3_T4_T5_T6_T7_T9_mT8_P12ihipStream_tbDpT10_ENKUlT_T0_E_clISt17integral_constantIbLb1EES17_EEDaS12_S13_EUlS12_E_NS1_11comp_targetILNS1_3genE3ELNS1_11target_archE908ELNS1_3gpuE7ELNS1_3repE0EEENS1_30default_config_static_selectorELNS0_4arch9wavefront6targetE1EEEvT1_
; %bb.0:
	.section	.rodata,"a",@progbits
	.p2align	6, 0x0
	.amdhsa_kernel _ZN7rocprim17ROCPRIM_400000_NS6detail17trampoline_kernelINS0_14default_configENS1_25partition_config_selectorILNS1_17partition_subalgoE8EjNS0_10empty_typeEbEEZZNS1_14partition_implILS5_8ELb0ES3_jPKjPS6_PKS6_NS0_5tupleIJPjS6_EEENSE_IJSB_SB_EEENS0_18inequality_wrapperIN6hipcub16HIPCUB_304000_NS8EqualityEEEPlJS6_EEE10hipError_tPvRmT3_T4_T5_T6_T7_T9_mT8_P12ihipStream_tbDpT10_ENKUlT_T0_E_clISt17integral_constantIbLb1EES17_EEDaS12_S13_EUlS12_E_NS1_11comp_targetILNS1_3genE3ELNS1_11target_archE908ELNS1_3gpuE7ELNS1_3repE0EEENS1_30default_config_static_selectorELNS0_4arch9wavefront6targetE1EEEvT1_
		.amdhsa_group_segment_fixed_size 0
		.amdhsa_private_segment_fixed_size 0
		.amdhsa_kernarg_size 128
		.amdhsa_user_sgpr_count 6
		.amdhsa_user_sgpr_private_segment_buffer 1
		.amdhsa_user_sgpr_dispatch_ptr 0
		.amdhsa_user_sgpr_queue_ptr 0
		.amdhsa_user_sgpr_kernarg_segment_ptr 1
		.amdhsa_user_sgpr_dispatch_id 0
		.amdhsa_user_sgpr_flat_scratch_init 0
		.amdhsa_user_sgpr_kernarg_preload_length 0
		.amdhsa_user_sgpr_kernarg_preload_offset 0
		.amdhsa_user_sgpr_private_segment_size 0
		.amdhsa_uses_dynamic_stack 0
		.amdhsa_system_sgpr_private_segment_wavefront_offset 0
		.amdhsa_system_sgpr_workgroup_id_x 1
		.amdhsa_system_sgpr_workgroup_id_y 0
		.amdhsa_system_sgpr_workgroup_id_z 0
		.amdhsa_system_sgpr_workgroup_info 0
		.amdhsa_system_vgpr_workitem_id 0
		.amdhsa_next_free_vgpr 1
		.amdhsa_next_free_sgpr 0
		.amdhsa_accum_offset 4
		.amdhsa_reserve_vcc 0
		.amdhsa_reserve_flat_scratch 0
		.amdhsa_float_round_mode_32 0
		.amdhsa_float_round_mode_16_64 0
		.amdhsa_float_denorm_mode_32 3
		.amdhsa_float_denorm_mode_16_64 3
		.amdhsa_dx10_clamp 1
		.amdhsa_ieee_mode 1
		.amdhsa_fp16_overflow 0
		.amdhsa_tg_split 0
		.amdhsa_exception_fp_ieee_invalid_op 0
		.amdhsa_exception_fp_denorm_src 0
		.amdhsa_exception_fp_ieee_div_zero 0
		.amdhsa_exception_fp_ieee_overflow 0
		.amdhsa_exception_fp_ieee_underflow 0
		.amdhsa_exception_fp_ieee_inexact 0
		.amdhsa_exception_int_div_zero 0
	.end_amdhsa_kernel
	.section	.text._ZN7rocprim17ROCPRIM_400000_NS6detail17trampoline_kernelINS0_14default_configENS1_25partition_config_selectorILNS1_17partition_subalgoE8EjNS0_10empty_typeEbEEZZNS1_14partition_implILS5_8ELb0ES3_jPKjPS6_PKS6_NS0_5tupleIJPjS6_EEENSE_IJSB_SB_EEENS0_18inequality_wrapperIN6hipcub16HIPCUB_304000_NS8EqualityEEEPlJS6_EEE10hipError_tPvRmT3_T4_T5_T6_T7_T9_mT8_P12ihipStream_tbDpT10_ENKUlT_T0_E_clISt17integral_constantIbLb1EES17_EEDaS12_S13_EUlS12_E_NS1_11comp_targetILNS1_3genE3ELNS1_11target_archE908ELNS1_3gpuE7ELNS1_3repE0EEENS1_30default_config_static_selectorELNS0_4arch9wavefront6targetE1EEEvT1_,"axG",@progbits,_ZN7rocprim17ROCPRIM_400000_NS6detail17trampoline_kernelINS0_14default_configENS1_25partition_config_selectorILNS1_17partition_subalgoE8EjNS0_10empty_typeEbEEZZNS1_14partition_implILS5_8ELb0ES3_jPKjPS6_PKS6_NS0_5tupleIJPjS6_EEENSE_IJSB_SB_EEENS0_18inequality_wrapperIN6hipcub16HIPCUB_304000_NS8EqualityEEEPlJS6_EEE10hipError_tPvRmT3_T4_T5_T6_T7_T9_mT8_P12ihipStream_tbDpT10_ENKUlT_T0_E_clISt17integral_constantIbLb1EES17_EEDaS12_S13_EUlS12_E_NS1_11comp_targetILNS1_3genE3ELNS1_11target_archE908ELNS1_3gpuE7ELNS1_3repE0EEENS1_30default_config_static_selectorELNS0_4arch9wavefront6targetE1EEEvT1_,comdat
.Lfunc_end628:
	.size	_ZN7rocprim17ROCPRIM_400000_NS6detail17trampoline_kernelINS0_14default_configENS1_25partition_config_selectorILNS1_17partition_subalgoE8EjNS0_10empty_typeEbEEZZNS1_14partition_implILS5_8ELb0ES3_jPKjPS6_PKS6_NS0_5tupleIJPjS6_EEENSE_IJSB_SB_EEENS0_18inequality_wrapperIN6hipcub16HIPCUB_304000_NS8EqualityEEEPlJS6_EEE10hipError_tPvRmT3_T4_T5_T6_T7_T9_mT8_P12ihipStream_tbDpT10_ENKUlT_T0_E_clISt17integral_constantIbLb1EES17_EEDaS12_S13_EUlS12_E_NS1_11comp_targetILNS1_3genE3ELNS1_11target_archE908ELNS1_3gpuE7ELNS1_3repE0EEENS1_30default_config_static_selectorELNS0_4arch9wavefront6targetE1EEEvT1_, .Lfunc_end628-_ZN7rocprim17ROCPRIM_400000_NS6detail17trampoline_kernelINS0_14default_configENS1_25partition_config_selectorILNS1_17partition_subalgoE8EjNS0_10empty_typeEbEEZZNS1_14partition_implILS5_8ELb0ES3_jPKjPS6_PKS6_NS0_5tupleIJPjS6_EEENSE_IJSB_SB_EEENS0_18inequality_wrapperIN6hipcub16HIPCUB_304000_NS8EqualityEEEPlJS6_EEE10hipError_tPvRmT3_T4_T5_T6_T7_T9_mT8_P12ihipStream_tbDpT10_ENKUlT_T0_E_clISt17integral_constantIbLb1EES17_EEDaS12_S13_EUlS12_E_NS1_11comp_targetILNS1_3genE3ELNS1_11target_archE908ELNS1_3gpuE7ELNS1_3repE0EEENS1_30default_config_static_selectorELNS0_4arch9wavefront6targetE1EEEvT1_
                                        ; -- End function
	.section	.AMDGPU.csdata,"",@progbits
; Kernel info:
; codeLenInByte = 0
; NumSgprs: 4
; NumVgprs: 0
; NumAgprs: 0
; TotalNumVgprs: 0
; ScratchSize: 0
; MemoryBound: 0
; FloatMode: 240
; IeeeMode: 1
; LDSByteSize: 0 bytes/workgroup (compile time only)
; SGPRBlocks: 0
; VGPRBlocks: 0
; NumSGPRsForWavesPerEU: 4
; NumVGPRsForWavesPerEU: 1
; AccumOffset: 4
; Occupancy: 8
; WaveLimiterHint : 0
; COMPUTE_PGM_RSRC2:SCRATCH_EN: 0
; COMPUTE_PGM_RSRC2:USER_SGPR: 6
; COMPUTE_PGM_RSRC2:TRAP_HANDLER: 0
; COMPUTE_PGM_RSRC2:TGID_X_EN: 1
; COMPUTE_PGM_RSRC2:TGID_Y_EN: 0
; COMPUTE_PGM_RSRC2:TGID_Z_EN: 0
; COMPUTE_PGM_RSRC2:TIDIG_COMP_CNT: 0
; COMPUTE_PGM_RSRC3_GFX90A:ACCUM_OFFSET: 0
; COMPUTE_PGM_RSRC3_GFX90A:TG_SPLIT: 0
	.section	.text._ZN7rocprim17ROCPRIM_400000_NS6detail17trampoline_kernelINS0_14default_configENS1_25partition_config_selectorILNS1_17partition_subalgoE8EjNS0_10empty_typeEbEEZZNS1_14partition_implILS5_8ELb0ES3_jPKjPS6_PKS6_NS0_5tupleIJPjS6_EEENSE_IJSB_SB_EEENS0_18inequality_wrapperIN6hipcub16HIPCUB_304000_NS8EqualityEEEPlJS6_EEE10hipError_tPvRmT3_T4_T5_T6_T7_T9_mT8_P12ihipStream_tbDpT10_ENKUlT_T0_E_clISt17integral_constantIbLb1EES17_EEDaS12_S13_EUlS12_E_NS1_11comp_targetILNS1_3genE2ELNS1_11target_archE906ELNS1_3gpuE6ELNS1_3repE0EEENS1_30default_config_static_selectorELNS0_4arch9wavefront6targetE1EEEvT1_,"axG",@progbits,_ZN7rocprim17ROCPRIM_400000_NS6detail17trampoline_kernelINS0_14default_configENS1_25partition_config_selectorILNS1_17partition_subalgoE8EjNS0_10empty_typeEbEEZZNS1_14partition_implILS5_8ELb0ES3_jPKjPS6_PKS6_NS0_5tupleIJPjS6_EEENSE_IJSB_SB_EEENS0_18inequality_wrapperIN6hipcub16HIPCUB_304000_NS8EqualityEEEPlJS6_EEE10hipError_tPvRmT3_T4_T5_T6_T7_T9_mT8_P12ihipStream_tbDpT10_ENKUlT_T0_E_clISt17integral_constantIbLb1EES17_EEDaS12_S13_EUlS12_E_NS1_11comp_targetILNS1_3genE2ELNS1_11target_archE906ELNS1_3gpuE6ELNS1_3repE0EEENS1_30default_config_static_selectorELNS0_4arch9wavefront6targetE1EEEvT1_,comdat
	.protected	_ZN7rocprim17ROCPRIM_400000_NS6detail17trampoline_kernelINS0_14default_configENS1_25partition_config_selectorILNS1_17partition_subalgoE8EjNS0_10empty_typeEbEEZZNS1_14partition_implILS5_8ELb0ES3_jPKjPS6_PKS6_NS0_5tupleIJPjS6_EEENSE_IJSB_SB_EEENS0_18inequality_wrapperIN6hipcub16HIPCUB_304000_NS8EqualityEEEPlJS6_EEE10hipError_tPvRmT3_T4_T5_T6_T7_T9_mT8_P12ihipStream_tbDpT10_ENKUlT_T0_E_clISt17integral_constantIbLb1EES17_EEDaS12_S13_EUlS12_E_NS1_11comp_targetILNS1_3genE2ELNS1_11target_archE906ELNS1_3gpuE6ELNS1_3repE0EEENS1_30default_config_static_selectorELNS0_4arch9wavefront6targetE1EEEvT1_ ; -- Begin function _ZN7rocprim17ROCPRIM_400000_NS6detail17trampoline_kernelINS0_14default_configENS1_25partition_config_selectorILNS1_17partition_subalgoE8EjNS0_10empty_typeEbEEZZNS1_14partition_implILS5_8ELb0ES3_jPKjPS6_PKS6_NS0_5tupleIJPjS6_EEENSE_IJSB_SB_EEENS0_18inequality_wrapperIN6hipcub16HIPCUB_304000_NS8EqualityEEEPlJS6_EEE10hipError_tPvRmT3_T4_T5_T6_T7_T9_mT8_P12ihipStream_tbDpT10_ENKUlT_T0_E_clISt17integral_constantIbLb1EES17_EEDaS12_S13_EUlS12_E_NS1_11comp_targetILNS1_3genE2ELNS1_11target_archE906ELNS1_3gpuE6ELNS1_3repE0EEENS1_30default_config_static_selectorELNS0_4arch9wavefront6targetE1EEEvT1_
	.globl	_ZN7rocprim17ROCPRIM_400000_NS6detail17trampoline_kernelINS0_14default_configENS1_25partition_config_selectorILNS1_17partition_subalgoE8EjNS0_10empty_typeEbEEZZNS1_14partition_implILS5_8ELb0ES3_jPKjPS6_PKS6_NS0_5tupleIJPjS6_EEENSE_IJSB_SB_EEENS0_18inequality_wrapperIN6hipcub16HIPCUB_304000_NS8EqualityEEEPlJS6_EEE10hipError_tPvRmT3_T4_T5_T6_T7_T9_mT8_P12ihipStream_tbDpT10_ENKUlT_T0_E_clISt17integral_constantIbLb1EES17_EEDaS12_S13_EUlS12_E_NS1_11comp_targetILNS1_3genE2ELNS1_11target_archE906ELNS1_3gpuE6ELNS1_3repE0EEENS1_30default_config_static_selectorELNS0_4arch9wavefront6targetE1EEEvT1_
	.p2align	8
	.type	_ZN7rocprim17ROCPRIM_400000_NS6detail17trampoline_kernelINS0_14default_configENS1_25partition_config_selectorILNS1_17partition_subalgoE8EjNS0_10empty_typeEbEEZZNS1_14partition_implILS5_8ELb0ES3_jPKjPS6_PKS6_NS0_5tupleIJPjS6_EEENSE_IJSB_SB_EEENS0_18inequality_wrapperIN6hipcub16HIPCUB_304000_NS8EqualityEEEPlJS6_EEE10hipError_tPvRmT3_T4_T5_T6_T7_T9_mT8_P12ihipStream_tbDpT10_ENKUlT_T0_E_clISt17integral_constantIbLb1EES17_EEDaS12_S13_EUlS12_E_NS1_11comp_targetILNS1_3genE2ELNS1_11target_archE906ELNS1_3gpuE6ELNS1_3repE0EEENS1_30default_config_static_selectorELNS0_4arch9wavefront6targetE1EEEvT1_,@function
_ZN7rocprim17ROCPRIM_400000_NS6detail17trampoline_kernelINS0_14default_configENS1_25partition_config_selectorILNS1_17partition_subalgoE8EjNS0_10empty_typeEbEEZZNS1_14partition_implILS5_8ELb0ES3_jPKjPS6_PKS6_NS0_5tupleIJPjS6_EEENSE_IJSB_SB_EEENS0_18inequality_wrapperIN6hipcub16HIPCUB_304000_NS8EqualityEEEPlJS6_EEE10hipError_tPvRmT3_T4_T5_T6_T7_T9_mT8_P12ihipStream_tbDpT10_ENKUlT_T0_E_clISt17integral_constantIbLb1EES17_EEDaS12_S13_EUlS12_E_NS1_11comp_targetILNS1_3genE2ELNS1_11target_archE906ELNS1_3gpuE6ELNS1_3repE0EEENS1_30default_config_static_selectorELNS0_4arch9wavefront6targetE1EEEvT1_: ; @_ZN7rocprim17ROCPRIM_400000_NS6detail17trampoline_kernelINS0_14default_configENS1_25partition_config_selectorILNS1_17partition_subalgoE8EjNS0_10empty_typeEbEEZZNS1_14partition_implILS5_8ELb0ES3_jPKjPS6_PKS6_NS0_5tupleIJPjS6_EEENSE_IJSB_SB_EEENS0_18inequality_wrapperIN6hipcub16HIPCUB_304000_NS8EqualityEEEPlJS6_EEE10hipError_tPvRmT3_T4_T5_T6_T7_T9_mT8_P12ihipStream_tbDpT10_ENKUlT_T0_E_clISt17integral_constantIbLb1EES17_EEDaS12_S13_EUlS12_E_NS1_11comp_targetILNS1_3genE2ELNS1_11target_archE906ELNS1_3gpuE6ELNS1_3repE0EEENS1_30default_config_static_selectorELNS0_4arch9wavefront6targetE1EEEvT1_
; %bb.0:
	.section	.rodata,"a",@progbits
	.p2align	6, 0x0
	.amdhsa_kernel _ZN7rocprim17ROCPRIM_400000_NS6detail17trampoline_kernelINS0_14default_configENS1_25partition_config_selectorILNS1_17partition_subalgoE8EjNS0_10empty_typeEbEEZZNS1_14partition_implILS5_8ELb0ES3_jPKjPS6_PKS6_NS0_5tupleIJPjS6_EEENSE_IJSB_SB_EEENS0_18inequality_wrapperIN6hipcub16HIPCUB_304000_NS8EqualityEEEPlJS6_EEE10hipError_tPvRmT3_T4_T5_T6_T7_T9_mT8_P12ihipStream_tbDpT10_ENKUlT_T0_E_clISt17integral_constantIbLb1EES17_EEDaS12_S13_EUlS12_E_NS1_11comp_targetILNS1_3genE2ELNS1_11target_archE906ELNS1_3gpuE6ELNS1_3repE0EEENS1_30default_config_static_selectorELNS0_4arch9wavefront6targetE1EEEvT1_
		.amdhsa_group_segment_fixed_size 0
		.amdhsa_private_segment_fixed_size 0
		.amdhsa_kernarg_size 128
		.amdhsa_user_sgpr_count 6
		.amdhsa_user_sgpr_private_segment_buffer 1
		.amdhsa_user_sgpr_dispatch_ptr 0
		.amdhsa_user_sgpr_queue_ptr 0
		.amdhsa_user_sgpr_kernarg_segment_ptr 1
		.amdhsa_user_sgpr_dispatch_id 0
		.amdhsa_user_sgpr_flat_scratch_init 0
		.amdhsa_user_sgpr_kernarg_preload_length 0
		.amdhsa_user_sgpr_kernarg_preload_offset 0
		.amdhsa_user_sgpr_private_segment_size 0
		.amdhsa_uses_dynamic_stack 0
		.amdhsa_system_sgpr_private_segment_wavefront_offset 0
		.amdhsa_system_sgpr_workgroup_id_x 1
		.amdhsa_system_sgpr_workgroup_id_y 0
		.amdhsa_system_sgpr_workgroup_id_z 0
		.amdhsa_system_sgpr_workgroup_info 0
		.amdhsa_system_vgpr_workitem_id 0
		.amdhsa_next_free_vgpr 1
		.amdhsa_next_free_sgpr 0
		.amdhsa_accum_offset 4
		.amdhsa_reserve_vcc 0
		.amdhsa_reserve_flat_scratch 0
		.amdhsa_float_round_mode_32 0
		.amdhsa_float_round_mode_16_64 0
		.amdhsa_float_denorm_mode_32 3
		.amdhsa_float_denorm_mode_16_64 3
		.amdhsa_dx10_clamp 1
		.amdhsa_ieee_mode 1
		.amdhsa_fp16_overflow 0
		.amdhsa_tg_split 0
		.amdhsa_exception_fp_ieee_invalid_op 0
		.amdhsa_exception_fp_denorm_src 0
		.amdhsa_exception_fp_ieee_div_zero 0
		.amdhsa_exception_fp_ieee_overflow 0
		.amdhsa_exception_fp_ieee_underflow 0
		.amdhsa_exception_fp_ieee_inexact 0
		.amdhsa_exception_int_div_zero 0
	.end_amdhsa_kernel
	.section	.text._ZN7rocprim17ROCPRIM_400000_NS6detail17trampoline_kernelINS0_14default_configENS1_25partition_config_selectorILNS1_17partition_subalgoE8EjNS0_10empty_typeEbEEZZNS1_14partition_implILS5_8ELb0ES3_jPKjPS6_PKS6_NS0_5tupleIJPjS6_EEENSE_IJSB_SB_EEENS0_18inequality_wrapperIN6hipcub16HIPCUB_304000_NS8EqualityEEEPlJS6_EEE10hipError_tPvRmT3_T4_T5_T6_T7_T9_mT8_P12ihipStream_tbDpT10_ENKUlT_T0_E_clISt17integral_constantIbLb1EES17_EEDaS12_S13_EUlS12_E_NS1_11comp_targetILNS1_3genE2ELNS1_11target_archE906ELNS1_3gpuE6ELNS1_3repE0EEENS1_30default_config_static_selectorELNS0_4arch9wavefront6targetE1EEEvT1_,"axG",@progbits,_ZN7rocprim17ROCPRIM_400000_NS6detail17trampoline_kernelINS0_14default_configENS1_25partition_config_selectorILNS1_17partition_subalgoE8EjNS0_10empty_typeEbEEZZNS1_14partition_implILS5_8ELb0ES3_jPKjPS6_PKS6_NS0_5tupleIJPjS6_EEENSE_IJSB_SB_EEENS0_18inequality_wrapperIN6hipcub16HIPCUB_304000_NS8EqualityEEEPlJS6_EEE10hipError_tPvRmT3_T4_T5_T6_T7_T9_mT8_P12ihipStream_tbDpT10_ENKUlT_T0_E_clISt17integral_constantIbLb1EES17_EEDaS12_S13_EUlS12_E_NS1_11comp_targetILNS1_3genE2ELNS1_11target_archE906ELNS1_3gpuE6ELNS1_3repE0EEENS1_30default_config_static_selectorELNS0_4arch9wavefront6targetE1EEEvT1_,comdat
.Lfunc_end629:
	.size	_ZN7rocprim17ROCPRIM_400000_NS6detail17trampoline_kernelINS0_14default_configENS1_25partition_config_selectorILNS1_17partition_subalgoE8EjNS0_10empty_typeEbEEZZNS1_14partition_implILS5_8ELb0ES3_jPKjPS6_PKS6_NS0_5tupleIJPjS6_EEENSE_IJSB_SB_EEENS0_18inequality_wrapperIN6hipcub16HIPCUB_304000_NS8EqualityEEEPlJS6_EEE10hipError_tPvRmT3_T4_T5_T6_T7_T9_mT8_P12ihipStream_tbDpT10_ENKUlT_T0_E_clISt17integral_constantIbLb1EES17_EEDaS12_S13_EUlS12_E_NS1_11comp_targetILNS1_3genE2ELNS1_11target_archE906ELNS1_3gpuE6ELNS1_3repE0EEENS1_30default_config_static_selectorELNS0_4arch9wavefront6targetE1EEEvT1_, .Lfunc_end629-_ZN7rocprim17ROCPRIM_400000_NS6detail17trampoline_kernelINS0_14default_configENS1_25partition_config_selectorILNS1_17partition_subalgoE8EjNS0_10empty_typeEbEEZZNS1_14partition_implILS5_8ELb0ES3_jPKjPS6_PKS6_NS0_5tupleIJPjS6_EEENSE_IJSB_SB_EEENS0_18inequality_wrapperIN6hipcub16HIPCUB_304000_NS8EqualityEEEPlJS6_EEE10hipError_tPvRmT3_T4_T5_T6_T7_T9_mT8_P12ihipStream_tbDpT10_ENKUlT_T0_E_clISt17integral_constantIbLb1EES17_EEDaS12_S13_EUlS12_E_NS1_11comp_targetILNS1_3genE2ELNS1_11target_archE906ELNS1_3gpuE6ELNS1_3repE0EEENS1_30default_config_static_selectorELNS0_4arch9wavefront6targetE1EEEvT1_
                                        ; -- End function
	.section	.AMDGPU.csdata,"",@progbits
; Kernel info:
; codeLenInByte = 0
; NumSgprs: 4
; NumVgprs: 0
; NumAgprs: 0
; TotalNumVgprs: 0
; ScratchSize: 0
; MemoryBound: 0
; FloatMode: 240
; IeeeMode: 1
; LDSByteSize: 0 bytes/workgroup (compile time only)
; SGPRBlocks: 0
; VGPRBlocks: 0
; NumSGPRsForWavesPerEU: 4
; NumVGPRsForWavesPerEU: 1
; AccumOffset: 4
; Occupancy: 8
; WaveLimiterHint : 0
; COMPUTE_PGM_RSRC2:SCRATCH_EN: 0
; COMPUTE_PGM_RSRC2:USER_SGPR: 6
; COMPUTE_PGM_RSRC2:TRAP_HANDLER: 0
; COMPUTE_PGM_RSRC2:TGID_X_EN: 1
; COMPUTE_PGM_RSRC2:TGID_Y_EN: 0
; COMPUTE_PGM_RSRC2:TGID_Z_EN: 0
; COMPUTE_PGM_RSRC2:TIDIG_COMP_CNT: 0
; COMPUTE_PGM_RSRC3_GFX90A:ACCUM_OFFSET: 0
; COMPUTE_PGM_RSRC3_GFX90A:TG_SPLIT: 0
	.section	.text._ZN7rocprim17ROCPRIM_400000_NS6detail17trampoline_kernelINS0_14default_configENS1_25partition_config_selectorILNS1_17partition_subalgoE8EjNS0_10empty_typeEbEEZZNS1_14partition_implILS5_8ELb0ES3_jPKjPS6_PKS6_NS0_5tupleIJPjS6_EEENSE_IJSB_SB_EEENS0_18inequality_wrapperIN6hipcub16HIPCUB_304000_NS8EqualityEEEPlJS6_EEE10hipError_tPvRmT3_T4_T5_T6_T7_T9_mT8_P12ihipStream_tbDpT10_ENKUlT_T0_E_clISt17integral_constantIbLb1EES17_EEDaS12_S13_EUlS12_E_NS1_11comp_targetILNS1_3genE10ELNS1_11target_archE1200ELNS1_3gpuE4ELNS1_3repE0EEENS1_30default_config_static_selectorELNS0_4arch9wavefront6targetE1EEEvT1_,"axG",@progbits,_ZN7rocprim17ROCPRIM_400000_NS6detail17trampoline_kernelINS0_14default_configENS1_25partition_config_selectorILNS1_17partition_subalgoE8EjNS0_10empty_typeEbEEZZNS1_14partition_implILS5_8ELb0ES3_jPKjPS6_PKS6_NS0_5tupleIJPjS6_EEENSE_IJSB_SB_EEENS0_18inequality_wrapperIN6hipcub16HIPCUB_304000_NS8EqualityEEEPlJS6_EEE10hipError_tPvRmT3_T4_T5_T6_T7_T9_mT8_P12ihipStream_tbDpT10_ENKUlT_T0_E_clISt17integral_constantIbLb1EES17_EEDaS12_S13_EUlS12_E_NS1_11comp_targetILNS1_3genE10ELNS1_11target_archE1200ELNS1_3gpuE4ELNS1_3repE0EEENS1_30default_config_static_selectorELNS0_4arch9wavefront6targetE1EEEvT1_,comdat
	.protected	_ZN7rocprim17ROCPRIM_400000_NS6detail17trampoline_kernelINS0_14default_configENS1_25partition_config_selectorILNS1_17partition_subalgoE8EjNS0_10empty_typeEbEEZZNS1_14partition_implILS5_8ELb0ES3_jPKjPS6_PKS6_NS0_5tupleIJPjS6_EEENSE_IJSB_SB_EEENS0_18inequality_wrapperIN6hipcub16HIPCUB_304000_NS8EqualityEEEPlJS6_EEE10hipError_tPvRmT3_T4_T5_T6_T7_T9_mT8_P12ihipStream_tbDpT10_ENKUlT_T0_E_clISt17integral_constantIbLb1EES17_EEDaS12_S13_EUlS12_E_NS1_11comp_targetILNS1_3genE10ELNS1_11target_archE1200ELNS1_3gpuE4ELNS1_3repE0EEENS1_30default_config_static_selectorELNS0_4arch9wavefront6targetE1EEEvT1_ ; -- Begin function _ZN7rocprim17ROCPRIM_400000_NS6detail17trampoline_kernelINS0_14default_configENS1_25partition_config_selectorILNS1_17partition_subalgoE8EjNS0_10empty_typeEbEEZZNS1_14partition_implILS5_8ELb0ES3_jPKjPS6_PKS6_NS0_5tupleIJPjS6_EEENSE_IJSB_SB_EEENS0_18inequality_wrapperIN6hipcub16HIPCUB_304000_NS8EqualityEEEPlJS6_EEE10hipError_tPvRmT3_T4_T5_T6_T7_T9_mT8_P12ihipStream_tbDpT10_ENKUlT_T0_E_clISt17integral_constantIbLb1EES17_EEDaS12_S13_EUlS12_E_NS1_11comp_targetILNS1_3genE10ELNS1_11target_archE1200ELNS1_3gpuE4ELNS1_3repE0EEENS1_30default_config_static_selectorELNS0_4arch9wavefront6targetE1EEEvT1_
	.globl	_ZN7rocprim17ROCPRIM_400000_NS6detail17trampoline_kernelINS0_14default_configENS1_25partition_config_selectorILNS1_17partition_subalgoE8EjNS0_10empty_typeEbEEZZNS1_14partition_implILS5_8ELb0ES3_jPKjPS6_PKS6_NS0_5tupleIJPjS6_EEENSE_IJSB_SB_EEENS0_18inequality_wrapperIN6hipcub16HIPCUB_304000_NS8EqualityEEEPlJS6_EEE10hipError_tPvRmT3_T4_T5_T6_T7_T9_mT8_P12ihipStream_tbDpT10_ENKUlT_T0_E_clISt17integral_constantIbLb1EES17_EEDaS12_S13_EUlS12_E_NS1_11comp_targetILNS1_3genE10ELNS1_11target_archE1200ELNS1_3gpuE4ELNS1_3repE0EEENS1_30default_config_static_selectorELNS0_4arch9wavefront6targetE1EEEvT1_
	.p2align	8
	.type	_ZN7rocprim17ROCPRIM_400000_NS6detail17trampoline_kernelINS0_14default_configENS1_25partition_config_selectorILNS1_17partition_subalgoE8EjNS0_10empty_typeEbEEZZNS1_14partition_implILS5_8ELb0ES3_jPKjPS6_PKS6_NS0_5tupleIJPjS6_EEENSE_IJSB_SB_EEENS0_18inequality_wrapperIN6hipcub16HIPCUB_304000_NS8EqualityEEEPlJS6_EEE10hipError_tPvRmT3_T4_T5_T6_T7_T9_mT8_P12ihipStream_tbDpT10_ENKUlT_T0_E_clISt17integral_constantIbLb1EES17_EEDaS12_S13_EUlS12_E_NS1_11comp_targetILNS1_3genE10ELNS1_11target_archE1200ELNS1_3gpuE4ELNS1_3repE0EEENS1_30default_config_static_selectorELNS0_4arch9wavefront6targetE1EEEvT1_,@function
_ZN7rocprim17ROCPRIM_400000_NS6detail17trampoline_kernelINS0_14default_configENS1_25partition_config_selectorILNS1_17partition_subalgoE8EjNS0_10empty_typeEbEEZZNS1_14partition_implILS5_8ELb0ES3_jPKjPS6_PKS6_NS0_5tupleIJPjS6_EEENSE_IJSB_SB_EEENS0_18inequality_wrapperIN6hipcub16HIPCUB_304000_NS8EqualityEEEPlJS6_EEE10hipError_tPvRmT3_T4_T5_T6_T7_T9_mT8_P12ihipStream_tbDpT10_ENKUlT_T0_E_clISt17integral_constantIbLb1EES17_EEDaS12_S13_EUlS12_E_NS1_11comp_targetILNS1_3genE10ELNS1_11target_archE1200ELNS1_3gpuE4ELNS1_3repE0EEENS1_30default_config_static_selectorELNS0_4arch9wavefront6targetE1EEEvT1_: ; @_ZN7rocprim17ROCPRIM_400000_NS6detail17trampoline_kernelINS0_14default_configENS1_25partition_config_selectorILNS1_17partition_subalgoE8EjNS0_10empty_typeEbEEZZNS1_14partition_implILS5_8ELb0ES3_jPKjPS6_PKS6_NS0_5tupleIJPjS6_EEENSE_IJSB_SB_EEENS0_18inequality_wrapperIN6hipcub16HIPCUB_304000_NS8EqualityEEEPlJS6_EEE10hipError_tPvRmT3_T4_T5_T6_T7_T9_mT8_P12ihipStream_tbDpT10_ENKUlT_T0_E_clISt17integral_constantIbLb1EES17_EEDaS12_S13_EUlS12_E_NS1_11comp_targetILNS1_3genE10ELNS1_11target_archE1200ELNS1_3gpuE4ELNS1_3repE0EEENS1_30default_config_static_selectorELNS0_4arch9wavefront6targetE1EEEvT1_
; %bb.0:
	.section	.rodata,"a",@progbits
	.p2align	6, 0x0
	.amdhsa_kernel _ZN7rocprim17ROCPRIM_400000_NS6detail17trampoline_kernelINS0_14default_configENS1_25partition_config_selectorILNS1_17partition_subalgoE8EjNS0_10empty_typeEbEEZZNS1_14partition_implILS5_8ELb0ES3_jPKjPS6_PKS6_NS0_5tupleIJPjS6_EEENSE_IJSB_SB_EEENS0_18inequality_wrapperIN6hipcub16HIPCUB_304000_NS8EqualityEEEPlJS6_EEE10hipError_tPvRmT3_T4_T5_T6_T7_T9_mT8_P12ihipStream_tbDpT10_ENKUlT_T0_E_clISt17integral_constantIbLb1EES17_EEDaS12_S13_EUlS12_E_NS1_11comp_targetILNS1_3genE10ELNS1_11target_archE1200ELNS1_3gpuE4ELNS1_3repE0EEENS1_30default_config_static_selectorELNS0_4arch9wavefront6targetE1EEEvT1_
		.amdhsa_group_segment_fixed_size 0
		.amdhsa_private_segment_fixed_size 0
		.amdhsa_kernarg_size 128
		.amdhsa_user_sgpr_count 6
		.amdhsa_user_sgpr_private_segment_buffer 1
		.amdhsa_user_sgpr_dispatch_ptr 0
		.amdhsa_user_sgpr_queue_ptr 0
		.amdhsa_user_sgpr_kernarg_segment_ptr 1
		.amdhsa_user_sgpr_dispatch_id 0
		.amdhsa_user_sgpr_flat_scratch_init 0
		.amdhsa_user_sgpr_kernarg_preload_length 0
		.amdhsa_user_sgpr_kernarg_preload_offset 0
		.amdhsa_user_sgpr_private_segment_size 0
		.amdhsa_uses_dynamic_stack 0
		.amdhsa_system_sgpr_private_segment_wavefront_offset 0
		.amdhsa_system_sgpr_workgroup_id_x 1
		.amdhsa_system_sgpr_workgroup_id_y 0
		.amdhsa_system_sgpr_workgroup_id_z 0
		.amdhsa_system_sgpr_workgroup_info 0
		.amdhsa_system_vgpr_workitem_id 0
		.amdhsa_next_free_vgpr 1
		.amdhsa_next_free_sgpr 0
		.amdhsa_accum_offset 4
		.amdhsa_reserve_vcc 0
		.amdhsa_reserve_flat_scratch 0
		.amdhsa_float_round_mode_32 0
		.amdhsa_float_round_mode_16_64 0
		.amdhsa_float_denorm_mode_32 3
		.amdhsa_float_denorm_mode_16_64 3
		.amdhsa_dx10_clamp 1
		.amdhsa_ieee_mode 1
		.amdhsa_fp16_overflow 0
		.amdhsa_tg_split 0
		.amdhsa_exception_fp_ieee_invalid_op 0
		.amdhsa_exception_fp_denorm_src 0
		.amdhsa_exception_fp_ieee_div_zero 0
		.amdhsa_exception_fp_ieee_overflow 0
		.amdhsa_exception_fp_ieee_underflow 0
		.amdhsa_exception_fp_ieee_inexact 0
		.amdhsa_exception_int_div_zero 0
	.end_amdhsa_kernel
	.section	.text._ZN7rocprim17ROCPRIM_400000_NS6detail17trampoline_kernelINS0_14default_configENS1_25partition_config_selectorILNS1_17partition_subalgoE8EjNS0_10empty_typeEbEEZZNS1_14partition_implILS5_8ELb0ES3_jPKjPS6_PKS6_NS0_5tupleIJPjS6_EEENSE_IJSB_SB_EEENS0_18inequality_wrapperIN6hipcub16HIPCUB_304000_NS8EqualityEEEPlJS6_EEE10hipError_tPvRmT3_T4_T5_T6_T7_T9_mT8_P12ihipStream_tbDpT10_ENKUlT_T0_E_clISt17integral_constantIbLb1EES17_EEDaS12_S13_EUlS12_E_NS1_11comp_targetILNS1_3genE10ELNS1_11target_archE1200ELNS1_3gpuE4ELNS1_3repE0EEENS1_30default_config_static_selectorELNS0_4arch9wavefront6targetE1EEEvT1_,"axG",@progbits,_ZN7rocprim17ROCPRIM_400000_NS6detail17trampoline_kernelINS0_14default_configENS1_25partition_config_selectorILNS1_17partition_subalgoE8EjNS0_10empty_typeEbEEZZNS1_14partition_implILS5_8ELb0ES3_jPKjPS6_PKS6_NS0_5tupleIJPjS6_EEENSE_IJSB_SB_EEENS0_18inequality_wrapperIN6hipcub16HIPCUB_304000_NS8EqualityEEEPlJS6_EEE10hipError_tPvRmT3_T4_T5_T6_T7_T9_mT8_P12ihipStream_tbDpT10_ENKUlT_T0_E_clISt17integral_constantIbLb1EES17_EEDaS12_S13_EUlS12_E_NS1_11comp_targetILNS1_3genE10ELNS1_11target_archE1200ELNS1_3gpuE4ELNS1_3repE0EEENS1_30default_config_static_selectorELNS0_4arch9wavefront6targetE1EEEvT1_,comdat
.Lfunc_end630:
	.size	_ZN7rocprim17ROCPRIM_400000_NS6detail17trampoline_kernelINS0_14default_configENS1_25partition_config_selectorILNS1_17partition_subalgoE8EjNS0_10empty_typeEbEEZZNS1_14partition_implILS5_8ELb0ES3_jPKjPS6_PKS6_NS0_5tupleIJPjS6_EEENSE_IJSB_SB_EEENS0_18inequality_wrapperIN6hipcub16HIPCUB_304000_NS8EqualityEEEPlJS6_EEE10hipError_tPvRmT3_T4_T5_T6_T7_T9_mT8_P12ihipStream_tbDpT10_ENKUlT_T0_E_clISt17integral_constantIbLb1EES17_EEDaS12_S13_EUlS12_E_NS1_11comp_targetILNS1_3genE10ELNS1_11target_archE1200ELNS1_3gpuE4ELNS1_3repE0EEENS1_30default_config_static_selectorELNS0_4arch9wavefront6targetE1EEEvT1_, .Lfunc_end630-_ZN7rocprim17ROCPRIM_400000_NS6detail17trampoline_kernelINS0_14default_configENS1_25partition_config_selectorILNS1_17partition_subalgoE8EjNS0_10empty_typeEbEEZZNS1_14partition_implILS5_8ELb0ES3_jPKjPS6_PKS6_NS0_5tupleIJPjS6_EEENSE_IJSB_SB_EEENS0_18inequality_wrapperIN6hipcub16HIPCUB_304000_NS8EqualityEEEPlJS6_EEE10hipError_tPvRmT3_T4_T5_T6_T7_T9_mT8_P12ihipStream_tbDpT10_ENKUlT_T0_E_clISt17integral_constantIbLb1EES17_EEDaS12_S13_EUlS12_E_NS1_11comp_targetILNS1_3genE10ELNS1_11target_archE1200ELNS1_3gpuE4ELNS1_3repE0EEENS1_30default_config_static_selectorELNS0_4arch9wavefront6targetE1EEEvT1_
                                        ; -- End function
	.section	.AMDGPU.csdata,"",@progbits
; Kernel info:
; codeLenInByte = 0
; NumSgprs: 4
; NumVgprs: 0
; NumAgprs: 0
; TotalNumVgprs: 0
; ScratchSize: 0
; MemoryBound: 0
; FloatMode: 240
; IeeeMode: 1
; LDSByteSize: 0 bytes/workgroup (compile time only)
; SGPRBlocks: 0
; VGPRBlocks: 0
; NumSGPRsForWavesPerEU: 4
; NumVGPRsForWavesPerEU: 1
; AccumOffset: 4
; Occupancy: 8
; WaveLimiterHint : 0
; COMPUTE_PGM_RSRC2:SCRATCH_EN: 0
; COMPUTE_PGM_RSRC2:USER_SGPR: 6
; COMPUTE_PGM_RSRC2:TRAP_HANDLER: 0
; COMPUTE_PGM_RSRC2:TGID_X_EN: 1
; COMPUTE_PGM_RSRC2:TGID_Y_EN: 0
; COMPUTE_PGM_RSRC2:TGID_Z_EN: 0
; COMPUTE_PGM_RSRC2:TIDIG_COMP_CNT: 0
; COMPUTE_PGM_RSRC3_GFX90A:ACCUM_OFFSET: 0
; COMPUTE_PGM_RSRC3_GFX90A:TG_SPLIT: 0
	.section	.text._ZN7rocprim17ROCPRIM_400000_NS6detail17trampoline_kernelINS0_14default_configENS1_25partition_config_selectorILNS1_17partition_subalgoE8EjNS0_10empty_typeEbEEZZNS1_14partition_implILS5_8ELb0ES3_jPKjPS6_PKS6_NS0_5tupleIJPjS6_EEENSE_IJSB_SB_EEENS0_18inequality_wrapperIN6hipcub16HIPCUB_304000_NS8EqualityEEEPlJS6_EEE10hipError_tPvRmT3_T4_T5_T6_T7_T9_mT8_P12ihipStream_tbDpT10_ENKUlT_T0_E_clISt17integral_constantIbLb1EES17_EEDaS12_S13_EUlS12_E_NS1_11comp_targetILNS1_3genE9ELNS1_11target_archE1100ELNS1_3gpuE3ELNS1_3repE0EEENS1_30default_config_static_selectorELNS0_4arch9wavefront6targetE1EEEvT1_,"axG",@progbits,_ZN7rocprim17ROCPRIM_400000_NS6detail17trampoline_kernelINS0_14default_configENS1_25partition_config_selectorILNS1_17partition_subalgoE8EjNS0_10empty_typeEbEEZZNS1_14partition_implILS5_8ELb0ES3_jPKjPS6_PKS6_NS0_5tupleIJPjS6_EEENSE_IJSB_SB_EEENS0_18inequality_wrapperIN6hipcub16HIPCUB_304000_NS8EqualityEEEPlJS6_EEE10hipError_tPvRmT3_T4_T5_T6_T7_T9_mT8_P12ihipStream_tbDpT10_ENKUlT_T0_E_clISt17integral_constantIbLb1EES17_EEDaS12_S13_EUlS12_E_NS1_11comp_targetILNS1_3genE9ELNS1_11target_archE1100ELNS1_3gpuE3ELNS1_3repE0EEENS1_30default_config_static_selectorELNS0_4arch9wavefront6targetE1EEEvT1_,comdat
	.protected	_ZN7rocprim17ROCPRIM_400000_NS6detail17trampoline_kernelINS0_14default_configENS1_25partition_config_selectorILNS1_17partition_subalgoE8EjNS0_10empty_typeEbEEZZNS1_14partition_implILS5_8ELb0ES3_jPKjPS6_PKS6_NS0_5tupleIJPjS6_EEENSE_IJSB_SB_EEENS0_18inequality_wrapperIN6hipcub16HIPCUB_304000_NS8EqualityEEEPlJS6_EEE10hipError_tPvRmT3_T4_T5_T6_T7_T9_mT8_P12ihipStream_tbDpT10_ENKUlT_T0_E_clISt17integral_constantIbLb1EES17_EEDaS12_S13_EUlS12_E_NS1_11comp_targetILNS1_3genE9ELNS1_11target_archE1100ELNS1_3gpuE3ELNS1_3repE0EEENS1_30default_config_static_selectorELNS0_4arch9wavefront6targetE1EEEvT1_ ; -- Begin function _ZN7rocprim17ROCPRIM_400000_NS6detail17trampoline_kernelINS0_14default_configENS1_25partition_config_selectorILNS1_17partition_subalgoE8EjNS0_10empty_typeEbEEZZNS1_14partition_implILS5_8ELb0ES3_jPKjPS6_PKS6_NS0_5tupleIJPjS6_EEENSE_IJSB_SB_EEENS0_18inequality_wrapperIN6hipcub16HIPCUB_304000_NS8EqualityEEEPlJS6_EEE10hipError_tPvRmT3_T4_T5_T6_T7_T9_mT8_P12ihipStream_tbDpT10_ENKUlT_T0_E_clISt17integral_constantIbLb1EES17_EEDaS12_S13_EUlS12_E_NS1_11comp_targetILNS1_3genE9ELNS1_11target_archE1100ELNS1_3gpuE3ELNS1_3repE0EEENS1_30default_config_static_selectorELNS0_4arch9wavefront6targetE1EEEvT1_
	.globl	_ZN7rocprim17ROCPRIM_400000_NS6detail17trampoline_kernelINS0_14default_configENS1_25partition_config_selectorILNS1_17partition_subalgoE8EjNS0_10empty_typeEbEEZZNS1_14partition_implILS5_8ELb0ES3_jPKjPS6_PKS6_NS0_5tupleIJPjS6_EEENSE_IJSB_SB_EEENS0_18inequality_wrapperIN6hipcub16HIPCUB_304000_NS8EqualityEEEPlJS6_EEE10hipError_tPvRmT3_T4_T5_T6_T7_T9_mT8_P12ihipStream_tbDpT10_ENKUlT_T0_E_clISt17integral_constantIbLb1EES17_EEDaS12_S13_EUlS12_E_NS1_11comp_targetILNS1_3genE9ELNS1_11target_archE1100ELNS1_3gpuE3ELNS1_3repE0EEENS1_30default_config_static_selectorELNS0_4arch9wavefront6targetE1EEEvT1_
	.p2align	8
	.type	_ZN7rocprim17ROCPRIM_400000_NS6detail17trampoline_kernelINS0_14default_configENS1_25partition_config_selectorILNS1_17partition_subalgoE8EjNS0_10empty_typeEbEEZZNS1_14partition_implILS5_8ELb0ES3_jPKjPS6_PKS6_NS0_5tupleIJPjS6_EEENSE_IJSB_SB_EEENS0_18inequality_wrapperIN6hipcub16HIPCUB_304000_NS8EqualityEEEPlJS6_EEE10hipError_tPvRmT3_T4_T5_T6_T7_T9_mT8_P12ihipStream_tbDpT10_ENKUlT_T0_E_clISt17integral_constantIbLb1EES17_EEDaS12_S13_EUlS12_E_NS1_11comp_targetILNS1_3genE9ELNS1_11target_archE1100ELNS1_3gpuE3ELNS1_3repE0EEENS1_30default_config_static_selectorELNS0_4arch9wavefront6targetE1EEEvT1_,@function
_ZN7rocprim17ROCPRIM_400000_NS6detail17trampoline_kernelINS0_14default_configENS1_25partition_config_selectorILNS1_17partition_subalgoE8EjNS0_10empty_typeEbEEZZNS1_14partition_implILS5_8ELb0ES3_jPKjPS6_PKS6_NS0_5tupleIJPjS6_EEENSE_IJSB_SB_EEENS0_18inequality_wrapperIN6hipcub16HIPCUB_304000_NS8EqualityEEEPlJS6_EEE10hipError_tPvRmT3_T4_T5_T6_T7_T9_mT8_P12ihipStream_tbDpT10_ENKUlT_T0_E_clISt17integral_constantIbLb1EES17_EEDaS12_S13_EUlS12_E_NS1_11comp_targetILNS1_3genE9ELNS1_11target_archE1100ELNS1_3gpuE3ELNS1_3repE0EEENS1_30default_config_static_selectorELNS0_4arch9wavefront6targetE1EEEvT1_: ; @_ZN7rocprim17ROCPRIM_400000_NS6detail17trampoline_kernelINS0_14default_configENS1_25partition_config_selectorILNS1_17partition_subalgoE8EjNS0_10empty_typeEbEEZZNS1_14partition_implILS5_8ELb0ES3_jPKjPS6_PKS6_NS0_5tupleIJPjS6_EEENSE_IJSB_SB_EEENS0_18inequality_wrapperIN6hipcub16HIPCUB_304000_NS8EqualityEEEPlJS6_EEE10hipError_tPvRmT3_T4_T5_T6_T7_T9_mT8_P12ihipStream_tbDpT10_ENKUlT_T0_E_clISt17integral_constantIbLb1EES17_EEDaS12_S13_EUlS12_E_NS1_11comp_targetILNS1_3genE9ELNS1_11target_archE1100ELNS1_3gpuE3ELNS1_3repE0EEENS1_30default_config_static_selectorELNS0_4arch9wavefront6targetE1EEEvT1_
; %bb.0:
	.section	.rodata,"a",@progbits
	.p2align	6, 0x0
	.amdhsa_kernel _ZN7rocprim17ROCPRIM_400000_NS6detail17trampoline_kernelINS0_14default_configENS1_25partition_config_selectorILNS1_17partition_subalgoE8EjNS0_10empty_typeEbEEZZNS1_14partition_implILS5_8ELb0ES3_jPKjPS6_PKS6_NS0_5tupleIJPjS6_EEENSE_IJSB_SB_EEENS0_18inequality_wrapperIN6hipcub16HIPCUB_304000_NS8EqualityEEEPlJS6_EEE10hipError_tPvRmT3_T4_T5_T6_T7_T9_mT8_P12ihipStream_tbDpT10_ENKUlT_T0_E_clISt17integral_constantIbLb1EES17_EEDaS12_S13_EUlS12_E_NS1_11comp_targetILNS1_3genE9ELNS1_11target_archE1100ELNS1_3gpuE3ELNS1_3repE0EEENS1_30default_config_static_selectorELNS0_4arch9wavefront6targetE1EEEvT1_
		.amdhsa_group_segment_fixed_size 0
		.amdhsa_private_segment_fixed_size 0
		.amdhsa_kernarg_size 128
		.amdhsa_user_sgpr_count 6
		.amdhsa_user_sgpr_private_segment_buffer 1
		.amdhsa_user_sgpr_dispatch_ptr 0
		.amdhsa_user_sgpr_queue_ptr 0
		.amdhsa_user_sgpr_kernarg_segment_ptr 1
		.amdhsa_user_sgpr_dispatch_id 0
		.amdhsa_user_sgpr_flat_scratch_init 0
		.amdhsa_user_sgpr_kernarg_preload_length 0
		.amdhsa_user_sgpr_kernarg_preload_offset 0
		.amdhsa_user_sgpr_private_segment_size 0
		.amdhsa_uses_dynamic_stack 0
		.amdhsa_system_sgpr_private_segment_wavefront_offset 0
		.amdhsa_system_sgpr_workgroup_id_x 1
		.amdhsa_system_sgpr_workgroup_id_y 0
		.amdhsa_system_sgpr_workgroup_id_z 0
		.amdhsa_system_sgpr_workgroup_info 0
		.amdhsa_system_vgpr_workitem_id 0
		.amdhsa_next_free_vgpr 1
		.amdhsa_next_free_sgpr 0
		.amdhsa_accum_offset 4
		.amdhsa_reserve_vcc 0
		.amdhsa_reserve_flat_scratch 0
		.amdhsa_float_round_mode_32 0
		.amdhsa_float_round_mode_16_64 0
		.amdhsa_float_denorm_mode_32 3
		.amdhsa_float_denorm_mode_16_64 3
		.amdhsa_dx10_clamp 1
		.amdhsa_ieee_mode 1
		.amdhsa_fp16_overflow 0
		.amdhsa_tg_split 0
		.amdhsa_exception_fp_ieee_invalid_op 0
		.amdhsa_exception_fp_denorm_src 0
		.amdhsa_exception_fp_ieee_div_zero 0
		.amdhsa_exception_fp_ieee_overflow 0
		.amdhsa_exception_fp_ieee_underflow 0
		.amdhsa_exception_fp_ieee_inexact 0
		.amdhsa_exception_int_div_zero 0
	.end_amdhsa_kernel
	.section	.text._ZN7rocprim17ROCPRIM_400000_NS6detail17trampoline_kernelINS0_14default_configENS1_25partition_config_selectorILNS1_17partition_subalgoE8EjNS0_10empty_typeEbEEZZNS1_14partition_implILS5_8ELb0ES3_jPKjPS6_PKS6_NS0_5tupleIJPjS6_EEENSE_IJSB_SB_EEENS0_18inequality_wrapperIN6hipcub16HIPCUB_304000_NS8EqualityEEEPlJS6_EEE10hipError_tPvRmT3_T4_T5_T6_T7_T9_mT8_P12ihipStream_tbDpT10_ENKUlT_T0_E_clISt17integral_constantIbLb1EES17_EEDaS12_S13_EUlS12_E_NS1_11comp_targetILNS1_3genE9ELNS1_11target_archE1100ELNS1_3gpuE3ELNS1_3repE0EEENS1_30default_config_static_selectorELNS0_4arch9wavefront6targetE1EEEvT1_,"axG",@progbits,_ZN7rocprim17ROCPRIM_400000_NS6detail17trampoline_kernelINS0_14default_configENS1_25partition_config_selectorILNS1_17partition_subalgoE8EjNS0_10empty_typeEbEEZZNS1_14partition_implILS5_8ELb0ES3_jPKjPS6_PKS6_NS0_5tupleIJPjS6_EEENSE_IJSB_SB_EEENS0_18inequality_wrapperIN6hipcub16HIPCUB_304000_NS8EqualityEEEPlJS6_EEE10hipError_tPvRmT3_T4_T5_T6_T7_T9_mT8_P12ihipStream_tbDpT10_ENKUlT_T0_E_clISt17integral_constantIbLb1EES17_EEDaS12_S13_EUlS12_E_NS1_11comp_targetILNS1_3genE9ELNS1_11target_archE1100ELNS1_3gpuE3ELNS1_3repE0EEENS1_30default_config_static_selectorELNS0_4arch9wavefront6targetE1EEEvT1_,comdat
.Lfunc_end631:
	.size	_ZN7rocprim17ROCPRIM_400000_NS6detail17trampoline_kernelINS0_14default_configENS1_25partition_config_selectorILNS1_17partition_subalgoE8EjNS0_10empty_typeEbEEZZNS1_14partition_implILS5_8ELb0ES3_jPKjPS6_PKS6_NS0_5tupleIJPjS6_EEENSE_IJSB_SB_EEENS0_18inequality_wrapperIN6hipcub16HIPCUB_304000_NS8EqualityEEEPlJS6_EEE10hipError_tPvRmT3_T4_T5_T6_T7_T9_mT8_P12ihipStream_tbDpT10_ENKUlT_T0_E_clISt17integral_constantIbLb1EES17_EEDaS12_S13_EUlS12_E_NS1_11comp_targetILNS1_3genE9ELNS1_11target_archE1100ELNS1_3gpuE3ELNS1_3repE0EEENS1_30default_config_static_selectorELNS0_4arch9wavefront6targetE1EEEvT1_, .Lfunc_end631-_ZN7rocprim17ROCPRIM_400000_NS6detail17trampoline_kernelINS0_14default_configENS1_25partition_config_selectorILNS1_17partition_subalgoE8EjNS0_10empty_typeEbEEZZNS1_14partition_implILS5_8ELb0ES3_jPKjPS6_PKS6_NS0_5tupleIJPjS6_EEENSE_IJSB_SB_EEENS0_18inequality_wrapperIN6hipcub16HIPCUB_304000_NS8EqualityEEEPlJS6_EEE10hipError_tPvRmT3_T4_T5_T6_T7_T9_mT8_P12ihipStream_tbDpT10_ENKUlT_T0_E_clISt17integral_constantIbLb1EES17_EEDaS12_S13_EUlS12_E_NS1_11comp_targetILNS1_3genE9ELNS1_11target_archE1100ELNS1_3gpuE3ELNS1_3repE0EEENS1_30default_config_static_selectorELNS0_4arch9wavefront6targetE1EEEvT1_
                                        ; -- End function
	.section	.AMDGPU.csdata,"",@progbits
; Kernel info:
; codeLenInByte = 0
; NumSgprs: 4
; NumVgprs: 0
; NumAgprs: 0
; TotalNumVgprs: 0
; ScratchSize: 0
; MemoryBound: 0
; FloatMode: 240
; IeeeMode: 1
; LDSByteSize: 0 bytes/workgroup (compile time only)
; SGPRBlocks: 0
; VGPRBlocks: 0
; NumSGPRsForWavesPerEU: 4
; NumVGPRsForWavesPerEU: 1
; AccumOffset: 4
; Occupancy: 8
; WaveLimiterHint : 0
; COMPUTE_PGM_RSRC2:SCRATCH_EN: 0
; COMPUTE_PGM_RSRC2:USER_SGPR: 6
; COMPUTE_PGM_RSRC2:TRAP_HANDLER: 0
; COMPUTE_PGM_RSRC2:TGID_X_EN: 1
; COMPUTE_PGM_RSRC2:TGID_Y_EN: 0
; COMPUTE_PGM_RSRC2:TGID_Z_EN: 0
; COMPUTE_PGM_RSRC2:TIDIG_COMP_CNT: 0
; COMPUTE_PGM_RSRC3_GFX90A:ACCUM_OFFSET: 0
; COMPUTE_PGM_RSRC3_GFX90A:TG_SPLIT: 0
	.section	.text._ZN7rocprim17ROCPRIM_400000_NS6detail17trampoline_kernelINS0_14default_configENS1_25partition_config_selectorILNS1_17partition_subalgoE8EjNS0_10empty_typeEbEEZZNS1_14partition_implILS5_8ELb0ES3_jPKjPS6_PKS6_NS0_5tupleIJPjS6_EEENSE_IJSB_SB_EEENS0_18inequality_wrapperIN6hipcub16HIPCUB_304000_NS8EqualityEEEPlJS6_EEE10hipError_tPvRmT3_T4_T5_T6_T7_T9_mT8_P12ihipStream_tbDpT10_ENKUlT_T0_E_clISt17integral_constantIbLb1EES17_EEDaS12_S13_EUlS12_E_NS1_11comp_targetILNS1_3genE8ELNS1_11target_archE1030ELNS1_3gpuE2ELNS1_3repE0EEENS1_30default_config_static_selectorELNS0_4arch9wavefront6targetE1EEEvT1_,"axG",@progbits,_ZN7rocprim17ROCPRIM_400000_NS6detail17trampoline_kernelINS0_14default_configENS1_25partition_config_selectorILNS1_17partition_subalgoE8EjNS0_10empty_typeEbEEZZNS1_14partition_implILS5_8ELb0ES3_jPKjPS6_PKS6_NS0_5tupleIJPjS6_EEENSE_IJSB_SB_EEENS0_18inequality_wrapperIN6hipcub16HIPCUB_304000_NS8EqualityEEEPlJS6_EEE10hipError_tPvRmT3_T4_T5_T6_T7_T9_mT8_P12ihipStream_tbDpT10_ENKUlT_T0_E_clISt17integral_constantIbLb1EES17_EEDaS12_S13_EUlS12_E_NS1_11comp_targetILNS1_3genE8ELNS1_11target_archE1030ELNS1_3gpuE2ELNS1_3repE0EEENS1_30default_config_static_selectorELNS0_4arch9wavefront6targetE1EEEvT1_,comdat
	.protected	_ZN7rocprim17ROCPRIM_400000_NS6detail17trampoline_kernelINS0_14default_configENS1_25partition_config_selectorILNS1_17partition_subalgoE8EjNS0_10empty_typeEbEEZZNS1_14partition_implILS5_8ELb0ES3_jPKjPS6_PKS6_NS0_5tupleIJPjS6_EEENSE_IJSB_SB_EEENS0_18inequality_wrapperIN6hipcub16HIPCUB_304000_NS8EqualityEEEPlJS6_EEE10hipError_tPvRmT3_T4_T5_T6_T7_T9_mT8_P12ihipStream_tbDpT10_ENKUlT_T0_E_clISt17integral_constantIbLb1EES17_EEDaS12_S13_EUlS12_E_NS1_11comp_targetILNS1_3genE8ELNS1_11target_archE1030ELNS1_3gpuE2ELNS1_3repE0EEENS1_30default_config_static_selectorELNS0_4arch9wavefront6targetE1EEEvT1_ ; -- Begin function _ZN7rocprim17ROCPRIM_400000_NS6detail17trampoline_kernelINS0_14default_configENS1_25partition_config_selectorILNS1_17partition_subalgoE8EjNS0_10empty_typeEbEEZZNS1_14partition_implILS5_8ELb0ES3_jPKjPS6_PKS6_NS0_5tupleIJPjS6_EEENSE_IJSB_SB_EEENS0_18inequality_wrapperIN6hipcub16HIPCUB_304000_NS8EqualityEEEPlJS6_EEE10hipError_tPvRmT3_T4_T5_T6_T7_T9_mT8_P12ihipStream_tbDpT10_ENKUlT_T0_E_clISt17integral_constantIbLb1EES17_EEDaS12_S13_EUlS12_E_NS1_11comp_targetILNS1_3genE8ELNS1_11target_archE1030ELNS1_3gpuE2ELNS1_3repE0EEENS1_30default_config_static_selectorELNS0_4arch9wavefront6targetE1EEEvT1_
	.globl	_ZN7rocprim17ROCPRIM_400000_NS6detail17trampoline_kernelINS0_14default_configENS1_25partition_config_selectorILNS1_17partition_subalgoE8EjNS0_10empty_typeEbEEZZNS1_14partition_implILS5_8ELb0ES3_jPKjPS6_PKS6_NS0_5tupleIJPjS6_EEENSE_IJSB_SB_EEENS0_18inequality_wrapperIN6hipcub16HIPCUB_304000_NS8EqualityEEEPlJS6_EEE10hipError_tPvRmT3_T4_T5_T6_T7_T9_mT8_P12ihipStream_tbDpT10_ENKUlT_T0_E_clISt17integral_constantIbLb1EES17_EEDaS12_S13_EUlS12_E_NS1_11comp_targetILNS1_3genE8ELNS1_11target_archE1030ELNS1_3gpuE2ELNS1_3repE0EEENS1_30default_config_static_selectorELNS0_4arch9wavefront6targetE1EEEvT1_
	.p2align	8
	.type	_ZN7rocprim17ROCPRIM_400000_NS6detail17trampoline_kernelINS0_14default_configENS1_25partition_config_selectorILNS1_17partition_subalgoE8EjNS0_10empty_typeEbEEZZNS1_14partition_implILS5_8ELb0ES3_jPKjPS6_PKS6_NS0_5tupleIJPjS6_EEENSE_IJSB_SB_EEENS0_18inequality_wrapperIN6hipcub16HIPCUB_304000_NS8EqualityEEEPlJS6_EEE10hipError_tPvRmT3_T4_T5_T6_T7_T9_mT8_P12ihipStream_tbDpT10_ENKUlT_T0_E_clISt17integral_constantIbLb1EES17_EEDaS12_S13_EUlS12_E_NS1_11comp_targetILNS1_3genE8ELNS1_11target_archE1030ELNS1_3gpuE2ELNS1_3repE0EEENS1_30default_config_static_selectorELNS0_4arch9wavefront6targetE1EEEvT1_,@function
_ZN7rocprim17ROCPRIM_400000_NS6detail17trampoline_kernelINS0_14default_configENS1_25partition_config_selectorILNS1_17partition_subalgoE8EjNS0_10empty_typeEbEEZZNS1_14partition_implILS5_8ELb0ES3_jPKjPS6_PKS6_NS0_5tupleIJPjS6_EEENSE_IJSB_SB_EEENS0_18inequality_wrapperIN6hipcub16HIPCUB_304000_NS8EqualityEEEPlJS6_EEE10hipError_tPvRmT3_T4_T5_T6_T7_T9_mT8_P12ihipStream_tbDpT10_ENKUlT_T0_E_clISt17integral_constantIbLb1EES17_EEDaS12_S13_EUlS12_E_NS1_11comp_targetILNS1_3genE8ELNS1_11target_archE1030ELNS1_3gpuE2ELNS1_3repE0EEENS1_30default_config_static_selectorELNS0_4arch9wavefront6targetE1EEEvT1_: ; @_ZN7rocprim17ROCPRIM_400000_NS6detail17trampoline_kernelINS0_14default_configENS1_25partition_config_selectorILNS1_17partition_subalgoE8EjNS0_10empty_typeEbEEZZNS1_14partition_implILS5_8ELb0ES3_jPKjPS6_PKS6_NS0_5tupleIJPjS6_EEENSE_IJSB_SB_EEENS0_18inequality_wrapperIN6hipcub16HIPCUB_304000_NS8EqualityEEEPlJS6_EEE10hipError_tPvRmT3_T4_T5_T6_T7_T9_mT8_P12ihipStream_tbDpT10_ENKUlT_T0_E_clISt17integral_constantIbLb1EES17_EEDaS12_S13_EUlS12_E_NS1_11comp_targetILNS1_3genE8ELNS1_11target_archE1030ELNS1_3gpuE2ELNS1_3repE0EEENS1_30default_config_static_selectorELNS0_4arch9wavefront6targetE1EEEvT1_
; %bb.0:
	.section	.rodata,"a",@progbits
	.p2align	6, 0x0
	.amdhsa_kernel _ZN7rocprim17ROCPRIM_400000_NS6detail17trampoline_kernelINS0_14default_configENS1_25partition_config_selectorILNS1_17partition_subalgoE8EjNS0_10empty_typeEbEEZZNS1_14partition_implILS5_8ELb0ES3_jPKjPS6_PKS6_NS0_5tupleIJPjS6_EEENSE_IJSB_SB_EEENS0_18inequality_wrapperIN6hipcub16HIPCUB_304000_NS8EqualityEEEPlJS6_EEE10hipError_tPvRmT3_T4_T5_T6_T7_T9_mT8_P12ihipStream_tbDpT10_ENKUlT_T0_E_clISt17integral_constantIbLb1EES17_EEDaS12_S13_EUlS12_E_NS1_11comp_targetILNS1_3genE8ELNS1_11target_archE1030ELNS1_3gpuE2ELNS1_3repE0EEENS1_30default_config_static_selectorELNS0_4arch9wavefront6targetE1EEEvT1_
		.amdhsa_group_segment_fixed_size 0
		.amdhsa_private_segment_fixed_size 0
		.amdhsa_kernarg_size 128
		.amdhsa_user_sgpr_count 6
		.amdhsa_user_sgpr_private_segment_buffer 1
		.amdhsa_user_sgpr_dispatch_ptr 0
		.amdhsa_user_sgpr_queue_ptr 0
		.amdhsa_user_sgpr_kernarg_segment_ptr 1
		.amdhsa_user_sgpr_dispatch_id 0
		.amdhsa_user_sgpr_flat_scratch_init 0
		.amdhsa_user_sgpr_kernarg_preload_length 0
		.amdhsa_user_sgpr_kernarg_preload_offset 0
		.amdhsa_user_sgpr_private_segment_size 0
		.amdhsa_uses_dynamic_stack 0
		.amdhsa_system_sgpr_private_segment_wavefront_offset 0
		.amdhsa_system_sgpr_workgroup_id_x 1
		.amdhsa_system_sgpr_workgroup_id_y 0
		.amdhsa_system_sgpr_workgroup_id_z 0
		.amdhsa_system_sgpr_workgroup_info 0
		.amdhsa_system_vgpr_workitem_id 0
		.amdhsa_next_free_vgpr 1
		.amdhsa_next_free_sgpr 0
		.amdhsa_accum_offset 4
		.amdhsa_reserve_vcc 0
		.amdhsa_reserve_flat_scratch 0
		.amdhsa_float_round_mode_32 0
		.amdhsa_float_round_mode_16_64 0
		.amdhsa_float_denorm_mode_32 3
		.amdhsa_float_denorm_mode_16_64 3
		.amdhsa_dx10_clamp 1
		.amdhsa_ieee_mode 1
		.amdhsa_fp16_overflow 0
		.amdhsa_tg_split 0
		.amdhsa_exception_fp_ieee_invalid_op 0
		.amdhsa_exception_fp_denorm_src 0
		.amdhsa_exception_fp_ieee_div_zero 0
		.amdhsa_exception_fp_ieee_overflow 0
		.amdhsa_exception_fp_ieee_underflow 0
		.amdhsa_exception_fp_ieee_inexact 0
		.amdhsa_exception_int_div_zero 0
	.end_amdhsa_kernel
	.section	.text._ZN7rocprim17ROCPRIM_400000_NS6detail17trampoline_kernelINS0_14default_configENS1_25partition_config_selectorILNS1_17partition_subalgoE8EjNS0_10empty_typeEbEEZZNS1_14partition_implILS5_8ELb0ES3_jPKjPS6_PKS6_NS0_5tupleIJPjS6_EEENSE_IJSB_SB_EEENS0_18inequality_wrapperIN6hipcub16HIPCUB_304000_NS8EqualityEEEPlJS6_EEE10hipError_tPvRmT3_T4_T5_T6_T7_T9_mT8_P12ihipStream_tbDpT10_ENKUlT_T0_E_clISt17integral_constantIbLb1EES17_EEDaS12_S13_EUlS12_E_NS1_11comp_targetILNS1_3genE8ELNS1_11target_archE1030ELNS1_3gpuE2ELNS1_3repE0EEENS1_30default_config_static_selectorELNS0_4arch9wavefront6targetE1EEEvT1_,"axG",@progbits,_ZN7rocprim17ROCPRIM_400000_NS6detail17trampoline_kernelINS0_14default_configENS1_25partition_config_selectorILNS1_17partition_subalgoE8EjNS0_10empty_typeEbEEZZNS1_14partition_implILS5_8ELb0ES3_jPKjPS6_PKS6_NS0_5tupleIJPjS6_EEENSE_IJSB_SB_EEENS0_18inequality_wrapperIN6hipcub16HIPCUB_304000_NS8EqualityEEEPlJS6_EEE10hipError_tPvRmT3_T4_T5_T6_T7_T9_mT8_P12ihipStream_tbDpT10_ENKUlT_T0_E_clISt17integral_constantIbLb1EES17_EEDaS12_S13_EUlS12_E_NS1_11comp_targetILNS1_3genE8ELNS1_11target_archE1030ELNS1_3gpuE2ELNS1_3repE0EEENS1_30default_config_static_selectorELNS0_4arch9wavefront6targetE1EEEvT1_,comdat
.Lfunc_end632:
	.size	_ZN7rocprim17ROCPRIM_400000_NS6detail17trampoline_kernelINS0_14default_configENS1_25partition_config_selectorILNS1_17partition_subalgoE8EjNS0_10empty_typeEbEEZZNS1_14partition_implILS5_8ELb0ES3_jPKjPS6_PKS6_NS0_5tupleIJPjS6_EEENSE_IJSB_SB_EEENS0_18inequality_wrapperIN6hipcub16HIPCUB_304000_NS8EqualityEEEPlJS6_EEE10hipError_tPvRmT3_T4_T5_T6_T7_T9_mT8_P12ihipStream_tbDpT10_ENKUlT_T0_E_clISt17integral_constantIbLb1EES17_EEDaS12_S13_EUlS12_E_NS1_11comp_targetILNS1_3genE8ELNS1_11target_archE1030ELNS1_3gpuE2ELNS1_3repE0EEENS1_30default_config_static_selectorELNS0_4arch9wavefront6targetE1EEEvT1_, .Lfunc_end632-_ZN7rocprim17ROCPRIM_400000_NS6detail17trampoline_kernelINS0_14default_configENS1_25partition_config_selectorILNS1_17partition_subalgoE8EjNS0_10empty_typeEbEEZZNS1_14partition_implILS5_8ELb0ES3_jPKjPS6_PKS6_NS0_5tupleIJPjS6_EEENSE_IJSB_SB_EEENS0_18inequality_wrapperIN6hipcub16HIPCUB_304000_NS8EqualityEEEPlJS6_EEE10hipError_tPvRmT3_T4_T5_T6_T7_T9_mT8_P12ihipStream_tbDpT10_ENKUlT_T0_E_clISt17integral_constantIbLb1EES17_EEDaS12_S13_EUlS12_E_NS1_11comp_targetILNS1_3genE8ELNS1_11target_archE1030ELNS1_3gpuE2ELNS1_3repE0EEENS1_30default_config_static_selectorELNS0_4arch9wavefront6targetE1EEEvT1_
                                        ; -- End function
	.section	.AMDGPU.csdata,"",@progbits
; Kernel info:
; codeLenInByte = 0
; NumSgprs: 4
; NumVgprs: 0
; NumAgprs: 0
; TotalNumVgprs: 0
; ScratchSize: 0
; MemoryBound: 0
; FloatMode: 240
; IeeeMode: 1
; LDSByteSize: 0 bytes/workgroup (compile time only)
; SGPRBlocks: 0
; VGPRBlocks: 0
; NumSGPRsForWavesPerEU: 4
; NumVGPRsForWavesPerEU: 1
; AccumOffset: 4
; Occupancy: 8
; WaveLimiterHint : 0
; COMPUTE_PGM_RSRC2:SCRATCH_EN: 0
; COMPUTE_PGM_RSRC2:USER_SGPR: 6
; COMPUTE_PGM_RSRC2:TRAP_HANDLER: 0
; COMPUTE_PGM_RSRC2:TGID_X_EN: 1
; COMPUTE_PGM_RSRC2:TGID_Y_EN: 0
; COMPUTE_PGM_RSRC2:TGID_Z_EN: 0
; COMPUTE_PGM_RSRC2:TIDIG_COMP_CNT: 0
; COMPUTE_PGM_RSRC3_GFX90A:ACCUM_OFFSET: 0
; COMPUTE_PGM_RSRC3_GFX90A:TG_SPLIT: 0
	.section	.text._ZN7rocprim17ROCPRIM_400000_NS6detail17trampoline_kernelINS0_14default_configENS1_25partition_config_selectorILNS1_17partition_subalgoE8EjNS0_10empty_typeEbEEZZNS1_14partition_implILS5_8ELb0ES3_jPKjPS6_PKS6_NS0_5tupleIJPjS6_EEENSE_IJSB_SB_EEENS0_18inequality_wrapperIN6hipcub16HIPCUB_304000_NS8EqualityEEEPlJS6_EEE10hipError_tPvRmT3_T4_T5_T6_T7_T9_mT8_P12ihipStream_tbDpT10_ENKUlT_T0_E_clISt17integral_constantIbLb1EES16_IbLb0EEEEDaS12_S13_EUlS12_E_NS1_11comp_targetILNS1_3genE0ELNS1_11target_archE4294967295ELNS1_3gpuE0ELNS1_3repE0EEENS1_30default_config_static_selectorELNS0_4arch9wavefront6targetE1EEEvT1_,"axG",@progbits,_ZN7rocprim17ROCPRIM_400000_NS6detail17trampoline_kernelINS0_14default_configENS1_25partition_config_selectorILNS1_17partition_subalgoE8EjNS0_10empty_typeEbEEZZNS1_14partition_implILS5_8ELb0ES3_jPKjPS6_PKS6_NS0_5tupleIJPjS6_EEENSE_IJSB_SB_EEENS0_18inequality_wrapperIN6hipcub16HIPCUB_304000_NS8EqualityEEEPlJS6_EEE10hipError_tPvRmT3_T4_T5_T6_T7_T9_mT8_P12ihipStream_tbDpT10_ENKUlT_T0_E_clISt17integral_constantIbLb1EES16_IbLb0EEEEDaS12_S13_EUlS12_E_NS1_11comp_targetILNS1_3genE0ELNS1_11target_archE4294967295ELNS1_3gpuE0ELNS1_3repE0EEENS1_30default_config_static_selectorELNS0_4arch9wavefront6targetE1EEEvT1_,comdat
	.protected	_ZN7rocprim17ROCPRIM_400000_NS6detail17trampoline_kernelINS0_14default_configENS1_25partition_config_selectorILNS1_17partition_subalgoE8EjNS0_10empty_typeEbEEZZNS1_14partition_implILS5_8ELb0ES3_jPKjPS6_PKS6_NS0_5tupleIJPjS6_EEENSE_IJSB_SB_EEENS0_18inequality_wrapperIN6hipcub16HIPCUB_304000_NS8EqualityEEEPlJS6_EEE10hipError_tPvRmT3_T4_T5_T6_T7_T9_mT8_P12ihipStream_tbDpT10_ENKUlT_T0_E_clISt17integral_constantIbLb1EES16_IbLb0EEEEDaS12_S13_EUlS12_E_NS1_11comp_targetILNS1_3genE0ELNS1_11target_archE4294967295ELNS1_3gpuE0ELNS1_3repE0EEENS1_30default_config_static_selectorELNS0_4arch9wavefront6targetE1EEEvT1_ ; -- Begin function _ZN7rocprim17ROCPRIM_400000_NS6detail17trampoline_kernelINS0_14default_configENS1_25partition_config_selectorILNS1_17partition_subalgoE8EjNS0_10empty_typeEbEEZZNS1_14partition_implILS5_8ELb0ES3_jPKjPS6_PKS6_NS0_5tupleIJPjS6_EEENSE_IJSB_SB_EEENS0_18inequality_wrapperIN6hipcub16HIPCUB_304000_NS8EqualityEEEPlJS6_EEE10hipError_tPvRmT3_T4_T5_T6_T7_T9_mT8_P12ihipStream_tbDpT10_ENKUlT_T0_E_clISt17integral_constantIbLb1EES16_IbLb0EEEEDaS12_S13_EUlS12_E_NS1_11comp_targetILNS1_3genE0ELNS1_11target_archE4294967295ELNS1_3gpuE0ELNS1_3repE0EEENS1_30default_config_static_selectorELNS0_4arch9wavefront6targetE1EEEvT1_
	.globl	_ZN7rocprim17ROCPRIM_400000_NS6detail17trampoline_kernelINS0_14default_configENS1_25partition_config_selectorILNS1_17partition_subalgoE8EjNS0_10empty_typeEbEEZZNS1_14partition_implILS5_8ELb0ES3_jPKjPS6_PKS6_NS0_5tupleIJPjS6_EEENSE_IJSB_SB_EEENS0_18inequality_wrapperIN6hipcub16HIPCUB_304000_NS8EqualityEEEPlJS6_EEE10hipError_tPvRmT3_T4_T5_T6_T7_T9_mT8_P12ihipStream_tbDpT10_ENKUlT_T0_E_clISt17integral_constantIbLb1EES16_IbLb0EEEEDaS12_S13_EUlS12_E_NS1_11comp_targetILNS1_3genE0ELNS1_11target_archE4294967295ELNS1_3gpuE0ELNS1_3repE0EEENS1_30default_config_static_selectorELNS0_4arch9wavefront6targetE1EEEvT1_
	.p2align	8
	.type	_ZN7rocprim17ROCPRIM_400000_NS6detail17trampoline_kernelINS0_14default_configENS1_25partition_config_selectorILNS1_17partition_subalgoE8EjNS0_10empty_typeEbEEZZNS1_14partition_implILS5_8ELb0ES3_jPKjPS6_PKS6_NS0_5tupleIJPjS6_EEENSE_IJSB_SB_EEENS0_18inequality_wrapperIN6hipcub16HIPCUB_304000_NS8EqualityEEEPlJS6_EEE10hipError_tPvRmT3_T4_T5_T6_T7_T9_mT8_P12ihipStream_tbDpT10_ENKUlT_T0_E_clISt17integral_constantIbLb1EES16_IbLb0EEEEDaS12_S13_EUlS12_E_NS1_11comp_targetILNS1_3genE0ELNS1_11target_archE4294967295ELNS1_3gpuE0ELNS1_3repE0EEENS1_30default_config_static_selectorELNS0_4arch9wavefront6targetE1EEEvT1_,@function
_ZN7rocprim17ROCPRIM_400000_NS6detail17trampoline_kernelINS0_14default_configENS1_25partition_config_selectorILNS1_17partition_subalgoE8EjNS0_10empty_typeEbEEZZNS1_14partition_implILS5_8ELb0ES3_jPKjPS6_PKS6_NS0_5tupleIJPjS6_EEENSE_IJSB_SB_EEENS0_18inequality_wrapperIN6hipcub16HIPCUB_304000_NS8EqualityEEEPlJS6_EEE10hipError_tPvRmT3_T4_T5_T6_T7_T9_mT8_P12ihipStream_tbDpT10_ENKUlT_T0_E_clISt17integral_constantIbLb1EES16_IbLb0EEEEDaS12_S13_EUlS12_E_NS1_11comp_targetILNS1_3genE0ELNS1_11target_archE4294967295ELNS1_3gpuE0ELNS1_3repE0EEENS1_30default_config_static_selectorELNS0_4arch9wavefront6targetE1EEEvT1_: ; @_ZN7rocprim17ROCPRIM_400000_NS6detail17trampoline_kernelINS0_14default_configENS1_25partition_config_selectorILNS1_17partition_subalgoE8EjNS0_10empty_typeEbEEZZNS1_14partition_implILS5_8ELb0ES3_jPKjPS6_PKS6_NS0_5tupleIJPjS6_EEENSE_IJSB_SB_EEENS0_18inequality_wrapperIN6hipcub16HIPCUB_304000_NS8EqualityEEEPlJS6_EEE10hipError_tPvRmT3_T4_T5_T6_T7_T9_mT8_P12ihipStream_tbDpT10_ENKUlT_T0_E_clISt17integral_constantIbLb1EES16_IbLb0EEEEDaS12_S13_EUlS12_E_NS1_11comp_targetILNS1_3genE0ELNS1_11target_archE4294967295ELNS1_3gpuE0ELNS1_3repE0EEENS1_30default_config_static_selectorELNS0_4arch9wavefront6targetE1EEEvT1_
; %bb.0:
	.section	.rodata,"a",@progbits
	.p2align	6, 0x0
	.amdhsa_kernel _ZN7rocprim17ROCPRIM_400000_NS6detail17trampoline_kernelINS0_14default_configENS1_25partition_config_selectorILNS1_17partition_subalgoE8EjNS0_10empty_typeEbEEZZNS1_14partition_implILS5_8ELb0ES3_jPKjPS6_PKS6_NS0_5tupleIJPjS6_EEENSE_IJSB_SB_EEENS0_18inequality_wrapperIN6hipcub16HIPCUB_304000_NS8EqualityEEEPlJS6_EEE10hipError_tPvRmT3_T4_T5_T6_T7_T9_mT8_P12ihipStream_tbDpT10_ENKUlT_T0_E_clISt17integral_constantIbLb1EES16_IbLb0EEEEDaS12_S13_EUlS12_E_NS1_11comp_targetILNS1_3genE0ELNS1_11target_archE4294967295ELNS1_3gpuE0ELNS1_3repE0EEENS1_30default_config_static_selectorELNS0_4arch9wavefront6targetE1EEEvT1_
		.amdhsa_group_segment_fixed_size 0
		.amdhsa_private_segment_fixed_size 0
		.amdhsa_kernarg_size 112
		.amdhsa_user_sgpr_count 6
		.amdhsa_user_sgpr_private_segment_buffer 1
		.amdhsa_user_sgpr_dispatch_ptr 0
		.amdhsa_user_sgpr_queue_ptr 0
		.amdhsa_user_sgpr_kernarg_segment_ptr 1
		.amdhsa_user_sgpr_dispatch_id 0
		.amdhsa_user_sgpr_flat_scratch_init 0
		.amdhsa_user_sgpr_kernarg_preload_length 0
		.amdhsa_user_sgpr_kernarg_preload_offset 0
		.amdhsa_user_sgpr_private_segment_size 0
		.amdhsa_uses_dynamic_stack 0
		.amdhsa_system_sgpr_private_segment_wavefront_offset 0
		.amdhsa_system_sgpr_workgroup_id_x 1
		.amdhsa_system_sgpr_workgroup_id_y 0
		.amdhsa_system_sgpr_workgroup_id_z 0
		.amdhsa_system_sgpr_workgroup_info 0
		.amdhsa_system_vgpr_workitem_id 0
		.amdhsa_next_free_vgpr 1
		.amdhsa_next_free_sgpr 0
		.amdhsa_accum_offset 4
		.amdhsa_reserve_vcc 0
		.amdhsa_reserve_flat_scratch 0
		.amdhsa_float_round_mode_32 0
		.amdhsa_float_round_mode_16_64 0
		.amdhsa_float_denorm_mode_32 3
		.amdhsa_float_denorm_mode_16_64 3
		.amdhsa_dx10_clamp 1
		.amdhsa_ieee_mode 1
		.amdhsa_fp16_overflow 0
		.amdhsa_tg_split 0
		.amdhsa_exception_fp_ieee_invalid_op 0
		.amdhsa_exception_fp_denorm_src 0
		.amdhsa_exception_fp_ieee_div_zero 0
		.amdhsa_exception_fp_ieee_overflow 0
		.amdhsa_exception_fp_ieee_underflow 0
		.amdhsa_exception_fp_ieee_inexact 0
		.amdhsa_exception_int_div_zero 0
	.end_amdhsa_kernel
	.section	.text._ZN7rocprim17ROCPRIM_400000_NS6detail17trampoline_kernelINS0_14default_configENS1_25partition_config_selectorILNS1_17partition_subalgoE8EjNS0_10empty_typeEbEEZZNS1_14partition_implILS5_8ELb0ES3_jPKjPS6_PKS6_NS0_5tupleIJPjS6_EEENSE_IJSB_SB_EEENS0_18inequality_wrapperIN6hipcub16HIPCUB_304000_NS8EqualityEEEPlJS6_EEE10hipError_tPvRmT3_T4_T5_T6_T7_T9_mT8_P12ihipStream_tbDpT10_ENKUlT_T0_E_clISt17integral_constantIbLb1EES16_IbLb0EEEEDaS12_S13_EUlS12_E_NS1_11comp_targetILNS1_3genE0ELNS1_11target_archE4294967295ELNS1_3gpuE0ELNS1_3repE0EEENS1_30default_config_static_selectorELNS0_4arch9wavefront6targetE1EEEvT1_,"axG",@progbits,_ZN7rocprim17ROCPRIM_400000_NS6detail17trampoline_kernelINS0_14default_configENS1_25partition_config_selectorILNS1_17partition_subalgoE8EjNS0_10empty_typeEbEEZZNS1_14partition_implILS5_8ELb0ES3_jPKjPS6_PKS6_NS0_5tupleIJPjS6_EEENSE_IJSB_SB_EEENS0_18inequality_wrapperIN6hipcub16HIPCUB_304000_NS8EqualityEEEPlJS6_EEE10hipError_tPvRmT3_T4_T5_T6_T7_T9_mT8_P12ihipStream_tbDpT10_ENKUlT_T0_E_clISt17integral_constantIbLb1EES16_IbLb0EEEEDaS12_S13_EUlS12_E_NS1_11comp_targetILNS1_3genE0ELNS1_11target_archE4294967295ELNS1_3gpuE0ELNS1_3repE0EEENS1_30default_config_static_selectorELNS0_4arch9wavefront6targetE1EEEvT1_,comdat
.Lfunc_end633:
	.size	_ZN7rocprim17ROCPRIM_400000_NS6detail17trampoline_kernelINS0_14default_configENS1_25partition_config_selectorILNS1_17partition_subalgoE8EjNS0_10empty_typeEbEEZZNS1_14partition_implILS5_8ELb0ES3_jPKjPS6_PKS6_NS0_5tupleIJPjS6_EEENSE_IJSB_SB_EEENS0_18inequality_wrapperIN6hipcub16HIPCUB_304000_NS8EqualityEEEPlJS6_EEE10hipError_tPvRmT3_T4_T5_T6_T7_T9_mT8_P12ihipStream_tbDpT10_ENKUlT_T0_E_clISt17integral_constantIbLb1EES16_IbLb0EEEEDaS12_S13_EUlS12_E_NS1_11comp_targetILNS1_3genE0ELNS1_11target_archE4294967295ELNS1_3gpuE0ELNS1_3repE0EEENS1_30default_config_static_selectorELNS0_4arch9wavefront6targetE1EEEvT1_, .Lfunc_end633-_ZN7rocprim17ROCPRIM_400000_NS6detail17trampoline_kernelINS0_14default_configENS1_25partition_config_selectorILNS1_17partition_subalgoE8EjNS0_10empty_typeEbEEZZNS1_14partition_implILS5_8ELb0ES3_jPKjPS6_PKS6_NS0_5tupleIJPjS6_EEENSE_IJSB_SB_EEENS0_18inequality_wrapperIN6hipcub16HIPCUB_304000_NS8EqualityEEEPlJS6_EEE10hipError_tPvRmT3_T4_T5_T6_T7_T9_mT8_P12ihipStream_tbDpT10_ENKUlT_T0_E_clISt17integral_constantIbLb1EES16_IbLb0EEEEDaS12_S13_EUlS12_E_NS1_11comp_targetILNS1_3genE0ELNS1_11target_archE4294967295ELNS1_3gpuE0ELNS1_3repE0EEENS1_30default_config_static_selectorELNS0_4arch9wavefront6targetE1EEEvT1_
                                        ; -- End function
	.section	.AMDGPU.csdata,"",@progbits
; Kernel info:
; codeLenInByte = 0
; NumSgprs: 4
; NumVgprs: 0
; NumAgprs: 0
; TotalNumVgprs: 0
; ScratchSize: 0
; MemoryBound: 0
; FloatMode: 240
; IeeeMode: 1
; LDSByteSize: 0 bytes/workgroup (compile time only)
; SGPRBlocks: 0
; VGPRBlocks: 0
; NumSGPRsForWavesPerEU: 4
; NumVGPRsForWavesPerEU: 1
; AccumOffset: 4
; Occupancy: 8
; WaveLimiterHint : 0
; COMPUTE_PGM_RSRC2:SCRATCH_EN: 0
; COMPUTE_PGM_RSRC2:USER_SGPR: 6
; COMPUTE_PGM_RSRC2:TRAP_HANDLER: 0
; COMPUTE_PGM_RSRC2:TGID_X_EN: 1
; COMPUTE_PGM_RSRC2:TGID_Y_EN: 0
; COMPUTE_PGM_RSRC2:TGID_Z_EN: 0
; COMPUTE_PGM_RSRC2:TIDIG_COMP_CNT: 0
; COMPUTE_PGM_RSRC3_GFX90A:ACCUM_OFFSET: 0
; COMPUTE_PGM_RSRC3_GFX90A:TG_SPLIT: 0
	.section	.text._ZN7rocprim17ROCPRIM_400000_NS6detail17trampoline_kernelINS0_14default_configENS1_25partition_config_selectorILNS1_17partition_subalgoE8EjNS0_10empty_typeEbEEZZNS1_14partition_implILS5_8ELb0ES3_jPKjPS6_PKS6_NS0_5tupleIJPjS6_EEENSE_IJSB_SB_EEENS0_18inequality_wrapperIN6hipcub16HIPCUB_304000_NS8EqualityEEEPlJS6_EEE10hipError_tPvRmT3_T4_T5_T6_T7_T9_mT8_P12ihipStream_tbDpT10_ENKUlT_T0_E_clISt17integral_constantIbLb1EES16_IbLb0EEEEDaS12_S13_EUlS12_E_NS1_11comp_targetILNS1_3genE5ELNS1_11target_archE942ELNS1_3gpuE9ELNS1_3repE0EEENS1_30default_config_static_selectorELNS0_4arch9wavefront6targetE1EEEvT1_,"axG",@progbits,_ZN7rocprim17ROCPRIM_400000_NS6detail17trampoline_kernelINS0_14default_configENS1_25partition_config_selectorILNS1_17partition_subalgoE8EjNS0_10empty_typeEbEEZZNS1_14partition_implILS5_8ELb0ES3_jPKjPS6_PKS6_NS0_5tupleIJPjS6_EEENSE_IJSB_SB_EEENS0_18inequality_wrapperIN6hipcub16HIPCUB_304000_NS8EqualityEEEPlJS6_EEE10hipError_tPvRmT3_T4_T5_T6_T7_T9_mT8_P12ihipStream_tbDpT10_ENKUlT_T0_E_clISt17integral_constantIbLb1EES16_IbLb0EEEEDaS12_S13_EUlS12_E_NS1_11comp_targetILNS1_3genE5ELNS1_11target_archE942ELNS1_3gpuE9ELNS1_3repE0EEENS1_30default_config_static_selectorELNS0_4arch9wavefront6targetE1EEEvT1_,comdat
	.protected	_ZN7rocprim17ROCPRIM_400000_NS6detail17trampoline_kernelINS0_14default_configENS1_25partition_config_selectorILNS1_17partition_subalgoE8EjNS0_10empty_typeEbEEZZNS1_14partition_implILS5_8ELb0ES3_jPKjPS6_PKS6_NS0_5tupleIJPjS6_EEENSE_IJSB_SB_EEENS0_18inequality_wrapperIN6hipcub16HIPCUB_304000_NS8EqualityEEEPlJS6_EEE10hipError_tPvRmT3_T4_T5_T6_T7_T9_mT8_P12ihipStream_tbDpT10_ENKUlT_T0_E_clISt17integral_constantIbLb1EES16_IbLb0EEEEDaS12_S13_EUlS12_E_NS1_11comp_targetILNS1_3genE5ELNS1_11target_archE942ELNS1_3gpuE9ELNS1_3repE0EEENS1_30default_config_static_selectorELNS0_4arch9wavefront6targetE1EEEvT1_ ; -- Begin function _ZN7rocprim17ROCPRIM_400000_NS6detail17trampoline_kernelINS0_14default_configENS1_25partition_config_selectorILNS1_17partition_subalgoE8EjNS0_10empty_typeEbEEZZNS1_14partition_implILS5_8ELb0ES3_jPKjPS6_PKS6_NS0_5tupleIJPjS6_EEENSE_IJSB_SB_EEENS0_18inequality_wrapperIN6hipcub16HIPCUB_304000_NS8EqualityEEEPlJS6_EEE10hipError_tPvRmT3_T4_T5_T6_T7_T9_mT8_P12ihipStream_tbDpT10_ENKUlT_T0_E_clISt17integral_constantIbLb1EES16_IbLb0EEEEDaS12_S13_EUlS12_E_NS1_11comp_targetILNS1_3genE5ELNS1_11target_archE942ELNS1_3gpuE9ELNS1_3repE0EEENS1_30default_config_static_selectorELNS0_4arch9wavefront6targetE1EEEvT1_
	.globl	_ZN7rocprim17ROCPRIM_400000_NS6detail17trampoline_kernelINS0_14default_configENS1_25partition_config_selectorILNS1_17partition_subalgoE8EjNS0_10empty_typeEbEEZZNS1_14partition_implILS5_8ELb0ES3_jPKjPS6_PKS6_NS0_5tupleIJPjS6_EEENSE_IJSB_SB_EEENS0_18inequality_wrapperIN6hipcub16HIPCUB_304000_NS8EqualityEEEPlJS6_EEE10hipError_tPvRmT3_T4_T5_T6_T7_T9_mT8_P12ihipStream_tbDpT10_ENKUlT_T0_E_clISt17integral_constantIbLb1EES16_IbLb0EEEEDaS12_S13_EUlS12_E_NS1_11comp_targetILNS1_3genE5ELNS1_11target_archE942ELNS1_3gpuE9ELNS1_3repE0EEENS1_30default_config_static_selectorELNS0_4arch9wavefront6targetE1EEEvT1_
	.p2align	8
	.type	_ZN7rocprim17ROCPRIM_400000_NS6detail17trampoline_kernelINS0_14default_configENS1_25partition_config_selectorILNS1_17partition_subalgoE8EjNS0_10empty_typeEbEEZZNS1_14partition_implILS5_8ELb0ES3_jPKjPS6_PKS6_NS0_5tupleIJPjS6_EEENSE_IJSB_SB_EEENS0_18inequality_wrapperIN6hipcub16HIPCUB_304000_NS8EqualityEEEPlJS6_EEE10hipError_tPvRmT3_T4_T5_T6_T7_T9_mT8_P12ihipStream_tbDpT10_ENKUlT_T0_E_clISt17integral_constantIbLb1EES16_IbLb0EEEEDaS12_S13_EUlS12_E_NS1_11comp_targetILNS1_3genE5ELNS1_11target_archE942ELNS1_3gpuE9ELNS1_3repE0EEENS1_30default_config_static_selectorELNS0_4arch9wavefront6targetE1EEEvT1_,@function
_ZN7rocprim17ROCPRIM_400000_NS6detail17trampoline_kernelINS0_14default_configENS1_25partition_config_selectorILNS1_17partition_subalgoE8EjNS0_10empty_typeEbEEZZNS1_14partition_implILS5_8ELb0ES3_jPKjPS6_PKS6_NS0_5tupleIJPjS6_EEENSE_IJSB_SB_EEENS0_18inequality_wrapperIN6hipcub16HIPCUB_304000_NS8EqualityEEEPlJS6_EEE10hipError_tPvRmT3_T4_T5_T6_T7_T9_mT8_P12ihipStream_tbDpT10_ENKUlT_T0_E_clISt17integral_constantIbLb1EES16_IbLb0EEEEDaS12_S13_EUlS12_E_NS1_11comp_targetILNS1_3genE5ELNS1_11target_archE942ELNS1_3gpuE9ELNS1_3repE0EEENS1_30default_config_static_selectorELNS0_4arch9wavefront6targetE1EEEvT1_: ; @_ZN7rocprim17ROCPRIM_400000_NS6detail17trampoline_kernelINS0_14default_configENS1_25partition_config_selectorILNS1_17partition_subalgoE8EjNS0_10empty_typeEbEEZZNS1_14partition_implILS5_8ELb0ES3_jPKjPS6_PKS6_NS0_5tupleIJPjS6_EEENSE_IJSB_SB_EEENS0_18inequality_wrapperIN6hipcub16HIPCUB_304000_NS8EqualityEEEPlJS6_EEE10hipError_tPvRmT3_T4_T5_T6_T7_T9_mT8_P12ihipStream_tbDpT10_ENKUlT_T0_E_clISt17integral_constantIbLb1EES16_IbLb0EEEEDaS12_S13_EUlS12_E_NS1_11comp_targetILNS1_3genE5ELNS1_11target_archE942ELNS1_3gpuE9ELNS1_3repE0EEENS1_30default_config_static_selectorELNS0_4arch9wavefront6targetE1EEEvT1_
; %bb.0:
	.section	.rodata,"a",@progbits
	.p2align	6, 0x0
	.amdhsa_kernel _ZN7rocprim17ROCPRIM_400000_NS6detail17trampoline_kernelINS0_14default_configENS1_25partition_config_selectorILNS1_17partition_subalgoE8EjNS0_10empty_typeEbEEZZNS1_14partition_implILS5_8ELb0ES3_jPKjPS6_PKS6_NS0_5tupleIJPjS6_EEENSE_IJSB_SB_EEENS0_18inequality_wrapperIN6hipcub16HIPCUB_304000_NS8EqualityEEEPlJS6_EEE10hipError_tPvRmT3_T4_T5_T6_T7_T9_mT8_P12ihipStream_tbDpT10_ENKUlT_T0_E_clISt17integral_constantIbLb1EES16_IbLb0EEEEDaS12_S13_EUlS12_E_NS1_11comp_targetILNS1_3genE5ELNS1_11target_archE942ELNS1_3gpuE9ELNS1_3repE0EEENS1_30default_config_static_selectorELNS0_4arch9wavefront6targetE1EEEvT1_
		.amdhsa_group_segment_fixed_size 0
		.amdhsa_private_segment_fixed_size 0
		.amdhsa_kernarg_size 112
		.amdhsa_user_sgpr_count 6
		.amdhsa_user_sgpr_private_segment_buffer 1
		.amdhsa_user_sgpr_dispatch_ptr 0
		.amdhsa_user_sgpr_queue_ptr 0
		.amdhsa_user_sgpr_kernarg_segment_ptr 1
		.amdhsa_user_sgpr_dispatch_id 0
		.amdhsa_user_sgpr_flat_scratch_init 0
		.amdhsa_user_sgpr_kernarg_preload_length 0
		.amdhsa_user_sgpr_kernarg_preload_offset 0
		.amdhsa_user_sgpr_private_segment_size 0
		.amdhsa_uses_dynamic_stack 0
		.amdhsa_system_sgpr_private_segment_wavefront_offset 0
		.amdhsa_system_sgpr_workgroup_id_x 1
		.amdhsa_system_sgpr_workgroup_id_y 0
		.amdhsa_system_sgpr_workgroup_id_z 0
		.amdhsa_system_sgpr_workgroup_info 0
		.amdhsa_system_vgpr_workitem_id 0
		.amdhsa_next_free_vgpr 1
		.amdhsa_next_free_sgpr 0
		.amdhsa_accum_offset 4
		.amdhsa_reserve_vcc 0
		.amdhsa_reserve_flat_scratch 0
		.amdhsa_float_round_mode_32 0
		.amdhsa_float_round_mode_16_64 0
		.amdhsa_float_denorm_mode_32 3
		.amdhsa_float_denorm_mode_16_64 3
		.amdhsa_dx10_clamp 1
		.amdhsa_ieee_mode 1
		.amdhsa_fp16_overflow 0
		.amdhsa_tg_split 0
		.amdhsa_exception_fp_ieee_invalid_op 0
		.amdhsa_exception_fp_denorm_src 0
		.amdhsa_exception_fp_ieee_div_zero 0
		.amdhsa_exception_fp_ieee_overflow 0
		.amdhsa_exception_fp_ieee_underflow 0
		.amdhsa_exception_fp_ieee_inexact 0
		.amdhsa_exception_int_div_zero 0
	.end_amdhsa_kernel
	.section	.text._ZN7rocprim17ROCPRIM_400000_NS6detail17trampoline_kernelINS0_14default_configENS1_25partition_config_selectorILNS1_17partition_subalgoE8EjNS0_10empty_typeEbEEZZNS1_14partition_implILS5_8ELb0ES3_jPKjPS6_PKS6_NS0_5tupleIJPjS6_EEENSE_IJSB_SB_EEENS0_18inequality_wrapperIN6hipcub16HIPCUB_304000_NS8EqualityEEEPlJS6_EEE10hipError_tPvRmT3_T4_T5_T6_T7_T9_mT8_P12ihipStream_tbDpT10_ENKUlT_T0_E_clISt17integral_constantIbLb1EES16_IbLb0EEEEDaS12_S13_EUlS12_E_NS1_11comp_targetILNS1_3genE5ELNS1_11target_archE942ELNS1_3gpuE9ELNS1_3repE0EEENS1_30default_config_static_selectorELNS0_4arch9wavefront6targetE1EEEvT1_,"axG",@progbits,_ZN7rocprim17ROCPRIM_400000_NS6detail17trampoline_kernelINS0_14default_configENS1_25partition_config_selectorILNS1_17partition_subalgoE8EjNS0_10empty_typeEbEEZZNS1_14partition_implILS5_8ELb0ES3_jPKjPS6_PKS6_NS0_5tupleIJPjS6_EEENSE_IJSB_SB_EEENS0_18inequality_wrapperIN6hipcub16HIPCUB_304000_NS8EqualityEEEPlJS6_EEE10hipError_tPvRmT3_T4_T5_T6_T7_T9_mT8_P12ihipStream_tbDpT10_ENKUlT_T0_E_clISt17integral_constantIbLb1EES16_IbLb0EEEEDaS12_S13_EUlS12_E_NS1_11comp_targetILNS1_3genE5ELNS1_11target_archE942ELNS1_3gpuE9ELNS1_3repE0EEENS1_30default_config_static_selectorELNS0_4arch9wavefront6targetE1EEEvT1_,comdat
.Lfunc_end634:
	.size	_ZN7rocprim17ROCPRIM_400000_NS6detail17trampoline_kernelINS0_14default_configENS1_25partition_config_selectorILNS1_17partition_subalgoE8EjNS0_10empty_typeEbEEZZNS1_14partition_implILS5_8ELb0ES3_jPKjPS6_PKS6_NS0_5tupleIJPjS6_EEENSE_IJSB_SB_EEENS0_18inequality_wrapperIN6hipcub16HIPCUB_304000_NS8EqualityEEEPlJS6_EEE10hipError_tPvRmT3_T4_T5_T6_T7_T9_mT8_P12ihipStream_tbDpT10_ENKUlT_T0_E_clISt17integral_constantIbLb1EES16_IbLb0EEEEDaS12_S13_EUlS12_E_NS1_11comp_targetILNS1_3genE5ELNS1_11target_archE942ELNS1_3gpuE9ELNS1_3repE0EEENS1_30default_config_static_selectorELNS0_4arch9wavefront6targetE1EEEvT1_, .Lfunc_end634-_ZN7rocprim17ROCPRIM_400000_NS6detail17trampoline_kernelINS0_14default_configENS1_25partition_config_selectorILNS1_17partition_subalgoE8EjNS0_10empty_typeEbEEZZNS1_14partition_implILS5_8ELb0ES3_jPKjPS6_PKS6_NS0_5tupleIJPjS6_EEENSE_IJSB_SB_EEENS0_18inequality_wrapperIN6hipcub16HIPCUB_304000_NS8EqualityEEEPlJS6_EEE10hipError_tPvRmT3_T4_T5_T6_T7_T9_mT8_P12ihipStream_tbDpT10_ENKUlT_T0_E_clISt17integral_constantIbLb1EES16_IbLb0EEEEDaS12_S13_EUlS12_E_NS1_11comp_targetILNS1_3genE5ELNS1_11target_archE942ELNS1_3gpuE9ELNS1_3repE0EEENS1_30default_config_static_selectorELNS0_4arch9wavefront6targetE1EEEvT1_
                                        ; -- End function
	.section	.AMDGPU.csdata,"",@progbits
; Kernel info:
; codeLenInByte = 0
; NumSgprs: 4
; NumVgprs: 0
; NumAgprs: 0
; TotalNumVgprs: 0
; ScratchSize: 0
; MemoryBound: 0
; FloatMode: 240
; IeeeMode: 1
; LDSByteSize: 0 bytes/workgroup (compile time only)
; SGPRBlocks: 0
; VGPRBlocks: 0
; NumSGPRsForWavesPerEU: 4
; NumVGPRsForWavesPerEU: 1
; AccumOffset: 4
; Occupancy: 8
; WaveLimiterHint : 0
; COMPUTE_PGM_RSRC2:SCRATCH_EN: 0
; COMPUTE_PGM_RSRC2:USER_SGPR: 6
; COMPUTE_PGM_RSRC2:TRAP_HANDLER: 0
; COMPUTE_PGM_RSRC2:TGID_X_EN: 1
; COMPUTE_PGM_RSRC2:TGID_Y_EN: 0
; COMPUTE_PGM_RSRC2:TGID_Z_EN: 0
; COMPUTE_PGM_RSRC2:TIDIG_COMP_CNT: 0
; COMPUTE_PGM_RSRC3_GFX90A:ACCUM_OFFSET: 0
; COMPUTE_PGM_RSRC3_GFX90A:TG_SPLIT: 0
	.section	.text._ZN7rocprim17ROCPRIM_400000_NS6detail17trampoline_kernelINS0_14default_configENS1_25partition_config_selectorILNS1_17partition_subalgoE8EjNS0_10empty_typeEbEEZZNS1_14partition_implILS5_8ELb0ES3_jPKjPS6_PKS6_NS0_5tupleIJPjS6_EEENSE_IJSB_SB_EEENS0_18inequality_wrapperIN6hipcub16HIPCUB_304000_NS8EqualityEEEPlJS6_EEE10hipError_tPvRmT3_T4_T5_T6_T7_T9_mT8_P12ihipStream_tbDpT10_ENKUlT_T0_E_clISt17integral_constantIbLb1EES16_IbLb0EEEEDaS12_S13_EUlS12_E_NS1_11comp_targetILNS1_3genE4ELNS1_11target_archE910ELNS1_3gpuE8ELNS1_3repE0EEENS1_30default_config_static_selectorELNS0_4arch9wavefront6targetE1EEEvT1_,"axG",@progbits,_ZN7rocprim17ROCPRIM_400000_NS6detail17trampoline_kernelINS0_14default_configENS1_25partition_config_selectorILNS1_17partition_subalgoE8EjNS0_10empty_typeEbEEZZNS1_14partition_implILS5_8ELb0ES3_jPKjPS6_PKS6_NS0_5tupleIJPjS6_EEENSE_IJSB_SB_EEENS0_18inequality_wrapperIN6hipcub16HIPCUB_304000_NS8EqualityEEEPlJS6_EEE10hipError_tPvRmT3_T4_T5_T6_T7_T9_mT8_P12ihipStream_tbDpT10_ENKUlT_T0_E_clISt17integral_constantIbLb1EES16_IbLb0EEEEDaS12_S13_EUlS12_E_NS1_11comp_targetILNS1_3genE4ELNS1_11target_archE910ELNS1_3gpuE8ELNS1_3repE0EEENS1_30default_config_static_selectorELNS0_4arch9wavefront6targetE1EEEvT1_,comdat
	.protected	_ZN7rocprim17ROCPRIM_400000_NS6detail17trampoline_kernelINS0_14default_configENS1_25partition_config_selectorILNS1_17partition_subalgoE8EjNS0_10empty_typeEbEEZZNS1_14partition_implILS5_8ELb0ES3_jPKjPS6_PKS6_NS0_5tupleIJPjS6_EEENSE_IJSB_SB_EEENS0_18inequality_wrapperIN6hipcub16HIPCUB_304000_NS8EqualityEEEPlJS6_EEE10hipError_tPvRmT3_T4_T5_T6_T7_T9_mT8_P12ihipStream_tbDpT10_ENKUlT_T0_E_clISt17integral_constantIbLb1EES16_IbLb0EEEEDaS12_S13_EUlS12_E_NS1_11comp_targetILNS1_3genE4ELNS1_11target_archE910ELNS1_3gpuE8ELNS1_3repE0EEENS1_30default_config_static_selectorELNS0_4arch9wavefront6targetE1EEEvT1_ ; -- Begin function _ZN7rocprim17ROCPRIM_400000_NS6detail17trampoline_kernelINS0_14default_configENS1_25partition_config_selectorILNS1_17partition_subalgoE8EjNS0_10empty_typeEbEEZZNS1_14partition_implILS5_8ELb0ES3_jPKjPS6_PKS6_NS0_5tupleIJPjS6_EEENSE_IJSB_SB_EEENS0_18inequality_wrapperIN6hipcub16HIPCUB_304000_NS8EqualityEEEPlJS6_EEE10hipError_tPvRmT3_T4_T5_T6_T7_T9_mT8_P12ihipStream_tbDpT10_ENKUlT_T0_E_clISt17integral_constantIbLb1EES16_IbLb0EEEEDaS12_S13_EUlS12_E_NS1_11comp_targetILNS1_3genE4ELNS1_11target_archE910ELNS1_3gpuE8ELNS1_3repE0EEENS1_30default_config_static_selectorELNS0_4arch9wavefront6targetE1EEEvT1_
	.globl	_ZN7rocprim17ROCPRIM_400000_NS6detail17trampoline_kernelINS0_14default_configENS1_25partition_config_selectorILNS1_17partition_subalgoE8EjNS0_10empty_typeEbEEZZNS1_14partition_implILS5_8ELb0ES3_jPKjPS6_PKS6_NS0_5tupleIJPjS6_EEENSE_IJSB_SB_EEENS0_18inequality_wrapperIN6hipcub16HIPCUB_304000_NS8EqualityEEEPlJS6_EEE10hipError_tPvRmT3_T4_T5_T6_T7_T9_mT8_P12ihipStream_tbDpT10_ENKUlT_T0_E_clISt17integral_constantIbLb1EES16_IbLb0EEEEDaS12_S13_EUlS12_E_NS1_11comp_targetILNS1_3genE4ELNS1_11target_archE910ELNS1_3gpuE8ELNS1_3repE0EEENS1_30default_config_static_selectorELNS0_4arch9wavefront6targetE1EEEvT1_
	.p2align	8
	.type	_ZN7rocprim17ROCPRIM_400000_NS6detail17trampoline_kernelINS0_14default_configENS1_25partition_config_selectorILNS1_17partition_subalgoE8EjNS0_10empty_typeEbEEZZNS1_14partition_implILS5_8ELb0ES3_jPKjPS6_PKS6_NS0_5tupleIJPjS6_EEENSE_IJSB_SB_EEENS0_18inequality_wrapperIN6hipcub16HIPCUB_304000_NS8EqualityEEEPlJS6_EEE10hipError_tPvRmT3_T4_T5_T6_T7_T9_mT8_P12ihipStream_tbDpT10_ENKUlT_T0_E_clISt17integral_constantIbLb1EES16_IbLb0EEEEDaS12_S13_EUlS12_E_NS1_11comp_targetILNS1_3genE4ELNS1_11target_archE910ELNS1_3gpuE8ELNS1_3repE0EEENS1_30default_config_static_selectorELNS0_4arch9wavefront6targetE1EEEvT1_,@function
_ZN7rocprim17ROCPRIM_400000_NS6detail17trampoline_kernelINS0_14default_configENS1_25partition_config_selectorILNS1_17partition_subalgoE8EjNS0_10empty_typeEbEEZZNS1_14partition_implILS5_8ELb0ES3_jPKjPS6_PKS6_NS0_5tupleIJPjS6_EEENSE_IJSB_SB_EEENS0_18inequality_wrapperIN6hipcub16HIPCUB_304000_NS8EqualityEEEPlJS6_EEE10hipError_tPvRmT3_T4_T5_T6_T7_T9_mT8_P12ihipStream_tbDpT10_ENKUlT_T0_E_clISt17integral_constantIbLb1EES16_IbLb0EEEEDaS12_S13_EUlS12_E_NS1_11comp_targetILNS1_3genE4ELNS1_11target_archE910ELNS1_3gpuE8ELNS1_3repE0EEENS1_30default_config_static_selectorELNS0_4arch9wavefront6targetE1EEEvT1_: ; @_ZN7rocprim17ROCPRIM_400000_NS6detail17trampoline_kernelINS0_14default_configENS1_25partition_config_selectorILNS1_17partition_subalgoE8EjNS0_10empty_typeEbEEZZNS1_14partition_implILS5_8ELb0ES3_jPKjPS6_PKS6_NS0_5tupleIJPjS6_EEENSE_IJSB_SB_EEENS0_18inequality_wrapperIN6hipcub16HIPCUB_304000_NS8EqualityEEEPlJS6_EEE10hipError_tPvRmT3_T4_T5_T6_T7_T9_mT8_P12ihipStream_tbDpT10_ENKUlT_T0_E_clISt17integral_constantIbLb1EES16_IbLb0EEEEDaS12_S13_EUlS12_E_NS1_11comp_targetILNS1_3genE4ELNS1_11target_archE910ELNS1_3gpuE8ELNS1_3repE0EEENS1_30default_config_static_selectorELNS0_4arch9wavefront6targetE1EEEvT1_
; %bb.0:
	s_load_dwordx2 s[8:9], s[4:5], 0x50
	s_load_dwordx4 s[0:3], s[4:5], 0x8
	s_load_dwordx4 s[24:27], s[4:5], 0x40
	s_load_dword s7, s[4:5], 0x68
	s_waitcnt lgkmcnt(0)
	v_mov_b32_e32 v3, s9
	s_lshl_b64 s[10:11], s[2:3], 2
	s_add_u32 s10, s0, s10
	s_mul_i32 s9, s7, 0xa00
	s_addc_u32 s11, s1, s11
	s_add_i32 s1, s9, s2
	s_add_i32 s12, s7, -1
	s_sub_i32 s7, s8, s1
	v_mov_b32_e32 v2, s8
	s_add_u32 s8, s2, s9
	s_addc_u32 s9, s3, 0
	s_cmp_eq_u32 s6, s12
	s_load_dwordx2 s[22:23], s[26:27], 0x0
	v_cmp_ge_u64_e32 vcc, s[8:9], v[2:3]
	s_cselect_b64 s[26:27], -1, 0
	s_mul_i32 s0, s6, 0xa00
	s_mov_b32 s1, 0
	s_and_b64 s[30:31], s[26:27], vcc
	s_xor_b64 s[28:29], s[30:31], -1
	s_lshl_b64 s[0:1], s[0:1], 2
	s_add_u32 s0, s10, s0
	s_mov_b64 s[8:9], -1
	s_addc_u32 s1, s11, s1
	s_and_b64 vcc, exec, s[28:29]
	s_cbranch_vccz .LBB635_2
; %bb.1:
	v_lshlrev_b32_e32 v1, 2, v0
	v_mov_b32_e32 v2, s1
	v_add_co_u32_e32 v4, vcc, s0, v1
	v_addc_co_u32_e32 v5, vcc, 0, v2, vcc
	v_add_co_u32_e32 v2, vcc, 0x1000, v4
	v_addc_co_u32_e32 v3, vcc, 0, v5, vcc
	global_load_dword v6, v1, s[0:1]
	global_load_dword v7, v1, s[0:1] offset:1024
	global_load_dword v8, v1, s[0:1] offset:2048
	;; [unrolled: 1-line block ×3, first 2 shown]
	global_load_dword v10, v[2:3], off
	global_load_dword v11, v[2:3], off offset:1024
	global_load_dword v12, v[2:3], off offset:2048
	global_load_dword v13, v[2:3], off offset:3072
	v_add_co_u32_e32 v2, vcc, 0x2000, v4
	v_addc_co_u32_e32 v3, vcc, 0, v5, vcc
	global_load_dword v4, v[2:3], off
	global_load_dword v5, v[2:3], off offset:1024
	s_mov_b64 s[8:9], 0
	s_waitcnt vmcnt(8)
	ds_write2st64_b32 v1, v6, v7 offset1:4
	s_waitcnt vmcnt(6)
	ds_write2st64_b32 v1, v8, v9 offset0:8 offset1:12
	s_waitcnt vmcnt(4)
	ds_write2st64_b32 v1, v10, v11 offset0:16 offset1:20
	;; [unrolled: 2-line block ×4, first 2 shown]
	s_waitcnt lgkmcnt(0)
	s_barrier
.LBB635_2:
	s_andn2_b64 vcc, exec, s[8:9]
	s_addk_i32 s7, 0xa00
	s_cbranch_vccnz .LBB635_24
; %bb.3:
	v_cmp_gt_u32_e32 vcc, s7, v0
                                        ; implicit-def: $vgpr2_vgpr3_vgpr4_vgpr5_vgpr6_vgpr7_vgpr8_vgpr9_vgpr10_vgpr11
	s_and_saveexec_b64 s[8:9], vcc
	s_cbranch_execz .LBB635_5
; %bb.4:
	v_lshlrev_b32_e32 v1, 2, v0
	global_load_dword v2, v1, s[0:1]
.LBB635_5:
	s_or_b64 exec, exec, s[8:9]
	v_or_b32_e32 v1, 0x100, v0
	v_cmp_gt_u32_e32 vcc, s7, v1
	s_and_saveexec_b64 s[8:9], vcc
	s_cbranch_execz .LBB635_7
; %bb.6:
	v_lshlrev_b32_e32 v1, 2, v0
	global_load_dword v3, v1, s[0:1] offset:1024
.LBB635_7:
	s_or_b64 exec, exec, s[8:9]
	v_or_b32_e32 v1, 0x200, v0
	v_cmp_gt_u32_e32 vcc, s7, v1
	s_and_saveexec_b64 s[8:9], vcc
	s_cbranch_execz .LBB635_9
; %bb.8:
	v_lshlrev_b32_e32 v1, 2, v0
	global_load_dword v4, v1, s[0:1] offset:2048
.LBB635_9:
	;; [unrolled: 9-line block ×3, first 2 shown]
	s_or_b64 exec, exec, s[8:9]
	v_or_b32_e32 v1, 0x400, v0
	v_cmp_gt_u32_e32 vcc, s7, v1
	s_and_saveexec_b64 s[8:9], vcc
	s_cbranch_execz .LBB635_13
; %bb.12:
	v_lshlrev_b32_e32 v1, 2, v1
	global_load_dword v6, v1, s[0:1]
.LBB635_13:
	s_or_b64 exec, exec, s[8:9]
	v_or_b32_e32 v1, 0x500, v0
	v_cmp_gt_u32_e32 vcc, s7, v1
	s_and_saveexec_b64 s[8:9], vcc
	s_cbranch_execz .LBB635_15
; %bb.14:
	v_lshlrev_b32_e32 v1, 2, v1
	global_load_dword v7, v1, s[0:1]
.LBB635_15:
	;; [unrolled: 9-line block ×6, first 2 shown]
	s_or_b64 exec, exec, s[8:9]
	v_lshlrev_b32_e32 v1, 2, v0
	s_waitcnt vmcnt(0)
	ds_write2st64_b32 v1, v2, v3 offset1:4
	ds_write2st64_b32 v1, v4, v5 offset0:8 offset1:12
	ds_write2st64_b32 v1, v6, v7 offset0:16 offset1:20
	;; [unrolled: 1-line block ×4, first 2 shown]
	s_waitcnt lgkmcnt(0)
	s_barrier
.LBB635_24:
	v_mul_u32_u24_e32 v25, 10, v0
	v_lshlrev_b32_e32 v1, 2, v25
	s_waitcnt lgkmcnt(0)
	ds_read2_b64 v[6:9], v1 offset1:1
	ds_read2_b64 v[2:5], v1 offset0:2 offset1:3
	ds_read_b64 v[14:15], v1 offset:32
	s_cmp_lg_u32 s6, 0
	s_cselect_b64 s[34:35], -1, 0
	s_cmp_lg_u64 s[2:3], 0
	s_cselect_b64 s[2:3], -1, 0
	s_or_b64 s[2:3], s[34:35], s[2:3]
	v_or_b32_e32 v26, 1, v25
	v_mad_u32_u24 v24, v0, 10, 2
	v_mad_u32_u24 v23, v0, 10, 3
	;; [unrolled: 1-line block ×8, first 2 shown]
	s_mov_b64 s[36:37], 0
	s_and_b64 vcc, exec, s[2:3]
	s_waitcnt lgkmcnt(0)
	s_barrier
	s_cbranch_vccz .LBB635_29
; %bb.25:
	s_add_u32 s0, s0, -4
	s_addc_u32 s1, s1, -1
	s_load_dword s8, s[0:1], 0x0
	v_lshlrev_b32_e32 v10, 2, v0
	s_and_b64 vcc, exec, s[28:29]
	ds_write_b32 v10, v15
	s_cbranch_vccz .LBB635_31
; %bb.26:
	v_cmp_ne_u32_e32 vcc, 0, v0
	s_waitcnt lgkmcnt(0)
	v_mov_b32_e32 v11, s8
	s_barrier
	s_and_saveexec_b64 s[0:1], vcc
	s_cbranch_execz .LBB635_28
; %bb.27:
	v_add_u32_e32 v11, -4, v10
	ds_read_b32 v11, v11
.LBB635_28:
	s_or_b64 exec, exec, s[0:1]
	v_cmp_ne_u32_e32 vcc, v14, v15
	v_cndmask_b32_e64 v27, 0, 1, vcc
	v_cmp_ne_u32_e32 vcc, v5, v14
	v_cndmask_b32_e64 v28, 0, 1, vcc
	;; [unrolled: 2-line block ×9, first 2 shown]
	s_waitcnt lgkmcnt(0)
	v_cmp_ne_u32_e64 s[0:1], v11, v6
	v_lshlrev_b16_e32 v11, 8, v16
	v_or_b32_sdwa v11, v31, v11 dst_sel:WORD_1 dst_unused:UNUSED_PAD src0_sel:DWORD src1_sel:DWORD
	v_lshlrev_b16_e32 v16, 8, v32
	v_or_b32_e32 v16, v16, v11
	v_lshlrev_b16_e32 v11, 8, v29
	v_lshlrev_b16_e32 v12, 8, v12
	v_or_b32_e32 v11, v30, v11
	v_or_b32_sdwa v12, v17, v12 dst_sel:WORD_1 dst_unused:UNUSED_PAD src0_sel:DWORD src1_sel:DWORD
	v_or_b32_sdwa v17, v11, v12 dst_sel:DWORD dst_unused:UNUSED_PAD src0_sel:WORD_0 src1_sel:DWORD
	s_branch .LBB635_35
.LBB635_29:
                                        ; implicit-def: $sgpr0_sgpr1
                                        ; implicit-def: $vgpr27
                                        ; implicit-def: $vgpr28
                                        ; implicit-def: $vgpr17
	s_branch .LBB635_36
.LBB635_30:
                                        ; implicit-def: $vgpr10_vgpr11_vgpr12
	s_and_saveexec_b64 s[2:3], s[36:37]
	s_cbranch_execnz .LBB635_44
	s_branch .LBB635_45
.LBB635_31:
                                        ; implicit-def: $sgpr0_sgpr1
                                        ; implicit-def: $vgpr27
                                        ; implicit-def: $vgpr28
                                        ; implicit-def: $vgpr17
	s_cbranch_execz .LBB635_35
; %bb.32:
	v_cmp_ne_u32_e32 vcc, 0, v0
	s_waitcnt lgkmcnt(0)
	v_mov_b32_e32 v11, s8
	s_barrier
	s_and_saveexec_b64 s[0:1], vcc
	s_cbranch_execz .LBB635_34
; %bb.33:
	v_add_u32_e32 v10, -4, v10
	ds_read_b32 v11, v10
.LBB635_34:
	s_or_b64 exec, exec, s[0:1]
	v_cmp_gt_u32_e32 vcc, s7, v13
	v_cmp_ne_u32_e64 s[0:1], v14, v15
	s_and_b64 s[0:1], vcc, s[0:1]
	v_cndmask_b32_e64 v27, 0, 1, s[0:1]
	v_cmp_gt_u32_e32 vcc, s7, v18
	v_cmp_ne_u32_e64 s[0:1], v5, v14
	s_and_b64 s[0:1], vcc, s[0:1]
	v_cndmask_b32_e64 v28, 0, 1, s[0:1]
	;; [unrolled: 4-line block ×9, first 2 shown]
	s_waitcnt lgkmcnt(0)
	v_cmp_ne_u32_e64 s[0:1], v11, v6
	v_lshlrev_b16_e32 v11, 8, v16
	v_or_b32_sdwa v11, v30, v11 dst_sel:WORD_1 dst_unused:UNUSED_PAD src0_sel:DWORD src1_sel:DWORD
	v_lshlrev_b16_e32 v16, 8, v31
	v_or_b32_e32 v16, v16, v11
	v_lshlrev_b16_e32 v11, 8, v17
	v_lshlrev_b16_e32 v10, 8, v10
	v_cmp_gt_u32_e32 vcc, s7, v25
	v_or_b32_e32 v11, v29, v11
	v_or_b32_sdwa v10, v12, v10 dst_sel:WORD_1 dst_unused:UNUSED_PAD src0_sel:DWORD src1_sel:DWORD
	s_and_b64 s[0:1], vcc, s[0:1]
	v_or_b32_sdwa v17, v11, v10 dst_sel:DWORD dst_unused:UNUSED_PAD src0_sel:WORD_0 src1_sel:DWORD
.LBB635_35:
	s_mov_b64 s[36:37], -1
	s_cbranch_execnz .LBB635_30
.LBB635_36:
	s_movk_i32 s0, 0xffdc
	v_mad_i32_i24 v29, v0, s0, v1
	s_and_b64 vcc, exec, s[28:29]
	v_cmp_ne_u32_e64 s[0:1], v14, v15
	v_cmp_ne_u32_e64 s[2:3], v5, v14
	;; [unrolled: 1-line block ×3, first 2 shown]
	s_waitcnt lgkmcnt(0)
	v_cmp_ne_u32_e64 s[8:9], v3, v4
	v_cmp_ne_u32_e64 s[10:11], v2, v3
	;; [unrolled: 1-line block ×6, first 2 shown]
	ds_write_b32 v29, v15
	s_cbranch_vccz .LBB635_40
; %bb.37:
	v_cndmask_b32_e64 v10, 0, 1, s[20:21]
	v_cndmask_b32_e64 v12, 0, 1, s[10:11]
	;; [unrolled: 1-line block ×4, first 2 shown]
	v_lshlrev_b16_e32 v12, 8, v12
	v_lshlrev_b16_e32 v10, 8, v10
	v_cndmask_b32_e64 v27, 0, 1, s[0:1]
	v_or_b32_e32 v12, v16, v12
	v_or_b32_sdwa v10, v11, v10 dst_sel:WORD_1 dst_unused:UNUSED_PAD src0_sel:DWORD src1_sel:DWORD
	v_cndmask_b32_e64 v28, 0, 1, s[2:3]
	v_or_b32_sdwa v17, v12, v10 dst_sel:DWORD dst_unused:UNUSED_PAD src0_sel:WORD_0 src1_sel:DWORD
	v_lshlrev_b16_e32 v10, 8, v27
	v_cndmask_b32_e64 v30, 0, 1, s[14:15]
	v_cndmask_b32_e64 v32, 0, 1, s[18:19]
	v_or_b32_e32 v10, v28, v10
	v_cndmask_b32_e64 v31, 0, 1, s[16:17]
	v_and_b32_e32 v12, 0xffff, v10
	v_lshlrev_b16_e32 v10, 8, v30
	v_lshlrev_b16_e32 v11, 8, v32
	v_or_b32_sdwa v10, v31, v10 dst_sel:WORD_1 dst_unused:UNUSED_PAD src0_sel:DWORD src1_sel:DWORD
	v_or_b32_e32 v11, 1, v11
	v_or_b32_sdwa v16, v11, v10 dst_sel:DWORD dst_unused:UNUSED_PAD src0_sel:WORD_0 src1_sel:DWORD
	v_cmp_ne_u32_e32 vcc, 0, v0
	s_waitcnt lgkmcnt(0)
	s_barrier
	s_waitcnt lgkmcnt(0)
                                        ; implicit-def: $sgpr0_sgpr1
	s_and_saveexec_b64 s[2:3], vcc
	s_xor_b64 s[2:3], exec, s[2:3]
	s_cbranch_execz .LBB635_39
; %bb.38:
	v_add_u32_e32 v10, -4, v29
	ds_read_b32 v10, v10
	s_or_b64 s[36:37], s[36:37], exec
	s_waitcnt lgkmcnt(0)
	v_cmp_ne_u32_e32 vcc, v10, v6
	s_and_b64 s[0:1], vcc, exec
                                        ; implicit-def: $vgpr10_vgpr11_vgpr12
.LBB635_39:
	s_or_b64 exec, exec, s[2:3]
	s_branch .LBB635_43
.LBB635_40:
                                        ; implicit-def: $sgpr0_sgpr1
                                        ; implicit-def: $vgpr27
                                        ; implicit-def: $vgpr28
                                        ; implicit-def: $vgpr17
                                        ; implicit-def: $vgpr10_vgpr11_vgpr12
	s_cbranch_execz .LBB635_43
; %bb.41:
	v_cmp_gt_u32_e32 vcc, s7, v13
	v_cmp_ne_u32_e64 s[0:1], v14, v15
	s_and_b64 s[0:1], vcc, s[0:1]
	v_cndmask_b32_e64 v27, 0, 1, s[0:1]
	v_cmp_gt_u32_e32 vcc, s7, v18
	v_cmp_ne_u32_e64 s[0:1], v5, v14
	s_and_b64 s[0:1], vcc, s[0:1]
	v_cndmask_b32_e64 v28, 0, 1, s[0:1]
	;; [unrolled: 4-line block ×7, first 2 shown]
	v_cmp_gt_u32_e32 vcc, s7, v24
	v_cmp_ne_u32_e64 s[0:1], v7, v8
	s_and_b64 s[0:1], vcc, s[0:1]
	v_lshlrev_b16_e32 v12, 8, v12
	v_lshlrev_b16_e32 v10, 8, v10
	v_cndmask_b32_e64 v31, 0, 1, s[0:1]
	v_cmp_gt_u32_e32 vcc, s7, v26
	v_cmp_ne_u32_e64 s[0:1], v6, v7
	v_or_b32_e32 v12, v16, v12
	v_or_b32_sdwa v10, v11, v10 dst_sel:WORD_1 dst_unused:UNUSED_PAD src0_sel:DWORD src1_sel:DWORD
	s_and_b64 s[0:1], vcc, s[0:1]
	v_or_b32_sdwa v17, v12, v10 dst_sel:DWORD dst_unused:UNUSED_PAD src0_sel:WORD_0 src1_sel:DWORD
	v_lshlrev_b16_e32 v10, 8, v27
	v_cndmask_b32_e64 v32, 0, 1, s[0:1]
	v_or_b32_e32 v10, v28, v10
	v_and_b32_e32 v12, 0xffff, v10
	v_lshlrev_b16_e32 v10, 8, v30
	v_lshlrev_b16_e32 v11, 8, v32
	v_or_b32_sdwa v10, v31, v10 dst_sel:WORD_1 dst_unused:UNUSED_PAD src0_sel:DWORD src1_sel:DWORD
	v_or_b32_e32 v11, 1, v11
	v_or_b32_sdwa v16, v11, v10 dst_sel:DWORD dst_unused:UNUSED_PAD src0_sel:WORD_0 src1_sel:DWORD
	v_cmp_ne_u32_e32 vcc, 0, v0
	s_waitcnt lgkmcnt(0)
	s_barrier
	s_waitcnt lgkmcnt(0)
                                        ; implicit-def: $sgpr0_sgpr1
	s_and_saveexec_b64 s[2:3], vcc
	s_cbranch_execz .LBB635_160
; %bb.42:
	v_add_u32_e32 v10, -4, v29
	ds_read_b32 v10, v10
	v_cmp_gt_u32_e32 vcc, s7, v25
	s_or_b64 s[36:37], s[36:37], exec
	s_waitcnt lgkmcnt(0)
	v_cmp_ne_u32_e64 s[0:1], v10, v6
	s_and_b64 s[0:1], vcc, s[0:1]
	s_and_b64 s[0:1], s[0:1], exec
                                        ; implicit-def: $vgpr10_vgpr11_vgpr12
	s_or_b64 exec, exec, s[2:3]
.LBB635_43:
	s_and_saveexec_b64 s[2:3], s[36:37]
	s_cbranch_execz .LBB635_45
.LBB635_44:
	v_lshlrev_b16_e32 v11, 8, v27
	v_or_b32_sdwa v11, v28, v11 dst_sel:DWORD dst_unused:UNUSED_PAD src0_sel:BYTE_0 src1_sel:DWORD
	v_cndmask_b32_e64 v10, 0, 1, s[0:1]
	s_movk_i32 s0, 0xff
	v_and_b32_e32 v12, 0xffff, v11
	v_lshrrev_b32_e32 v11, 24, v16
	v_lshlrev_b16_e32 v11, 8, v11
	v_and_b32_sdwa v27, v16, s0 dst_sel:DWORD dst_unused:UNUSED_PAD src0_sel:WORD_1 src1_sel:DWORD
	v_or_b32_sdwa v11, v27, v11 dst_sel:WORD_1 dst_unused:UNUSED_PAD src0_sel:DWORD src1_sel:DWORD
	v_mov_b32_e32 v27, 8
	v_lshrrev_b32_sdwa v16, v27, v16 dst_sel:BYTE_1 dst_unused:UNUSED_PAD src0_sel:DWORD src1_sel:DWORD
	v_or_b32_e32 v10, v10, v16
	v_or_b32_sdwa v16, v10, v11 dst_sel:DWORD dst_unused:UNUSED_PAD src0_sel:WORD_0 src1_sel:DWORD
.LBB635_45:
	s_or_b64 exec, exec, s[2:3]
	s_load_dwordx2 s[20:21], s[4:5], 0x60
	s_andn2_b64 vcc, exec, s[30:31]
	s_cbranch_vccnz .LBB635_47
; %bb.46:
	v_and_b32_e32 v11, 0xffff0000, v16
	v_cmp_gt_u32_e32 vcc, s7, v25
	v_cndmask_b32_e32 v11, v11, v16, vcc
	v_and_b32_e32 v11, 0xffff00ff, v11
	v_cmp_gt_u32_e32 vcc, s7, v26
	v_cndmask_b32_e32 v11, v11, v16, vcc
	v_lshrrev_b32_e32 v25, 24, v11
	s_mov_b32 s0, 0x40c0100
	v_perm_b32 v11, v25, v11, s0
	v_cmp_gt_u32_e32 vcc, s7, v24
	v_cndmask_b32_e32 v11, v11, v16, vcc
	v_and_b32_e32 v11, 0xffffff, v11
	v_cmp_gt_u32_e32 vcc, s7, v23
	v_cndmask_b32_e32 v11, v11, v16, vcc
	v_and_b32_e32 v23, 0xffffff00, v17
	;; [unrolled: 3-line block ×3, first 2 shown]
	v_cndmask_b32_e32 v11, v11, v16, vcc
	v_cmp_gt_u32_e32 vcc, s7, v21
	v_cndmask_b32_e32 v21, v22, v17, vcc
	v_lshrrev_b32_e32 v22, 24, v21
	v_and_b32_e32 v10, 0xffff0000, v12
	v_cndmask_b32_e32 v11, v11, v16, vcc
	v_perm_b32 v21, v22, v21, s0
	v_cmp_gt_u32_e32 vcc, s7, v20
	v_cmp_gt_u32_e64 s[0:1], s7, v18
	v_cmp_gt_u32_e64 s[2:3], s7, v13
	v_cndmask_b32_e32 v20, v21, v17, vcc
	v_cndmask_b32_e32 v11, v11, v16, vcc
	v_cmp_gt_u32_e32 vcc, s7, v19
	v_cndmask_b32_e64 v10, v10, v12, s[0:1]
	s_or_b64 s[0:1], s[2:3], s[0:1]
	s_or_b64 vcc, s[0:1], vcc
	v_and_b32_e32 v10, 0xffff00ff, v10
	v_cndmask_b32_e32 v11, v11, v16, vcc
	s_mov_b32 s0, 0x3020104
	v_cndmask_b32_e64 v10, v10, v12, s[2:3]
	v_perm_b32 v16, v11, v11, s0
	v_mov_b32_e32 v11, 8
	v_lshrrev_b32_sdwa v11, v11, v10 dst_sel:BYTE_1 dst_unused:UNUSED_PAD src0_sel:DWORD src1_sel:DWORD
	v_and_b32_e32 v19, 0xffffff, v20
	v_or_b32_sdwa v10, v10, v11 dst_sel:DWORD dst_unused:UNUSED_PAD src0_sel:BYTE_0 src1_sel:DWORD
	v_cndmask_b32_e32 v17, v19, v17, vcc
	v_and_b32_e32 v12, 0xffff, v10
.LBB635_47:
	v_alignbit_b32 v10, v17, v16, 24
	v_bfe_u32 v27, v16, 16, 8
	v_and_b32_e32 v29, 0xff, v10
	v_add_u32_sdwa v11, v16, v16 dst_sel:DWORD dst_unused:UNUSED_PAD src0_sel:BYTE_1 src1_sel:BYTE_0
	v_and_b32_e32 v31, 0xff, v17
	v_bfe_u32 v33, v17, 8, 8
	v_add3_u32 v11, v11, v27, v29
	v_bfe_u32 v35, v17, 16, 8
	v_lshrrev_b32_e32 v13, 24, v17
	v_add3_u32 v11, v11, v31, v33
	v_and_b32_e32 v37, 0xff, v12
	v_bfe_u32 v10, v12, 8, 8
	v_add3_u32 v11, v11, v35, v13
	v_add3_u32 v42, v11, v37, v10
	v_mbcnt_lo_u32_b32 v10, -1, 0
	v_mbcnt_hi_u32_b32 v39, -1, v10
	v_and_b32_e32 v10, 15, v39
	v_cmp_eq_u32_e64 s[14:15], 0, v10
	v_cmp_lt_u32_e64 s[12:13], 1, v10
	v_cmp_lt_u32_e64 s[10:11], 3, v10
	s_waitcnt lgkmcnt(0)
	v_cmp_lt_u32_e64 s[8:9], 7, v10
	v_and_b32_e32 v10, 16, v39
	v_cmp_eq_u32_e64 s[18:19], 0, v10
	v_or_b32_e32 v10, 63, v0
	v_cmp_lt_u32_e64 s[0:1], 31, v39
	v_lshrrev_b32_e32 v41, 6, v0
	v_cmp_eq_u32_e64 s[2:3], v10, v0
	s_and_b64 vcc, exec, s[34:35]
	s_barrier
	s_cbranch_vccz .LBB635_78
; %bb.48:
	v_mov_b32_dpp v10, v42 row_shr:1 row_mask:0xf bank_mask:0xf
	v_cndmask_b32_e64 v10, v10, 0, s[14:15]
	v_add_u32_e32 v10, v10, v42
	s_nop 1
	v_mov_b32_dpp v11, v10 row_shr:2 row_mask:0xf bank_mask:0xf
	v_cndmask_b32_e64 v11, 0, v11, s[12:13]
	v_add_u32_e32 v10, v10, v11
	s_nop 1
	;; [unrolled: 4-line block ×4, first 2 shown]
	v_mov_b32_dpp v11, v10 row_bcast:15 row_mask:0xf bank_mask:0xf
	v_cndmask_b32_e64 v11, v11, 0, s[18:19]
	v_add_u32_e32 v10, v10, v11
	s_nop 1
	v_mov_b32_dpp v11, v10 row_bcast:31 row_mask:0xf bank_mask:0xf
	v_cndmask_b32_e64 v11, 0, v11, s[0:1]
	v_add_u32_e32 v10, v10, v11
	s_and_saveexec_b64 s[16:17], s[2:3]
	s_cbranch_execz .LBB635_50
; %bb.49:
	v_lshlrev_b32_e32 v11, 2, v41
	ds_write_b32 v11, v10
.LBB635_50:
	s_or_b64 exec, exec, s[16:17]
	v_cmp_gt_u32_e32 vcc, 4, v0
	s_waitcnt lgkmcnt(0)
	s_barrier
	s_and_saveexec_b64 s[16:17], vcc
	s_cbranch_execz .LBB635_52
; %bb.51:
	v_lshlrev_b32_e32 v11, 2, v0
	ds_read_b32 v18, v11
	v_and_b32_e32 v19, 3, v39
	v_cmp_ne_u32_e32 vcc, 0, v19
	s_waitcnt lgkmcnt(0)
	v_mov_b32_dpp v20, v18 row_shr:1 row_mask:0xf bank_mask:0xf
	v_cndmask_b32_e32 v20, 0, v20, vcc
	v_add_u32_e32 v18, v20, v18
	v_cmp_lt_u32_e32 vcc, 1, v19
	s_nop 0
	v_mov_b32_dpp v20, v18 row_shr:2 row_mask:0xf bank_mask:0xf
	v_cndmask_b32_e32 v19, 0, v20, vcc
	v_add_u32_e32 v18, v18, v19
	ds_write_b32 v11, v18
.LBB635_52:
	s_or_b64 exec, exec, s[16:17]
	v_cmp_gt_u32_e32 vcc, 64, v0
	v_cmp_lt_u32_e64 s[16:17], 63, v0
	s_waitcnt lgkmcnt(0)
	s_barrier
	s_waitcnt lgkmcnt(0)
                                        ; implicit-def: $vgpr26
	s_and_saveexec_b64 s[30:31], s[16:17]
	s_cbranch_execz .LBB635_54
; %bb.53:
	v_lshl_add_u32 v11, v41, 2, -4
	ds_read_b32 v26, v11
	s_waitcnt lgkmcnt(0)
	v_add_u32_e32 v10, v26, v10
.LBB635_54:
	s_or_b64 exec, exec, s[30:31]
	v_add_u32_e32 v11, -1, v39
	v_and_b32_e32 v18, 64, v39
	v_cmp_lt_i32_e64 s[16:17], v11, v18
	v_cndmask_b32_e64 v11, v11, v39, s[16:17]
	v_lshlrev_b32_e32 v11, 2, v11
	ds_bpermute_b32 v28, v11, v10
	v_cmp_eq_u32_e64 s[16:17], 0, v39
	s_and_saveexec_b64 s[30:31], vcc
	s_cbranch_execz .LBB635_77
; %bb.55:
	v_mov_b32_e32 v25, 0
	ds_read_b32 v10, v25 offset:12
	s_and_saveexec_b64 s[34:35], s[16:17]
	s_cbranch_execz .LBB635_57
; %bb.56:
	s_add_i32 s36, s6, 64
	s_mov_b32 s37, 0
	s_lshl_b64 s[36:37], s[36:37], 3
	s_add_u32 s36, s20, s36
	v_mov_b32_e32 v11, 1
	s_addc_u32 s37, s21, s37
	s_waitcnt lgkmcnt(0)
	global_store_dwordx2 v25, v[10:11], s[36:37]
.LBB635_57:
	s_or_b64 exec, exec, s[34:35]
	v_xad_u32 v18, v39, -1, s6
	v_add_u32_e32 v24, 64, v18
	v_lshlrev_b64 v[20:21], 3, v[24:25]
	v_mov_b32_e32 v11, s21
	v_add_co_u32_e32 v20, vcc, s20, v20
	v_addc_co_u32_e32 v21, vcc, v11, v21, vcc
	global_load_dwordx2 v[22:23], v[20:21], off glc
	s_waitcnt vmcnt(0)
	v_cmp_eq_u16_sdwa s[36:37], v23, v25 src0_sel:BYTE_0 src1_sel:DWORD
	s_and_saveexec_b64 s[34:35], s[36:37]
	s_cbranch_execz .LBB635_63
; %bb.58:
	s_mov_b32 s7, 1
	s_mov_b64 s[36:37], 0
	v_mov_b32_e32 v11, 0
.LBB635_59:                             ; =>This Loop Header: Depth=1
                                        ;     Child Loop BB635_60 Depth 2
	s_max_u32 s33, s7, 1
.LBB635_60:                             ;   Parent Loop BB635_59 Depth=1
                                        ; =>  This Inner Loop Header: Depth=2
	s_add_i32 s33, s33, -1
	s_cmp_eq_u32 s33, 0
	s_sleep 1
	s_cbranch_scc0 .LBB635_60
; %bb.61:                               ;   in Loop: Header=BB635_59 Depth=1
	global_load_dwordx2 v[22:23], v[20:21], off glc
	s_cmp_lt_u32 s7, 32
	s_cselect_b64 s[38:39], -1, 0
	s_cmp_lg_u64 s[38:39], 0
	s_addc_u32 s7, s7, 0
	s_waitcnt vmcnt(0)
	v_cmp_ne_u16_sdwa s[38:39], v23, v11 src0_sel:BYTE_0 src1_sel:DWORD
	s_or_b64 s[36:37], s[38:39], s[36:37]
	s_andn2_b64 exec, exec, s[36:37]
	s_cbranch_execnz .LBB635_59
; %bb.62:
	s_or_b64 exec, exec, s[36:37]
.LBB635_63:
	s_or_b64 exec, exec, s[34:35]
	v_and_b32_e32 v32, 63, v39
	v_mov_b32_e32 v30, 2
	v_cmp_ne_u32_e32 vcc, 63, v32
	v_cmp_eq_u16_sdwa s[34:35], v23, v30 src0_sel:BYTE_0 src1_sel:DWORD
	v_lshlrev_b64 v[20:21], v39, -1
	v_addc_co_u32_e32 v24, vcc, 0, v39, vcc
	v_and_b32_e32 v11, s35, v21
	v_lshlrev_b32_e32 v34, 2, v24
	v_or_b32_e32 v11, 0x80000000, v11
	ds_bpermute_b32 v24, v34, v22
	v_and_b32_e32 v19, s34, v20
	v_ffbl_b32_e32 v11, v11
	v_add_u32_e32 v11, 32, v11
	v_ffbl_b32_e32 v19, v19
	v_min_u32_e32 v11, v19, v11
	v_cmp_lt_u32_e32 vcc, v32, v11
	s_waitcnt lgkmcnt(0)
	v_cndmask_b32_e32 v19, 0, v24, vcc
	v_cmp_gt_u32_e32 vcc, 62, v32
	v_add_u32_e32 v19, v19, v22
	v_cndmask_b32_e64 v22, 0, 1, vcc
	v_lshlrev_b32_e32 v22, 1, v22
	v_add_lshl_u32 v36, v22, v39, 2
	ds_bpermute_b32 v22, v36, v19
	v_add_u32_e32 v38, 2, v32
	v_cmp_le_u32_e32 vcc, v38, v11
	v_add_u32_e32 v43, 4, v32
	v_add_u32_e32 v45, 8, v32
	s_waitcnt lgkmcnt(0)
	v_cndmask_b32_e32 v22, 0, v22, vcc
	v_cmp_gt_u32_e32 vcc, 60, v32
	v_add_u32_e32 v19, v19, v22
	v_cndmask_b32_e64 v22, 0, 1, vcc
	v_lshlrev_b32_e32 v22, 2, v22
	v_add_lshl_u32 v40, v22, v39, 2
	ds_bpermute_b32 v22, v40, v19
	v_cmp_le_u32_e32 vcc, v43, v11
	v_add_u32_e32 v47, 16, v32
	v_add_u32_e32 v49, 32, v32
	s_waitcnt lgkmcnt(0)
	v_cndmask_b32_e32 v22, 0, v22, vcc
	v_cmp_gt_u32_e32 vcc, 56, v32
	v_add_u32_e32 v19, v19, v22
	v_cndmask_b32_e64 v22, 0, 1, vcc
	v_lshlrev_b32_e32 v22, 3, v22
	v_add_lshl_u32 v44, v22, v39, 2
	ds_bpermute_b32 v22, v44, v19
	v_cmp_le_u32_e32 vcc, v45, v11
	s_waitcnt lgkmcnt(0)
	v_cndmask_b32_e32 v22, 0, v22, vcc
	v_cmp_gt_u32_e32 vcc, 48, v32
	v_add_u32_e32 v19, v19, v22
	v_cndmask_b32_e64 v22, 0, 1, vcc
	v_lshlrev_b32_e32 v22, 4, v22
	v_add_lshl_u32 v46, v22, v39, 2
	ds_bpermute_b32 v22, v46, v19
	v_cmp_le_u32_e32 vcc, v47, v11
	;; [unrolled: 9-line block ×3, first 2 shown]
	s_waitcnt lgkmcnt(0)
	v_cndmask_b32_e32 v11, 0, v22, vcc
	v_add_u32_e32 v22, v19, v11
	v_mov_b32_e32 v19, 0
	s_branch .LBB635_65
.LBB635_64:                             ;   in Loop: Header=BB635_65 Depth=1
	s_or_b64 exec, exec, s[34:35]
	v_cmp_eq_u16_sdwa s[34:35], v23, v30 src0_sel:BYTE_0 src1_sel:DWORD
	v_and_b32_e32 v24, s35, v21
	v_or_b32_e32 v24, 0x80000000, v24
	ds_bpermute_b32 v50, v34, v22
	v_and_b32_e32 v25, s34, v20
	v_ffbl_b32_e32 v24, v24
	v_add_u32_e32 v24, 32, v24
	v_ffbl_b32_e32 v25, v25
	v_min_u32_e32 v24, v25, v24
	v_cmp_lt_u32_e32 vcc, v32, v24
	s_waitcnt lgkmcnt(0)
	v_cndmask_b32_e32 v25, 0, v50, vcc
	v_add_u32_e32 v22, v25, v22
	ds_bpermute_b32 v25, v36, v22
	v_cmp_le_u32_e32 vcc, v38, v24
	v_subrev_u32_e32 v18, 64, v18
	s_waitcnt lgkmcnt(0)
	v_cndmask_b32_e32 v25, 0, v25, vcc
	v_add_u32_e32 v22, v22, v25
	ds_bpermute_b32 v25, v40, v22
	v_cmp_le_u32_e32 vcc, v43, v24
	s_waitcnt lgkmcnt(0)
	v_cndmask_b32_e32 v25, 0, v25, vcc
	v_add_u32_e32 v22, v22, v25
	ds_bpermute_b32 v25, v44, v22
	v_cmp_le_u32_e32 vcc, v45, v24
	;; [unrolled: 5-line block ×4, first 2 shown]
	s_waitcnt lgkmcnt(0)
	v_cndmask_b32_e32 v24, 0, v25, vcc
	v_add3_u32 v22, v24, v11, v22
.LBB635_65:                             ; =>This Loop Header: Depth=1
                                        ;     Child Loop BB635_68 Depth 2
                                        ;       Child Loop BB635_69 Depth 3
	v_cmp_ne_u16_sdwa s[34:35], v23, v30 src0_sel:BYTE_0 src1_sel:DWORD
	v_cndmask_b32_e64 v11, 0, 1, s[34:35]
	;;#ASMSTART
	;;#ASMEND
	v_cmp_ne_u32_e32 vcc, 0, v11
	s_cmp_lg_u64 vcc, exec
	v_mov_b32_e32 v11, v22
	s_cbranch_scc1 .LBB635_72
; %bb.66:                               ;   in Loop: Header=BB635_65 Depth=1
	v_lshlrev_b64 v[22:23], 3, v[18:19]
	v_mov_b32_e32 v25, s21
	v_add_co_u32_e32 v24, vcc, s20, v22
	v_addc_co_u32_e32 v25, vcc, v25, v23, vcc
	global_load_dwordx2 v[22:23], v[24:25], off glc
	s_waitcnt vmcnt(0)
	v_cmp_eq_u16_sdwa s[36:37], v23, v19 src0_sel:BYTE_0 src1_sel:DWORD
	s_and_saveexec_b64 s[34:35], s[36:37]
	s_cbranch_execz .LBB635_64
; %bb.67:                               ;   in Loop: Header=BB635_65 Depth=1
	s_mov_b32 s7, 1
	s_mov_b64 s[36:37], 0
.LBB635_68:                             ;   Parent Loop BB635_65 Depth=1
                                        ; =>  This Loop Header: Depth=2
                                        ;       Child Loop BB635_69 Depth 3
	s_max_u32 s33, s7, 1
.LBB635_69:                             ;   Parent Loop BB635_65 Depth=1
                                        ;     Parent Loop BB635_68 Depth=2
                                        ; =>    This Inner Loop Header: Depth=3
	s_add_i32 s33, s33, -1
	s_cmp_eq_u32 s33, 0
	s_sleep 1
	s_cbranch_scc0 .LBB635_69
; %bb.70:                               ;   in Loop: Header=BB635_68 Depth=2
	global_load_dwordx2 v[22:23], v[24:25], off glc
	s_cmp_lt_u32 s7, 32
	s_cselect_b64 s[38:39], -1, 0
	s_cmp_lg_u64 s[38:39], 0
	s_addc_u32 s7, s7, 0
	s_waitcnt vmcnt(0)
	v_cmp_ne_u16_sdwa s[38:39], v23, v19 src0_sel:BYTE_0 src1_sel:DWORD
	s_or_b64 s[36:37], s[38:39], s[36:37]
	s_andn2_b64 exec, exec, s[36:37]
	s_cbranch_execnz .LBB635_68
; %bb.71:                               ;   in Loop: Header=BB635_65 Depth=1
	s_or_b64 exec, exec, s[36:37]
	s_branch .LBB635_64
.LBB635_72:                             ;   in Loop: Header=BB635_65 Depth=1
                                        ; implicit-def: $vgpr22
                                        ; implicit-def: $vgpr23
	s_cbranch_execz .LBB635_65
; %bb.73:
	s_and_saveexec_b64 s[34:35], s[16:17]
	s_cbranch_execz .LBB635_75
; %bb.74:
	s_add_i32 s6, s6, 64
	s_mov_b32 s7, 0
	s_lshl_b64 s[6:7], s[6:7], 3
	s_add_u32 s6, s20, s6
	v_add_u32_e32 v18, v11, v10
	v_mov_b32_e32 v19, 2
	s_addc_u32 s7, s21, s7
	v_mov_b32_e32 v20, 0
	global_store_dwordx2 v20, v[18:19], s[6:7]
	ds_write_b64 v20, v[10:11] offset:10240
.LBB635_75:
	s_or_b64 exec, exec, s[34:35]
	v_cmp_eq_u32_e32 vcc, 0, v0
	s_and_b64 exec, exec, vcc
	s_cbranch_execz .LBB635_77
; %bb.76:
	v_mov_b32_e32 v10, 0
	ds_write_b32 v10, v11 offset:12
.LBB635_77:
	s_or_b64 exec, exec, s[30:31]
	v_mov_b32_e32 v10, 0
	s_waitcnt lgkmcnt(0)
	s_barrier
	ds_read_b32 v11, v10 offset:12
	v_cndmask_b32_e64 v18, v28, v26, s[16:17]
	v_cmp_ne_u32_e32 vcc, 0, v0
	v_cndmask_b32_e32 v18, 0, v18, vcc
	s_waitcnt lgkmcnt(0)
	v_add_u32_e32 v40, v11, v18
	v_add_u32_sdwa v38, v40, v16 dst_sel:DWORD dst_unused:UNUSED_PAD src0_sel:DWORD src1_sel:BYTE_0
	v_add_u32_sdwa v36, v38, v16 dst_sel:DWORD dst_unused:UNUSED_PAD src0_sel:DWORD src1_sel:BYTE_1
	v_add_u32_e32 v34, v36, v27
	v_add_u32_e32 v32, v34, v29
	s_barrier
	ds_read_b64 v[10:11], v10 offset:10240
	v_add_u32_e32 v30, v32, v31
	v_add_u32_e32 v28, v30, v33
	;; [unrolled: 1-line block ×5, first 2 shown]
	s_waitcnt lgkmcnt(0)
	v_mov_b32_e32 v18, v11
	s_load_dwordx2 s[4:5], s[4:5], 0x28
	v_lshrrev_b64 v[24:25], 24, v[16:17]
	s_branch .LBB635_88
.LBB635_78:
                                        ; implicit-def: $vgpr18
                                        ; implicit-def: $vgpr10
                                        ; implicit-def: $vgpr20
                                        ; implicit-def: $vgpr22
                                        ; implicit-def: $vgpr26
                                        ; implicit-def: $vgpr28
                                        ; implicit-def: $vgpr30
                                        ; implicit-def: $vgpr32
                                        ; implicit-def: $vgpr34
                                        ; implicit-def: $vgpr36
                                        ; implicit-def: $vgpr38
                                        ; implicit-def: $vgpr40
	s_load_dwordx2 s[4:5], s[4:5], 0x28
	v_lshrrev_b64 v[24:25], 24, v[16:17]
	s_cbranch_execz .LBB635_88
; %bb.79:
	v_mov_b32_dpp v10, v42 row_shr:1 row_mask:0xf bank_mask:0xf
	v_cndmask_b32_e64 v10, v10, 0, s[14:15]
	v_add_u32_e32 v10, v10, v42
	s_nop 1
	v_mov_b32_dpp v11, v10 row_shr:2 row_mask:0xf bank_mask:0xf
	v_cndmask_b32_e64 v11, 0, v11, s[12:13]
	v_add_u32_e32 v10, v10, v11
	s_nop 1
	;; [unrolled: 4-line block ×4, first 2 shown]
	v_mov_b32_dpp v11, v10 row_bcast:15 row_mask:0xf bank_mask:0xf
	v_cndmask_b32_e64 v11, v11, 0, s[18:19]
	v_add_u32_e32 v10, v10, v11
	s_nop 1
	v_mov_b32_dpp v11, v10 row_bcast:31 row_mask:0xf bank_mask:0xf
	v_cndmask_b32_e64 v11, 0, v11, s[0:1]
	v_add_u32_e32 v10, v10, v11
	s_and_saveexec_b64 s[0:1], s[2:3]
	s_cbranch_execz .LBB635_81
; %bb.80:
	v_lshlrev_b32_e32 v11, 2, v41
	ds_write_b32 v11, v10
.LBB635_81:
	s_or_b64 exec, exec, s[0:1]
	v_cmp_gt_u32_e32 vcc, 4, v0
	s_waitcnt lgkmcnt(0)
	s_barrier
	s_and_saveexec_b64 s[0:1], vcc
	s_cbranch_execz .LBB635_83
; %bb.82:
	s_movk_i32 s2, 0xffdc
	v_mad_i32_i24 v1, v0, s2, v1
	ds_read_b32 v11, v1
	v_and_b32_e32 v18, 3, v39
	v_cmp_ne_u32_e32 vcc, 0, v18
	s_waitcnt lgkmcnt(0)
	v_mov_b32_dpp v19, v11 row_shr:1 row_mask:0xf bank_mask:0xf
	v_cndmask_b32_e32 v19, 0, v19, vcc
	v_add_u32_e32 v11, v19, v11
	v_cmp_lt_u32_e32 vcc, 1, v18
	s_nop 0
	v_mov_b32_dpp v19, v11 row_shr:2 row_mask:0xf bank_mask:0xf
	v_cndmask_b32_e32 v18, 0, v19, vcc
	v_add_u32_e32 v11, v11, v18
	ds_write_b32 v1, v11
.LBB635_83:
	s_or_b64 exec, exec, s[0:1]
	v_cmp_lt_u32_e32 vcc, 63, v0
	v_mov_b32_e32 v11, 0
	v_mov_b32_e32 v1, 0
	s_waitcnt lgkmcnt(0)
	s_barrier
	s_and_saveexec_b64 s[0:1], vcc
	s_cbranch_execz .LBB635_85
; %bb.84:
	v_lshl_add_u32 v1, v41, 2, -4
	ds_read_b32 v1, v1
.LBB635_85:
	s_or_b64 exec, exec, s[0:1]
	v_add_u32_e32 v18, -1, v39
	v_and_b32_e32 v19, 64, v39
	v_cmp_lt_i32_e32 vcc, v18, v19
	v_cndmask_b32_e32 v18, v18, v39, vcc
	s_waitcnt lgkmcnt(0)
	v_add_u32_e32 v10, v1, v10
	v_lshlrev_b32_e32 v18, 2, v18
	ds_bpermute_b32 v18, v18, v10
	ds_read_b32 v10, v11 offset:12
	v_cmp_eq_u32_e32 vcc, 0, v0
	s_and_saveexec_b64 s[0:1], vcc
	s_cbranch_execz .LBB635_87
; %bb.86:
	v_mov_b32_e32 v19, 0
	v_mov_b32_e32 v11, 2
	s_waitcnt lgkmcnt(0)
	global_store_dwordx2 v19, v[10:11], s[20:21] offset:512
.LBB635_87:
	s_or_b64 exec, exec, s[0:1]
	v_cmp_eq_u32_e64 s[0:1], 0, v39
	s_waitcnt lgkmcnt(1)
	v_cndmask_b32_e64 v1, v18, v1, s[0:1]
	v_cndmask_b32_e64 v40, v1, 0, vcc
	v_add_u32_sdwa v38, v40, v16 dst_sel:DWORD dst_unused:UNUSED_PAD src0_sel:DWORD src1_sel:BYTE_0
	v_add_u32_sdwa v36, v38, v16 dst_sel:DWORD dst_unused:UNUSED_PAD src0_sel:DWORD src1_sel:BYTE_1
	v_add_u32_e32 v34, v36, v27
	v_add_u32_e32 v32, v34, v29
	;; [unrolled: 1-line block ×6, first 2 shown]
	v_mov_b32_e32 v18, 0
	v_add_u32_e32 v20, v22, v37
	s_waitcnt lgkmcnt(0)
	s_barrier
.LBB635_88:
	s_movk_i32 s0, 0x101
	v_cmp_gt_u32_e32 vcc, s0, v10
	v_lshrrev_b32_e32 v19, 8, v16
	v_lshrrev_b32_e32 v11, 8, v17
	;; [unrolled: 1-line block ×3, first 2 shown]
	s_mov_b64 s[0:1], -1
	s_cbranch_vccnz .LBB635_92
; %bb.89:
	s_and_b64 vcc, exec, s[0:1]
	s_cbranch_vccnz .LBB635_123
.LBB635_90:
	v_cmp_eq_u32_e32 vcc, 0, v0
	s_and_b64 s[0:1], vcc, s[26:27]
	s_and_saveexec_b64 s[2:3], s[0:1]
	s_cbranch_execnz .LBB635_159
.LBB635_91:
	s_endpgm
.LBB635_92:
	v_add_u32_e32 v21, v18, v10
	s_lshl_b64 s[0:1], s[22:23], 2
	s_waitcnt lgkmcnt(0)
	s_add_u32 s2, s4, s0
	v_cmp_lt_u32_e32 vcc, v40, v21
	s_addc_u32 s3, s5, s1
	s_or_b64 s[6:7], s[28:29], vcc
	s_and_saveexec_b64 s[0:1], s[6:7]
	s_cbranch_execz .LBB635_95
; %bb.93:
	v_and_b32_e32 v23, 1, v16
	v_cmp_eq_u32_e32 vcc, 1, v23
	s_and_b64 exec, exec, vcc
	s_cbranch_execz .LBB635_95
; %bb.94:
	v_mov_b32_e32 v41, 0
	v_lshlrev_b64 v[42:43], 2, v[40:41]
	v_mov_b32_e32 v23, s3
	v_add_co_u32_e32 v42, vcc, s2, v42
	v_addc_co_u32_e32 v43, vcc, v23, v43, vcc
	global_store_dword v[42:43], v6, off
.LBB635_95:
	s_or_b64 exec, exec, s[0:1]
	v_cmp_lt_u32_e32 vcc, v38, v21
	s_or_b64 s[6:7], s[28:29], vcc
	s_and_saveexec_b64 s[0:1], s[6:7]
	s_cbranch_execz .LBB635_98
; %bb.96:
	v_and_b32_e32 v23, 1, v19
	v_cmp_eq_u32_e32 vcc, 1, v23
	s_and_b64 exec, exec, vcc
	s_cbranch_execz .LBB635_98
; %bb.97:
	v_mov_b32_e32 v39, 0
	v_lshlrev_b64 v[42:43], 2, v[38:39]
	v_mov_b32_e32 v23, s3
	v_add_co_u32_e32 v42, vcc, s2, v42
	v_addc_co_u32_e32 v43, vcc, v23, v43, vcc
	global_store_dword v[42:43], v7, off
.LBB635_98:
	s_or_b64 exec, exec, s[0:1]
	v_cmp_lt_u32_e32 vcc, v36, v21
	s_or_b64 s[6:7], s[28:29], vcc
	s_and_saveexec_b64 s[0:1], s[6:7]
	s_cbranch_execz .LBB635_101
; %bb.99:
	v_mov_b32_e32 v23, 1
	v_and_b32_sdwa v23, v23, v16 dst_sel:DWORD dst_unused:UNUSED_PAD src0_sel:DWORD src1_sel:WORD_1
	v_cmp_eq_u32_e32 vcc, 1, v23
	s_and_b64 exec, exec, vcc
	s_cbranch_execz .LBB635_101
; %bb.100:
	v_mov_b32_e32 v37, 0
	v_lshlrev_b64 v[42:43], 2, v[36:37]
	v_mov_b32_e32 v23, s3
	v_add_co_u32_e32 v42, vcc, s2, v42
	v_addc_co_u32_e32 v43, vcc, v23, v43, vcc
	global_store_dword v[42:43], v8, off
.LBB635_101:
	s_or_b64 exec, exec, s[0:1]
	v_cmp_lt_u32_e32 vcc, v34, v21
	s_or_b64 s[6:7], s[28:29], vcc
	s_and_saveexec_b64 s[0:1], s[6:7]
	s_cbranch_execz .LBB635_104
; %bb.102:
	v_and_b32_e32 v23, 1, v24
	v_cmp_eq_u32_e32 vcc, 1, v23
	s_and_b64 exec, exec, vcc
	s_cbranch_execz .LBB635_104
; %bb.103:
	v_mov_b32_e32 v35, 0
	v_lshlrev_b64 v[42:43], 2, v[34:35]
	v_mov_b32_e32 v23, s3
	v_add_co_u32_e32 v42, vcc, s2, v42
	v_addc_co_u32_e32 v43, vcc, v23, v43, vcc
	global_store_dword v[42:43], v9, off
.LBB635_104:
	s_or_b64 exec, exec, s[0:1]
	v_cmp_lt_u32_e32 vcc, v32, v21
	s_or_b64 s[6:7], s[28:29], vcc
	s_and_saveexec_b64 s[0:1], s[6:7]
	s_cbranch_execz .LBB635_107
; %bb.105:
	v_and_b32_e32 v23, 1, v17
	v_cmp_eq_u32_e32 vcc, 1, v23
	s_and_b64 exec, exec, vcc
	s_cbranch_execz .LBB635_107
; %bb.106:
	v_mov_b32_e32 v33, 0
	v_lshlrev_b64 v[42:43], 2, v[32:33]
	v_mov_b32_e32 v23, s3
	v_add_co_u32_e32 v42, vcc, s2, v42
	v_addc_co_u32_e32 v43, vcc, v23, v43, vcc
	global_store_dword v[42:43], v2, off
.LBB635_107:
	;; [unrolled: 18-line block ×3, first 2 shown]
	s_or_b64 exec, exec, s[0:1]
	v_cmp_lt_u32_e32 vcc, v28, v21
	s_or_b64 s[6:7], s[28:29], vcc
	s_and_saveexec_b64 s[0:1], s[6:7]
	s_cbranch_execz .LBB635_113
; %bb.111:
	v_mov_b32_e32 v23, 1
	v_and_b32_sdwa v23, v23, v17 dst_sel:DWORD dst_unused:UNUSED_PAD src0_sel:DWORD src1_sel:WORD_1
	v_cmp_eq_u32_e32 vcc, 1, v23
	s_and_b64 exec, exec, vcc
	s_cbranch_execz .LBB635_113
; %bb.112:
	v_mov_b32_e32 v29, 0
	v_lshlrev_b64 v[42:43], 2, v[28:29]
	v_mov_b32_e32 v23, s3
	v_add_co_u32_e32 v42, vcc, s2, v42
	v_addc_co_u32_e32 v43, vcc, v23, v43, vcc
	global_store_dword v[42:43], v4, off
.LBB635_113:
	s_or_b64 exec, exec, s[0:1]
	v_cmp_lt_u32_e32 vcc, v26, v21
	s_or_b64 s[6:7], s[28:29], vcc
	s_and_saveexec_b64 s[0:1], s[6:7]
	s_cbranch_execz .LBB635_116
; %bb.114:
	v_and_b32_e32 v23, 1, v13
	v_cmp_eq_u32_e32 vcc, 1, v23
	s_and_b64 exec, exec, vcc
	s_cbranch_execz .LBB635_116
; %bb.115:
	v_mov_b32_e32 v27, 0
	v_lshlrev_b64 v[42:43], 2, v[26:27]
	v_mov_b32_e32 v23, s3
	v_add_co_u32_e32 v42, vcc, s2, v42
	v_addc_co_u32_e32 v43, vcc, v23, v43, vcc
	global_store_dword v[42:43], v5, off
.LBB635_116:
	s_or_b64 exec, exec, s[0:1]
	v_cmp_lt_u32_e32 vcc, v22, v21
	s_or_b64 s[6:7], s[28:29], vcc
	s_and_saveexec_b64 s[0:1], s[6:7]
	s_cbranch_execz .LBB635_119
; %bb.117:
	v_and_b32_e32 v23, 1, v12
	v_cmp_eq_u32_e32 vcc, 1, v23
	s_and_b64 exec, exec, vcc
	s_cbranch_execz .LBB635_119
; %bb.118:
	v_mov_b32_e32 v23, 0
	v_lshlrev_b64 v[42:43], 2, v[22:23]
	v_mov_b32_e32 v23, s3
	v_add_co_u32_e32 v42, vcc, s2, v42
	v_addc_co_u32_e32 v43, vcc, v23, v43, vcc
	global_store_dword v[42:43], v14, off
.LBB635_119:
	;; [unrolled: 18-line block ×3, first 2 shown]
	s_or_b64 exec, exec, s[0:1]
	s_branch .LBB635_90
.LBB635_123:
	v_and_b32_e32 v21, 1, v16
	v_cmp_eq_u32_e32 vcc, 1, v21
	s_and_saveexec_b64 s[0:1], vcc
	s_cbranch_execz .LBB635_125
; %bb.124:
	v_sub_u32_e32 v21, v40, v18
	v_lshlrev_b32_e32 v21, 2, v21
	ds_write_b32 v21, v6
.LBB635_125:
	s_or_b64 exec, exec, s[0:1]
	v_and_b32_e32 v6, 1, v19
	v_cmp_eq_u32_e32 vcc, 1, v6
	s_and_saveexec_b64 s[0:1], vcc
	s_cbranch_execz .LBB635_127
; %bb.126:
	v_sub_u32_e32 v6, v38, v18
	v_lshlrev_b32_e32 v6, 2, v6
	ds_write_b32 v6, v7
.LBB635_127:
	s_or_b64 exec, exec, s[0:1]
	v_mov_b32_e32 v6, 1
	v_and_b32_sdwa v6, v6, v16 dst_sel:DWORD dst_unused:UNUSED_PAD src0_sel:DWORD src1_sel:WORD_1
	v_cmp_eq_u32_e32 vcc, 1, v6
	s_and_saveexec_b64 s[0:1], vcc
	s_cbranch_execz .LBB635_129
; %bb.128:
	v_sub_u32_e32 v6, v36, v18
	v_lshlrev_b32_e32 v6, 2, v6
	ds_write_b32 v6, v8
.LBB635_129:
	s_or_b64 exec, exec, s[0:1]
	v_and_b32_e32 v6, 1, v24
	v_cmp_eq_u32_e32 vcc, 1, v6
	s_and_saveexec_b64 s[0:1], vcc
	s_cbranch_execz .LBB635_131
; %bb.130:
	v_sub_u32_e32 v6, v34, v18
	v_lshlrev_b32_e32 v6, 2, v6
	ds_write_b32 v6, v9
.LBB635_131:
	s_or_b64 exec, exec, s[0:1]
	v_and_b32_e32 v6, 1, v17
	v_cmp_eq_u32_e32 vcc, 1, v6
	s_and_saveexec_b64 s[0:1], vcc
	s_cbranch_execz .LBB635_133
; %bb.132:
	v_sub_u32_e32 v6, v32, v18
	v_lshlrev_b32_e32 v6, 2, v6
	ds_write_b32 v6, v2
.LBB635_133:
	s_or_b64 exec, exec, s[0:1]
	v_and_b32_e32 v2, 1, v11
	v_cmp_eq_u32_e32 vcc, 1, v2
	s_and_saveexec_b64 s[0:1], vcc
	s_cbranch_execz .LBB635_135
; %bb.134:
	v_sub_u32_e32 v2, v30, v18
	v_lshlrev_b32_e32 v2, 2, v2
	ds_write_b32 v2, v3
.LBB635_135:
	s_or_b64 exec, exec, s[0:1]
	v_mov_b32_e32 v2, 1
	v_and_b32_sdwa v2, v2, v17 dst_sel:DWORD dst_unused:UNUSED_PAD src0_sel:DWORD src1_sel:WORD_1
	v_cmp_eq_u32_e32 vcc, 1, v2
	s_and_saveexec_b64 s[0:1], vcc
	s_cbranch_execz .LBB635_137
; %bb.136:
	v_sub_u32_e32 v2, v28, v18
	v_lshlrev_b32_e32 v2, 2, v2
	ds_write_b32 v2, v4
.LBB635_137:
	s_or_b64 exec, exec, s[0:1]
	v_and_b32_e32 v2, 1, v13
	v_cmp_eq_u32_e32 vcc, 1, v2
	s_and_saveexec_b64 s[0:1], vcc
	s_cbranch_execz .LBB635_139
; %bb.138:
	v_sub_u32_e32 v2, v26, v18
	v_lshlrev_b32_e32 v2, 2, v2
	ds_write_b32 v2, v5
.LBB635_139:
	s_or_b64 exec, exec, s[0:1]
	v_and_b32_e32 v2, 1, v12
	v_cmp_eq_u32_e32 vcc, 1, v2
	s_and_saveexec_b64 s[0:1], vcc
	s_cbranch_execz .LBB635_141
; %bb.140:
	v_sub_u32_e32 v2, v22, v18
	v_lshlrev_b32_e32 v2, 2, v2
	ds_write_b32 v2, v14
.LBB635_141:
	s_or_b64 exec, exec, s[0:1]
	v_and_b32_e32 v1, 1, v1
	v_cmp_eq_u32_e32 vcc, 1, v1
	s_and_saveexec_b64 s[0:1], vcc
	s_cbranch_execz .LBB635_143
; %bb.142:
	v_sub_u32_e32 v1, v20, v18
	v_lshlrev_b32_e32 v1, 2, v1
	ds_write_b32 v1, v15
.LBB635_143:
	s_or_b64 exec, exec, s[0:1]
	v_cmp_lt_u32_e32 vcc, v0, v10
	s_waitcnt lgkmcnt(0)
	s_barrier
	s_and_saveexec_b64 s[6:7], vcc
	s_cbranch_execz .LBB635_158
; %bb.144:
	s_lshl_b64 s[0:1], s[22:23], 2
	v_mov_b32_e32 v19, 0
	s_add_u32 s0, s4, s0
	s_addc_u32 s1, s5, s1
	v_lshlrev_b64 v[2:3], 2, v[18:19]
	v_mov_b32_e32 v1, s1
	v_add_co_u32_e32 v6, vcc, s0, v2
	v_addc_co_u32_e32 v7, vcc, v1, v3, vcc
	v_xad_u32 v1, v0, -1, v10
	s_movk_i32 s0, 0x1700
	v_cmp_gt_u32_e32 vcc, s0, v1
	s_movk_i32 s0, 0x16ff
	v_cmp_lt_u32_e64 s[0:1], s0, v1
	v_mov_b32_e32 v2, v0
	s_and_saveexec_b64 s[4:5], s[0:1]
	s_cbranch_execz .LBB635_155
; %bb.145:
	v_sub_u32_e32 v2, v0, v10
	v_or_b32_e32 v2, 0xff, v2
	v_cmp_ge_u32_e64 s[0:1], v2, v0
	s_mov_b64 s[2:3], -1
	v_mov_b32_e32 v2, v0
	s_and_saveexec_b64 s[8:9], s[0:1]
	s_cbranch_execz .LBB635_154
; %bb.146:
	v_lshrrev_b32_e32 v8, 8, v1
	v_add_u32_e32 v2, -1, v8
	v_or_b32_e32 v1, 0x100, v0
	v_lshrrev_b32_e32 v3, 1, v2
	v_add_u32_e32 v11, 1, v3
	v_cmp_lt_u32_e64 s[0:1], 13, v2
	v_mov_b32_e32 v14, 0
	v_lshlrev_b32_e32 v9, 2, v0
	v_pk_mov_b32 v[2:3], v[0:1], v[0:1] op_sel:[0,1]
	s_and_saveexec_b64 s[10:11], s[0:1]
	s_cbranch_execz .LBB635_150
; %bb.147:
	v_and_b32_e32 v12, -8, v11
	s_mov_b32 s14, 0
	s_mov_b64 s[12:13], 0
	v_mov_b32_e32 v5, 0
	v_mov_b32_e32 v13, v9
	v_pk_mov_b32 v[2:3], v[0:1], v[0:1] op_sel:[0,1]
.LBB635_148:                            ; =>This Inner Loop Header: Depth=1
	v_mov_b32_e32 v4, v2
	v_add_u32_e32 v12, -8, v12
	v_lshlrev_b64 v[46:47], 2, v[4:5]
	v_mov_b32_e32 v4, v3
	ds_read2st64_b32 v[16:17], v13 offset1:4
	s_add_i32 s14, s14, 16
	v_cmp_eq_u32_e64 s[0:1], 0, v12
	v_lshlrev_b64 v[50:51], 2, v[4:5]
	v_add_u32_e32 v4, 0x200, v2
	s_or_b64 s[12:13], s[0:1], s[12:13]
	v_add_co_u32_e64 v50, s[0:1], v6, v50
	v_add_u32_e32 v14, 0x200, v3
	ds_read2st64_b32 v[20:21], v13 offset0:8 offset1:12
	v_mov_b32_e32 v15, v5
	ds_read2st64_b32 v[24:25], v13 offset0:16 offset1:20
	v_add_co_u32_e64 v46, s[2:3], v6, v46
	v_addc_co_u32_e64 v51, s[0:1], v7, v51, s[0:1]
	v_lshlrev_b64 v[52:53], 2, v[4:5]
	v_lshlrev_b64 v[48:49], 2, v[14:15]
	v_addc_co_u32_e64 v47, s[2:3], v7, v47, s[2:3]
	v_add_u32_e32 v4, 0x400, v2
	v_add_co_u32_e64 v52, s[0:1], v6, v52
	v_add_u32_e32 v22, 0x400, v3
	v_mov_b32_e32 v23, v5
	ds_read2st64_b32 v[28:29], v13 offset0:24 offset1:28
	v_add_co_u32_e64 v48, s[2:3], v6, v48
	v_addc_co_u32_e64 v53, s[0:1], v7, v53, s[0:1]
	v_lshlrev_b64 v[54:55], 2, v[4:5]
	ds_read2st64_b32 v[32:33], v13 offset0:32 offset1:36
	ds_read2st64_b32 v[36:37], v13 offset0:40 offset1:44
	;; [unrolled: 1-line block ×4, first 2 shown]
	v_lshlrev_b64 v[22:23], 2, v[22:23]
	v_addc_co_u32_e64 v49, s[2:3], v7, v49, s[2:3]
	v_add_u32_e32 v4, 0x600, v2
	s_waitcnt lgkmcnt(7)
	global_store_dword v[46:47], v16, off
	global_store_dword v[50:51], v17, off
	s_waitcnt lgkmcnt(6)
	global_store_dword v[52:53], v20, off
	global_store_dword v[48:49], v21, off
	v_add_co_u32_e64 v16, s[0:1], v6, v54
	v_add_u32_e32 v26, 0x600, v3
	v_mov_b32_e32 v27, v5
	v_add_co_u32_e64 v22, s[2:3], v6, v22
	v_addc_co_u32_e64 v17, s[0:1], v7, v55, s[0:1]
	v_lshlrev_b64 v[20:21], 2, v[4:5]
	v_lshlrev_b64 v[26:27], 2, v[26:27]
	v_addc_co_u32_e64 v23, s[2:3], v7, v23, s[2:3]
	v_add_u32_e32 v4, 0x800, v2
	s_waitcnt lgkmcnt(5)
	global_store_dword v[16:17], v24, off
	global_store_dword v[22:23], v25, off
	v_add_co_u32_e64 v16, s[0:1], v6, v20
	v_add_u32_e32 v30, 0x800, v3
	v_mov_b32_e32 v31, v5
	v_add_co_u32_e64 v26, s[2:3], v6, v26
	v_addc_co_u32_e64 v17, s[0:1], v7, v21, s[0:1]
	v_lshlrev_b64 v[20:21], 2, v[4:5]
	v_lshlrev_b64 v[30:31], 2, v[30:31]
	v_addc_co_u32_e64 v27, s[2:3], v7, v27, s[2:3]
	v_add_u32_e32 v4, 0xa00, v2
	;; [unrolled: 12-line block ×4, first 2 shown]
	s_waitcnt lgkmcnt(2)
	global_store_dword v[16:17], v36, off
	global_store_dword v[34:35], v37, off
	v_add_co_u32_e64 v16, s[0:1], v6, v20
	v_add_u32_e32 v42, 0xe00, v3
	v_mov_b32_e32 v43, v5
	v_add_co_u32_e64 v38, s[2:3], v6, v38
	v_addc_co_u32_e64 v17, s[0:1], v7, v21, s[0:1]
	v_lshlrev_b64 v[20:21], 2, v[4:5]
	v_lshlrev_b64 v[42:43], 2, v[42:43]
	v_addc_co_u32_e64 v39, s[2:3], v7, v39, s[2:3]
	s_waitcnt lgkmcnt(1)
	global_store_dword v[16:17], v40, off
	global_store_dword v[38:39], v41, off
	v_add_co_u32_e64 v16, s[0:1], v6, v20
	v_add_u32_e32 v13, 0x4000, v13
	v_add_u32_e32 v3, 0x1000, v3
	v_mov_b32_e32 v14, s14
	v_add_co_u32_e64 v42, s[2:3], v6, v42
	v_add_u32_e32 v2, 0x1000, v2
	v_addc_co_u32_e64 v17, s[0:1], v7, v21, s[0:1]
	v_addc_co_u32_e64 v43, s[2:3], v7, v43, s[2:3]
	s_waitcnt lgkmcnt(0)
	global_store_dword v[16:17], v44, off
	global_store_dword v[42:43], v45, off
	s_andn2_b64 exec, exec, s[12:13]
	s_cbranch_execnz .LBB635_148
; %bb.149:
	s_or_b64 exec, exec, s[12:13]
.LBB635_150:
	s_or_b64 exec, exec, s[10:11]
	v_and_b32_e32 v1, 7, v11
	v_cmp_ne_u32_e64 s[0:1], 0, v1
	s_and_saveexec_b64 s[10:11], s[0:1]
	s_cbranch_execz .LBB635_153
; %bb.151:
	v_lshl_or_b32 v9, v14, 10, v9
	s_mov_b64 s[12:13], 0
	v_mov_b32_e32 v5, 0
.LBB635_152:                            ; =>This Inner Loop Header: Depth=1
	ds_read2st64_b32 v[12:13], v9 offset1:4
	v_mov_b32_e32 v4, v2
	v_add_u32_e32 v1, -1, v1
	v_lshlrev_b64 v[14:15], 2, v[4:5]
	v_mov_b32_e32 v4, v3
	v_cmp_eq_u32_e64 s[0:1], 0, v1
	v_add_co_u32_e64 v14, s[2:3], v6, v14
	v_lshlrev_b64 v[16:17], 2, v[4:5]
	v_add_u32_e32 v2, 0x200, v2
	v_add_u32_e32 v9, 0x800, v9
	v_add_u32_e32 v3, 0x200, v3
	v_addc_co_u32_e64 v15, s[2:3], v7, v15, s[2:3]
	s_or_b64 s[12:13], s[0:1], s[12:13]
	v_add_co_u32_e64 v16, s[0:1], v6, v16
	v_addc_co_u32_e64 v17, s[0:1], v7, v17, s[0:1]
	s_waitcnt lgkmcnt(0)
	global_store_dword v[14:15], v12, off
	global_store_dword v[16:17], v13, off
	s_andn2_b64 exec, exec, s[12:13]
	s_cbranch_execnz .LBB635_152
.LBB635_153:
	s_or_b64 exec, exec, s[10:11]
	v_add_u32_e32 v1, 1, v8
	v_and_b32_e32 v3, 0x1fffffe, v1
	v_cmp_ne_u32_e64 s[0:1], v1, v3
	v_lshl_or_b32 v2, v3, 8, v0
	s_orn2_b64 s[2:3], s[0:1], exec
.LBB635_154:
	s_or_b64 exec, exec, s[8:9]
	s_andn2_b64 s[0:1], vcc, exec
	s_and_b64 s[2:3], s[2:3], exec
	s_or_b64 vcc, s[0:1], s[2:3]
.LBB635_155:
	s_or_b64 exec, exec, s[4:5]
	s_and_b64 exec, exec, vcc
	s_cbranch_execz .LBB635_158
; %bb.156:
	v_lshlrev_b32_e32 v1, 2, v2
	s_mov_b64 s[0:1], 0
	v_mov_b32_e32 v3, 0
.LBB635_157:                            ; =>This Inner Loop Header: Depth=1
	ds_read_b32 v8, v1
	v_lshlrev_b64 v[4:5], 2, v[2:3]
	v_add_co_u32_e32 v4, vcc, v6, v4
	v_add_u32_e32 v2, 0x100, v2
	v_addc_co_u32_e32 v5, vcc, v7, v5, vcc
	v_cmp_ge_u32_e32 vcc, v2, v10
	v_add_u32_e32 v1, 0x400, v1
	s_or_b64 s[0:1], vcc, s[0:1]
	s_waitcnt lgkmcnt(0)
	global_store_dword v[4:5], v8, off
	s_andn2_b64 exec, exec, s[0:1]
	s_cbranch_execnz .LBB635_157
.LBB635_158:
	s_or_b64 exec, exec, s[6:7]
	v_cmp_eq_u32_e32 vcc, 0, v0
	s_and_b64 s[0:1], vcc, s[26:27]
	s_and_saveexec_b64 s[2:3], s[0:1]
	s_cbranch_execz .LBB635_91
.LBB635_159:
	v_mov_b32_e32 v0, s23
	v_add_co_u32_e32 v1, vcc, s22, v10
	v_addc_co_u32_e32 v3, vcc, 0, v0, vcc
	v_add_co_u32_e32 v0, vcc, v1, v18
	v_mov_b32_e32 v2, 0
	v_addc_co_u32_e32 v1, vcc, 0, v3, vcc
	global_store_dwordx2 v2, v[0:1], s[24:25]
	s_endpgm
.LBB635_160:
	s_or_b64 exec, exec, s[2:3]
	s_and_saveexec_b64 s[2:3], s[36:37]
	s_cbranch_execnz .LBB635_44
	s_branch .LBB635_45
	.section	.rodata,"a",@progbits
	.p2align	6, 0x0
	.amdhsa_kernel _ZN7rocprim17ROCPRIM_400000_NS6detail17trampoline_kernelINS0_14default_configENS1_25partition_config_selectorILNS1_17partition_subalgoE8EjNS0_10empty_typeEbEEZZNS1_14partition_implILS5_8ELb0ES3_jPKjPS6_PKS6_NS0_5tupleIJPjS6_EEENSE_IJSB_SB_EEENS0_18inequality_wrapperIN6hipcub16HIPCUB_304000_NS8EqualityEEEPlJS6_EEE10hipError_tPvRmT3_T4_T5_T6_T7_T9_mT8_P12ihipStream_tbDpT10_ENKUlT_T0_E_clISt17integral_constantIbLb1EES16_IbLb0EEEEDaS12_S13_EUlS12_E_NS1_11comp_targetILNS1_3genE4ELNS1_11target_archE910ELNS1_3gpuE8ELNS1_3repE0EEENS1_30default_config_static_selectorELNS0_4arch9wavefront6targetE1EEEvT1_
		.amdhsa_group_segment_fixed_size 10248
		.amdhsa_private_segment_fixed_size 0
		.amdhsa_kernarg_size 112
		.amdhsa_user_sgpr_count 6
		.amdhsa_user_sgpr_private_segment_buffer 1
		.amdhsa_user_sgpr_dispatch_ptr 0
		.amdhsa_user_sgpr_queue_ptr 0
		.amdhsa_user_sgpr_kernarg_segment_ptr 1
		.amdhsa_user_sgpr_dispatch_id 0
		.amdhsa_user_sgpr_flat_scratch_init 0
		.amdhsa_user_sgpr_kernarg_preload_length 0
		.amdhsa_user_sgpr_kernarg_preload_offset 0
		.amdhsa_user_sgpr_private_segment_size 0
		.amdhsa_uses_dynamic_stack 0
		.amdhsa_system_sgpr_private_segment_wavefront_offset 0
		.amdhsa_system_sgpr_workgroup_id_x 1
		.amdhsa_system_sgpr_workgroup_id_y 0
		.amdhsa_system_sgpr_workgroup_id_z 0
		.amdhsa_system_sgpr_workgroup_info 0
		.amdhsa_system_vgpr_workitem_id 0
		.amdhsa_next_free_vgpr 56
		.amdhsa_next_free_sgpr 40
		.amdhsa_accum_offset 56
		.amdhsa_reserve_vcc 1
		.amdhsa_reserve_flat_scratch 0
		.amdhsa_float_round_mode_32 0
		.amdhsa_float_round_mode_16_64 0
		.amdhsa_float_denorm_mode_32 3
		.amdhsa_float_denorm_mode_16_64 3
		.amdhsa_dx10_clamp 1
		.amdhsa_ieee_mode 1
		.amdhsa_fp16_overflow 0
		.amdhsa_tg_split 0
		.amdhsa_exception_fp_ieee_invalid_op 0
		.amdhsa_exception_fp_denorm_src 0
		.amdhsa_exception_fp_ieee_div_zero 0
		.amdhsa_exception_fp_ieee_overflow 0
		.amdhsa_exception_fp_ieee_underflow 0
		.amdhsa_exception_fp_ieee_inexact 0
		.amdhsa_exception_int_div_zero 0
	.end_amdhsa_kernel
	.section	.text._ZN7rocprim17ROCPRIM_400000_NS6detail17trampoline_kernelINS0_14default_configENS1_25partition_config_selectorILNS1_17partition_subalgoE8EjNS0_10empty_typeEbEEZZNS1_14partition_implILS5_8ELb0ES3_jPKjPS6_PKS6_NS0_5tupleIJPjS6_EEENSE_IJSB_SB_EEENS0_18inequality_wrapperIN6hipcub16HIPCUB_304000_NS8EqualityEEEPlJS6_EEE10hipError_tPvRmT3_T4_T5_T6_T7_T9_mT8_P12ihipStream_tbDpT10_ENKUlT_T0_E_clISt17integral_constantIbLb1EES16_IbLb0EEEEDaS12_S13_EUlS12_E_NS1_11comp_targetILNS1_3genE4ELNS1_11target_archE910ELNS1_3gpuE8ELNS1_3repE0EEENS1_30default_config_static_selectorELNS0_4arch9wavefront6targetE1EEEvT1_,"axG",@progbits,_ZN7rocprim17ROCPRIM_400000_NS6detail17trampoline_kernelINS0_14default_configENS1_25partition_config_selectorILNS1_17partition_subalgoE8EjNS0_10empty_typeEbEEZZNS1_14partition_implILS5_8ELb0ES3_jPKjPS6_PKS6_NS0_5tupleIJPjS6_EEENSE_IJSB_SB_EEENS0_18inequality_wrapperIN6hipcub16HIPCUB_304000_NS8EqualityEEEPlJS6_EEE10hipError_tPvRmT3_T4_T5_T6_T7_T9_mT8_P12ihipStream_tbDpT10_ENKUlT_T0_E_clISt17integral_constantIbLb1EES16_IbLb0EEEEDaS12_S13_EUlS12_E_NS1_11comp_targetILNS1_3genE4ELNS1_11target_archE910ELNS1_3gpuE8ELNS1_3repE0EEENS1_30default_config_static_selectorELNS0_4arch9wavefront6targetE1EEEvT1_,comdat
.Lfunc_end635:
	.size	_ZN7rocprim17ROCPRIM_400000_NS6detail17trampoline_kernelINS0_14default_configENS1_25partition_config_selectorILNS1_17partition_subalgoE8EjNS0_10empty_typeEbEEZZNS1_14partition_implILS5_8ELb0ES3_jPKjPS6_PKS6_NS0_5tupleIJPjS6_EEENSE_IJSB_SB_EEENS0_18inequality_wrapperIN6hipcub16HIPCUB_304000_NS8EqualityEEEPlJS6_EEE10hipError_tPvRmT3_T4_T5_T6_T7_T9_mT8_P12ihipStream_tbDpT10_ENKUlT_T0_E_clISt17integral_constantIbLb1EES16_IbLb0EEEEDaS12_S13_EUlS12_E_NS1_11comp_targetILNS1_3genE4ELNS1_11target_archE910ELNS1_3gpuE8ELNS1_3repE0EEENS1_30default_config_static_selectorELNS0_4arch9wavefront6targetE1EEEvT1_, .Lfunc_end635-_ZN7rocprim17ROCPRIM_400000_NS6detail17trampoline_kernelINS0_14default_configENS1_25partition_config_selectorILNS1_17partition_subalgoE8EjNS0_10empty_typeEbEEZZNS1_14partition_implILS5_8ELb0ES3_jPKjPS6_PKS6_NS0_5tupleIJPjS6_EEENSE_IJSB_SB_EEENS0_18inequality_wrapperIN6hipcub16HIPCUB_304000_NS8EqualityEEEPlJS6_EEE10hipError_tPvRmT3_T4_T5_T6_T7_T9_mT8_P12ihipStream_tbDpT10_ENKUlT_T0_E_clISt17integral_constantIbLb1EES16_IbLb0EEEEDaS12_S13_EUlS12_E_NS1_11comp_targetILNS1_3genE4ELNS1_11target_archE910ELNS1_3gpuE8ELNS1_3repE0EEENS1_30default_config_static_selectorELNS0_4arch9wavefront6targetE1EEEvT1_
                                        ; -- End function
	.section	.AMDGPU.csdata,"",@progbits
; Kernel info:
; codeLenInByte = 7348
; NumSgprs: 44
; NumVgprs: 56
; NumAgprs: 0
; TotalNumVgprs: 56
; ScratchSize: 0
; MemoryBound: 0
; FloatMode: 240
; IeeeMode: 1
; LDSByteSize: 10248 bytes/workgroup (compile time only)
; SGPRBlocks: 5
; VGPRBlocks: 6
; NumSGPRsForWavesPerEU: 44
; NumVGPRsForWavesPerEU: 56
; AccumOffset: 56
; Occupancy: 6
; WaveLimiterHint : 1
; COMPUTE_PGM_RSRC2:SCRATCH_EN: 0
; COMPUTE_PGM_RSRC2:USER_SGPR: 6
; COMPUTE_PGM_RSRC2:TRAP_HANDLER: 0
; COMPUTE_PGM_RSRC2:TGID_X_EN: 1
; COMPUTE_PGM_RSRC2:TGID_Y_EN: 0
; COMPUTE_PGM_RSRC2:TGID_Z_EN: 0
; COMPUTE_PGM_RSRC2:TIDIG_COMP_CNT: 0
; COMPUTE_PGM_RSRC3_GFX90A:ACCUM_OFFSET: 13
; COMPUTE_PGM_RSRC3_GFX90A:TG_SPLIT: 0
	.section	.text._ZN7rocprim17ROCPRIM_400000_NS6detail17trampoline_kernelINS0_14default_configENS1_25partition_config_selectorILNS1_17partition_subalgoE8EjNS0_10empty_typeEbEEZZNS1_14partition_implILS5_8ELb0ES3_jPKjPS6_PKS6_NS0_5tupleIJPjS6_EEENSE_IJSB_SB_EEENS0_18inequality_wrapperIN6hipcub16HIPCUB_304000_NS8EqualityEEEPlJS6_EEE10hipError_tPvRmT3_T4_T5_T6_T7_T9_mT8_P12ihipStream_tbDpT10_ENKUlT_T0_E_clISt17integral_constantIbLb1EES16_IbLb0EEEEDaS12_S13_EUlS12_E_NS1_11comp_targetILNS1_3genE3ELNS1_11target_archE908ELNS1_3gpuE7ELNS1_3repE0EEENS1_30default_config_static_selectorELNS0_4arch9wavefront6targetE1EEEvT1_,"axG",@progbits,_ZN7rocprim17ROCPRIM_400000_NS6detail17trampoline_kernelINS0_14default_configENS1_25partition_config_selectorILNS1_17partition_subalgoE8EjNS0_10empty_typeEbEEZZNS1_14partition_implILS5_8ELb0ES3_jPKjPS6_PKS6_NS0_5tupleIJPjS6_EEENSE_IJSB_SB_EEENS0_18inequality_wrapperIN6hipcub16HIPCUB_304000_NS8EqualityEEEPlJS6_EEE10hipError_tPvRmT3_T4_T5_T6_T7_T9_mT8_P12ihipStream_tbDpT10_ENKUlT_T0_E_clISt17integral_constantIbLb1EES16_IbLb0EEEEDaS12_S13_EUlS12_E_NS1_11comp_targetILNS1_3genE3ELNS1_11target_archE908ELNS1_3gpuE7ELNS1_3repE0EEENS1_30default_config_static_selectorELNS0_4arch9wavefront6targetE1EEEvT1_,comdat
	.protected	_ZN7rocprim17ROCPRIM_400000_NS6detail17trampoline_kernelINS0_14default_configENS1_25partition_config_selectorILNS1_17partition_subalgoE8EjNS0_10empty_typeEbEEZZNS1_14partition_implILS5_8ELb0ES3_jPKjPS6_PKS6_NS0_5tupleIJPjS6_EEENSE_IJSB_SB_EEENS0_18inequality_wrapperIN6hipcub16HIPCUB_304000_NS8EqualityEEEPlJS6_EEE10hipError_tPvRmT3_T4_T5_T6_T7_T9_mT8_P12ihipStream_tbDpT10_ENKUlT_T0_E_clISt17integral_constantIbLb1EES16_IbLb0EEEEDaS12_S13_EUlS12_E_NS1_11comp_targetILNS1_3genE3ELNS1_11target_archE908ELNS1_3gpuE7ELNS1_3repE0EEENS1_30default_config_static_selectorELNS0_4arch9wavefront6targetE1EEEvT1_ ; -- Begin function _ZN7rocprim17ROCPRIM_400000_NS6detail17trampoline_kernelINS0_14default_configENS1_25partition_config_selectorILNS1_17partition_subalgoE8EjNS0_10empty_typeEbEEZZNS1_14partition_implILS5_8ELb0ES3_jPKjPS6_PKS6_NS0_5tupleIJPjS6_EEENSE_IJSB_SB_EEENS0_18inequality_wrapperIN6hipcub16HIPCUB_304000_NS8EqualityEEEPlJS6_EEE10hipError_tPvRmT3_T4_T5_T6_T7_T9_mT8_P12ihipStream_tbDpT10_ENKUlT_T0_E_clISt17integral_constantIbLb1EES16_IbLb0EEEEDaS12_S13_EUlS12_E_NS1_11comp_targetILNS1_3genE3ELNS1_11target_archE908ELNS1_3gpuE7ELNS1_3repE0EEENS1_30default_config_static_selectorELNS0_4arch9wavefront6targetE1EEEvT1_
	.globl	_ZN7rocprim17ROCPRIM_400000_NS6detail17trampoline_kernelINS0_14default_configENS1_25partition_config_selectorILNS1_17partition_subalgoE8EjNS0_10empty_typeEbEEZZNS1_14partition_implILS5_8ELb0ES3_jPKjPS6_PKS6_NS0_5tupleIJPjS6_EEENSE_IJSB_SB_EEENS0_18inequality_wrapperIN6hipcub16HIPCUB_304000_NS8EqualityEEEPlJS6_EEE10hipError_tPvRmT3_T4_T5_T6_T7_T9_mT8_P12ihipStream_tbDpT10_ENKUlT_T0_E_clISt17integral_constantIbLb1EES16_IbLb0EEEEDaS12_S13_EUlS12_E_NS1_11comp_targetILNS1_3genE3ELNS1_11target_archE908ELNS1_3gpuE7ELNS1_3repE0EEENS1_30default_config_static_selectorELNS0_4arch9wavefront6targetE1EEEvT1_
	.p2align	8
	.type	_ZN7rocprim17ROCPRIM_400000_NS6detail17trampoline_kernelINS0_14default_configENS1_25partition_config_selectorILNS1_17partition_subalgoE8EjNS0_10empty_typeEbEEZZNS1_14partition_implILS5_8ELb0ES3_jPKjPS6_PKS6_NS0_5tupleIJPjS6_EEENSE_IJSB_SB_EEENS0_18inequality_wrapperIN6hipcub16HIPCUB_304000_NS8EqualityEEEPlJS6_EEE10hipError_tPvRmT3_T4_T5_T6_T7_T9_mT8_P12ihipStream_tbDpT10_ENKUlT_T0_E_clISt17integral_constantIbLb1EES16_IbLb0EEEEDaS12_S13_EUlS12_E_NS1_11comp_targetILNS1_3genE3ELNS1_11target_archE908ELNS1_3gpuE7ELNS1_3repE0EEENS1_30default_config_static_selectorELNS0_4arch9wavefront6targetE1EEEvT1_,@function
_ZN7rocprim17ROCPRIM_400000_NS6detail17trampoline_kernelINS0_14default_configENS1_25partition_config_selectorILNS1_17partition_subalgoE8EjNS0_10empty_typeEbEEZZNS1_14partition_implILS5_8ELb0ES3_jPKjPS6_PKS6_NS0_5tupleIJPjS6_EEENSE_IJSB_SB_EEENS0_18inequality_wrapperIN6hipcub16HIPCUB_304000_NS8EqualityEEEPlJS6_EEE10hipError_tPvRmT3_T4_T5_T6_T7_T9_mT8_P12ihipStream_tbDpT10_ENKUlT_T0_E_clISt17integral_constantIbLb1EES16_IbLb0EEEEDaS12_S13_EUlS12_E_NS1_11comp_targetILNS1_3genE3ELNS1_11target_archE908ELNS1_3gpuE7ELNS1_3repE0EEENS1_30default_config_static_selectorELNS0_4arch9wavefront6targetE1EEEvT1_: ; @_ZN7rocprim17ROCPRIM_400000_NS6detail17trampoline_kernelINS0_14default_configENS1_25partition_config_selectorILNS1_17partition_subalgoE8EjNS0_10empty_typeEbEEZZNS1_14partition_implILS5_8ELb0ES3_jPKjPS6_PKS6_NS0_5tupleIJPjS6_EEENSE_IJSB_SB_EEENS0_18inequality_wrapperIN6hipcub16HIPCUB_304000_NS8EqualityEEEPlJS6_EEE10hipError_tPvRmT3_T4_T5_T6_T7_T9_mT8_P12ihipStream_tbDpT10_ENKUlT_T0_E_clISt17integral_constantIbLb1EES16_IbLb0EEEEDaS12_S13_EUlS12_E_NS1_11comp_targetILNS1_3genE3ELNS1_11target_archE908ELNS1_3gpuE7ELNS1_3repE0EEENS1_30default_config_static_selectorELNS0_4arch9wavefront6targetE1EEEvT1_
; %bb.0:
	.section	.rodata,"a",@progbits
	.p2align	6, 0x0
	.amdhsa_kernel _ZN7rocprim17ROCPRIM_400000_NS6detail17trampoline_kernelINS0_14default_configENS1_25partition_config_selectorILNS1_17partition_subalgoE8EjNS0_10empty_typeEbEEZZNS1_14partition_implILS5_8ELb0ES3_jPKjPS6_PKS6_NS0_5tupleIJPjS6_EEENSE_IJSB_SB_EEENS0_18inequality_wrapperIN6hipcub16HIPCUB_304000_NS8EqualityEEEPlJS6_EEE10hipError_tPvRmT3_T4_T5_T6_T7_T9_mT8_P12ihipStream_tbDpT10_ENKUlT_T0_E_clISt17integral_constantIbLb1EES16_IbLb0EEEEDaS12_S13_EUlS12_E_NS1_11comp_targetILNS1_3genE3ELNS1_11target_archE908ELNS1_3gpuE7ELNS1_3repE0EEENS1_30default_config_static_selectorELNS0_4arch9wavefront6targetE1EEEvT1_
		.amdhsa_group_segment_fixed_size 0
		.amdhsa_private_segment_fixed_size 0
		.amdhsa_kernarg_size 112
		.amdhsa_user_sgpr_count 6
		.amdhsa_user_sgpr_private_segment_buffer 1
		.amdhsa_user_sgpr_dispatch_ptr 0
		.amdhsa_user_sgpr_queue_ptr 0
		.amdhsa_user_sgpr_kernarg_segment_ptr 1
		.amdhsa_user_sgpr_dispatch_id 0
		.amdhsa_user_sgpr_flat_scratch_init 0
		.amdhsa_user_sgpr_kernarg_preload_length 0
		.amdhsa_user_sgpr_kernarg_preload_offset 0
		.amdhsa_user_sgpr_private_segment_size 0
		.amdhsa_uses_dynamic_stack 0
		.amdhsa_system_sgpr_private_segment_wavefront_offset 0
		.amdhsa_system_sgpr_workgroup_id_x 1
		.amdhsa_system_sgpr_workgroup_id_y 0
		.amdhsa_system_sgpr_workgroup_id_z 0
		.amdhsa_system_sgpr_workgroup_info 0
		.amdhsa_system_vgpr_workitem_id 0
		.amdhsa_next_free_vgpr 1
		.amdhsa_next_free_sgpr 0
		.amdhsa_accum_offset 4
		.amdhsa_reserve_vcc 0
		.amdhsa_reserve_flat_scratch 0
		.amdhsa_float_round_mode_32 0
		.amdhsa_float_round_mode_16_64 0
		.amdhsa_float_denorm_mode_32 3
		.amdhsa_float_denorm_mode_16_64 3
		.amdhsa_dx10_clamp 1
		.amdhsa_ieee_mode 1
		.amdhsa_fp16_overflow 0
		.amdhsa_tg_split 0
		.amdhsa_exception_fp_ieee_invalid_op 0
		.amdhsa_exception_fp_denorm_src 0
		.amdhsa_exception_fp_ieee_div_zero 0
		.amdhsa_exception_fp_ieee_overflow 0
		.amdhsa_exception_fp_ieee_underflow 0
		.amdhsa_exception_fp_ieee_inexact 0
		.amdhsa_exception_int_div_zero 0
	.end_amdhsa_kernel
	.section	.text._ZN7rocprim17ROCPRIM_400000_NS6detail17trampoline_kernelINS0_14default_configENS1_25partition_config_selectorILNS1_17partition_subalgoE8EjNS0_10empty_typeEbEEZZNS1_14partition_implILS5_8ELb0ES3_jPKjPS6_PKS6_NS0_5tupleIJPjS6_EEENSE_IJSB_SB_EEENS0_18inequality_wrapperIN6hipcub16HIPCUB_304000_NS8EqualityEEEPlJS6_EEE10hipError_tPvRmT3_T4_T5_T6_T7_T9_mT8_P12ihipStream_tbDpT10_ENKUlT_T0_E_clISt17integral_constantIbLb1EES16_IbLb0EEEEDaS12_S13_EUlS12_E_NS1_11comp_targetILNS1_3genE3ELNS1_11target_archE908ELNS1_3gpuE7ELNS1_3repE0EEENS1_30default_config_static_selectorELNS0_4arch9wavefront6targetE1EEEvT1_,"axG",@progbits,_ZN7rocprim17ROCPRIM_400000_NS6detail17trampoline_kernelINS0_14default_configENS1_25partition_config_selectorILNS1_17partition_subalgoE8EjNS0_10empty_typeEbEEZZNS1_14partition_implILS5_8ELb0ES3_jPKjPS6_PKS6_NS0_5tupleIJPjS6_EEENSE_IJSB_SB_EEENS0_18inequality_wrapperIN6hipcub16HIPCUB_304000_NS8EqualityEEEPlJS6_EEE10hipError_tPvRmT3_T4_T5_T6_T7_T9_mT8_P12ihipStream_tbDpT10_ENKUlT_T0_E_clISt17integral_constantIbLb1EES16_IbLb0EEEEDaS12_S13_EUlS12_E_NS1_11comp_targetILNS1_3genE3ELNS1_11target_archE908ELNS1_3gpuE7ELNS1_3repE0EEENS1_30default_config_static_selectorELNS0_4arch9wavefront6targetE1EEEvT1_,comdat
.Lfunc_end636:
	.size	_ZN7rocprim17ROCPRIM_400000_NS6detail17trampoline_kernelINS0_14default_configENS1_25partition_config_selectorILNS1_17partition_subalgoE8EjNS0_10empty_typeEbEEZZNS1_14partition_implILS5_8ELb0ES3_jPKjPS6_PKS6_NS0_5tupleIJPjS6_EEENSE_IJSB_SB_EEENS0_18inequality_wrapperIN6hipcub16HIPCUB_304000_NS8EqualityEEEPlJS6_EEE10hipError_tPvRmT3_T4_T5_T6_T7_T9_mT8_P12ihipStream_tbDpT10_ENKUlT_T0_E_clISt17integral_constantIbLb1EES16_IbLb0EEEEDaS12_S13_EUlS12_E_NS1_11comp_targetILNS1_3genE3ELNS1_11target_archE908ELNS1_3gpuE7ELNS1_3repE0EEENS1_30default_config_static_selectorELNS0_4arch9wavefront6targetE1EEEvT1_, .Lfunc_end636-_ZN7rocprim17ROCPRIM_400000_NS6detail17trampoline_kernelINS0_14default_configENS1_25partition_config_selectorILNS1_17partition_subalgoE8EjNS0_10empty_typeEbEEZZNS1_14partition_implILS5_8ELb0ES3_jPKjPS6_PKS6_NS0_5tupleIJPjS6_EEENSE_IJSB_SB_EEENS0_18inequality_wrapperIN6hipcub16HIPCUB_304000_NS8EqualityEEEPlJS6_EEE10hipError_tPvRmT3_T4_T5_T6_T7_T9_mT8_P12ihipStream_tbDpT10_ENKUlT_T0_E_clISt17integral_constantIbLb1EES16_IbLb0EEEEDaS12_S13_EUlS12_E_NS1_11comp_targetILNS1_3genE3ELNS1_11target_archE908ELNS1_3gpuE7ELNS1_3repE0EEENS1_30default_config_static_selectorELNS0_4arch9wavefront6targetE1EEEvT1_
                                        ; -- End function
	.section	.AMDGPU.csdata,"",@progbits
; Kernel info:
; codeLenInByte = 0
; NumSgprs: 4
; NumVgprs: 0
; NumAgprs: 0
; TotalNumVgprs: 0
; ScratchSize: 0
; MemoryBound: 0
; FloatMode: 240
; IeeeMode: 1
; LDSByteSize: 0 bytes/workgroup (compile time only)
; SGPRBlocks: 0
; VGPRBlocks: 0
; NumSGPRsForWavesPerEU: 4
; NumVGPRsForWavesPerEU: 1
; AccumOffset: 4
; Occupancy: 8
; WaveLimiterHint : 0
; COMPUTE_PGM_RSRC2:SCRATCH_EN: 0
; COMPUTE_PGM_RSRC2:USER_SGPR: 6
; COMPUTE_PGM_RSRC2:TRAP_HANDLER: 0
; COMPUTE_PGM_RSRC2:TGID_X_EN: 1
; COMPUTE_PGM_RSRC2:TGID_Y_EN: 0
; COMPUTE_PGM_RSRC2:TGID_Z_EN: 0
; COMPUTE_PGM_RSRC2:TIDIG_COMP_CNT: 0
; COMPUTE_PGM_RSRC3_GFX90A:ACCUM_OFFSET: 0
; COMPUTE_PGM_RSRC3_GFX90A:TG_SPLIT: 0
	.section	.text._ZN7rocprim17ROCPRIM_400000_NS6detail17trampoline_kernelINS0_14default_configENS1_25partition_config_selectorILNS1_17partition_subalgoE8EjNS0_10empty_typeEbEEZZNS1_14partition_implILS5_8ELb0ES3_jPKjPS6_PKS6_NS0_5tupleIJPjS6_EEENSE_IJSB_SB_EEENS0_18inequality_wrapperIN6hipcub16HIPCUB_304000_NS8EqualityEEEPlJS6_EEE10hipError_tPvRmT3_T4_T5_T6_T7_T9_mT8_P12ihipStream_tbDpT10_ENKUlT_T0_E_clISt17integral_constantIbLb1EES16_IbLb0EEEEDaS12_S13_EUlS12_E_NS1_11comp_targetILNS1_3genE2ELNS1_11target_archE906ELNS1_3gpuE6ELNS1_3repE0EEENS1_30default_config_static_selectorELNS0_4arch9wavefront6targetE1EEEvT1_,"axG",@progbits,_ZN7rocprim17ROCPRIM_400000_NS6detail17trampoline_kernelINS0_14default_configENS1_25partition_config_selectorILNS1_17partition_subalgoE8EjNS0_10empty_typeEbEEZZNS1_14partition_implILS5_8ELb0ES3_jPKjPS6_PKS6_NS0_5tupleIJPjS6_EEENSE_IJSB_SB_EEENS0_18inequality_wrapperIN6hipcub16HIPCUB_304000_NS8EqualityEEEPlJS6_EEE10hipError_tPvRmT3_T4_T5_T6_T7_T9_mT8_P12ihipStream_tbDpT10_ENKUlT_T0_E_clISt17integral_constantIbLb1EES16_IbLb0EEEEDaS12_S13_EUlS12_E_NS1_11comp_targetILNS1_3genE2ELNS1_11target_archE906ELNS1_3gpuE6ELNS1_3repE0EEENS1_30default_config_static_selectorELNS0_4arch9wavefront6targetE1EEEvT1_,comdat
	.protected	_ZN7rocprim17ROCPRIM_400000_NS6detail17trampoline_kernelINS0_14default_configENS1_25partition_config_selectorILNS1_17partition_subalgoE8EjNS0_10empty_typeEbEEZZNS1_14partition_implILS5_8ELb0ES3_jPKjPS6_PKS6_NS0_5tupleIJPjS6_EEENSE_IJSB_SB_EEENS0_18inequality_wrapperIN6hipcub16HIPCUB_304000_NS8EqualityEEEPlJS6_EEE10hipError_tPvRmT3_T4_T5_T6_T7_T9_mT8_P12ihipStream_tbDpT10_ENKUlT_T0_E_clISt17integral_constantIbLb1EES16_IbLb0EEEEDaS12_S13_EUlS12_E_NS1_11comp_targetILNS1_3genE2ELNS1_11target_archE906ELNS1_3gpuE6ELNS1_3repE0EEENS1_30default_config_static_selectorELNS0_4arch9wavefront6targetE1EEEvT1_ ; -- Begin function _ZN7rocprim17ROCPRIM_400000_NS6detail17trampoline_kernelINS0_14default_configENS1_25partition_config_selectorILNS1_17partition_subalgoE8EjNS0_10empty_typeEbEEZZNS1_14partition_implILS5_8ELb0ES3_jPKjPS6_PKS6_NS0_5tupleIJPjS6_EEENSE_IJSB_SB_EEENS0_18inequality_wrapperIN6hipcub16HIPCUB_304000_NS8EqualityEEEPlJS6_EEE10hipError_tPvRmT3_T4_T5_T6_T7_T9_mT8_P12ihipStream_tbDpT10_ENKUlT_T0_E_clISt17integral_constantIbLb1EES16_IbLb0EEEEDaS12_S13_EUlS12_E_NS1_11comp_targetILNS1_3genE2ELNS1_11target_archE906ELNS1_3gpuE6ELNS1_3repE0EEENS1_30default_config_static_selectorELNS0_4arch9wavefront6targetE1EEEvT1_
	.globl	_ZN7rocprim17ROCPRIM_400000_NS6detail17trampoline_kernelINS0_14default_configENS1_25partition_config_selectorILNS1_17partition_subalgoE8EjNS0_10empty_typeEbEEZZNS1_14partition_implILS5_8ELb0ES3_jPKjPS6_PKS6_NS0_5tupleIJPjS6_EEENSE_IJSB_SB_EEENS0_18inequality_wrapperIN6hipcub16HIPCUB_304000_NS8EqualityEEEPlJS6_EEE10hipError_tPvRmT3_T4_T5_T6_T7_T9_mT8_P12ihipStream_tbDpT10_ENKUlT_T0_E_clISt17integral_constantIbLb1EES16_IbLb0EEEEDaS12_S13_EUlS12_E_NS1_11comp_targetILNS1_3genE2ELNS1_11target_archE906ELNS1_3gpuE6ELNS1_3repE0EEENS1_30default_config_static_selectorELNS0_4arch9wavefront6targetE1EEEvT1_
	.p2align	8
	.type	_ZN7rocprim17ROCPRIM_400000_NS6detail17trampoline_kernelINS0_14default_configENS1_25partition_config_selectorILNS1_17partition_subalgoE8EjNS0_10empty_typeEbEEZZNS1_14partition_implILS5_8ELb0ES3_jPKjPS6_PKS6_NS0_5tupleIJPjS6_EEENSE_IJSB_SB_EEENS0_18inequality_wrapperIN6hipcub16HIPCUB_304000_NS8EqualityEEEPlJS6_EEE10hipError_tPvRmT3_T4_T5_T6_T7_T9_mT8_P12ihipStream_tbDpT10_ENKUlT_T0_E_clISt17integral_constantIbLb1EES16_IbLb0EEEEDaS12_S13_EUlS12_E_NS1_11comp_targetILNS1_3genE2ELNS1_11target_archE906ELNS1_3gpuE6ELNS1_3repE0EEENS1_30default_config_static_selectorELNS0_4arch9wavefront6targetE1EEEvT1_,@function
_ZN7rocprim17ROCPRIM_400000_NS6detail17trampoline_kernelINS0_14default_configENS1_25partition_config_selectorILNS1_17partition_subalgoE8EjNS0_10empty_typeEbEEZZNS1_14partition_implILS5_8ELb0ES3_jPKjPS6_PKS6_NS0_5tupleIJPjS6_EEENSE_IJSB_SB_EEENS0_18inequality_wrapperIN6hipcub16HIPCUB_304000_NS8EqualityEEEPlJS6_EEE10hipError_tPvRmT3_T4_T5_T6_T7_T9_mT8_P12ihipStream_tbDpT10_ENKUlT_T0_E_clISt17integral_constantIbLb1EES16_IbLb0EEEEDaS12_S13_EUlS12_E_NS1_11comp_targetILNS1_3genE2ELNS1_11target_archE906ELNS1_3gpuE6ELNS1_3repE0EEENS1_30default_config_static_selectorELNS0_4arch9wavefront6targetE1EEEvT1_: ; @_ZN7rocprim17ROCPRIM_400000_NS6detail17trampoline_kernelINS0_14default_configENS1_25partition_config_selectorILNS1_17partition_subalgoE8EjNS0_10empty_typeEbEEZZNS1_14partition_implILS5_8ELb0ES3_jPKjPS6_PKS6_NS0_5tupleIJPjS6_EEENSE_IJSB_SB_EEENS0_18inequality_wrapperIN6hipcub16HIPCUB_304000_NS8EqualityEEEPlJS6_EEE10hipError_tPvRmT3_T4_T5_T6_T7_T9_mT8_P12ihipStream_tbDpT10_ENKUlT_T0_E_clISt17integral_constantIbLb1EES16_IbLb0EEEEDaS12_S13_EUlS12_E_NS1_11comp_targetILNS1_3genE2ELNS1_11target_archE906ELNS1_3gpuE6ELNS1_3repE0EEENS1_30default_config_static_selectorELNS0_4arch9wavefront6targetE1EEEvT1_
; %bb.0:
	.section	.rodata,"a",@progbits
	.p2align	6, 0x0
	.amdhsa_kernel _ZN7rocprim17ROCPRIM_400000_NS6detail17trampoline_kernelINS0_14default_configENS1_25partition_config_selectorILNS1_17partition_subalgoE8EjNS0_10empty_typeEbEEZZNS1_14partition_implILS5_8ELb0ES3_jPKjPS6_PKS6_NS0_5tupleIJPjS6_EEENSE_IJSB_SB_EEENS0_18inequality_wrapperIN6hipcub16HIPCUB_304000_NS8EqualityEEEPlJS6_EEE10hipError_tPvRmT3_T4_T5_T6_T7_T9_mT8_P12ihipStream_tbDpT10_ENKUlT_T0_E_clISt17integral_constantIbLb1EES16_IbLb0EEEEDaS12_S13_EUlS12_E_NS1_11comp_targetILNS1_3genE2ELNS1_11target_archE906ELNS1_3gpuE6ELNS1_3repE0EEENS1_30default_config_static_selectorELNS0_4arch9wavefront6targetE1EEEvT1_
		.amdhsa_group_segment_fixed_size 0
		.amdhsa_private_segment_fixed_size 0
		.amdhsa_kernarg_size 112
		.amdhsa_user_sgpr_count 6
		.amdhsa_user_sgpr_private_segment_buffer 1
		.amdhsa_user_sgpr_dispatch_ptr 0
		.amdhsa_user_sgpr_queue_ptr 0
		.amdhsa_user_sgpr_kernarg_segment_ptr 1
		.amdhsa_user_sgpr_dispatch_id 0
		.amdhsa_user_sgpr_flat_scratch_init 0
		.amdhsa_user_sgpr_kernarg_preload_length 0
		.amdhsa_user_sgpr_kernarg_preload_offset 0
		.amdhsa_user_sgpr_private_segment_size 0
		.amdhsa_uses_dynamic_stack 0
		.amdhsa_system_sgpr_private_segment_wavefront_offset 0
		.amdhsa_system_sgpr_workgroup_id_x 1
		.amdhsa_system_sgpr_workgroup_id_y 0
		.amdhsa_system_sgpr_workgroup_id_z 0
		.amdhsa_system_sgpr_workgroup_info 0
		.amdhsa_system_vgpr_workitem_id 0
		.amdhsa_next_free_vgpr 1
		.amdhsa_next_free_sgpr 0
		.amdhsa_accum_offset 4
		.amdhsa_reserve_vcc 0
		.amdhsa_reserve_flat_scratch 0
		.amdhsa_float_round_mode_32 0
		.amdhsa_float_round_mode_16_64 0
		.amdhsa_float_denorm_mode_32 3
		.amdhsa_float_denorm_mode_16_64 3
		.amdhsa_dx10_clamp 1
		.amdhsa_ieee_mode 1
		.amdhsa_fp16_overflow 0
		.amdhsa_tg_split 0
		.amdhsa_exception_fp_ieee_invalid_op 0
		.amdhsa_exception_fp_denorm_src 0
		.amdhsa_exception_fp_ieee_div_zero 0
		.amdhsa_exception_fp_ieee_overflow 0
		.amdhsa_exception_fp_ieee_underflow 0
		.amdhsa_exception_fp_ieee_inexact 0
		.amdhsa_exception_int_div_zero 0
	.end_amdhsa_kernel
	.section	.text._ZN7rocprim17ROCPRIM_400000_NS6detail17trampoline_kernelINS0_14default_configENS1_25partition_config_selectorILNS1_17partition_subalgoE8EjNS0_10empty_typeEbEEZZNS1_14partition_implILS5_8ELb0ES3_jPKjPS6_PKS6_NS0_5tupleIJPjS6_EEENSE_IJSB_SB_EEENS0_18inequality_wrapperIN6hipcub16HIPCUB_304000_NS8EqualityEEEPlJS6_EEE10hipError_tPvRmT3_T4_T5_T6_T7_T9_mT8_P12ihipStream_tbDpT10_ENKUlT_T0_E_clISt17integral_constantIbLb1EES16_IbLb0EEEEDaS12_S13_EUlS12_E_NS1_11comp_targetILNS1_3genE2ELNS1_11target_archE906ELNS1_3gpuE6ELNS1_3repE0EEENS1_30default_config_static_selectorELNS0_4arch9wavefront6targetE1EEEvT1_,"axG",@progbits,_ZN7rocprim17ROCPRIM_400000_NS6detail17trampoline_kernelINS0_14default_configENS1_25partition_config_selectorILNS1_17partition_subalgoE8EjNS0_10empty_typeEbEEZZNS1_14partition_implILS5_8ELb0ES3_jPKjPS6_PKS6_NS0_5tupleIJPjS6_EEENSE_IJSB_SB_EEENS0_18inequality_wrapperIN6hipcub16HIPCUB_304000_NS8EqualityEEEPlJS6_EEE10hipError_tPvRmT3_T4_T5_T6_T7_T9_mT8_P12ihipStream_tbDpT10_ENKUlT_T0_E_clISt17integral_constantIbLb1EES16_IbLb0EEEEDaS12_S13_EUlS12_E_NS1_11comp_targetILNS1_3genE2ELNS1_11target_archE906ELNS1_3gpuE6ELNS1_3repE0EEENS1_30default_config_static_selectorELNS0_4arch9wavefront6targetE1EEEvT1_,comdat
.Lfunc_end637:
	.size	_ZN7rocprim17ROCPRIM_400000_NS6detail17trampoline_kernelINS0_14default_configENS1_25partition_config_selectorILNS1_17partition_subalgoE8EjNS0_10empty_typeEbEEZZNS1_14partition_implILS5_8ELb0ES3_jPKjPS6_PKS6_NS0_5tupleIJPjS6_EEENSE_IJSB_SB_EEENS0_18inequality_wrapperIN6hipcub16HIPCUB_304000_NS8EqualityEEEPlJS6_EEE10hipError_tPvRmT3_T4_T5_T6_T7_T9_mT8_P12ihipStream_tbDpT10_ENKUlT_T0_E_clISt17integral_constantIbLb1EES16_IbLb0EEEEDaS12_S13_EUlS12_E_NS1_11comp_targetILNS1_3genE2ELNS1_11target_archE906ELNS1_3gpuE6ELNS1_3repE0EEENS1_30default_config_static_selectorELNS0_4arch9wavefront6targetE1EEEvT1_, .Lfunc_end637-_ZN7rocprim17ROCPRIM_400000_NS6detail17trampoline_kernelINS0_14default_configENS1_25partition_config_selectorILNS1_17partition_subalgoE8EjNS0_10empty_typeEbEEZZNS1_14partition_implILS5_8ELb0ES3_jPKjPS6_PKS6_NS0_5tupleIJPjS6_EEENSE_IJSB_SB_EEENS0_18inequality_wrapperIN6hipcub16HIPCUB_304000_NS8EqualityEEEPlJS6_EEE10hipError_tPvRmT3_T4_T5_T6_T7_T9_mT8_P12ihipStream_tbDpT10_ENKUlT_T0_E_clISt17integral_constantIbLb1EES16_IbLb0EEEEDaS12_S13_EUlS12_E_NS1_11comp_targetILNS1_3genE2ELNS1_11target_archE906ELNS1_3gpuE6ELNS1_3repE0EEENS1_30default_config_static_selectorELNS0_4arch9wavefront6targetE1EEEvT1_
                                        ; -- End function
	.section	.AMDGPU.csdata,"",@progbits
; Kernel info:
; codeLenInByte = 0
; NumSgprs: 4
; NumVgprs: 0
; NumAgprs: 0
; TotalNumVgprs: 0
; ScratchSize: 0
; MemoryBound: 0
; FloatMode: 240
; IeeeMode: 1
; LDSByteSize: 0 bytes/workgroup (compile time only)
; SGPRBlocks: 0
; VGPRBlocks: 0
; NumSGPRsForWavesPerEU: 4
; NumVGPRsForWavesPerEU: 1
; AccumOffset: 4
; Occupancy: 8
; WaveLimiterHint : 0
; COMPUTE_PGM_RSRC2:SCRATCH_EN: 0
; COMPUTE_PGM_RSRC2:USER_SGPR: 6
; COMPUTE_PGM_RSRC2:TRAP_HANDLER: 0
; COMPUTE_PGM_RSRC2:TGID_X_EN: 1
; COMPUTE_PGM_RSRC2:TGID_Y_EN: 0
; COMPUTE_PGM_RSRC2:TGID_Z_EN: 0
; COMPUTE_PGM_RSRC2:TIDIG_COMP_CNT: 0
; COMPUTE_PGM_RSRC3_GFX90A:ACCUM_OFFSET: 0
; COMPUTE_PGM_RSRC3_GFX90A:TG_SPLIT: 0
	.section	.text._ZN7rocprim17ROCPRIM_400000_NS6detail17trampoline_kernelINS0_14default_configENS1_25partition_config_selectorILNS1_17partition_subalgoE8EjNS0_10empty_typeEbEEZZNS1_14partition_implILS5_8ELb0ES3_jPKjPS6_PKS6_NS0_5tupleIJPjS6_EEENSE_IJSB_SB_EEENS0_18inequality_wrapperIN6hipcub16HIPCUB_304000_NS8EqualityEEEPlJS6_EEE10hipError_tPvRmT3_T4_T5_T6_T7_T9_mT8_P12ihipStream_tbDpT10_ENKUlT_T0_E_clISt17integral_constantIbLb1EES16_IbLb0EEEEDaS12_S13_EUlS12_E_NS1_11comp_targetILNS1_3genE10ELNS1_11target_archE1200ELNS1_3gpuE4ELNS1_3repE0EEENS1_30default_config_static_selectorELNS0_4arch9wavefront6targetE1EEEvT1_,"axG",@progbits,_ZN7rocprim17ROCPRIM_400000_NS6detail17trampoline_kernelINS0_14default_configENS1_25partition_config_selectorILNS1_17partition_subalgoE8EjNS0_10empty_typeEbEEZZNS1_14partition_implILS5_8ELb0ES3_jPKjPS6_PKS6_NS0_5tupleIJPjS6_EEENSE_IJSB_SB_EEENS0_18inequality_wrapperIN6hipcub16HIPCUB_304000_NS8EqualityEEEPlJS6_EEE10hipError_tPvRmT3_T4_T5_T6_T7_T9_mT8_P12ihipStream_tbDpT10_ENKUlT_T0_E_clISt17integral_constantIbLb1EES16_IbLb0EEEEDaS12_S13_EUlS12_E_NS1_11comp_targetILNS1_3genE10ELNS1_11target_archE1200ELNS1_3gpuE4ELNS1_3repE0EEENS1_30default_config_static_selectorELNS0_4arch9wavefront6targetE1EEEvT1_,comdat
	.protected	_ZN7rocprim17ROCPRIM_400000_NS6detail17trampoline_kernelINS0_14default_configENS1_25partition_config_selectorILNS1_17partition_subalgoE8EjNS0_10empty_typeEbEEZZNS1_14partition_implILS5_8ELb0ES3_jPKjPS6_PKS6_NS0_5tupleIJPjS6_EEENSE_IJSB_SB_EEENS0_18inequality_wrapperIN6hipcub16HIPCUB_304000_NS8EqualityEEEPlJS6_EEE10hipError_tPvRmT3_T4_T5_T6_T7_T9_mT8_P12ihipStream_tbDpT10_ENKUlT_T0_E_clISt17integral_constantIbLb1EES16_IbLb0EEEEDaS12_S13_EUlS12_E_NS1_11comp_targetILNS1_3genE10ELNS1_11target_archE1200ELNS1_3gpuE4ELNS1_3repE0EEENS1_30default_config_static_selectorELNS0_4arch9wavefront6targetE1EEEvT1_ ; -- Begin function _ZN7rocprim17ROCPRIM_400000_NS6detail17trampoline_kernelINS0_14default_configENS1_25partition_config_selectorILNS1_17partition_subalgoE8EjNS0_10empty_typeEbEEZZNS1_14partition_implILS5_8ELb0ES3_jPKjPS6_PKS6_NS0_5tupleIJPjS6_EEENSE_IJSB_SB_EEENS0_18inequality_wrapperIN6hipcub16HIPCUB_304000_NS8EqualityEEEPlJS6_EEE10hipError_tPvRmT3_T4_T5_T6_T7_T9_mT8_P12ihipStream_tbDpT10_ENKUlT_T0_E_clISt17integral_constantIbLb1EES16_IbLb0EEEEDaS12_S13_EUlS12_E_NS1_11comp_targetILNS1_3genE10ELNS1_11target_archE1200ELNS1_3gpuE4ELNS1_3repE0EEENS1_30default_config_static_selectorELNS0_4arch9wavefront6targetE1EEEvT1_
	.globl	_ZN7rocprim17ROCPRIM_400000_NS6detail17trampoline_kernelINS0_14default_configENS1_25partition_config_selectorILNS1_17partition_subalgoE8EjNS0_10empty_typeEbEEZZNS1_14partition_implILS5_8ELb0ES3_jPKjPS6_PKS6_NS0_5tupleIJPjS6_EEENSE_IJSB_SB_EEENS0_18inequality_wrapperIN6hipcub16HIPCUB_304000_NS8EqualityEEEPlJS6_EEE10hipError_tPvRmT3_T4_T5_T6_T7_T9_mT8_P12ihipStream_tbDpT10_ENKUlT_T0_E_clISt17integral_constantIbLb1EES16_IbLb0EEEEDaS12_S13_EUlS12_E_NS1_11comp_targetILNS1_3genE10ELNS1_11target_archE1200ELNS1_3gpuE4ELNS1_3repE0EEENS1_30default_config_static_selectorELNS0_4arch9wavefront6targetE1EEEvT1_
	.p2align	8
	.type	_ZN7rocprim17ROCPRIM_400000_NS6detail17trampoline_kernelINS0_14default_configENS1_25partition_config_selectorILNS1_17partition_subalgoE8EjNS0_10empty_typeEbEEZZNS1_14partition_implILS5_8ELb0ES3_jPKjPS6_PKS6_NS0_5tupleIJPjS6_EEENSE_IJSB_SB_EEENS0_18inequality_wrapperIN6hipcub16HIPCUB_304000_NS8EqualityEEEPlJS6_EEE10hipError_tPvRmT3_T4_T5_T6_T7_T9_mT8_P12ihipStream_tbDpT10_ENKUlT_T0_E_clISt17integral_constantIbLb1EES16_IbLb0EEEEDaS12_S13_EUlS12_E_NS1_11comp_targetILNS1_3genE10ELNS1_11target_archE1200ELNS1_3gpuE4ELNS1_3repE0EEENS1_30default_config_static_selectorELNS0_4arch9wavefront6targetE1EEEvT1_,@function
_ZN7rocprim17ROCPRIM_400000_NS6detail17trampoline_kernelINS0_14default_configENS1_25partition_config_selectorILNS1_17partition_subalgoE8EjNS0_10empty_typeEbEEZZNS1_14partition_implILS5_8ELb0ES3_jPKjPS6_PKS6_NS0_5tupleIJPjS6_EEENSE_IJSB_SB_EEENS0_18inequality_wrapperIN6hipcub16HIPCUB_304000_NS8EqualityEEEPlJS6_EEE10hipError_tPvRmT3_T4_T5_T6_T7_T9_mT8_P12ihipStream_tbDpT10_ENKUlT_T0_E_clISt17integral_constantIbLb1EES16_IbLb0EEEEDaS12_S13_EUlS12_E_NS1_11comp_targetILNS1_3genE10ELNS1_11target_archE1200ELNS1_3gpuE4ELNS1_3repE0EEENS1_30default_config_static_selectorELNS0_4arch9wavefront6targetE1EEEvT1_: ; @_ZN7rocprim17ROCPRIM_400000_NS6detail17trampoline_kernelINS0_14default_configENS1_25partition_config_selectorILNS1_17partition_subalgoE8EjNS0_10empty_typeEbEEZZNS1_14partition_implILS5_8ELb0ES3_jPKjPS6_PKS6_NS0_5tupleIJPjS6_EEENSE_IJSB_SB_EEENS0_18inequality_wrapperIN6hipcub16HIPCUB_304000_NS8EqualityEEEPlJS6_EEE10hipError_tPvRmT3_T4_T5_T6_T7_T9_mT8_P12ihipStream_tbDpT10_ENKUlT_T0_E_clISt17integral_constantIbLb1EES16_IbLb0EEEEDaS12_S13_EUlS12_E_NS1_11comp_targetILNS1_3genE10ELNS1_11target_archE1200ELNS1_3gpuE4ELNS1_3repE0EEENS1_30default_config_static_selectorELNS0_4arch9wavefront6targetE1EEEvT1_
; %bb.0:
	.section	.rodata,"a",@progbits
	.p2align	6, 0x0
	.amdhsa_kernel _ZN7rocprim17ROCPRIM_400000_NS6detail17trampoline_kernelINS0_14default_configENS1_25partition_config_selectorILNS1_17partition_subalgoE8EjNS0_10empty_typeEbEEZZNS1_14partition_implILS5_8ELb0ES3_jPKjPS6_PKS6_NS0_5tupleIJPjS6_EEENSE_IJSB_SB_EEENS0_18inequality_wrapperIN6hipcub16HIPCUB_304000_NS8EqualityEEEPlJS6_EEE10hipError_tPvRmT3_T4_T5_T6_T7_T9_mT8_P12ihipStream_tbDpT10_ENKUlT_T0_E_clISt17integral_constantIbLb1EES16_IbLb0EEEEDaS12_S13_EUlS12_E_NS1_11comp_targetILNS1_3genE10ELNS1_11target_archE1200ELNS1_3gpuE4ELNS1_3repE0EEENS1_30default_config_static_selectorELNS0_4arch9wavefront6targetE1EEEvT1_
		.amdhsa_group_segment_fixed_size 0
		.amdhsa_private_segment_fixed_size 0
		.amdhsa_kernarg_size 112
		.amdhsa_user_sgpr_count 6
		.amdhsa_user_sgpr_private_segment_buffer 1
		.amdhsa_user_sgpr_dispatch_ptr 0
		.amdhsa_user_sgpr_queue_ptr 0
		.amdhsa_user_sgpr_kernarg_segment_ptr 1
		.amdhsa_user_sgpr_dispatch_id 0
		.amdhsa_user_sgpr_flat_scratch_init 0
		.amdhsa_user_sgpr_kernarg_preload_length 0
		.amdhsa_user_sgpr_kernarg_preload_offset 0
		.amdhsa_user_sgpr_private_segment_size 0
		.amdhsa_uses_dynamic_stack 0
		.amdhsa_system_sgpr_private_segment_wavefront_offset 0
		.amdhsa_system_sgpr_workgroup_id_x 1
		.amdhsa_system_sgpr_workgroup_id_y 0
		.amdhsa_system_sgpr_workgroup_id_z 0
		.amdhsa_system_sgpr_workgroup_info 0
		.amdhsa_system_vgpr_workitem_id 0
		.amdhsa_next_free_vgpr 1
		.amdhsa_next_free_sgpr 0
		.amdhsa_accum_offset 4
		.amdhsa_reserve_vcc 0
		.amdhsa_reserve_flat_scratch 0
		.amdhsa_float_round_mode_32 0
		.amdhsa_float_round_mode_16_64 0
		.amdhsa_float_denorm_mode_32 3
		.amdhsa_float_denorm_mode_16_64 3
		.amdhsa_dx10_clamp 1
		.amdhsa_ieee_mode 1
		.amdhsa_fp16_overflow 0
		.amdhsa_tg_split 0
		.amdhsa_exception_fp_ieee_invalid_op 0
		.amdhsa_exception_fp_denorm_src 0
		.amdhsa_exception_fp_ieee_div_zero 0
		.amdhsa_exception_fp_ieee_overflow 0
		.amdhsa_exception_fp_ieee_underflow 0
		.amdhsa_exception_fp_ieee_inexact 0
		.amdhsa_exception_int_div_zero 0
	.end_amdhsa_kernel
	.section	.text._ZN7rocprim17ROCPRIM_400000_NS6detail17trampoline_kernelINS0_14default_configENS1_25partition_config_selectorILNS1_17partition_subalgoE8EjNS0_10empty_typeEbEEZZNS1_14partition_implILS5_8ELb0ES3_jPKjPS6_PKS6_NS0_5tupleIJPjS6_EEENSE_IJSB_SB_EEENS0_18inequality_wrapperIN6hipcub16HIPCUB_304000_NS8EqualityEEEPlJS6_EEE10hipError_tPvRmT3_T4_T5_T6_T7_T9_mT8_P12ihipStream_tbDpT10_ENKUlT_T0_E_clISt17integral_constantIbLb1EES16_IbLb0EEEEDaS12_S13_EUlS12_E_NS1_11comp_targetILNS1_3genE10ELNS1_11target_archE1200ELNS1_3gpuE4ELNS1_3repE0EEENS1_30default_config_static_selectorELNS0_4arch9wavefront6targetE1EEEvT1_,"axG",@progbits,_ZN7rocprim17ROCPRIM_400000_NS6detail17trampoline_kernelINS0_14default_configENS1_25partition_config_selectorILNS1_17partition_subalgoE8EjNS0_10empty_typeEbEEZZNS1_14partition_implILS5_8ELb0ES3_jPKjPS6_PKS6_NS0_5tupleIJPjS6_EEENSE_IJSB_SB_EEENS0_18inequality_wrapperIN6hipcub16HIPCUB_304000_NS8EqualityEEEPlJS6_EEE10hipError_tPvRmT3_T4_T5_T6_T7_T9_mT8_P12ihipStream_tbDpT10_ENKUlT_T0_E_clISt17integral_constantIbLb1EES16_IbLb0EEEEDaS12_S13_EUlS12_E_NS1_11comp_targetILNS1_3genE10ELNS1_11target_archE1200ELNS1_3gpuE4ELNS1_3repE0EEENS1_30default_config_static_selectorELNS0_4arch9wavefront6targetE1EEEvT1_,comdat
.Lfunc_end638:
	.size	_ZN7rocprim17ROCPRIM_400000_NS6detail17trampoline_kernelINS0_14default_configENS1_25partition_config_selectorILNS1_17partition_subalgoE8EjNS0_10empty_typeEbEEZZNS1_14partition_implILS5_8ELb0ES3_jPKjPS6_PKS6_NS0_5tupleIJPjS6_EEENSE_IJSB_SB_EEENS0_18inequality_wrapperIN6hipcub16HIPCUB_304000_NS8EqualityEEEPlJS6_EEE10hipError_tPvRmT3_T4_T5_T6_T7_T9_mT8_P12ihipStream_tbDpT10_ENKUlT_T0_E_clISt17integral_constantIbLb1EES16_IbLb0EEEEDaS12_S13_EUlS12_E_NS1_11comp_targetILNS1_3genE10ELNS1_11target_archE1200ELNS1_3gpuE4ELNS1_3repE0EEENS1_30default_config_static_selectorELNS0_4arch9wavefront6targetE1EEEvT1_, .Lfunc_end638-_ZN7rocprim17ROCPRIM_400000_NS6detail17trampoline_kernelINS0_14default_configENS1_25partition_config_selectorILNS1_17partition_subalgoE8EjNS0_10empty_typeEbEEZZNS1_14partition_implILS5_8ELb0ES3_jPKjPS6_PKS6_NS0_5tupleIJPjS6_EEENSE_IJSB_SB_EEENS0_18inequality_wrapperIN6hipcub16HIPCUB_304000_NS8EqualityEEEPlJS6_EEE10hipError_tPvRmT3_T4_T5_T6_T7_T9_mT8_P12ihipStream_tbDpT10_ENKUlT_T0_E_clISt17integral_constantIbLb1EES16_IbLb0EEEEDaS12_S13_EUlS12_E_NS1_11comp_targetILNS1_3genE10ELNS1_11target_archE1200ELNS1_3gpuE4ELNS1_3repE0EEENS1_30default_config_static_selectorELNS0_4arch9wavefront6targetE1EEEvT1_
                                        ; -- End function
	.section	.AMDGPU.csdata,"",@progbits
; Kernel info:
; codeLenInByte = 0
; NumSgprs: 4
; NumVgprs: 0
; NumAgprs: 0
; TotalNumVgprs: 0
; ScratchSize: 0
; MemoryBound: 0
; FloatMode: 240
; IeeeMode: 1
; LDSByteSize: 0 bytes/workgroup (compile time only)
; SGPRBlocks: 0
; VGPRBlocks: 0
; NumSGPRsForWavesPerEU: 4
; NumVGPRsForWavesPerEU: 1
; AccumOffset: 4
; Occupancy: 8
; WaveLimiterHint : 0
; COMPUTE_PGM_RSRC2:SCRATCH_EN: 0
; COMPUTE_PGM_RSRC2:USER_SGPR: 6
; COMPUTE_PGM_RSRC2:TRAP_HANDLER: 0
; COMPUTE_PGM_RSRC2:TGID_X_EN: 1
; COMPUTE_PGM_RSRC2:TGID_Y_EN: 0
; COMPUTE_PGM_RSRC2:TGID_Z_EN: 0
; COMPUTE_PGM_RSRC2:TIDIG_COMP_CNT: 0
; COMPUTE_PGM_RSRC3_GFX90A:ACCUM_OFFSET: 0
; COMPUTE_PGM_RSRC3_GFX90A:TG_SPLIT: 0
	.section	.text._ZN7rocprim17ROCPRIM_400000_NS6detail17trampoline_kernelINS0_14default_configENS1_25partition_config_selectorILNS1_17partition_subalgoE8EjNS0_10empty_typeEbEEZZNS1_14partition_implILS5_8ELb0ES3_jPKjPS6_PKS6_NS0_5tupleIJPjS6_EEENSE_IJSB_SB_EEENS0_18inequality_wrapperIN6hipcub16HIPCUB_304000_NS8EqualityEEEPlJS6_EEE10hipError_tPvRmT3_T4_T5_T6_T7_T9_mT8_P12ihipStream_tbDpT10_ENKUlT_T0_E_clISt17integral_constantIbLb1EES16_IbLb0EEEEDaS12_S13_EUlS12_E_NS1_11comp_targetILNS1_3genE9ELNS1_11target_archE1100ELNS1_3gpuE3ELNS1_3repE0EEENS1_30default_config_static_selectorELNS0_4arch9wavefront6targetE1EEEvT1_,"axG",@progbits,_ZN7rocprim17ROCPRIM_400000_NS6detail17trampoline_kernelINS0_14default_configENS1_25partition_config_selectorILNS1_17partition_subalgoE8EjNS0_10empty_typeEbEEZZNS1_14partition_implILS5_8ELb0ES3_jPKjPS6_PKS6_NS0_5tupleIJPjS6_EEENSE_IJSB_SB_EEENS0_18inequality_wrapperIN6hipcub16HIPCUB_304000_NS8EqualityEEEPlJS6_EEE10hipError_tPvRmT3_T4_T5_T6_T7_T9_mT8_P12ihipStream_tbDpT10_ENKUlT_T0_E_clISt17integral_constantIbLb1EES16_IbLb0EEEEDaS12_S13_EUlS12_E_NS1_11comp_targetILNS1_3genE9ELNS1_11target_archE1100ELNS1_3gpuE3ELNS1_3repE0EEENS1_30default_config_static_selectorELNS0_4arch9wavefront6targetE1EEEvT1_,comdat
	.protected	_ZN7rocprim17ROCPRIM_400000_NS6detail17trampoline_kernelINS0_14default_configENS1_25partition_config_selectorILNS1_17partition_subalgoE8EjNS0_10empty_typeEbEEZZNS1_14partition_implILS5_8ELb0ES3_jPKjPS6_PKS6_NS0_5tupleIJPjS6_EEENSE_IJSB_SB_EEENS0_18inequality_wrapperIN6hipcub16HIPCUB_304000_NS8EqualityEEEPlJS6_EEE10hipError_tPvRmT3_T4_T5_T6_T7_T9_mT8_P12ihipStream_tbDpT10_ENKUlT_T0_E_clISt17integral_constantIbLb1EES16_IbLb0EEEEDaS12_S13_EUlS12_E_NS1_11comp_targetILNS1_3genE9ELNS1_11target_archE1100ELNS1_3gpuE3ELNS1_3repE0EEENS1_30default_config_static_selectorELNS0_4arch9wavefront6targetE1EEEvT1_ ; -- Begin function _ZN7rocprim17ROCPRIM_400000_NS6detail17trampoline_kernelINS0_14default_configENS1_25partition_config_selectorILNS1_17partition_subalgoE8EjNS0_10empty_typeEbEEZZNS1_14partition_implILS5_8ELb0ES3_jPKjPS6_PKS6_NS0_5tupleIJPjS6_EEENSE_IJSB_SB_EEENS0_18inequality_wrapperIN6hipcub16HIPCUB_304000_NS8EqualityEEEPlJS6_EEE10hipError_tPvRmT3_T4_T5_T6_T7_T9_mT8_P12ihipStream_tbDpT10_ENKUlT_T0_E_clISt17integral_constantIbLb1EES16_IbLb0EEEEDaS12_S13_EUlS12_E_NS1_11comp_targetILNS1_3genE9ELNS1_11target_archE1100ELNS1_3gpuE3ELNS1_3repE0EEENS1_30default_config_static_selectorELNS0_4arch9wavefront6targetE1EEEvT1_
	.globl	_ZN7rocprim17ROCPRIM_400000_NS6detail17trampoline_kernelINS0_14default_configENS1_25partition_config_selectorILNS1_17partition_subalgoE8EjNS0_10empty_typeEbEEZZNS1_14partition_implILS5_8ELb0ES3_jPKjPS6_PKS6_NS0_5tupleIJPjS6_EEENSE_IJSB_SB_EEENS0_18inequality_wrapperIN6hipcub16HIPCUB_304000_NS8EqualityEEEPlJS6_EEE10hipError_tPvRmT3_T4_T5_T6_T7_T9_mT8_P12ihipStream_tbDpT10_ENKUlT_T0_E_clISt17integral_constantIbLb1EES16_IbLb0EEEEDaS12_S13_EUlS12_E_NS1_11comp_targetILNS1_3genE9ELNS1_11target_archE1100ELNS1_3gpuE3ELNS1_3repE0EEENS1_30default_config_static_selectorELNS0_4arch9wavefront6targetE1EEEvT1_
	.p2align	8
	.type	_ZN7rocprim17ROCPRIM_400000_NS6detail17trampoline_kernelINS0_14default_configENS1_25partition_config_selectorILNS1_17partition_subalgoE8EjNS0_10empty_typeEbEEZZNS1_14partition_implILS5_8ELb0ES3_jPKjPS6_PKS6_NS0_5tupleIJPjS6_EEENSE_IJSB_SB_EEENS0_18inequality_wrapperIN6hipcub16HIPCUB_304000_NS8EqualityEEEPlJS6_EEE10hipError_tPvRmT3_T4_T5_T6_T7_T9_mT8_P12ihipStream_tbDpT10_ENKUlT_T0_E_clISt17integral_constantIbLb1EES16_IbLb0EEEEDaS12_S13_EUlS12_E_NS1_11comp_targetILNS1_3genE9ELNS1_11target_archE1100ELNS1_3gpuE3ELNS1_3repE0EEENS1_30default_config_static_selectorELNS0_4arch9wavefront6targetE1EEEvT1_,@function
_ZN7rocprim17ROCPRIM_400000_NS6detail17trampoline_kernelINS0_14default_configENS1_25partition_config_selectorILNS1_17partition_subalgoE8EjNS0_10empty_typeEbEEZZNS1_14partition_implILS5_8ELb0ES3_jPKjPS6_PKS6_NS0_5tupleIJPjS6_EEENSE_IJSB_SB_EEENS0_18inequality_wrapperIN6hipcub16HIPCUB_304000_NS8EqualityEEEPlJS6_EEE10hipError_tPvRmT3_T4_T5_T6_T7_T9_mT8_P12ihipStream_tbDpT10_ENKUlT_T0_E_clISt17integral_constantIbLb1EES16_IbLb0EEEEDaS12_S13_EUlS12_E_NS1_11comp_targetILNS1_3genE9ELNS1_11target_archE1100ELNS1_3gpuE3ELNS1_3repE0EEENS1_30default_config_static_selectorELNS0_4arch9wavefront6targetE1EEEvT1_: ; @_ZN7rocprim17ROCPRIM_400000_NS6detail17trampoline_kernelINS0_14default_configENS1_25partition_config_selectorILNS1_17partition_subalgoE8EjNS0_10empty_typeEbEEZZNS1_14partition_implILS5_8ELb0ES3_jPKjPS6_PKS6_NS0_5tupleIJPjS6_EEENSE_IJSB_SB_EEENS0_18inequality_wrapperIN6hipcub16HIPCUB_304000_NS8EqualityEEEPlJS6_EEE10hipError_tPvRmT3_T4_T5_T6_T7_T9_mT8_P12ihipStream_tbDpT10_ENKUlT_T0_E_clISt17integral_constantIbLb1EES16_IbLb0EEEEDaS12_S13_EUlS12_E_NS1_11comp_targetILNS1_3genE9ELNS1_11target_archE1100ELNS1_3gpuE3ELNS1_3repE0EEENS1_30default_config_static_selectorELNS0_4arch9wavefront6targetE1EEEvT1_
; %bb.0:
	.section	.rodata,"a",@progbits
	.p2align	6, 0x0
	.amdhsa_kernel _ZN7rocprim17ROCPRIM_400000_NS6detail17trampoline_kernelINS0_14default_configENS1_25partition_config_selectorILNS1_17partition_subalgoE8EjNS0_10empty_typeEbEEZZNS1_14partition_implILS5_8ELb0ES3_jPKjPS6_PKS6_NS0_5tupleIJPjS6_EEENSE_IJSB_SB_EEENS0_18inequality_wrapperIN6hipcub16HIPCUB_304000_NS8EqualityEEEPlJS6_EEE10hipError_tPvRmT3_T4_T5_T6_T7_T9_mT8_P12ihipStream_tbDpT10_ENKUlT_T0_E_clISt17integral_constantIbLb1EES16_IbLb0EEEEDaS12_S13_EUlS12_E_NS1_11comp_targetILNS1_3genE9ELNS1_11target_archE1100ELNS1_3gpuE3ELNS1_3repE0EEENS1_30default_config_static_selectorELNS0_4arch9wavefront6targetE1EEEvT1_
		.amdhsa_group_segment_fixed_size 0
		.amdhsa_private_segment_fixed_size 0
		.amdhsa_kernarg_size 112
		.amdhsa_user_sgpr_count 6
		.amdhsa_user_sgpr_private_segment_buffer 1
		.amdhsa_user_sgpr_dispatch_ptr 0
		.amdhsa_user_sgpr_queue_ptr 0
		.amdhsa_user_sgpr_kernarg_segment_ptr 1
		.amdhsa_user_sgpr_dispatch_id 0
		.amdhsa_user_sgpr_flat_scratch_init 0
		.amdhsa_user_sgpr_kernarg_preload_length 0
		.amdhsa_user_sgpr_kernarg_preload_offset 0
		.amdhsa_user_sgpr_private_segment_size 0
		.amdhsa_uses_dynamic_stack 0
		.amdhsa_system_sgpr_private_segment_wavefront_offset 0
		.amdhsa_system_sgpr_workgroup_id_x 1
		.amdhsa_system_sgpr_workgroup_id_y 0
		.amdhsa_system_sgpr_workgroup_id_z 0
		.amdhsa_system_sgpr_workgroup_info 0
		.amdhsa_system_vgpr_workitem_id 0
		.amdhsa_next_free_vgpr 1
		.amdhsa_next_free_sgpr 0
		.amdhsa_accum_offset 4
		.amdhsa_reserve_vcc 0
		.amdhsa_reserve_flat_scratch 0
		.amdhsa_float_round_mode_32 0
		.amdhsa_float_round_mode_16_64 0
		.amdhsa_float_denorm_mode_32 3
		.amdhsa_float_denorm_mode_16_64 3
		.amdhsa_dx10_clamp 1
		.amdhsa_ieee_mode 1
		.amdhsa_fp16_overflow 0
		.amdhsa_tg_split 0
		.amdhsa_exception_fp_ieee_invalid_op 0
		.amdhsa_exception_fp_denorm_src 0
		.amdhsa_exception_fp_ieee_div_zero 0
		.amdhsa_exception_fp_ieee_overflow 0
		.amdhsa_exception_fp_ieee_underflow 0
		.amdhsa_exception_fp_ieee_inexact 0
		.amdhsa_exception_int_div_zero 0
	.end_amdhsa_kernel
	.section	.text._ZN7rocprim17ROCPRIM_400000_NS6detail17trampoline_kernelINS0_14default_configENS1_25partition_config_selectorILNS1_17partition_subalgoE8EjNS0_10empty_typeEbEEZZNS1_14partition_implILS5_8ELb0ES3_jPKjPS6_PKS6_NS0_5tupleIJPjS6_EEENSE_IJSB_SB_EEENS0_18inequality_wrapperIN6hipcub16HIPCUB_304000_NS8EqualityEEEPlJS6_EEE10hipError_tPvRmT3_T4_T5_T6_T7_T9_mT8_P12ihipStream_tbDpT10_ENKUlT_T0_E_clISt17integral_constantIbLb1EES16_IbLb0EEEEDaS12_S13_EUlS12_E_NS1_11comp_targetILNS1_3genE9ELNS1_11target_archE1100ELNS1_3gpuE3ELNS1_3repE0EEENS1_30default_config_static_selectorELNS0_4arch9wavefront6targetE1EEEvT1_,"axG",@progbits,_ZN7rocprim17ROCPRIM_400000_NS6detail17trampoline_kernelINS0_14default_configENS1_25partition_config_selectorILNS1_17partition_subalgoE8EjNS0_10empty_typeEbEEZZNS1_14partition_implILS5_8ELb0ES3_jPKjPS6_PKS6_NS0_5tupleIJPjS6_EEENSE_IJSB_SB_EEENS0_18inequality_wrapperIN6hipcub16HIPCUB_304000_NS8EqualityEEEPlJS6_EEE10hipError_tPvRmT3_T4_T5_T6_T7_T9_mT8_P12ihipStream_tbDpT10_ENKUlT_T0_E_clISt17integral_constantIbLb1EES16_IbLb0EEEEDaS12_S13_EUlS12_E_NS1_11comp_targetILNS1_3genE9ELNS1_11target_archE1100ELNS1_3gpuE3ELNS1_3repE0EEENS1_30default_config_static_selectorELNS0_4arch9wavefront6targetE1EEEvT1_,comdat
.Lfunc_end639:
	.size	_ZN7rocprim17ROCPRIM_400000_NS6detail17trampoline_kernelINS0_14default_configENS1_25partition_config_selectorILNS1_17partition_subalgoE8EjNS0_10empty_typeEbEEZZNS1_14partition_implILS5_8ELb0ES3_jPKjPS6_PKS6_NS0_5tupleIJPjS6_EEENSE_IJSB_SB_EEENS0_18inequality_wrapperIN6hipcub16HIPCUB_304000_NS8EqualityEEEPlJS6_EEE10hipError_tPvRmT3_T4_T5_T6_T7_T9_mT8_P12ihipStream_tbDpT10_ENKUlT_T0_E_clISt17integral_constantIbLb1EES16_IbLb0EEEEDaS12_S13_EUlS12_E_NS1_11comp_targetILNS1_3genE9ELNS1_11target_archE1100ELNS1_3gpuE3ELNS1_3repE0EEENS1_30default_config_static_selectorELNS0_4arch9wavefront6targetE1EEEvT1_, .Lfunc_end639-_ZN7rocprim17ROCPRIM_400000_NS6detail17trampoline_kernelINS0_14default_configENS1_25partition_config_selectorILNS1_17partition_subalgoE8EjNS0_10empty_typeEbEEZZNS1_14partition_implILS5_8ELb0ES3_jPKjPS6_PKS6_NS0_5tupleIJPjS6_EEENSE_IJSB_SB_EEENS0_18inequality_wrapperIN6hipcub16HIPCUB_304000_NS8EqualityEEEPlJS6_EEE10hipError_tPvRmT3_T4_T5_T6_T7_T9_mT8_P12ihipStream_tbDpT10_ENKUlT_T0_E_clISt17integral_constantIbLb1EES16_IbLb0EEEEDaS12_S13_EUlS12_E_NS1_11comp_targetILNS1_3genE9ELNS1_11target_archE1100ELNS1_3gpuE3ELNS1_3repE0EEENS1_30default_config_static_selectorELNS0_4arch9wavefront6targetE1EEEvT1_
                                        ; -- End function
	.section	.AMDGPU.csdata,"",@progbits
; Kernel info:
; codeLenInByte = 0
; NumSgprs: 4
; NumVgprs: 0
; NumAgprs: 0
; TotalNumVgprs: 0
; ScratchSize: 0
; MemoryBound: 0
; FloatMode: 240
; IeeeMode: 1
; LDSByteSize: 0 bytes/workgroup (compile time only)
; SGPRBlocks: 0
; VGPRBlocks: 0
; NumSGPRsForWavesPerEU: 4
; NumVGPRsForWavesPerEU: 1
; AccumOffset: 4
; Occupancy: 8
; WaveLimiterHint : 0
; COMPUTE_PGM_RSRC2:SCRATCH_EN: 0
; COMPUTE_PGM_RSRC2:USER_SGPR: 6
; COMPUTE_PGM_RSRC2:TRAP_HANDLER: 0
; COMPUTE_PGM_RSRC2:TGID_X_EN: 1
; COMPUTE_PGM_RSRC2:TGID_Y_EN: 0
; COMPUTE_PGM_RSRC2:TGID_Z_EN: 0
; COMPUTE_PGM_RSRC2:TIDIG_COMP_CNT: 0
; COMPUTE_PGM_RSRC3_GFX90A:ACCUM_OFFSET: 0
; COMPUTE_PGM_RSRC3_GFX90A:TG_SPLIT: 0
	.section	.text._ZN7rocprim17ROCPRIM_400000_NS6detail17trampoline_kernelINS0_14default_configENS1_25partition_config_selectorILNS1_17partition_subalgoE8EjNS0_10empty_typeEbEEZZNS1_14partition_implILS5_8ELb0ES3_jPKjPS6_PKS6_NS0_5tupleIJPjS6_EEENSE_IJSB_SB_EEENS0_18inequality_wrapperIN6hipcub16HIPCUB_304000_NS8EqualityEEEPlJS6_EEE10hipError_tPvRmT3_T4_T5_T6_T7_T9_mT8_P12ihipStream_tbDpT10_ENKUlT_T0_E_clISt17integral_constantIbLb1EES16_IbLb0EEEEDaS12_S13_EUlS12_E_NS1_11comp_targetILNS1_3genE8ELNS1_11target_archE1030ELNS1_3gpuE2ELNS1_3repE0EEENS1_30default_config_static_selectorELNS0_4arch9wavefront6targetE1EEEvT1_,"axG",@progbits,_ZN7rocprim17ROCPRIM_400000_NS6detail17trampoline_kernelINS0_14default_configENS1_25partition_config_selectorILNS1_17partition_subalgoE8EjNS0_10empty_typeEbEEZZNS1_14partition_implILS5_8ELb0ES3_jPKjPS6_PKS6_NS0_5tupleIJPjS6_EEENSE_IJSB_SB_EEENS0_18inequality_wrapperIN6hipcub16HIPCUB_304000_NS8EqualityEEEPlJS6_EEE10hipError_tPvRmT3_T4_T5_T6_T7_T9_mT8_P12ihipStream_tbDpT10_ENKUlT_T0_E_clISt17integral_constantIbLb1EES16_IbLb0EEEEDaS12_S13_EUlS12_E_NS1_11comp_targetILNS1_3genE8ELNS1_11target_archE1030ELNS1_3gpuE2ELNS1_3repE0EEENS1_30default_config_static_selectorELNS0_4arch9wavefront6targetE1EEEvT1_,comdat
	.protected	_ZN7rocprim17ROCPRIM_400000_NS6detail17trampoline_kernelINS0_14default_configENS1_25partition_config_selectorILNS1_17partition_subalgoE8EjNS0_10empty_typeEbEEZZNS1_14partition_implILS5_8ELb0ES3_jPKjPS6_PKS6_NS0_5tupleIJPjS6_EEENSE_IJSB_SB_EEENS0_18inequality_wrapperIN6hipcub16HIPCUB_304000_NS8EqualityEEEPlJS6_EEE10hipError_tPvRmT3_T4_T5_T6_T7_T9_mT8_P12ihipStream_tbDpT10_ENKUlT_T0_E_clISt17integral_constantIbLb1EES16_IbLb0EEEEDaS12_S13_EUlS12_E_NS1_11comp_targetILNS1_3genE8ELNS1_11target_archE1030ELNS1_3gpuE2ELNS1_3repE0EEENS1_30default_config_static_selectorELNS0_4arch9wavefront6targetE1EEEvT1_ ; -- Begin function _ZN7rocprim17ROCPRIM_400000_NS6detail17trampoline_kernelINS0_14default_configENS1_25partition_config_selectorILNS1_17partition_subalgoE8EjNS0_10empty_typeEbEEZZNS1_14partition_implILS5_8ELb0ES3_jPKjPS6_PKS6_NS0_5tupleIJPjS6_EEENSE_IJSB_SB_EEENS0_18inequality_wrapperIN6hipcub16HIPCUB_304000_NS8EqualityEEEPlJS6_EEE10hipError_tPvRmT3_T4_T5_T6_T7_T9_mT8_P12ihipStream_tbDpT10_ENKUlT_T0_E_clISt17integral_constantIbLb1EES16_IbLb0EEEEDaS12_S13_EUlS12_E_NS1_11comp_targetILNS1_3genE8ELNS1_11target_archE1030ELNS1_3gpuE2ELNS1_3repE0EEENS1_30default_config_static_selectorELNS0_4arch9wavefront6targetE1EEEvT1_
	.globl	_ZN7rocprim17ROCPRIM_400000_NS6detail17trampoline_kernelINS0_14default_configENS1_25partition_config_selectorILNS1_17partition_subalgoE8EjNS0_10empty_typeEbEEZZNS1_14partition_implILS5_8ELb0ES3_jPKjPS6_PKS6_NS0_5tupleIJPjS6_EEENSE_IJSB_SB_EEENS0_18inequality_wrapperIN6hipcub16HIPCUB_304000_NS8EqualityEEEPlJS6_EEE10hipError_tPvRmT3_T4_T5_T6_T7_T9_mT8_P12ihipStream_tbDpT10_ENKUlT_T0_E_clISt17integral_constantIbLb1EES16_IbLb0EEEEDaS12_S13_EUlS12_E_NS1_11comp_targetILNS1_3genE8ELNS1_11target_archE1030ELNS1_3gpuE2ELNS1_3repE0EEENS1_30default_config_static_selectorELNS0_4arch9wavefront6targetE1EEEvT1_
	.p2align	8
	.type	_ZN7rocprim17ROCPRIM_400000_NS6detail17trampoline_kernelINS0_14default_configENS1_25partition_config_selectorILNS1_17partition_subalgoE8EjNS0_10empty_typeEbEEZZNS1_14partition_implILS5_8ELb0ES3_jPKjPS6_PKS6_NS0_5tupleIJPjS6_EEENSE_IJSB_SB_EEENS0_18inequality_wrapperIN6hipcub16HIPCUB_304000_NS8EqualityEEEPlJS6_EEE10hipError_tPvRmT3_T4_T5_T6_T7_T9_mT8_P12ihipStream_tbDpT10_ENKUlT_T0_E_clISt17integral_constantIbLb1EES16_IbLb0EEEEDaS12_S13_EUlS12_E_NS1_11comp_targetILNS1_3genE8ELNS1_11target_archE1030ELNS1_3gpuE2ELNS1_3repE0EEENS1_30default_config_static_selectorELNS0_4arch9wavefront6targetE1EEEvT1_,@function
_ZN7rocprim17ROCPRIM_400000_NS6detail17trampoline_kernelINS0_14default_configENS1_25partition_config_selectorILNS1_17partition_subalgoE8EjNS0_10empty_typeEbEEZZNS1_14partition_implILS5_8ELb0ES3_jPKjPS6_PKS6_NS0_5tupleIJPjS6_EEENSE_IJSB_SB_EEENS0_18inequality_wrapperIN6hipcub16HIPCUB_304000_NS8EqualityEEEPlJS6_EEE10hipError_tPvRmT3_T4_T5_T6_T7_T9_mT8_P12ihipStream_tbDpT10_ENKUlT_T0_E_clISt17integral_constantIbLb1EES16_IbLb0EEEEDaS12_S13_EUlS12_E_NS1_11comp_targetILNS1_3genE8ELNS1_11target_archE1030ELNS1_3gpuE2ELNS1_3repE0EEENS1_30default_config_static_selectorELNS0_4arch9wavefront6targetE1EEEvT1_: ; @_ZN7rocprim17ROCPRIM_400000_NS6detail17trampoline_kernelINS0_14default_configENS1_25partition_config_selectorILNS1_17partition_subalgoE8EjNS0_10empty_typeEbEEZZNS1_14partition_implILS5_8ELb0ES3_jPKjPS6_PKS6_NS0_5tupleIJPjS6_EEENSE_IJSB_SB_EEENS0_18inequality_wrapperIN6hipcub16HIPCUB_304000_NS8EqualityEEEPlJS6_EEE10hipError_tPvRmT3_T4_T5_T6_T7_T9_mT8_P12ihipStream_tbDpT10_ENKUlT_T0_E_clISt17integral_constantIbLb1EES16_IbLb0EEEEDaS12_S13_EUlS12_E_NS1_11comp_targetILNS1_3genE8ELNS1_11target_archE1030ELNS1_3gpuE2ELNS1_3repE0EEENS1_30default_config_static_selectorELNS0_4arch9wavefront6targetE1EEEvT1_
; %bb.0:
	.section	.rodata,"a",@progbits
	.p2align	6, 0x0
	.amdhsa_kernel _ZN7rocprim17ROCPRIM_400000_NS6detail17trampoline_kernelINS0_14default_configENS1_25partition_config_selectorILNS1_17partition_subalgoE8EjNS0_10empty_typeEbEEZZNS1_14partition_implILS5_8ELb0ES3_jPKjPS6_PKS6_NS0_5tupleIJPjS6_EEENSE_IJSB_SB_EEENS0_18inequality_wrapperIN6hipcub16HIPCUB_304000_NS8EqualityEEEPlJS6_EEE10hipError_tPvRmT3_T4_T5_T6_T7_T9_mT8_P12ihipStream_tbDpT10_ENKUlT_T0_E_clISt17integral_constantIbLb1EES16_IbLb0EEEEDaS12_S13_EUlS12_E_NS1_11comp_targetILNS1_3genE8ELNS1_11target_archE1030ELNS1_3gpuE2ELNS1_3repE0EEENS1_30default_config_static_selectorELNS0_4arch9wavefront6targetE1EEEvT1_
		.amdhsa_group_segment_fixed_size 0
		.amdhsa_private_segment_fixed_size 0
		.amdhsa_kernarg_size 112
		.amdhsa_user_sgpr_count 6
		.amdhsa_user_sgpr_private_segment_buffer 1
		.amdhsa_user_sgpr_dispatch_ptr 0
		.amdhsa_user_sgpr_queue_ptr 0
		.amdhsa_user_sgpr_kernarg_segment_ptr 1
		.amdhsa_user_sgpr_dispatch_id 0
		.amdhsa_user_sgpr_flat_scratch_init 0
		.amdhsa_user_sgpr_kernarg_preload_length 0
		.amdhsa_user_sgpr_kernarg_preload_offset 0
		.amdhsa_user_sgpr_private_segment_size 0
		.amdhsa_uses_dynamic_stack 0
		.amdhsa_system_sgpr_private_segment_wavefront_offset 0
		.amdhsa_system_sgpr_workgroup_id_x 1
		.amdhsa_system_sgpr_workgroup_id_y 0
		.amdhsa_system_sgpr_workgroup_id_z 0
		.amdhsa_system_sgpr_workgroup_info 0
		.amdhsa_system_vgpr_workitem_id 0
		.amdhsa_next_free_vgpr 1
		.amdhsa_next_free_sgpr 0
		.amdhsa_accum_offset 4
		.amdhsa_reserve_vcc 0
		.amdhsa_reserve_flat_scratch 0
		.amdhsa_float_round_mode_32 0
		.amdhsa_float_round_mode_16_64 0
		.amdhsa_float_denorm_mode_32 3
		.amdhsa_float_denorm_mode_16_64 3
		.amdhsa_dx10_clamp 1
		.amdhsa_ieee_mode 1
		.amdhsa_fp16_overflow 0
		.amdhsa_tg_split 0
		.amdhsa_exception_fp_ieee_invalid_op 0
		.amdhsa_exception_fp_denorm_src 0
		.amdhsa_exception_fp_ieee_div_zero 0
		.amdhsa_exception_fp_ieee_overflow 0
		.amdhsa_exception_fp_ieee_underflow 0
		.amdhsa_exception_fp_ieee_inexact 0
		.amdhsa_exception_int_div_zero 0
	.end_amdhsa_kernel
	.section	.text._ZN7rocprim17ROCPRIM_400000_NS6detail17trampoline_kernelINS0_14default_configENS1_25partition_config_selectorILNS1_17partition_subalgoE8EjNS0_10empty_typeEbEEZZNS1_14partition_implILS5_8ELb0ES3_jPKjPS6_PKS6_NS0_5tupleIJPjS6_EEENSE_IJSB_SB_EEENS0_18inequality_wrapperIN6hipcub16HIPCUB_304000_NS8EqualityEEEPlJS6_EEE10hipError_tPvRmT3_T4_T5_T6_T7_T9_mT8_P12ihipStream_tbDpT10_ENKUlT_T0_E_clISt17integral_constantIbLb1EES16_IbLb0EEEEDaS12_S13_EUlS12_E_NS1_11comp_targetILNS1_3genE8ELNS1_11target_archE1030ELNS1_3gpuE2ELNS1_3repE0EEENS1_30default_config_static_selectorELNS0_4arch9wavefront6targetE1EEEvT1_,"axG",@progbits,_ZN7rocprim17ROCPRIM_400000_NS6detail17trampoline_kernelINS0_14default_configENS1_25partition_config_selectorILNS1_17partition_subalgoE8EjNS0_10empty_typeEbEEZZNS1_14partition_implILS5_8ELb0ES3_jPKjPS6_PKS6_NS0_5tupleIJPjS6_EEENSE_IJSB_SB_EEENS0_18inequality_wrapperIN6hipcub16HIPCUB_304000_NS8EqualityEEEPlJS6_EEE10hipError_tPvRmT3_T4_T5_T6_T7_T9_mT8_P12ihipStream_tbDpT10_ENKUlT_T0_E_clISt17integral_constantIbLb1EES16_IbLb0EEEEDaS12_S13_EUlS12_E_NS1_11comp_targetILNS1_3genE8ELNS1_11target_archE1030ELNS1_3gpuE2ELNS1_3repE0EEENS1_30default_config_static_selectorELNS0_4arch9wavefront6targetE1EEEvT1_,comdat
.Lfunc_end640:
	.size	_ZN7rocprim17ROCPRIM_400000_NS6detail17trampoline_kernelINS0_14default_configENS1_25partition_config_selectorILNS1_17partition_subalgoE8EjNS0_10empty_typeEbEEZZNS1_14partition_implILS5_8ELb0ES3_jPKjPS6_PKS6_NS0_5tupleIJPjS6_EEENSE_IJSB_SB_EEENS0_18inequality_wrapperIN6hipcub16HIPCUB_304000_NS8EqualityEEEPlJS6_EEE10hipError_tPvRmT3_T4_T5_T6_T7_T9_mT8_P12ihipStream_tbDpT10_ENKUlT_T0_E_clISt17integral_constantIbLb1EES16_IbLb0EEEEDaS12_S13_EUlS12_E_NS1_11comp_targetILNS1_3genE8ELNS1_11target_archE1030ELNS1_3gpuE2ELNS1_3repE0EEENS1_30default_config_static_selectorELNS0_4arch9wavefront6targetE1EEEvT1_, .Lfunc_end640-_ZN7rocprim17ROCPRIM_400000_NS6detail17trampoline_kernelINS0_14default_configENS1_25partition_config_selectorILNS1_17partition_subalgoE8EjNS0_10empty_typeEbEEZZNS1_14partition_implILS5_8ELb0ES3_jPKjPS6_PKS6_NS0_5tupleIJPjS6_EEENSE_IJSB_SB_EEENS0_18inequality_wrapperIN6hipcub16HIPCUB_304000_NS8EqualityEEEPlJS6_EEE10hipError_tPvRmT3_T4_T5_T6_T7_T9_mT8_P12ihipStream_tbDpT10_ENKUlT_T0_E_clISt17integral_constantIbLb1EES16_IbLb0EEEEDaS12_S13_EUlS12_E_NS1_11comp_targetILNS1_3genE8ELNS1_11target_archE1030ELNS1_3gpuE2ELNS1_3repE0EEENS1_30default_config_static_selectorELNS0_4arch9wavefront6targetE1EEEvT1_
                                        ; -- End function
	.section	.AMDGPU.csdata,"",@progbits
; Kernel info:
; codeLenInByte = 0
; NumSgprs: 4
; NumVgprs: 0
; NumAgprs: 0
; TotalNumVgprs: 0
; ScratchSize: 0
; MemoryBound: 0
; FloatMode: 240
; IeeeMode: 1
; LDSByteSize: 0 bytes/workgroup (compile time only)
; SGPRBlocks: 0
; VGPRBlocks: 0
; NumSGPRsForWavesPerEU: 4
; NumVGPRsForWavesPerEU: 1
; AccumOffset: 4
; Occupancy: 8
; WaveLimiterHint : 0
; COMPUTE_PGM_RSRC2:SCRATCH_EN: 0
; COMPUTE_PGM_RSRC2:USER_SGPR: 6
; COMPUTE_PGM_RSRC2:TRAP_HANDLER: 0
; COMPUTE_PGM_RSRC2:TGID_X_EN: 1
; COMPUTE_PGM_RSRC2:TGID_Y_EN: 0
; COMPUTE_PGM_RSRC2:TGID_Z_EN: 0
; COMPUTE_PGM_RSRC2:TIDIG_COMP_CNT: 0
; COMPUTE_PGM_RSRC3_GFX90A:ACCUM_OFFSET: 0
; COMPUTE_PGM_RSRC3_GFX90A:TG_SPLIT: 0
	.section	.text._ZN7rocprim17ROCPRIM_400000_NS6detail17trampoline_kernelINS0_14default_configENS1_25partition_config_selectorILNS1_17partition_subalgoE8EjNS0_10empty_typeEbEEZZNS1_14partition_implILS5_8ELb0ES3_jPKjPS6_PKS6_NS0_5tupleIJPjS6_EEENSE_IJSB_SB_EEENS0_18inequality_wrapperIN6hipcub16HIPCUB_304000_NS8EqualityEEEPlJS6_EEE10hipError_tPvRmT3_T4_T5_T6_T7_T9_mT8_P12ihipStream_tbDpT10_ENKUlT_T0_E_clISt17integral_constantIbLb0EES16_IbLb1EEEEDaS12_S13_EUlS12_E_NS1_11comp_targetILNS1_3genE0ELNS1_11target_archE4294967295ELNS1_3gpuE0ELNS1_3repE0EEENS1_30default_config_static_selectorELNS0_4arch9wavefront6targetE1EEEvT1_,"axG",@progbits,_ZN7rocprim17ROCPRIM_400000_NS6detail17trampoline_kernelINS0_14default_configENS1_25partition_config_selectorILNS1_17partition_subalgoE8EjNS0_10empty_typeEbEEZZNS1_14partition_implILS5_8ELb0ES3_jPKjPS6_PKS6_NS0_5tupleIJPjS6_EEENSE_IJSB_SB_EEENS0_18inequality_wrapperIN6hipcub16HIPCUB_304000_NS8EqualityEEEPlJS6_EEE10hipError_tPvRmT3_T4_T5_T6_T7_T9_mT8_P12ihipStream_tbDpT10_ENKUlT_T0_E_clISt17integral_constantIbLb0EES16_IbLb1EEEEDaS12_S13_EUlS12_E_NS1_11comp_targetILNS1_3genE0ELNS1_11target_archE4294967295ELNS1_3gpuE0ELNS1_3repE0EEENS1_30default_config_static_selectorELNS0_4arch9wavefront6targetE1EEEvT1_,comdat
	.protected	_ZN7rocprim17ROCPRIM_400000_NS6detail17trampoline_kernelINS0_14default_configENS1_25partition_config_selectorILNS1_17partition_subalgoE8EjNS0_10empty_typeEbEEZZNS1_14partition_implILS5_8ELb0ES3_jPKjPS6_PKS6_NS0_5tupleIJPjS6_EEENSE_IJSB_SB_EEENS0_18inequality_wrapperIN6hipcub16HIPCUB_304000_NS8EqualityEEEPlJS6_EEE10hipError_tPvRmT3_T4_T5_T6_T7_T9_mT8_P12ihipStream_tbDpT10_ENKUlT_T0_E_clISt17integral_constantIbLb0EES16_IbLb1EEEEDaS12_S13_EUlS12_E_NS1_11comp_targetILNS1_3genE0ELNS1_11target_archE4294967295ELNS1_3gpuE0ELNS1_3repE0EEENS1_30default_config_static_selectorELNS0_4arch9wavefront6targetE1EEEvT1_ ; -- Begin function _ZN7rocprim17ROCPRIM_400000_NS6detail17trampoline_kernelINS0_14default_configENS1_25partition_config_selectorILNS1_17partition_subalgoE8EjNS0_10empty_typeEbEEZZNS1_14partition_implILS5_8ELb0ES3_jPKjPS6_PKS6_NS0_5tupleIJPjS6_EEENSE_IJSB_SB_EEENS0_18inequality_wrapperIN6hipcub16HIPCUB_304000_NS8EqualityEEEPlJS6_EEE10hipError_tPvRmT3_T4_T5_T6_T7_T9_mT8_P12ihipStream_tbDpT10_ENKUlT_T0_E_clISt17integral_constantIbLb0EES16_IbLb1EEEEDaS12_S13_EUlS12_E_NS1_11comp_targetILNS1_3genE0ELNS1_11target_archE4294967295ELNS1_3gpuE0ELNS1_3repE0EEENS1_30default_config_static_selectorELNS0_4arch9wavefront6targetE1EEEvT1_
	.globl	_ZN7rocprim17ROCPRIM_400000_NS6detail17trampoline_kernelINS0_14default_configENS1_25partition_config_selectorILNS1_17partition_subalgoE8EjNS0_10empty_typeEbEEZZNS1_14partition_implILS5_8ELb0ES3_jPKjPS6_PKS6_NS0_5tupleIJPjS6_EEENSE_IJSB_SB_EEENS0_18inequality_wrapperIN6hipcub16HIPCUB_304000_NS8EqualityEEEPlJS6_EEE10hipError_tPvRmT3_T4_T5_T6_T7_T9_mT8_P12ihipStream_tbDpT10_ENKUlT_T0_E_clISt17integral_constantIbLb0EES16_IbLb1EEEEDaS12_S13_EUlS12_E_NS1_11comp_targetILNS1_3genE0ELNS1_11target_archE4294967295ELNS1_3gpuE0ELNS1_3repE0EEENS1_30default_config_static_selectorELNS0_4arch9wavefront6targetE1EEEvT1_
	.p2align	8
	.type	_ZN7rocprim17ROCPRIM_400000_NS6detail17trampoline_kernelINS0_14default_configENS1_25partition_config_selectorILNS1_17partition_subalgoE8EjNS0_10empty_typeEbEEZZNS1_14partition_implILS5_8ELb0ES3_jPKjPS6_PKS6_NS0_5tupleIJPjS6_EEENSE_IJSB_SB_EEENS0_18inequality_wrapperIN6hipcub16HIPCUB_304000_NS8EqualityEEEPlJS6_EEE10hipError_tPvRmT3_T4_T5_T6_T7_T9_mT8_P12ihipStream_tbDpT10_ENKUlT_T0_E_clISt17integral_constantIbLb0EES16_IbLb1EEEEDaS12_S13_EUlS12_E_NS1_11comp_targetILNS1_3genE0ELNS1_11target_archE4294967295ELNS1_3gpuE0ELNS1_3repE0EEENS1_30default_config_static_selectorELNS0_4arch9wavefront6targetE1EEEvT1_,@function
_ZN7rocprim17ROCPRIM_400000_NS6detail17trampoline_kernelINS0_14default_configENS1_25partition_config_selectorILNS1_17partition_subalgoE8EjNS0_10empty_typeEbEEZZNS1_14partition_implILS5_8ELb0ES3_jPKjPS6_PKS6_NS0_5tupleIJPjS6_EEENSE_IJSB_SB_EEENS0_18inequality_wrapperIN6hipcub16HIPCUB_304000_NS8EqualityEEEPlJS6_EEE10hipError_tPvRmT3_T4_T5_T6_T7_T9_mT8_P12ihipStream_tbDpT10_ENKUlT_T0_E_clISt17integral_constantIbLb0EES16_IbLb1EEEEDaS12_S13_EUlS12_E_NS1_11comp_targetILNS1_3genE0ELNS1_11target_archE4294967295ELNS1_3gpuE0ELNS1_3repE0EEENS1_30default_config_static_selectorELNS0_4arch9wavefront6targetE1EEEvT1_: ; @_ZN7rocprim17ROCPRIM_400000_NS6detail17trampoline_kernelINS0_14default_configENS1_25partition_config_selectorILNS1_17partition_subalgoE8EjNS0_10empty_typeEbEEZZNS1_14partition_implILS5_8ELb0ES3_jPKjPS6_PKS6_NS0_5tupleIJPjS6_EEENSE_IJSB_SB_EEENS0_18inequality_wrapperIN6hipcub16HIPCUB_304000_NS8EqualityEEEPlJS6_EEE10hipError_tPvRmT3_T4_T5_T6_T7_T9_mT8_P12ihipStream_tbDpT10_ENKUlT_T0_E_clISt17integral_constantIbLb0EES16_IbLb1EEEEDaS12_S13_EUlS12_E_NS1_11comp_targetILNS1_3genE0ELNS1_11target_archE4294967295ELNS1_3gpuE0ELNS1_3repE0EEENS1_30default_config_static_selectorELNS0_4arch9wavefront6targetE1EEEvT1_
; %bb.0:
	.section	.rodata,"a",@progbits
	.p2align	6, 0x0
	.amdhsa_kernel _ZN7rocprim17ROCPRIM_400000_NS6detail17trampoline_kernelINS0_14default_configENS1_25partition_config_selectorILNS1_17partition_subalgoE8EjNS0_10empty_typeEbEEZZNS1_14partition_implILS5_8ELb0ES3_jPKjPS6_PKS6_NS0_5tupleIJPjS6_EEENSE_IJSB_SB_EEENS0_18inequality_wrapperIN6hipcub16HIPCUB_304000_NS8EqualityEEEPlJS6_EEE10hipError_tPvRmT3_T4_T5_T6_T7_T9_mT8_P12ihipStream_tbDpT10_ENKUlT_T0_E_clISt17integral_constantIbLb0EES16_IbLb1EEEEDaS12_S13_EUlS12_E_NS1_11comp_targetILNS1_3genE0ELNS1_11target_archE4294967295ELNS1_3gpuE0ELNS1_3repE0EEENS1_30default_config_static_selectorELNS0_4arch9wavefront6targetE1EEEvT1_
		.amdhsa_group_segment_fixed_size 0
		.amdhsa_private_segment_fixed_size 0
		.amdhsa_kernarg_size 128
		.amdhsa_user_sgpr_count 6
		.amdhsa_user_sgpr_private_segment_buffer 1
		.amdhsa_user_sgpr_dispatch_ptr 0
		.amdhsa_user_sgpr_queue_ptr 0
		.amdhsa_user_sgpr_kernarg_segment_ptr 1
		.amdhsa_user_sgpr_dispatch_id 0
		.amdhsa_user_sgpr_flat_scratch_init 0
		.amdhsa_user_sgpr_kernarg_preload_length 0
		.amdhsa_user_sgpr_kernarg_preload_offset 0
		.amdhsa_user_sgpr_private_segment_size 0
		.amdhsa_uses_dynamic_stack 0
		.amdhsa_system_sgpr_private_segment_wavefront_offset 0
		.amdhsa_system_sgpr_workgroup_id_x 1
		.amdhsa_system_sgpr_workgroup_id_y 0
		.amdhsa_system_sgpr_workgroup_id_z 0
		.amdhsa_system_sgpr_workgroup_info 0
		.amdhsa_system_vgpr_workitem_id 0
		.amdhsa_next_free_vgpr 1
		.amdhsa_next_free_sgpr 0
		.amdhsa_accum_offset 4
		.amdhsa_reserve_vcc 0
		.amdhsa_reserve_flat_scratch 0
		.amdhsa_float_round_mode_32 0
		.amdhsa_float_round_mode_16_64 0
		.amdhsa_float_denorm_mode_32 3
		.amdhsa_float_denorm_mode_16_64 3
		.amdhsa_dx10_clamp 1
		.amdhsa_ieee_mode 1
		.amdhsa_fp16_overflow 0
		.amdhsa_tg_split 0
		.amdhsa_exception_fp_ieee_invalid_op 0
		.amdhsa_exception_fp_denorm_src 0
		.amdhsa_exception_fp_ieee_div_zero 0
		.amdhsa_exception_fp_ieee_overflow 0
		.amdhsa_exception_fp_ieee_underflow 0
		.amdhsa_exception_fp_ieee_inexact 0
		.amdhsa_exception_int_div_zero 0
	.end_amdhsa_kernel
	.section	.text._ZN7rocprim17ROCPRIM_400000_NS6detail17trampoline_kernelINS0_14default_configENS1_25partition_config_selectorILNS1_17partition_subalgoE8EjNS0_10empty_typeEbEEZZNS1_14partition_implILS5_8ELb0ES3_jPKjPS6_PKS6_NS0_5tupleIJPjS6_EEENSE_IJSB_SB_EEENS0_18inequality_wrapperIN6hipcub16HIPCUB_304000_NS8EqualityEEEPlJS6_EEE10hipError_tPvRmT3_T4_T5_T6_T7_T9_mT8_P12ihipStream_tbDpT10_ENKUlT_T0_E_clISt17integral_constantIbLb0EES16_IbLb1EEEEDaS12_S13_EUlS12_E_NS1_11comp_targetILNS1_3genE0ELNS1_11target_archE4294967295ELNS1_3gpuE0ELNS1_3repE0EEENS1_30default_config_static_selectorELNS0_4arch9wavefront6targetE1EEEvT1_,"axG",@progbits,_ZN7rocprim17ROCPRIM_400000_NS6detail17trampoline_kernelINS0_14default_configENS1_25partition_config_selectorILNS1_17partition_subalgoE8EjNS0_10empty_typeEbEEZZNS1_14partition_implILS5_8ELb0ES3_jPKjPS6_PKS6_NS0_5tupleIJPjS6_EEENSE_IJSB_SB_EEENS0_18inequality_wrapperIN6hipcub16HIPCUB_304000_NS8EqualityEEEPlJS6_EEE10hipError_tPvRmT3_T4_T5_T6_T7_T9_mT8_P12ihipStream_tbDpT10_ENKUlT_T0_E_clISt17integral_constantIbLb0EES16_IbLb1EEEEDaS12_S13_EUlS12_E_NS1_11comp_targetILNS1_3genE0ELNS1_11target_archE4294967295ELNS1_3gpuE0ELNS1_3repE0EEENS1_30default_config_static_selectorELNS0_4arch9wavefront6targetE1EEEvT1_,comdat
.Lfunc_end641:
	.size	_ZN7rocprim17ROCPRIM_400000_NS6detail17trampoline_kernelINS0_14default_configENS1_25partition_config_selectorILNS1_17partition_subalgoE8EjNS0_10empty_typeEbEEZZNS1_14partition_implILS5_8ELb0ES3_jPKjPS6_PKS6_NS0_5tupleIJPjS6_EEENSE_IJSB_SB_EEENS0_18inequality_wrapperIN6hipcub16HIPCUB_304000_NS8EqualityEEEPlJS6_EEE10hipError_tPvRmT3_T4_T5_T6_T7_T9_mT8_P12ihipStream_tbDpT10_ENKUlT_T0_E_clISt17integral_constantIbLb0EES16_IbLb1EEEEDaS12_S13_EUlS12_E_NS1_11comp_targetILNS1_3genE0ELNS1_11target_archE4294967295ELNS1_3gpuE0ELNS1_3repE0EEENS1_30default_config_static_selectorELNS0_4arch9wavefront6targetE1EEEvT1_, .Lfunc_end641-_ZN7rocprim17ROCPRIM_400000_NS6detail17trampoline_kernelINS0_14default_configENS1_25partition_config_selectorILNS1_17partition_subalgoE8EjNS0_10empty_typeEbEEZZNS1_14partition_implILS5_8ELb0ES3_jPKjPS6_PKS6_NS0_5tupleIJPjS6_EEENSE_IJSB_SB_EEENS0_18inequality_wrapperIN6hipcub16HIPCUB_304000_NS8EqualityEEEPlJS6_EEE10hipError_tPvRmT3_T4_T5_T6_T7_T9_mT8_P12ihipStream_tbDpT10_ENKUlT_T0_E_clISt17integral_constantIbLb0EES16_IbLb1EEEEDaS12_S13_EUlS12_E_NS1_11comp_targetILNS1_3genE0ELNS1_11target_archE4294967295ELNS1_3gpuE0ELNS1_3repE0EEENS1_30default_config_static_selectorELNS0_4arch9wavefront6targetE1EEEvT1_
                                        ; -- End function
	.section	.AMDGPU.csdata,"",@progbits
; Kernel info:
; codeLenInByte = 0
; NumSgprs: 4
; NumVgprs: 0
; NumAgprs: 0
; TotalNumVgprs: 0
; ScratchSize: 0
; MemoryBound: 0
; FloatMode: 240
; IeeeMode: 1
; LDSByteSize: 0 bytes/workgroup (compile time only)
; SGPRBlocks: 0
; VGPRBlocks: 0
; NumSGPRsForWavesPerEU: 4
; NumVGPRsForWavesPerEU: 1
; AccumOffset: 4
; Occupancy: 8
; WaveLimiterHint : 0
; COMPUTE_PGM_RSRC2:SCRATCH_EN: 0
; COMPUTE_PGM_RSRC2:USER_SGPR: 6
; COMPUTE_PGM_RSRC2:TRAP_HANDLER: 0
; COMPUTE_PGM_RSRC2:TGID_X_EN: 1
; COMPUTE_PGM_RSRC2:TGID_Y_EN: 0
; COMPUTE_PGM_RSRC2:TGID_Z_EN: 0
; COMPUTE_PGM_RSRC2:TIDIG_COMP_CNT: 0
; COMPUTE_PGM_RSRC3_GFX90A:ACCUM_OFFSET: 0
; COMPUTE_PGM_RSRC3_GFX90A:TG_SPLIT: 0
	.section	.text._ZN7rocprim17ROCPRIM_400000_NS6detail17trampoline_kernelINS0_14default_configENS1_25partition_config_selectorILNS1_17partition_subalgoE8EjNS0_10empty_typeEbEEZZNS1_14partition_implILS5_8ELb0ES3_jPKjPS6_PKS6_NS0_5tupleIJPjS6_EEENSE_IJSB_SB_EEENS0_18inequality_wrapperIN6hipcub16HIPCUB_304000_NS8EqualityEEEPlJS6_EEE10hipError_tPvRmT3_T4_T5_T6_T7_T9_mT8_P12ihipStream_tbDpT10_ENKUlT_T0_E_clISt17integral_constantIbLb0EES16_IbLb1EEEEDaS12_S13_EUlS12_E_NS1_11comp_targetILNS1_3genE5ELNS1_11target_archE942ELNS1_3gpuE9ELNS1_3repE0EEENS1_30default_config_static_selectorELNS0_4arch9wavefront6targetE1EEEvT1_,"axG",@progbits,_ZN7rocprim17ROCPRIM_400000_NS6detail17trampoline_kernelINS0_14default_configENS1_25partition_config_selectorILNS1_17partition_subalgoE8EjNS0_10empty_typeEbEEZZNS1_14partition_implILS5_8ELb0ES3_jPKjPS6_PKS6_NS0_5tupleIJPjS6_EEENSE_IJSB_SB_EEENS0_18inequality_wrapperIN6hipcub16HIPCUB_304000_NS8EqualityEEEPlJS6_EEE10hipError_tPvRmT3_T4_T5_T6_T7_T9_mT8_P12ihipStream_tbDpT10_ENKUlT_T0_E_clISt17integral_constantIbLb0EES16_IbLb1EEEEDaS12_S13_EUlS12_E_NS1_11comp_targetILNS1_3genE5ELNS1_11target_archE942ELNS1_3gpuE9ELNS1_3repE0EEENS1_30default_config_static_selectorELNS0_4arch9wavefront6targetE1EEEvT1_,comdat
	.protected	_ZN7rocprim17ROCPRIM_400000_NS6detail17trampoline_kernelINS0_14default_configENS1_25partition_config_selectorILNS1_17partition_subalgoE8EjNS0_10empty_typeEbEEZZNS1_14partition_implILS5_8ELb0ES3_jPKjPS6_PKS6_NS0_5tupleIJPjS6_EEENSE_IJSB_SB_EEENS0_18inequality_wrapperIN6hipcub16HIPCUB_304000_NS8EqualityEEEPlJS6_EEE10hipError_tPvRmT3_T4_T5_T6_T7_T9_mT8_P12ihipStream_tbDpT10_ENKUlT_T0_E_clISt17integral_constantIbLb0EES16_IbLb1EEEEDaS12_S13_EUlS12_E_NS1_11comp_targetILNS1_3genE5ELNS1_11target_archE942ELNS1_3gpuE9ELNS1_3repE0EEENS1_30default_config_static_selectorELNS0_4arch9wavefront6targetE1EEEvT1_ ; -- Begin function _ZN7rocprim17ROCPRIM_400000_NS6detail17trampoline_kernelINS0_14default_configENS1_25partition_config_selectorILNS1_17partition_subalgoE8EjNS0_10empty_typeEbEEZZNS1_14partition_implILS5_8ELb0ES3_jPKjPS6_PKS6_NS0_5tupleIJPjS6_EEENSE_IJSB_SB_EEENS0_18inequality_wrapperIN6hipcub16HIPCUB_304000_NS8EqualityEEEPlJS6_EEE10hipError_tPvRmT3_T4_T5_T6_T7_T9_mT8_P12ihipStream_tbDpT10_ENKUlT_T0_E_clISt17integral_constantIbLb0EES16_IbLb1EEEEDaS12_S13_EUlS12_E_NS1_11comp_targetILNS1_3genE5ELNS1_11target_archE942ELNS1_3gpuE9ELNS1_3repE0EEENS1_30default_config_static_selectorELNS0_4arch9wavefront6targetE1EEEvT1_
	.globl	_ZN7rocprim17ROCPRIM_400000_NS6detail17trampoline_kernelINS0_14default_configENS1_25partition_config_selectorILNS1_17partition_subalgoE8EjNS0_10empty_typeEbEEZZNS1_14partition_implILS5_8ELb0ES3_jPKjPS6_PKS6_NS0_5tupleIJPjS6_EEENSE_IJSB_SB_EEENS0_18inequality_wrapperIN6hipcub16HIPCUB_304000_NS8EqualityEEEPlJS6_EEE10hipError_tPvRmT3_T4_T5_T6_T7_T9_mT8_P12ihipStream_tbDpT10_ENKUlT_T0_E_clISt17integral_constantIbLb0EES16_IbLb1EEEEDaS12_S13_EUlS12_E_NS1_11comp_targetILNS1_3genE5ELNS1_11target_archE942ELNS1_3gpuE9ELNS1_3repE0EEENS1_30default_config_static_selectorELNS0_4arch9wavefront6targetE1EEEvT1_
	.p2align	8
	.type	_ZN7rocprim17ROCPRIM_400000_NS6detail17trampoline_kernelINS0_14default_configENS1_25partition_config_selectorILNS1_17partition_subalgoE8EjNS0_10empty_typeEbEEZZNS1_14partition_implILS5_8ELb0ES3_jPKjPS6_PKS6_NS0_5tupleIJPjS6_EEENSE_IJSB_SB_EEENS0_18inequality_wrapperIN6hipcub16HIPCUB_304000_NS8EqualityEEEPlJS6_EEE10hipError_tPvRmT3_T4_T5_T6_T7_T9_mT8_P12ihipStream_tbDpT10_ENKUlT_T0_E_clISt17integral_constantIbLb0EES16_IbLb1EEEEDaS12_S13_EUlS12_E_NS1_11comp_targetILNS1_3genE5ELNS1_11target_archE942ELNS1_3gpuE9ELNS1_3repE0EEENS1_30default_config_static_selectorELNS0_4arch9wavefront6targetE1EEEvT1_,@function
_ZN7rocprim17ROCPRIM_400000_NS6detail17trampoline_kernelINS0_14default_configENS1_25partition_config_selectorILNS1_17partition_subalgoE8EjNS0_10empty_typeEbEEZZNS1_14partition_implILS5_8ELb0ES3_jPKjPS6_PKS6_NS0_5tupleIJPjS6_EEENSE_IJSB_SB_EEENS0_18inequality_wrapperIN6hipcub16HIPCUB_304000_NS8EqualityEEEPlJS6_EEE10hipError_tPvRmT3_T4_T5_T6_T7_T9_mT8_P12ihipStream_tbDpT10_ENKUlT_T0_E_clISt17integral_constantIbLb0EES16_IbLb1EEEEDaS12_S13_EUlS12_E_NS1_11comp_targetILNS1_3genE5ELNS1_11target_archE942ELNS1_3gpuE9ELNS1_3repE0EEENS1_30default_config_static_selectorELNS0_4arch9wavefront6targetE1EEEvT1_: ; @_ZN7rocprim17ROCPRIM_400000_NS6detail17trampoline_kernelINS0_14default_configENS1_25partition_config_selectorILNS1_17partition_subalgoE8EjNS0_10empty_typeEbEEZZNS1_14partition_implILS5_8ELb0ES3_jPKjPS6_PKS6_NS0_5tupleIJPjS6_EEENSE_IJSB_SB_EEENS0_18inequality_wrapperIN6hipcub16HIPCUB_304000_NS8EqualityEEEPlJS6_EEE10hipError_tPvRmT3_T4_T5_T6_T7_T9_mT8_P12ihipStream_tbDpT10_ENKUlT_T0_E_clISt17integral_constantIbLb0EES16_IbLb1EEEEDaS12_S13_EUlS12_E_NS1_11comp_targetILNS1_3genE5ELNS1_11target_archE942ELNS1_3gpuE9ELNS1_3repE0EEENS1_30default_config_static_selectorELNS0_4arch9wavefront6targetE1EEEvT1_
; %bb.0:
	.section	.rodata,"a",@progbits
	.p2align	6, 0x0
	.amdhsa_kernel _ZN7rocprim17ROCPRIM_400000_NS6detail17trampoline_kernelINS0_14default_configENS1_25partition_config_selectorILNS1_17partition_subalgoE8EjNS0_10empty_typeEbEEZZNS1_14partition_implILS5_8ELb0ES3_jPKjPS6_PKS6_NS0_5tupleIJPjS6_EEENSE_IJSB_SB_EEENS0_18inequality_wrapperIN6hipcub16HIPCUB_304000_NS8EqualityEEEPlJS6_EEE10hipError_tPvRmT3_T4_T5_T6_T7_T9_mT8_P12ihipStream_tbDpT10_ENKUlT_T0_E_clISt17integral_constantIbLb0EES16_IbLb1EEEEDaS12_S13_EUlS12_E_NS1_11comp_targetILNS1_3genE5ELNS1_11target_archE942ELNS1_3gpuE9ELNS1_3repE0EEENS1_30default_config_static_selectorELNS0_4arch9wavefront6targetE1EEEvT1_
		.amdhsa_group_segment_fixed_size 0
		.amdhsa_private_segment_fixed_size 0
		.amdhsa_kernarg_size 128
		.amdhsa_user_sgpr_count 6
		.amdhsa_user_sgpr_private_segment_buffer 1
		.amdhsa_user_sgpr_dispatch_ptr 0
		.amdhsa_user_sgpr_queue_ptr 0
		.amdhsa_user_sgpr_kernarg_segment_ptr 1
		.amdhsa_user_sgpr_dispatch_id 0
		.amdhsa_user_sgpr_flat_scratch_init 0
		.amdhsa_user_sgpr_kernarg_preload_length 0
		.amdhsa_user_sgpr_kernarg_preload_offset 0
		.amdhsa_user_sgpr_private_segment_size 0
		.amdhsa_uses_dynamic_stack 0
		.amdhsa_system_sgpr_private_segment_wavefront_offset 0
		.amdhsa_system_sgpr_workgroup_id_x 1
		.amdhsa_system_sgpr_workgroup_id_y 0
		.amdhsa_system_sgpr_workgroup_id_z 0
		.amdhsa_system_sgpr_workgroup_info 0
		.amdhsa_system_vgpr_workitem_id 0
		.amdhsa_next_free_vgpr 1
		.amdhsa_next_free_sgpr 0
		.amdhsa_accum_offset 4
		.amdhsa_reserve_vcc 0
		.amdhsa_reserve_flat_scratch 0
		.amdhsa_float_round_mode_32 0
		.amdhsa_float_round_mode_16_64 0
		.amdhsa_float_denorm_mode_32 3
		.amdhsa_float_denorm_mode_16_64 3
		.amdhsa_dx10_clamp 1
		.amdhsa_ieee_mode 1
		.amdhsa_fp16_overflow 0
		.amdhsa_tg_split 0
		.amdhsa_exception_fp_ieee_invalid_op 0
		.amdhsa_exception_fp_denorm_src 0
		.amdhsa_exception_fp_ieee_div_zero 0
		.amdhsa_exception_fp_ieee_overflow 0
		.amdhsa_exception_fp_ieee_underflow 0
		.amdhsa_exception_fp_ieee_inexact 0
		.amdhsa_exception_int_div_zero 0
	.end_amdhsa_kernel
	.section	.text._ZN7rocprim17ROCPRIM_400000_NS6detail17trampoline_kernelINS0_14default_configENS1_25partition_config_selectorILNS1_17partition_subalgoE8EjNS0_10empty_typeEbEEZZNS1_14partition_implILS5_8ELb0ES3_jPKjPS6_PKS6_NS0_5tupleIJPjS6_EEENSE_IJSB_SB_EEENS0_18inequality_wrapperIN6hipcub16HIPCUB_304000_NS8EqualityEEEPlJS6_EEE10hipError_tPvRmT3_T4_T5_T6_T7_T9_mT8_P12ihipStream_tbDpT10_ENKUlT_T0_E_clISt17integral_constantIbLb0EES16_IbLb1EEEEDaS12_S13_EUlS12_E_NS1_11comp_targetILNS1_3genE5ELNS1_11target_archE942ELNS1_3gpuE9ELNS1_3repE0EEENS1_30default_config_static_selectorELNS0_4arch9wavefront6targetE1EEEvT1_,"axG",@progbits,_ZN7rocprim17ROCPRIM_400000_NS6detail17trampoline_kernelINS0_14default_configENS1_25partition_config_selectorILNS1_17partition_subalgoE8EjNS0_10empty_typeEbEEZZNS1_14partition_implILS5_8ELb0ES3_jPKjPS6_PKS6_NS0_5tupleIJPjS6_EEENSE_IJSB_SB_EEENS0_18inequality_wrapperIN6hipcub16HIPCUB_304000_NS8EqualityEEEPlJS6_EEE10hipError_tPvRmT3_T4_T5_T6_T7_T9_mT8_P12ihipStream_tbDpT10_ENKUlT_T0_E_clISt17integral_constantIbLb0EES16_IbLb1EEEEDaS12_S13_EUlS12_E_NS1_11comp_targetILNS1_3genE5ELNS1_11target_archE942ELNS1_3gpuE9ELNS1_3repE0EEENS1_30default_config_static_selectorELNS0_4arch9wavefront6targetE1EEEvT1_,comdat
.Lfunc_end642:
	.size	_ZN7rocprim17ROCPRIM_400000_NS6detail17trampoline_kernelINS0_14default_configENS1_25partition_config_selectorILNS1_17partition_subalgoE8EjNS0_10empty_typeEbEEZZNS1_14partition_implILS5_8ELb0ES3_jPKjPS6_PKS6_NS0_5tupleIJPjS6_EEENSE_IJSB_SB_EEENS0_18inequality_wrapperIN6hipcub16HIPCUB_304000_NS8EqualityEEEPlJS6_EEE10hipError_tPvRmT3_T4_T5_T6_T7_T9_mT8_P12ihipStream_tbDpT10_ENKUlT_T0_E_clISt17integral_constantIbLb0EES16_IbLb1EEEEDaS12_S13_EUlS12_E_NS1_11comp_targetILNS1_3genE5ELNS1_11target_archE942ELNS1_3gpuE9ELNS1_3repE0EEENS1_30default_config_static_selectorELNS0_4arch9wavefront6targetE1EEEvT1_, .Lfunc_end642-_ZN7rocprim17ROCPRIM_400000_NS6detail17trampoline_kernelINS0_14default_configENS1_25partition_config_selectorILNS1_17partition_subalgoE8EjNS0_10empty_typeEbEEZZNS1_14partition_implILS5_8ELb0ES3_jPKjPS6_PKS6_NS0_5tupleIJPjS6_EEENSE_IJSB_SB_EEENS0_18inequality_wrapperIN6hipcub16HIPCUB_304000_NS8EqualityEEEPlJS6_EEE10hipError_tPvRmT3_T4_T5_T6_T7_T9_mT8_P12ihipStream_tbDpT10_ENKUlT_T0_E_clISt17integral_constantIbLb0EES16_IbLb1EEEEDaS12_S13_EUlS12_E_NS1_11comp_targetILNS1_3genE5ELNS1_11target_archE942ELNS1_3gpuE9ELNS1_3repE0EEENS1_30default_config_static_selectorELNS0_4arch9wavefront6targetE1EEEvT1_
                                        ; -- End function
	.section	.AMDGPU.csdata,"",@progbits
; Kernel info:
; codeLenInByte = 0
; NumSgprs: 4
; NumVgprs: 0
; NumAgprs: 0
; TotalNumVgprs: 0
; ScratchSize: 0
; MemoryBound: 0
; FloatMode: 240
; IeeeMode: 1
; LDSByteSize: 0 bytes/workgroup (compile time only)
; SGPRBlocks: 0
; VGPRBlocks: 0
; NumSGPRsForWavesPerEU: 4
; NumVGPRsForWavesPerEU: 1
; AccumOffset: 4
; Occupancy: 8
; WaveLimiterHint : 0
; COMPUTE_PGM_RSRC2:SCRATCH_EN: 0
; COMPUTE_PGM_RSRC2:USER_SGPR: 6
; COMPUTE_PGM_RSRC2:TRAP_HANDLER: 0
; COMPUTE_PGM_RSRC2:TGID_X_EN: 1
; COMPUTE_PGM_RSRC2:TGID_Y_EN: 0
; COMPUTE_PGM_RSRC2:TGID_Z_EN: 0
; COMPUTE_PGM_RSRC2:TIDIG_COMP_CNT: 0
; COMPUTE_PGM_RSRC3_GFX90A:ACCUM_OFFSET: 0
; COMPUTE_PGM_RSRC3_GFX90A:TG_SPLIT: 0
	.section	.text._ZN7rocprim17ROCPRIM_400000_NS6detail17trampoline_kernelINS0_14default_configENS1_25partition_config_selectorILNS1_17partition_subalgoE8EjNS0_10empty_typeEbEEZZNS1_14partition_implILS5_8ELb0ES3_jPKjPS6_PKS6_NS0_5tupleIJPjS6_EEENSE_IJSB_SB_EEENS0_18inequality_wrapperIN6hipcub16HIPCUB_304000_NS8EqualityEEEPlJS6_EEE10hipError_tPvRmT3_T4_T5_T6_T7_T9_mT8_P12ihipStream_tbDpT10_ENKUlT_T0_E_clISt17integral_constantIbLb0EES16_IbLb1EEEEDaS12_S13_EUlS12_E_NS1_11comp_targetILNS1_3genE4ELNS1_11target_archE910ELNS1_3gpuE8ELNS1_3repE0EEENS1_30default_config_static_selectorELNS0_4arch9wavefront6targetE1EEEvT1_,"axG",@progbits,_ZN7rocprim17ROCPRIM_400000_NS6detail17trampoline_kernelINS0_14default_configENS1_25partition_config_selectorILNS1_17partition_subalgoE8EjNS0_10empty_typeEbEEZZNS1_14partition_implILS5_8ELb0ES3_jPKjPS6_PKS6_NS0_5tupleIJPjS6_EEENSE_IJSB_SB_EEENS0_18inequality_wrapperIN6hipcub16HIPCUB_304000_NS8EqualityEEEPlJS6_EEE10hipError_tPvRmT3_T4_T5_T6_T7_T9_mT8_P12ihipStream_tbDpT10_ENKUlT_T0_E_clISt17integral_constantIbLb0EES16_IbLb1EEEEDaS12_S13_EUlS12_E_NS1_11comp_targetILNS1_3genE4ELNS1_11target_archE910ELNS1_3gpuE8ELNS1_3repE0EEENS1_30default_config_static_selectorELNS0_4arch9wavefront6targetE1EEEvT1_,comdat
	.protected	_ZN7rocprim17ROCPRIM_400000_NS6detail17trampoline_kernelINS0_14default_configENS1_25partition_config_selectorILNS1_17partition_subalgoE8EjNS0_10empty_typeEbEEZZNS1_14partition_implILS5_8ELb0ES3_jPKjPS6_PKS6_NS0_5tupleIJPjS6_EEENSE_IJSB_SB_EEENS0_18inequality_wrapperIN6hipcub16HIPCUB_304000_NS8EqualityEEEPlJS6_EEE10hipError_tPvRmT3_T4_T5_T6_T7_T9_mT8_P12ihipStream_tbDpT10_ENKUlT_T0_E_clISt17integral_constantIbLb0EES16_IbLb1EEEEDaS12_S13_EUlS12_E_NS1_11comp_targetILNS1_3genE4ELNS1_11target_archE910ELNS1_3gpuE8ELNS1_3repE0EEENS1_30default_config_static_selectorELNS0_4arch9wavefront6targetE1EEEvT1_ ; -- Begin function _ZN7rocprim17ROCPRIM_400000_NS6detail17trampoline_kernelINS0_14default_configENS1_25partition_config_selectorILNS1_17partition_subalgoE8EjNS0_10empty_typeEbEEZZNS1_14partition_implILS5_8ELb0ES3_jPKjPS6_PKS6_NS0_5tupleIJPjS6_EEENSE_IJSB_SB_EEENS0_18inequality_wrapperIN6hipcub16HIPCUB_304000_NS8EqualityEEEPlJS6_EEE10hipError_tPvRmT3_T4_T5_T6_T7_T9_mT8_P12ihipStream_tbDpT10_ENKUlT_T0_E_clISt17integral_constantIbLb0EES16_IbLb1EEEEDaS12_S13_EUlS12_E_NS1_11comp_targetILNS1_3genE4ELNS1_11target_archE910ELNS1_3gpuE8ELNS1_3repE0EEENS1_30default_config_static_selectorELNS0_4arch9wavefront6targetE1EEEvT1_
	.globl	_ZN7rocprim17ROCPRIM_400000_NS6detail17trampoline_kernelINS0_14default_configENS1_25partition_config_selectorILNS1_17partition_subalgoE8EjNS0_10empty_typeEbEEZZNS1_14partition_implILS5_8ELb0ES3_jPKjPS6_PKS6_NS0_5tupleIJPjS6_EEENSE_IJSB_SB_EEENS0_18inequality_wrapperIN6hipcub16HIPCUB_304000_NS8EqualityEEEPlJS6_EEE10hipError_tPvRmT3_T4_T5_T6_T7_T9_mT8_P12ihipStream_tbDpT10_ENKUlT_T0_E_clISt17integral_constantIbLb0EES16_IbLb1EEEEDaS12_S13_EUlS12_E_NS1_11comp_targetILNS1_3genE4ELNS1_11target_archE910ELNS1_3gpuE8ELNS1_3repE0EEENS1_30default_config_static_selectorELNS0_4arch9wavefront6targetE1EEEvT1_
	.p2align	8
	.type	_ZN7rocprim17ROCPRIM_400000_NS6detail17trampoline_kernelINS0_14default_configENS1_25partition_config_selectorILNS1_17partition_subalgoE8EjNS0_10empty_typeEbEEZZNS1_14partition_implILS5_8ELb0ES3_jPKjPS6_PKS6_NS0_5tupleIJPjS6_EEENSE_IJSB_SB_EEENS0_18inequality_wrapperIN6hipcub16HIPCUB_304000_NS8EqualityEEEPlJS6_EEE10hipError_tPvRmT3_T4_T5_T6_T7_T9_mT8_P12ihipStream_tbDpT10_ENKUlT_T0_E_clISt17integral_constantIbLb0EES16_IbLb1EEEEDaS12_S13_EUlS12_E_NS1_11comp_targetILNS1_3genE4ELNS1_11target_archE910ELNS1_3gpuE8ELNS1_3repE0EEENS1_30default_config_static_selectorELNS0_4arch9wavefront6targetE1EEEvT1_,@function
_ZN7rocprim17ROCPRIM_400000_NS6detail17trampoline_kernelINS0_14default_configENS1_25partition_config_selectorILNS1_17partition_subalgoE8EjNS0_10empty_typeEbEEZZNS1_14partition_implILS5_8ELb0ES3_jPKjPS6_PKS6_NS0_5tupleIJPjS6_EEENSE_IJSB_SB_EEENS0_18inequality_wrapperIN6hipcub16HIPCUB_304000_NS8EqualityEEEPlJS6_EEE10hipError_tPvRmT3_T4_T5_T6_T7_T9_mT8_P12ihipStream_tbDpT10_ENKUlT_T0_E_clISt17integral_constantIbLb0EES16_IbLb1EEEEDaS12_S13_EUlS12_E_NS1_11comp_targetILNS1_3genE4ELNS1_11target_archE910ELNS1_3gpuE8ELNS1_3repE0EEENS1_30default_config_static_selectorELNS0_4arch9wavefront6targetE1EEEvT1_: ; @_ZN7rocprim17ROCPRIM_400000_NS6detail17trampoline_kernelINS0_14default_configENS1_25partition_config_selectorILNS1_17partition_subalgoE8EjNS0_10empty_typeEbEEZZNS1_14partition_implILS5_8ELb0ES3_jPKjPS6_PKS6_NS0_5tupleIJPjS6_EEENSE_IJSB_SB_EEENS0_18inequality_wrapperIN6hipcub16HIPCUB_304000_NS8EqualityEEEPlJS6_EEE10hipError_tPvRmT3_T4_T5_T6_T7_T9_mT8_P12ihipStream_tbDpT10_ENKUlT_T0_E_clISt17integral_constantIbLb0EES16_IbLb1EEEEDaS12_S13_EUlS12_E_NS1_11comp_targetILNS1_3genE4ELNS1_11target_archE910ELNS1_3gpuE8ELNS1_3repE0EEENS1_30default_config_static_selectorELNS0_4arch9wavefront6targetE1EEEvT1_
; %bb.0:
	s_load_dwordx2 s[28:29], s[4:5], 0x28
	s_load_dwordx4 s[24:27], s[4:5], 0x40
	s_load_dwordx2 s[6:7], s[4:5], 0x50
	s_load_dwordx2 s[30:31], s[4:5], 0x60
	v_cmp_ne_u32_e64 s[2:3], 0, v0
	v_cmp_eq_u32_e64 s[0:1], 0, v0
	s_and_saveexec_b64 s[8:9], s[0:1]
	s_cbranch_execz .LBB643_4
; %bb.1:
	s_mov_b64 s[12:13], exec
	v_mbcnt_lo_u32_b32 v1, s12, 0
	v_mbcnt_hi_u32_b32 v1, s13, v1
	v_cmp_eq_u32_e32 vcc, 0, v1
                                        ; implicit-def: $vgpr2
	s_and_saveexec_b64 s[10:11], vcc
	s_cbranch_execz .LBB643_3
; %bb.2:
	s_load_dwordx2 s[14:15], s[4:5], 0x70
	s_bcnt1_i32_b64 s12, s[12:13]
	v_mov_b32_e32 v2, 0
	v_mov_b32_e32 v3, s12
	s_waitcnt lgkmcnt(0)
	global_atomic_add v2, v2, v3, s[14:15] glc
.LBB643_3:
	s_or_b64 exec, exec, s[10:11]
	s_waitcnt vmcnt(0)
	v_readfirstlane_b32 s10, v2
	v_add_u32_e32 v1, s10, v1
	v_mov_b32_e32 v2, 0
	ds_write_b32 v2, v1
.LBB643_4:
	s_or_b64 exec, exec, s[8:9]
	v_mov_b32_e32 v3, 0
	s_load_dwordx4 s[8:11], s[4:5], 0x8
	s_load_dword s12, s[4:5], 0x68
	s_waitcnt lgkmcnt(0)
	s_barrier
	ds_read_b32 v1, v3
	s_waitcnt lgkmcnt(0)
	s_barrier
	global_load_dwordx2 v[14:15], v3, s[26:27]
	s_lshl_b64 s[4:5], s[10:11], 2
	v_mov_b32_e32 v5, s7
	s_add_u32 s7, s8, s4
	s_movk_i32 s4, 0xa00
	v_mul_lo_u32 v2, v1, s4
	s_mul_i32 s4, s12, 0xa00
	s_addc_u32 s8, s9, s5
	s_add_i32 s5, s4, s10
	s_add_i32 s9, s12, -1
	s_sub_i32 s40, s6, s5
	s_add_u32 s4, s10, s4
	v_readfirstlane_b32 s33, v1
	s_addc_u32 s5, s11, 0
	v_mov_b32_e32 v4, s6
	s_cmp_eq_u32 s33, s9
	v_cmp_ge_u64_e32 vcc, s[4:5], v[4:5]
	s_cselect_b64 s[22:23], -1, 0
	v_lshlrev_b64 v[2:3], 2, v[2:3]
	s_and_b64 s[34:35], vcc, s[22:23]
	v_mov_b32_e32 v1, s8
	v_add_co_u32_e32 v12, vcc, s7, v2
	s_xor_b64 s[26:27], s[34:35], -1
	v_addc_co_u32_e32 v13, vcc, v1, v3, vcc
	s_mov_b64 s[4:5], -1
	s_and_b64 vcc, exec, s[26:27]
	s_cbranch_vccz .LBB643_6
; %bb.5:
	v_lshlrev_b32_e32 v1, 2, v0
	v_add_co_u32_e32 v4, vcc, v12, v1
	v_addc_co_u32_e32 v5, vcc, 0, v13, vcc
	v_add_co_u32_e32 v2, vcc, 0x1000, v4
	v_readfirstlane_b32 s4, v12
	v_readfirstlane_b32 s5, v13
	v_addc_co_u32_e32 v3, vcc, 0, v5, vcc
	s_nop 3
	global_load_dword v6, v1, s[4:5]
	global_load_dword v7, v1, s[4:5] offset:1024
	global_load_dword v8, v1, s[4:5] offset:2048
	;; [unrolled: 1-line block ×3, first 2 shown]
	global_load_dword v10, v[2:3], off
	global_load_dword v11, v[2:3], off offset:1024
	global_load_dword v16, v[2:3], off offset:2048
	;; [unrolled: 1-line block ×3, first 2 shown]
	v_add_co_u32_e32 v2, vcc, 0x2000, v4
	v_addc_co_u32_e32 v3, vcc, 0, v5, vcc
	global_load_dword v4, v[2:3], off
	global_load_dword v5, v[2:3], off offset:1024
	s_mov_b64 s[4:5], 0
	s_waitcnt vmcnt(8)
	ds_write2st64_b32 v1, v6, v7 offset1:4
	s_waitcnt vmcnt(6)
	ds_write2st64_b32 v1, v8, v9 offset0:8 offset1:12
	s_waitcnt vmcnt(4)
	ds_write2st64_b32 v1, v10, v11 offset0:16 offset1:20
	;; [unrolled: 2-line block ×4, first 2 shown]
	s_waitcnt lgkmcnt(0)
	s_barrier
.LBB643_6:
	s_andn2_b64 vcc, exec, s[4:5]
	s_addk_i32 s40, 0xa00
	s_cbranch_vccnz .LBB643_28
; %bb.7:
	v_cmp_gt_u32_e32 vcc, s40, v0
                                        ; implicit-def: $vgpr2_vgpr3_vgpr4_vgpr5_vgpr6_vgpr7_vgpr8_vgpr9_vgpr10_vgpr11
	s_and_saveexec_b64 s[4:5], vcc
	s_cbranch_execz .LBB643_9
; %bb.8:
	v_lshlrev_b32_e32 v1, 2, v0
	v_readfirstlane_b32 s6, v12
	v_readfirstlane_b32 s7, v13
	s_nop 4
	global_load_dword v2, v1, s[6:7]
.LBB643_9:
	s_or_b64 exec, exec, s[4:5]
	v_or_b32_e32 v1, 0x100, v0
	v_cmp_gt_u32_e32 vcc, s40, v1
	s_and_saveexec_b64 s[4:5], vcc
	s_cbranch_execz .LBB643_11
; %bb.10:
	v_lshlrev_b32_e32 v1, 2, v0
	v_readfirstlane_b32 s6, v12
	v_readfirstlane_b32 s7, v13
	s_nop 4
	global_load_dword v3, v1, s[6:7] offset:1024
.LBB643_11:
	s_or_b64 exec, exec, s[4:5]
	v_or_b32_e32 v1, 0x200, v0
	v_cmp_gt_u32_e32 vcc, s40, v1
	s_and_saveexec_b64 s[4:5], vcc
	s_cbranch_execz .LBB643_13
; %bb.12:
	v_lshlrev_b32_e32 v1, 2, v0
	v_readfirstlane_b32 s6, v12
	v_readfirstlane_b32 s7, v13
	s_nop 4
	global_load_dword v4, v1, s[6:7] offset:2048
.LBB643_13:
	;; [unrolled: 12-line block ×3, first 2 shown]
	s_or_b64 exec, exec, s[4:5]
	v_or_b32_e32 v1, 0x400, v0
	v_cmp_gt_u32_e32 vcc, s40, v1
	s_and_saveexec_b64 s[4:5], vcc
	s_cbranch_execz .LBB643_17
; %bb.16:
	v_lshlrev_b32_e32 v1, 2, v1
	v_readfirstlane_b32 s6, v12
	v_readfirstlane_b32 s7, v13
	s_nop 4
	global_load_dword v6, v1, s[6:7]
.LBB643_17:
	s_or_b64 exec, exec, s[4:5]
	v_or_b32_e32 v1, 0x500, v0
	v_cmp_gt_u32_e32 vcc, s40, v1
	s_and_saveexec_b64 s[4:5], vcc
	s_cbranch_execz .LBB643_19
; %bb.18:
	v_lshlrev_b32_e32 v1, 2, v1
	v_readfirstlane_b32 s6, v12
	v_readfirstlane_b32 s7, v13
	s_nop 4
	global_load_dword v7, v1, s[6:7]
.LBB643_19:
	;; [unrolled: 12-line block ×6, first 2 shown]
	s_or_b64 exec, exec, s[4:5]
	v_lshlrev_b32_e32 v1, 2, v0
	s_waitcnt vmcnt(0)
	ds_write2st64_b32 v1, v2, v3 offset1:4
	ds_write2st64_b32 v1, v4, v5 offset0:8 offset1:12
	ds_write2st64_b32 v1, v6, v7 offset0:16 offset1:20
	;; [unrolled: 1-line block ×4, first 2 shown]
	s_waitcnt lgkmcnt(0)
	s_barrier
.LBB643_28:
	v_mul_u32_u24_e32 v28, 10, v0
	v_lshlrev_b32_e32 v1, 2, v28
	ds_read2_b64 v[6:9], v1 offset1:1
	ds_read2_b64 v[2:5], v1 offset0:2 offset1:3
	ds_read_b64 v[16:17], v1 offset:32
	s_cmp_lg_u32 s33, 0
	s_cselect_b64 s[36:37], -1, 0
	s_cmp_lg_u64 s[10:11], 0
	s_cselect_b64 s[4:5], -1, 0
	s_or_b64 s[4:5], s[4:5], s[36:37]
	v_or_b32_e32 v29, 1, v28
	v_mad_u32_u24 v27, v0, 10, 2
	v_mad_u32_u24 v26, v0, 10, 3
	;; [unrolled: 1-line block ×8, first 2 shown]
	s_mov_b64 s[38:39], 0
	s_and_b64 vcc, exec, s[4:5]
	s_waitcnt lgkmcnt(0)
	s_barrier
	s_cbranch_vccz .LBB643_33
; %bb.29:
	global_load_dword v10, v[12:13], off offset:-4
	v_lshlrev_b32_e32 v11, 2, v0
	s_and_b64 vcc, exec, s[26:27]
	ds_write_b32 v11, v17
	s_cbranch_vccz .LBB643_35
; %bb.30:
	s_waitcnt vmcnt(0)
	v_mov_b32_e32 v12, v10
	s_waitcnt lgkmcnt(0)
	s_barrier
	s_and_saveexec_b64 s[4:5], s[2:3]
	s_cbranch_execz .LBB643_32
; %bb.31:
	v_add_u32_e32 v12, -4, v11
	ds_read_b32 v12, v12
.LBB643_32:
	s_or_b64 exec, exec, s[4:5]
	v_cmp_ne_u32_e32 vcc, v16, v17
	v_cndmask_b32_e64 v13, 0, 1, vcc
	v_cmp_ne_u32_e32 vcc, v5, v16
	v_cndmask_b32_e64 v30, 0, 1, vcc
	;; [unrolled: 2-line block ×9, first 2 shown]
	s_waitcnt lgkmcnt(0)
	v_cmp_ne_u32_e64 s[4:5], v12, v6
	v_lshlrev_b16_e32 v12, 8, v18
	v_or_b32_sdwa v12, v34, v12 dst_sel:WORD_1 dst_unused:UNUSED_PAD src0_sel:DWORD src1_sel:DWORD
	v_lshlrev_b16_e32 v18, 8, v35
	v_or_b32_e32 v18, v18, v12
	v_lshlrev_b16_e32 v12, 8, v32
	v_lshlrev_b16_e32 v19, 8, v19
	v_or_b32_e32 v12, v33, v12
	v_or_b32_sdwa v19, v31, v19 dst_sel:WORD_1 dst_unused:UNUSED_PAD src0_sel:DWORD src1_sel:DWORD
	v_or_b32_sdwa v19, v12, v19 dst_sel:DWORD dst_unused:UNUSED_PAD src0_sel:WORD_0 src1_sel:DWORD
	s_branch .LBB643_39
.LBB643_33:
                                        ; implicit-def: $sgpr4_sgpr5
                                        ; implicit-def: $vgpr13
                                        ; implicit-def: $vgpr30
                                        ; implicit-def: $vgpr19
	s_branch .LBB643_40
.LBB643_34:
                                        ; implicit-def: $vgpr10_vgpr11_vgpr12
	s_and_saveexec_b64 s[2:3], s[38:39]
	s_cbranch_execnz .LBB643_48
	s_branch .LBB643_49
.LBB643_35:
                                        ; implicit-def: $sgpr4_sgpr5
                                        ; implicit-def: $vgpr13
                                        ; implicit-def: $vgpr30
                                        ; implicit-def: $vgpr19
	s_cbranch_execz .LBB643_39
; %bb.36:
	s_waitcnt lgkmcnt(0)
	s_barrier
	s_and_saveexec_b64 s[4:5], s[2:3]
	s_cbranch_execz .LBB643_38
; %bb.37:
	s_waitcnt vmcnt(0)
	v_add_u32_e32 v10, -4, v11
	ds_read_b32 v10, v10
.LBB643_38:
	s_or_b64 exec, exec, s[4:5]
	v_cmp_gt_u32_e32 vcc, s40, v20
	v_cmp_ne_u32_e64 s[4:5], v16, v17
	s_and_b64 s[4:5], vcc, s[4:5]
	v_cndmask_b32_e64 v13, 0, 1, s[4:5]
	v_cmp_gt_u32_e32 vcc, s40, v21
	v_cmp_ne_u32_e64 s[4:5], v5, v16
	s_and_b64 s[4:5], vcc, s[4:5]
	v_cndmask_b32_e64 v30, 0, 1, s[4:5]
	;; [unrolled: 4-line block ×9, first 2 shown]
	s_waitcnt vmcnt(0) lgkmcnt(0)
	v_cmp_ne_u32_e64 s[4:5], v10, v6
	v_lshlrev_b16_e32 v10, 8, v18
	v_or_b32_sdwa v10, v32, v10 dst_sel:WORD_1 dst_unused:UNUSED_PAD src0_sel:DWORD src1_sel:DWORD
	v_lshlrev_b16_e32 v18, 8, v33
	v_or_b32_e32 v18, v18, v10
	v_lshlrev_b16_e32 v10, 8, v19
	v_lshlrev_b16_e32 v11, 8, v11
	v_cmp_gt_u32_e32 vcc, s40, v28
	v_or_b32_e32 v10, v31, v10
	v_or_b32_sdwa v11, v12, v11 dst_sel:WORD_1 dst_unused:UNUSED_PAD src0_sel:DWORD src1_sel:DWORD
	s_and_b64 s[4:5], vcc, s[4:5]
	v_or_b32_sdwa v19, v10, v11 dst_sel:DWORD dst_unused:UNUSED_PAD src0_sel:WORD_0 src1_sel:DWORD
.LBB643_39:
	s_mov_b64 s[38:39], -1
	s_cbranch_execnz .LBB643_34
.LBB643_40:
	s_movk_i32 s4, 0xffdc
	v_mad_i32_i24 v31, v0, s4, v1
	s_and_b64 vcc, exec, s[26:27]
	v_cmp_ne_u32_e64 s[4:5], v16, v17
	v_cmp_ne_u32_e64 s[6:7], v5, v16
	;; [unrolled: 1-line block ×9, first 2 shown]
	ds_write_b32 v31, v17
	s_cbranch_vccz .LBB643_44
; %bb.41:
	s_waitcnt vmcnt(0)
	v_cndmask_b32_e64 v10, 0, 1, s[8:9]
	v_cndmask_b32_e64 v12, 0, 1, s[12:13]
	;; [unrolled: 1-line block ×4, first 2 shown]
	v_lshlrev_b16_e32 v12, 8, v12
	v_lshlrev_b16_e32 v10, 8, v10
	v_cndmask_b32_e64 v13, 0, 1, s[4:5]
	v_or_b32_e32 v12, v18, v12
	v_or_b32_sdwa v10, v11, v10 dst_sel:WORD_1 dst_unused:UNUSED_PAD src0_sel:DWORD src1_sel:DWORD
	v_cndmask_b32_e64 v30, 0, 1, s[6:7]
	v_or_b32_sdwa v19, v12, v10 dst_sel:DWORD dst_unused:UNUSED_PAD src0_sel:WORD_0 src1_sel:DWORD
	v_lshlrev_b16_e32 v10, 8, v13
	v_cndmask_b32_e64 v32, 0, 1, s[16:17]
	v_cndmask_b32_e64 v34, 0, 1, s[20:21]
	v_or_b32_e32 v10, v30, v10
	v_cndmask_b32_e64 v33, 0, 1, s[18:19]
	v_and_b32_e32 v12, 0xffff, v10
	v_lshlrev_b16_e32 v10, 8, v32
	v_lshlrev_b16_e32 v11, 8, v34
	v_or_b32_sdwa v10, v33, v10 dst_sel:WORD_1 dst_unused:UNUSED_PAD src0_sel:DWORD src1_sel:DWORD
	v_or_b32_e32 v11, 1, v11
	v_or_b32_sdwa v18, v11, v10 dst_sel:DWORD dst_unused:UNUSED_PAD src0_sel:WORD_0 src1_sel:DWORD
	s_waitcnt lgkmcnt(0)
	s_barrier
	s_waitcnt lgkmcnt(0)
                                        ; implicit-def: $sgpr4_sgpr5
	s_and_saveexec_b64 s[6:7], s[2:3]
	s_xor_b64 s[6:7], exec, s[6:7]
	s_cbranch_execz .LBB643_43
; %bb.42:
	v_add_u32_e32 v10, -4, v31
	ds_read_b32 v10, v10
	s_or_b64 s[38:39], s[38:39], exec
	s_waitcnt lgkmcnt(0)
	v_cmp_ne_u32_e32 vcc, v10, v6
	s_and_b64 s[4:5], vcc, exec
                                        ; implicit-def: $vgpr10_vgpr11_vgpr12
.LBB643_43:
	s_or_b64 exec, exec, s[6:7]
	s_branch .LBB643_47
.LBB643_44:
                                        ; implicit-def: $sgpr4_sgpr5
                                        ; implicit-def: $vgpr13
                                        ; implicit-def: $vgpr30
                                        ; implicit-def: $vgpr19
                                        ; implicit-def: $vgpr10_vgpr11_vgpr12
	s_cbranch_execz .LBB643_47
; %bb.45:
	v_cmp_gt_u32_e32 vcc, s40, v20
	v_cmp_ne_u32_e64 s[4:5], v16, v17
	s_and_b64 s[4:5], vcc, s[4:5]
	v_cndmask_b32_e64 v13, 0, 1, s[4:5]
	v_cmp_gt_u32_e32 vcc, s40, v21
	v_cmp_ne_u32_e64 s[4:5], v5, v16
	s_and_b64 s[4:5], vcc, s[4:5]
	v_cndmask_b32_e64 v30, 0, 1, s[4:5]
	v_cmp_gt_u32_e32 vcc, s40, v22
	v_cmp_ne_u32_e64 s[4:5], v4, v5
	s_and_b64 s[4:5], vcc, s[4:5]
	s_waitcnt vmcnt(0)
	v_cndmask_b32_e64 v10, 0, 1, s[4:5]
	v_cmp_gt_u32_e32 vcc, s40, v23
	v_cmp_ne_u32_e64 s[4:5], v3, v4
	s_and_b64 s[4:5], vcc, s[4:5]
	v_cndmask_b32_e64 v11, 0, 1, s[4:5]
	v_cmp_gt_u32_e32 vcc, s40, v24
	v_cmp_ne_u32_e64 s[4:5], v2, v3
	s_and_b64 s[4:5], vcc, s[4:5]
	;; [unrolled: 4-line block ×5, first 2 shown]
	v_lshlrev_b16_e32 v12, 8, v12
	v_lshlrev_b16_e32 v10, 8, v10
	v_cndmask_b32_e64 v33, 0, 1, s[4:5]
	v_cmp_gt_u32_e32 vcc, s40, v29
	v_cmp_ne_u32_e64 s[4:5], v6, v7
	v_or_b32_e32 v12, v18, v12
	v_or_b32_sdwa v10, v11, v10 dst_sel:WORD_1 dst_unused:UNUSED_PAD src0_sel:DWORD src1_sel:DWORD
	s_and_b64 s[4:5], vcc, s[4:5]
	v_or_b32_sdwa v19, v12, v10 dst_sel:DWORD dst_unused:UNUSED_PAD src0_sel:WORD_0 src1_sel:DWORD
	v_lshlrev_b16_e32 v10, 8, v13
	v_cndmask_b32_e64 v34, 0, 1, s[4:5]
	v_or_b32_e32 v10, v30, v10
	v_and_b32_e32 v12, 0xffff, v10
	v_lshlrev_b16_e32 v10, 8, v32
	v_lshlrev_b16_e32 v11, 8, v34
	v_or_b32_sdwa v10, v33, v10 dst_sel:WORD_1 dst_unused:UNUSED_PAD src0_sel:DWORD src1_sel:DWORD
	v_or_b32_e32 v11, 1, v11
	v_or_b32_sdwa v18, v11, v10 dst_sel:DWORD dst_unused:UNUSED_PAD src0_sel:WORD_0 src1_sel:DWORD
	s_waitcnt lgkmcnt(0)
	s_barrier
	s_waitcnt lgkmcnt(0)
                                        ; implicit-def: $sgpr4_sgpr5
	s_and_saveexec_b64 s[6:7], s[2:3]
	s_cbranch_execz .LBB643_160
; %bb.46:
	v_add_u32_e32 v10, -4, v31
	ds_read_b32 v10, v10
	v_cmp_gt_u32_e32 vcc, s40, v28
	s_or_b64 s[38:39], s[38:39], exec
	s_waitcnt lgkmcnt(0)
	v_cmp_ne_u32_e64 s[2:3], v10, v6
	s_and_b64 s[2:3], vcc, s[2:3]
	s_and_b64 s[4:5], s[2:3], exec
                                        ; implicit-def: $vgpr10_vgpr11_vgpr12
	s_or_b64 exec, exec, s[6:7]
.LBB643_47:
	s_and_saveexec_b64 s[2:3], s[38:39]
	s_cbranch_execz .LBB643_49
.LBB643_48:
	v_lshlrev_b16_e32 v11, 8, v13
	v_or_b32_sdwa v11, v30, v11 dst_sel:DWORD dst_unused:UNUSED_PAD src0_sel:BYTE_0 src1_sel:DWORD
	s_waitcnt vmcnt(0)
	v_cndmask_b32_e64 v10, 0, 1, s[4:5]
	s_movk_i32 s4, 0xff
	v_and_b32_e32 v12, 0xffff, v11
	v_lshrrev_b32_e32 v11, 24, v18
	v_lshlrev_b16_e32 v11, 8, v11
	v_and_b32_sdwa v13, v18, s4 dst_sel:DWORD dst_unused:UNUSED_PAD src0_sel:WORD_1 src1_sel:DWORD
	v_or_b32_sdwa v11, v13, v11 dst_sel:WORD_1 dst_unused:UNUSED_PAD src0_sel:DWORD src1_sel:DWORD
	v_mov_b32_e32 v13, 8
	v_lshrrev_b32_sdwa v13, v13, v18 dst_sel:BYTE_1 dst_unused:UNUSED_PAD src0_sel:DWORD src1_sel:DWORD
	v_or_b32_e32 v10, v10, v13
	v_or_b32_sdwa v18, v10, v11 dst_sel:DWORD dst_unused:UNUSED_PAD src0_sel:WORD_0 src1_sel:DWORD
.LBB643_49:
	s_or_b64 exec, exec, s[2:3]
	s_andn2_b64 vcc, exec, s[34:35]
	s_cbranch_vccnz .LBB643_51
; %bb.50:
	v_and_b32_e32 v11, 0xffff0000, v18
	v_cmp_gt_u32_e32 vcc, s40, v28
	v_cndmask_b32_e32 v11, v11, v18, vcc
	v_and_b32_e32 v11, 0xffff00ff, v11
	v_cmp_gt_u32_e32 vcc, s40, v29
	v_cndmask_b32_e32 v11, v11, v18, vcc
	v_lshrrev_b32_e32 v13, 24, v11
	s_mov_b32 s2, 0x40c0100
	v_perm_b32 v11, v13, v11, s2
	v_cmp_gt_u32_e32 vcc, s40, v27
	v_cndmask_b32_e32 v11, v11, v18, vcc
	v_and_b32_e32 v11, 0xffffff, v11
	v_cmp_gt_u32_e32 vcc, s40, v26
	v_cndmask_b32_e32 v11, v11, v18, vcc
	v_and_b32_e32 v13, 0xffffff00, v19
	;; [unrolled: 3-line block ×3, first 2 shown]
	v_cndmask_b32_e32 v11, v11, v18, vcc
	v_cmp_gt_u32_e32 vcc, s40, v24
	v_cndmask_b32_e32 v13, v13, v19, vcc
	v_lshrrev_b32_e32 v24, 24, v13
	s_waitcnt vmcnt(0)
	v_and_b32_e32 v10, 0xffff0000, v12
	v_cndmask_b32_e32 v11, v11, v18, vcc
	v_perm_b32 v13, v24, v13, s2
	v_cmp_gt_u32_e32 vcc, s40, v23
	v_cmp_gt_u32_e64 s[2:3], s40, v21
	v_cmp_gt_u32_e64 s[4:5], s40, v20
	v_cndmask_b32_e32 v13, v13, v19, vcc
	v_cndmask_b32_e32 v11, v11, v18, vcc
	v_cmp_gt_u32_e32 vcc, s40, v22
	v_cndmask_b32_e64 v10, v10, v12, s[2:3]
	s_or_b64 s[2:3], s[4:5], s[2:3]
	s_or_b64 vcc, s[2:3], vcc
	v_and_b32_e32 v10, 0xffff00ff, v10
	v_cndmask_b32_e32 v11, v11, v18, vcc
	s_mov_b32 s2, 0x3020104
	v_cndmask_b32_e64 v10, v10, v12, s[4:5]
	v_perm_b32 v18, v11, v11, s2
	v_mov_b32_e32 v11, 8
	v_lshrrev_b32_sdwa v11, v11, v10 dst_sel:BYTE_1 dst_unused:UNUSED_PAD src0_sel:DWORD src1_sel:DWORD
	v_and_b32_e32 v13, 0xffffff, v13
	v_or_b32_sdwa v10, v10, v11 dst_sel:DWORD dst_unused:UNUSED_PAD src0_sel:BYTE_0 src1_sel:DWORD
	v_cndmask_b32_e32 v19, v13, v19, vcc
	v_and_b32_e32 v12, 0xffff, v10
.LBB643_51:
	s_waitcnt vmcnt(0)
	v_alignbit_b32 v10, v19, v18, 24
	v_bfe_u32 v29, v18, 16, 8
	v_and_b32_e32 v31, 0xff, v10
	v_add_u32_sdwa v11, v18, v18 dst_sel:DWORD dst_unused:UNUSED_PAD src0_sel:BYTE_1 src1_sel:BYTE_0
	v_and_b32_e32 v33, 0xff, v19
	v_bfe_u32 v35, v19, 8, 8
	v_add3_u32 v11, v11, v29, v31
	v_bfe_u32 v37, v19, 16, 8
	v_lshrrev_b32_e32 v13, 24, v19
	v_add3_u32 v11, v11, v33, v35
	v_and_b32_e32 v39, 0xff, v12
	v_bfe_u32 v10, v12, 8, 8
	v_add3_u32 v11, v11, v37, v13
	v_add3_u32 v44, v11, v39, v10
	v_mbcnt_lo_u32_b32 v10, -1, 0
	v_mbcnt_hi_u32_b32 v41, -1, v10
	v_and_b32_e32 v10, 15, v41
	v_cmp_eq_u32_e64 s[14:15], 0, v10
	v_cmp_lt_u32_e64 s[12:13], 1, v10
	v_cmp_lt_u32_e64 s[10:11], 3, v10
	;; [unrolled: 1-line block ×3, first 2 shown]
	v_and_b32_e32 v10, 16, v41
	v_cmp_eq_u32_e64 s[6:7], 0, v10
	v_or_b32_e32 v10, 63, v0
	v_cmp_lt_u32_e64 s[2:3], 31, v41
	v_lshrrev_b32_e32 v43, 6, v0
	v_cmp_eq_u32_e64 s[4:5], v10, v0
	s_and_b64 vcc, exec, s[36:37]
	s_waitcnt lgkmcnt(0)
	s_barrier
	s_cbranch_vccz .LBB643_78
; %bb.52:
	v_mov_b32_dpp v10, v44 row_shr:1 row_mask:0xf bank_mask:0xf
	v_cndmask_b32_e64 v10, v10, 0, s[14:15]
	v_add_u32_e32 v10, v10, v44
	s_nop 1
	v_mov_b32_dpp v11, v10 row_shr:2 row_mask:0xf bank_mask:0xf
	v_cndmask_b32_e64 v11, 0, v11, s[12:13]
	v_add_u32_e32 v10, v10, v11
	s_nop 1
	;; [unrolled: 4-line block ×4, first 2 shown]
	v_mov_b32_dpp v11, v10 row_bcast:15 row_mask:0xf bank_mask:0xf
	v_cndmask_b32_e64 v11, v11, 0, s[6:7]
	v_add_u32_e32 v10, v10, v11
	s_nop 1
	v_mov_b32_dpp v11, v10 row_bcast:31 row_mask:0xf bank_mask:0xf
	v_cndmask_b32_e64 v11, 0, v11, s[2:3]
	v_add_u32_e32 v10, v10, v11
	s_and_saveexec_b64 s[16:17], s[4:5]
	s_cbranch_execz .LBB643_54
; %bb.53:
	v_lshlrev_b32_e32 v11, 2, v43
	ds_write_b32 v11, v10
.LBB643_54:
	s_or_b64 exec, exec, s[16:17]
	v_cmp_gt_u32_e32 vcc, 4, v0
	s_waitcnt lgkmcnt(0)
	s_barrier
	s_and_saveexec_b64 s[16:17], vcc
	s_cbranch_execz .LBB643_56
; %bb.55:
	v_lshlrev_b32_e32 v11, 2, v0
	ds_read_b32 v20, v11
	v_and_b32_e32 v21, 3, v41
	v_cmp_ne_u32_e32 vcc, 0, v21
	s_waitcnt lgkmcnt(0)
	v_mov_b32_dpp v22, v20 row_shr:1 row_mask:0xf bank_mask:0xf
	v_cndmask_b32_e32 v22, 0, v22, vcc
	v_add_u32_e32 v20, v22, v20
	v_cmp_lt_u32_e32 vcc, 1, v21
	s_nop 0
	v_mov_b32_dpp v22, v20 row_shr:2 row_mask:0xf bank_mask:0xf
	v_cndmask_b32_e32 v21, 0, v22, vcc
	v_add_u32_e32 v20, v20, v21
	ds_write_b32 v11, v20
.LBB643_56:
	s_or_b64 exec, exec, s[16:17]
	v_cmp_gt_u32_e32 vcc, 64, v0
	v_cmp_lt_u32_e64 s[16:17], 63, v0
	s_waitcnt lgkmcnt(0)
	s_barrier
	s_waitcnt lgkmcnt(0)
                                        ; implicit-def: $vgpr28
	s_and_saveexec_b64 s[18:19], s[16:17]
	s_cbranch_execz .LBB643_58
; %bb.57:
	v_lshl_add_u32 v11, v43, 2, -4
	ds_read_b32 v28, v11
	s_waitcnt lgkmcnt(0)
	v_add_u32_e32 v10, v28, v10
.LBB643_58:
	s_or_b64 exec, exec, s[18:19]
	v_add_u32_e32 v11, -1, v41
	v_and_b32_e32 v20, 64, v41
	v_cmp_lt_i32_e64 s[16:17], v11, v20
	v_cndmask_b32_e64 v11, v11, v41, s[16:17]
	v_lshlrev_b32_e32 v11, 2, v11
	ds_bpermute_b32 v30, v11, v10
	v_cmp_eq_u32_e64 s[16:17], 0, v41
	s_and_saveexec_b64 s[18:19], vcc
	s_cbranch_execz .LBB643_77
; %bb.59:
	v_mov_b32_e32 v25, 0
	ds_read_b32 v10, v25 offset:12
	s_and_saveexec_b64 s[20:21], s[16:17]
	s_cbranch_execz .LBB643_61
; %bb.60:
	s_add_i32 s34, s33, 64
	s_mov_b32 s35, 0
	s_lshl_b64 s[34:35], s[34:35], 3
	s_add_u32 s34, s30, s34
	v_mov_b32_e32 v11, 1
	s_addc_u32 s35, s31, s35
	s_waitcnt lgkmcnt(0)
	global_store_dwordx2 v25, v[10:11], s[34:35]
.LBB643_61:
	s_or_b64 exec, exec, s[20:21]
	v_xad_u32 v20, v41, -1, s33
	v_add_u32_e32 v24, 64, v20
	v_lshlrev_b64 v[22:23], 3, v[24:25]
	v_mov_b32_e32 v11, s31
	v_add_co_u32_e32 v26, vcc, s30, v22
	v_addc_co_u32_e32 v27, vcc, v11, v23, vcc
	global_load_dwordx2 v[22:23], v[26:27], off glc
	s_waitcnt vmcnt(0)
	v_cmp_eq_u16_sdwa s[34:35], v23, v25 src0_sel:BYTE_0 src1_sel:DWORD
	s_and_saveexec_b64 s[20:21], s[34:35]
	s_cbranch_execz .LBB643_65
; %bb.62:
	s_mov_b64 s[34:35], 0
	v_mov_b32_e32 v11, 0
.LBB643_63:                             ; =>This Inner Loop Header: Depth=1
	global_load_dwordx2 v[22:23], v[26:27], off glc
	s_waitcnt vmcnt(0)
	v_cmp_ne_u16_sdwa s[36:37], v23, v11 src0_sel:BYTE_0 src1_sel:DWORD
	s_or_b64 s[34:35], s[36:37], s[34:35]
	s_andn2_b64 exec, exec, s[34:35]
	s_cbranch_execnz .LBB643_63
; %bb.64:
	s_or_b64 exec, exec, s[34:35]
.LBB643_65:
	s_or_b64 exec, exec, s[20:21]
	v_and_b32_e32 v34, 63, v41
	v_mov_b32_e32 v32, 2
	v_cmp_ne_u32_e32 vcc, 63, v34
	v_cmp_eq_u16_sdwa s[20:21], v23, v32 src0_sel:BYTE_0 src1_sel:DWORD
	v_lshlrev_b64 v[24:25], v41, -1
	v_addc_co_u32_e32 v26, vcc, 0, v41, vcc
	v_and_b32_e32 v11, s21, v25
	v_lshlrev_b32_e32 v36, 2, v26
	v_or_b32_e32 v11, 0x80000000, v11
	ds_bpermute_b32 v26, v36, v22
	v_and_b32_e32 v21, s20, v24
	v_ffbl_b32_e32 v11, v11
	v_add_u32_e32 v11, 32, v11
	v_ffbl_b32_e32 v21, v21
	v_min_u32_e32 v11, v21, v11
	v_cmp_lt_u32_e32 vcc, v34, v11
	s_waitcnt lgkmcnt(0)
	v_cndmask_b32_e32 v21, 0, v26, vcc
	v_cmp_gt_u32_e32 vcc, 62, v34
	v_add_u32_e32 v21, v21, v22
	v_cndmask_b32_e64 v22, 0, 1, vcc
	v_lshlrev_b32_e32 v22, 1, v22
	v_add_lshl_u32 v38, v22, v41, 2
	ds_bpermute_b32 v22, v38, v21
	v_add_u32_e32 v40, 2, v34
	v_cmp_le_u32_e32 vcc, v40, v11
	v_add_u32_e32 v45, 4, v34
	v_add_u32_e32 v47, 8, v34
	s_waitcnt lgkmcnt(0)
	v_cndmask_b32_e32 v22, 0, v22, vcc
	v_cmp_gt_u32_e32 vcc, 60, v34
	v_add_u32_e32 v21, v21, v22
	v_cndmask_b32_e64 v22, 0, 1, vcc
	v_lshlrev_b32_e32 v22, 2, v22
	v_add_lshl_u32 v42, v22, v41, 2
	ds_bpermute_b32 v22, v42, v21
	v_cmp_le_u32_e32 vcc, v45, v11
	v_add_u32_e32 v49, 16, v34
	v_add_u32_e32 v51, 32, v34
	s_waitcnt lgkmcnt(0)
	v_cndmask_b32_e32 v22, 0, v22, vcc
	v_cmp_gt_u32_e32 vcc, 56, v34
	v_add_u32_e32 v21, v21, v22
	v_cndmask_b32_e64 v22, 0, 1, vcc
	v_lshlrev_b32_e32 v22, 3, v22
	v_add_lshl_u32 v46, v22, v41, 2
	ds_bpermute_b32 v22, v46, v21
	v_cmp_le_u32_e32 vcc, v47, v11
	s_waitcnt lgkmcnt(0)
	v_cndmask_b32_e32 v22, 0, v22, vcc
	v_cmp_gt_u32_e32 vcc, 48, v34
	v_add_u32_e32 v21, v21, v22
	v_cndmask_b32_e64 v22, 0, 1, vcc
	v_lshlrev_b32_e32 v22, 4, v22
	v_add_lshl_u32 v48, v22, v41, 2
	ds_bpermute_b32 v22, v48, v21
	v_cmp_le_u32_e32 vcc, v49, v11
	;; [unrolled: 9-line block ×3, first 2 shown]
	s_waitcnt lgkmcnt(0)
	v_cndmask_b32_e32 v11, 0, v22, vcc
	v_add_u32_e32 v22, v21, v11
	v_mov_b32_e32 v21, 0
	s_branch .LBB643_67
.LBB643_66:                             ;   in Loop: Header=BB643_67 Depth=1
	s_or_b64 exec, exec, s[20:21]
	v_cmp_eq_u16_sdwa s[20:21], v23, v32 src0_sel:BYTE_0 src1_sel:DWORD
	v_and_b32_e32 v26, s21, v25
	v_or_b32_e32 v26, 0x80000000, v26
	ds_bpermute_b32 v52, v36, v22
	v_and_b32_e32 v27, s20, v24
	v_ffbl_b32_e32 v26, v26
	v_add_u32_e32 v26, 32, v26
	v_ffbl_b32_e32 v27, v27
	v_min_u32_e32 v26, v27, v26
	v_cmp_lt_u32_e32 vcc, v34, v26
	s_waitcnt lgkmcnt(0)
	v_cndmask_b32_e32 v27, 0, v52, vcc
	v_add_u32_e32 v22, v27, v22
	ds_bpermute_b32 v27, v38, v22
	v_cmp_le_u32_e32 vcc, v40, v26
	v_subrev_u32_e32 v20, 64, v20
	s_waitcnt lgkmcnt(0)
	v_cndmask_b32_e32 v27, 0, v27, vcc
	v_add_u32_e32 v22, v22, v27
	ds_bpermute_b32 v27, v42, v22
	v_cmp_le_u32_e32 vcc, v45, v26
	s_waitcnt lgkmcnt(0)
	v_cndmask_b32_e32 v27, 0, v27, vcc
	v_add_u32_e32 v22, v22, v27
	ds_bpermute_b32 v27, v46, v22
	v_cmp_le_u32_e32 vcc, v47, v26
	;; [unrolled: 5-line block ×4, first 2 shown]
	s_waitcnt lgkmcnt(0)
	v_cndmask_b32_e32 v26, 0, v27, vcc
	v_add3_u32 v22, v26, v11, v22
.LBB643_67:                             ; =>This Loop Header: Depth=1
                                        ;     Child Loop BB643_70 Depth 2
	v_cmp_ne_u16_sdwa s[20:21], v23, v32 src0_sel:BYTE_0 src1_sel:DWORD
	v_cndmask_b32_e64 v11, 0, 1, s[20:21]
	;;#ASMSTART
	;;#ASMEND
	v_cmp_ne_u32_e32 vcc, 0, v11
	s_cmp_lg_u64 vcc, exec
	v_mov_b32_e32 v11, v22
	s_cbranch_scc1 .LBB643_72
; %bb.68:                               ;   in Loop: Header=BB643_67 Depth=1
	v_lshlrev_b64 v[22:23], 3, v[20:21]
	v_mov_b32_e32 v27, s31
	v_add_co_u32_e32 v26, vcc, s30, v22
	v_addc_co_u32_e32 v27, vcc, v27, v23, vcc
	global_load_dwordx2 v[22:23], v[26:27], off glc
	s_waitcnt vmcnt(0)
	v_cmp_eq_u16_sdwa s[34:35], v23, v21 src0_sel:BYTE_0 src1_sel:DWORD
	s_and_saveexec_b64 s[20:21], s[34:35]
	s_cbranch_execz .LBB643_66
; %bb.69:                               ;   in Loop: Header=BB643_67 Depth=1
	s_mov_b64 s[34:35], 0
.LBB643_70:                             ;   Parent Loop BB643_67 Depth=1
                                        ; =>  This Inner Loop Header: Depth=2
	global_load_dwordx2 v[22:23], v[26:27], off glc
	s_waitcnt vmcnt(0)
	v_cmp_ne_u16_sdwa s[36:37], v23, v21 src0_sel:BYTE_0 src1_sel:DWORD
	s_or_b64 s[34:35], s[36:37], s[34:35]
	s_andn2_b64 exec, exec, s[34:35]
	s_cbranch_execnz .LBB643_70
; %bb.71:                               ;   in Loop: Header=BB643_67 Depth=1
	s_or_b64 exec, exec, s[34:35]
	s_branch .LBB643_66
.LBB643_72:                             ;   in Loop: Header=BB643_67 Depth=1
                                        ; implicit-def: $vgpr22
                                        ; implicit-def: $vgpr23
	s_cbranch_execz .LBB643_67
; %bb.73:
	s_and_saveexec_b64 s[20:21], s[16:17]
	s_cbranch_execz .LBB643_75
; %bb.74:
	s_add_i32 s34, s33, 64
	s_mov_b32 s35, 0
	s_lshl_b64 s[34:35], s[34:35], 3
	s_add_u32 s34, s30, s34
	v_add_u32_e32 v20, v11, v10
	v_mov_b32_e32 v21, 2
	s_addc_u32 s35, s31, s35
	v_mov_b32_e32 v22, 0
	global_store_dwordx2 v22, v[20:21], s[34:35]
	ds_write_b64 v22, v[10:11] offset:10240
.LBB643_75:
	s_or_b64 exec, exec, s[20:21]
	s_and_b64 exec, exec, s[0:1]
	s_cbranch_execz .LBB643_77
; %bb.76:
	v_mov_b32_e32 v10, 0
	ds_write_b32 v10, v11 offset:12
.LBB643_77:
	s_or_b64 exec, exec, s[18:19]
	v_mov_b32_e32 v10, 0
	s_waitcnt lgkmcnt(0)
	s_barrier
	ds_read_b32 v11, v10 offset:12
	v_cndmask_b32_e64 v20, v30, v28, s[16:17]
	v_cndmask_b32_e64 v20, v20, 0, s[0:1]
	s_waitcnt lgkmcnt(0)
	s_barrier
	v_add_u32_e32 v42, v11, v20
	v_add_u32_sdwa v40, v42, v18 dst_sel:DWORD dst_unused:UNUSED_PAD src0_sel:DWORD src1_sel:BYTE_0
	v_add_u32_sdwa v38, v40, v18 dst_sel:DWORD dst_unused:UNUSED_PAD src0_sel:DWORD src1_sel:BYTE_1
	v_add_u32_e32 v36, v38, v29
	v_add_u32_e32 v34, v36, v31
	ds_read_b64 v[10:11], v10 offset:10240
	v_add_u32_e32 v32, v34, v33
	v_add_u32_e32 v30, v32, v35
	;; [unrolled: 1-line block ×5, first 2 shown]
	s_waitcnt lgkmcnt(0)
	v_mov_b32_e32 v20, v11
	v_lshrrev_b64 v[26:27], 24, v[18:19]
	s_branch .LBB643_88
.LBB643_78:
                                        ; implicit-def: $vgpr20
                                        ; implicit-def: $vgpr10
                                        ; implicit-def: $vgpr22
                                        ; implicit-def: $vgpr24
                                        ; implicit-def: $vgpr28
                                        ; implicit-def: $vgpr30
                                        ; implicit-def: $vgpr32
                                        ; implicit-def: $vgpr34
                                        ; implicit-def: $vgpr36
                                        ; implicit-def: $vgpr38
                                        ; implicit-def: $vgpr40
                                        ; implicit-def: $vgpr42
	v_lshrrev_b64 v[26:27], 24, v[18:19]
	s_cbranch_execz .LBB643_88
; %bb.79:
	v_mov_b32_dpp v10, v44 row_shr:1 row_mask:0xf bank_mask:0xf
	v_cndmask_b32_e64 v10, v10, 0, s[14:15]
	v_add_u32_e32 v10, v10, v44
	s_nop 1
	v_mov_b32_dpp v11, v10 row_shr:2 row_mask:0xf bank_mask:0xf
	v_cndmask_b32_e64 v11, 0, v11, s[12:13]
	v_add_u32_e32 v10, v10, v11
	s_nop 1
	;; [unrolled: 4-line block ×4, first 2 shown]
	v_mov_b32_dpp v11, v10 row_bcast:15 row_mask:0xf bank_mask:0xf
	v_cndmask_b32_e64 v11, v11, 0, s[6:7]
	v_add_u32_e32 v10, v10, v11
	s_nop 1
	v_mov_b32_dpp v11, v10 row_bcast:31 row_mask:0xf bank_mask:0xf
	v_cndmask_b32_e64 v11, 0, v11, s[2:3]
	v_add_u32_e32 v10, v10, v11
	s_and_saveexec_b64 s[2:3], s[4:5]
	s_cbranch_execz .LBB643_81
; %bb.80:
	v_lshlrev_b32_e32 v11, 2, v43
	ds_write_b32 v11, v10
.LBB643_81:
	s_or_b64 exec, exec, s[2:3]
	v_cmp_gt_u32_e32 vcc, 4, v0
	s_waitcnt lgkmcnt(0)
	s_barrier
	s_and_saveexec_b64 s[2:3], vcc
	s_cbranch_execz .LBB643_83
; %bb.82:
	s_movk_i32 s4, 0xffdc
	v_mad_i32_i24 v1, v0, s4, v1
	ds_read_b32 v11, v1
	v_and_b32_e32 v20, 3, v41
	v_cmp_ne_u32_e32 vcc, 0, v20
	s_waitcnt lgkmcnt(0)
	v_mov_b32_dpp v21, v11 row_shr:1 row_mask:0xf bank_mask:0xf
	v_cndmask_b32_e32 v21, 0, v21, vcc
	v_add_u32_e32 v11, v21, v11
	v_cmp_lt_u32_e32 vcc, 1, v20
	s_nop 0
	v_mov_b32_dpp v21, v11 row_shr:2 row_mask:0xf bank_mask:0xf
	v_cndmask_b32_e32 v20, 0, v21, vcc
	v_add_u32_e32 v11, v11, v20
	ds_write_b32 v1, v11
.LBB643_83:
	s_or_b64 exec, exec, s[2:3]
	v_cmp_lt_u32_e32 vcc, 63, v0
	v_mov_b32_e32 v11, 0
	v_mov_b32_e32 v1, 0
	s_waitcnt lgkmcnt(0)
	s_barrier
	s_and_saveexec_b64 s[2:3], vcc
	s_cbranch_execz .LBB643_85
; %bb.84:
	v_lshl_add_u32 v1, v43, 2, -4
	ds_read_b32 v1, v1
.LBB643_85:
	s_or_b64 exec, exec, s[2:3]
	v_add_u32_e32 v20, -1, v41
	v_and_b32_e32 v21, 64, v41
	v_cmp_lt_i32_e32 vcc, v20, v21
	v_cndmask_b32_e32 v20, v20, v41, vcc
	s_waitcnt lgkmcnt(0)
	v_add_u32_e32 v10, v1, v10
	v_lshlrev_b32_e32 v20, 2, v20
	ds_bpermute_b32 v20, v20, v10
	ds_read_b32 v10, v11 offset:12
	s_and_saveexec_b64 s[2:3], s[0:1]
	s_cbranch_execz .LBB643_87
; %bb.86:
	v_mov_b32_e32 v21, 0
	v_mov_b32_e32 v11, 2
	s_waitcnt lgkmcnt(0)
	global_store_dwordx2 v21, v[10:11], s[30:31] offset:512
.LBB643_87:
	s_or_b64 exec, exec, s[2:3]
	v_cmp_eq_u32_e32 vcc, 0, v41
	s_waitcnt lgkmcnt(1)
	v_cndmask_b32_e32 v1, v20, v1, vcc
	v_cndmask_b32_e64 v42, v1, 0, s[0:1]
	v_add_u32_sdwa v40, v42, v18 dst_sel:DWORD dst_unused:UNUSED_PAD src0_sel:DWORD src1_sel:BYTE_0
	v_add_u32_sdwa v38, v40, v18 dst_sel:DWORD dst_unused:UNUSED_PAD src0_sel:DWORD src1_sel:BYTE_1
	v_add_u32_e32 v36, v38, v29
	v_add_u32_e32 v34, v36, v31
	v_add_u32_e32 v32, v34, v33
	v_add_u32_e32 v30, v32, v35
	v_add_u32_e32 v28, v30, v37
	v_add_u32_e32 v24, v28, v13
	v_mov_b32_e32 v20, 0
	v_add_u32_e32 v22, v24, v39
	s_waitcnt lgkmcnt(0)
	s_barrier
.LBB643_88:
	s_movk_i32 s2, 0x101
	v_cmp_gt_u32_e32 vcc, s2, v10
	v_lshrrev_b32_e32 v21, 8, v18
	v_lshrrev_b32_e32 v11, 8, v19
	;; [unrolled: 1-line block ×3, first 2 shown]
	s_mov_b64 s[2:3], -1
	s_cbranch_vccnz .LBB643_92
; %bb.89:
	s_and_b64 vcc, exec, s[2:3]
	s_cbranch_vccnz .LBB643_123
.LBB643_90:
	s_and_b64 s[0:1], s[0:1], s[22:23]
	s_and_saveexec_b64 s[2:3], s[0:1]
	s_cbranch_execnz .LBB643_159
.LBB643_91:
	s_endpgm
.LBB643_92:
	v_lshlrev_b64 v[44:45], 2, v[14:15]
	v_mov_b32_e32 v25, s29
	v_add_co_u32_e32 v27, vcc, s28, v44
	v_add_u32_e32 v23, v20, v10
	v_addc_co_u32_e32 v44, vcc, v25, v45, vcc
	v_cmp_lt_u32_e32 vcc, v42, v23
	s_or_b64 s[4:5], s[26:27], vcc
	s_and_saveexec_b64 s[2:3], s[4:5]
	s_cbranch_execz .LBB643_95
; %bb.93:
	v_and_b32_e32 v25, 1, v18
	v_cmp_eq_u32_e32 vcc, 1, v25
	s_and_b64 exec, exec, vcc
	s_cbranch_execz .LBB643_95
; %bb.94:
	v_mov_b32_e32 v43, 0
	v_lshlrev_b64 v[46:47], 2, v[42:43]
	v_add_co_u32_e32 v46, vcc, v27, v46
	v_addc_co_u32_e32 v47, vcc, v44, v47, vcc
	global_store_dword v[46:47], v6, off
.LBB643_95:
	s_or_b64 exec, exec, s[2:3]
	v_cmp_lt_u32_e32 vcc, v40, v23
	s_or_b64 s[4:5], s[26:27], vcc
	s_and_saveexec_b64 s[2:3], s[4:5]
	s_cbranch_execz .LBB643_98
; %bb.96:
	v_and_b32_e32 v25, 1, v21
	v_cmp_eq_u32_e32 vcc, 1, v25
	s_and_b64 exec, exec, vcc
	s_cbranch_execz .LBB643_98
; %bb.97:
	v_mov_b32_e32 v41, 0
	v_lshlrev_b64 v[46:47], 2, v[40:41]
	v_add_co_u32_e32 v46, vcc, v27, v46
	v_addc_co_u32_e32 v47, vcc, v44, v47, vcc
	global_store_dword v[46:47], v7, off
.LBB643_98:
	s_or_b64 exec, exec, s[2:3]
	v_cmp_lt_u32_e32 vcc, v38, v23
	s_or_b64 s[4:5], s[26:27], vcc
	s_and_saveexec_b64 s[2:3], s[4:5]
	s_cbranch_execz .LBB643_101
; %bb.99:
	v_mov_b32_e32 v25, 1
	v_and_b32_sdwa v25, v25, v18 dst_sel:DWORD dst_unused:UNUSED_PAD src0_sel:DWORD src1_sel:WORD_1
	v_cmp_eq_u32_e32 vcc, 1, v25
	s_and_b64 exec, exec, vcc
	s_cbranch_execz .LBB643_101
; %bb.100:
	v_mov_b32_e32 v39, 0
	v_lshlrev_b64 v[46:47], 2, v[38:39]
	v_add_co_u32_e32 v46, vcc, v27, v46
	v_addc_co_u32_e32 v47, vcc, v44, v47, vcc
	global_store_dword v[46:47], v8, off
.LBB643_101:
	s_or_b64 exec, exec, s[2:3]
	v_cmp_lt_u32_e32 vcc, v36, v23
	s_or_b64 s[4:5], s[26:27], vcc
	s_and_saveexec_b64 s[2:3], s[4:5]
	s_cbranch_execz .LBB643_104
; %bb.102:
	v_and_b32_e32 v25, 1, v26
	v_cmp_eq_u32_e32 vcc, 1, v25
	s_and_b64 exec, exec, vcc
	s_cbranch_execz .LBB643_104
; %bb.103:
	v_mov_b32_e32 v37, 0
	v_lshlrev_b64 v[46:47], 2, v[36:37]
	v_add_co_u32_e32 v46, vcc, v27, v46
	v_addc_co_u32_e32 v47, vcc, v44, v47, vcc
	global_store_dword v[46:47], v9, off
.LBB643_104:
	s_or_b64 exec, exec, s[2:3]
	v_cmp_lt_u32_e32 vcc, v34, v23
	s_or_b64 s[4:5], s[26:27], vcc
	s_and_saveexec_b64 s[2:3], s[4:5]
	s_cbranch_execz .LBB643_107
; %bb.105:
	v_and_b32_e32 v25, 1, v19
	v_cmp_eq_u32_e32 vcc, 1, v25
	s_and_b64 exec, exec, vcc
	s_cbranch_execz .LBB643_107
; %bb.106:
	v_mov_b32_e32 v35, 0
	v_lshlrev_b64 v[46:47], 2, v[34:35]
	v_add_co_u32_e32 v46, vcc, v27, v46
	v_addc_co_u32_e32 v47, vcc, v44, v47, vcc
	global_store_dword v[46:47], v2, off
.LBB643_107:
	s_or_b64 exec, exec, s[2:3]
	v_cmp_lt_u32_e32 vcc, v32, v23
	s_or_b64 s[4:5], s[26:27], vcc
	s_and_saveexec_b64 s[2:3], s[4:5]
	s_cbranch_execz .LBB643_110
; %bb.108:
	v_and_b32_e32 v25, 1, v11
	v_cmp_eq_u32_e32 vcc, 1, v25
	s_and_b64 exec, exec, vcc
	s_cbranch_execz .LBB643_110
; %bb.109:
	v_mov_b32_e32 v33, 0
	v_lshlrev_b64 v[46:47], 2, v[32:33]
	v_add_co_u32_e32 v46, vcc, v27, v46
	v_addc_co_u32_e32 v47, vcc, v44, v47, vcc
	global_store_dword v[46:47], v3, off
.LBB643_110:
	s_or_b64 exec, exec, s[2:3]
	v_cmp_lt_u32_e32 vcc, v30, v23
	s_or_b64 s[4:5], s[26:27], vcc
	s_and_saveexec_b64 s[2:3], s[4:5]
	s_cbranch_execz .LBB643_113
; %bb.111:
	v_mov_b32_e32 v25, 1
	v_and_b32_sdwa v25, v25, v19 dst_sel:DWORD dst_unused:UNUSED_PAD src0_sel:DWORD src1_sel:WORD_1
	v_cmp_eq_u32_e32 vcc, 1, v25
	s_and_b64 exec, exec, vcc
	s_cbranch_execz .LBB643_113
; %bb.112:
	v_mov_b32_e32 v31, 0
	v_lshlrev_b64 v[46:47], 2, v[30:31]
	v_add_co_u32_e32 v46, vcc, v27, v46
	v_addc_co_u32_e32 v47, vcc, v44, v47, vcc
	global_store_dword v[46:47], v4, off
.LBB643_113:
	s_or_b64 exec, exec, s[2:3]
	v_cmp_lt_u32_e32 vcc, v28, v23
	s_or_b64 s[4:5], s[26:27], vcc
	s_and_saveexec_b64 s[2:3], s[4:5]
	s_cbranch_execz .LBB643_116
; %bb.114:
	v_and_b32_e32 v25, 1, v13
	v_cmp_eq_u32_e32 vcc, 1, v25
	s_and_b64 exec, exec, vcc
	s_cbranch_execz .LBB643_116
; %bb.115:
	v_mov_b32_e32 v29, 0
	v_lshlrev_b64 v[46:47], 2, v[28:29]
	v_add_co_u32_e32 v46, vcc, v27, v46
	v_addc_co_u32_e32 v47, vcc, v44, v47, vcc
	global_store_dword v[46:47], v5, off
.LBB643_116:
	s_or_b64 exec, exec, s[2:3]
	v_cmp_lt_u32_e32 vcc, v24, v23
	s_or_b64 s[4:5], s[26:27], vcc
	s_and_saveexec_b64 s[2:3], s[4:5]
	s_cbranch_execz .LBB643_119
; %bb.117:
	v_and_b32_e32 v25, 1, v12
	v_cmp_eq_u32_e32 vcc, 1, v25
	s_and_b64 exec, exec, vcc
	s_cbranch_execz .LBB643_119
; %bb.118:
	v_mov_b32_e32 v25, 0
	v_lshlrev_b64 v[46:47], 2, v[24:25]
	v_add_co_u32_e32 v46, vcc, v27, v46
	v_addc_co_u32_e32 v47, vcc, v44, v47, vcc
	global_store_dword v[46:47], v16, off
.LBB643_119:
	;; [unrolled: 17-line block ×3, first 2 shown]
	s_or_b64 exec, exec, s[2:3]
	s_branch .LBB643_90
.LBB643_123:
	v_and_b32_e32 v23, 1, v18
	v_cmp_eq_u32_e32 vcc, 1, v23
	s_and_saveexec_b64 s[2:3], vcc
	s_cbranch_execz .LBB643_125
; %bb.124:
	v_sub_u32_e32 v23, v42, v20
	v_lshlrev_b32_e32 v23, 2, v23
	ds_write_b32 v23, v6
.LBB643_125:
	s_or_b64 exec, exec, s[2:3]
	v_and_b32_e32 v6, 1, v21
	v_cmp_eq_u32_e32 vcc, 1, v6
	s_and_saveexec_b64 s[2:3], vcc
	s_cbranch_execz .LBB643_127
; %bb.126:
	v_sub_u32_e32 v6, v40, v20
	v_lshlrev_b32_e32 v6, 2, v6
	ds_write_b32 v6, v7
.LBB643_127:
	s_or_b64 exec, exec, s[2:3]
	v_mov_b32_e32 v6, 1
	v_and_b32_sdwa v6, v6, v18 dst_sel:DWORD dst_unused:UNUSED_PAD src0_sel:DWORD src1_sel:WORD_1
	v_cmp_eq_u32_e32 vcc, 1, v6
	s_and_saveexec_b64 s[2:3], vcc
	s_cbranch_execz .LBB643_129
; %bb.128:
	v_sub_u32_e32 v6, v38, v20
	v_lshlrev_b32_e32 v6, 2, v6
	ds_write_b32 v6, v8
.LBB643_129:
	s_or_b64 exec, exec, s[2:3]
	v_and_b32_e32 v6, 1, v26
	v_cmp_eq_u32_e32 vcc, 1, v6
	s_and_saveexec_b64 s[2:3], vcc
	s_cbranch_execz .LBB643_131
; %bb.130:
	v_sub_u32_e32 v6, v36, v20
	v_lshlrev_b32_e32 v6, 2, v6
	ds_write_b32 v6, v9
.LBB643_131:
	s_or_b64 exec, exec, s[2:3]
	v_and_b32_e32 v6, 1, v19
	;; [unrolled: 10-line block ×3, first 2 shown]
	v_cmp_eq_u32_e32 vcc, 1, v2
	s_and_saveexec_b64 s[2:3], vcc
	s_cbranch_execz .LBB643_135
; %bb.134:
	v_sub_u32_e32 v2, v32, v20
	v_lshlrev_b32_e32 v2, 2, v2
	ds_write_b32 v2, v3
.LBB643_135:
	s_or_b64 exec, exec, s[2:3]
	v_mov_b32_e32 v2, 1
	v_and_b32_sdwa v2, v2, v19 dst_sel:DWORD dst_unused:UNUSED_PAD src0_sel:DWORD src1_sel:WORD_1
	v_cmp_eq_u32_e32 vcc, 1, v2
	s_and_saveexec_b64 s[2:3], vcc
	s_cbranch_execz .LBB643_137
; %bb.136:
	v_sub_u32_e32 v2, v30, v20
	v_lshlrev_b32_e32 v2, 2, v2
	ds_write_b32 v2, v4
.LBB643_137:
	s_or_b64 exec, exec, s[2:3]
	v_and_b32_e32 v2, 1, v13
	v_cmp_eq_u32_e32 vcc, 1, v2
	s_and_saveexec_b64 s[2:3], vcc
	s_cbranch_execz .LBB643_139
; %bb.138:
	v_sub_u32_e32 v2, v28, v20
	v_lshlrev_b32_e32 v2, 2, v2
	ds_write_b32 v2, v5
.LBB643_139:
	s_or_b64 exec, exec, s[2:3]
	v_and_b32_e32 v2, 1, v12
	;; [unrolled: 10-line block ×3, first 2 shown]
	v_cmp_eq_u32_e32 vcc, 1, v1
	s_and_saveexec_b64 s[2:3], vcc
	s_cbranch_execz .LBB643_143
; %bb.142:
	v_sub_u32_e32 v1, v22, v20
	v_lshlrev_b32_e32 v1, 2, v1
	ds_write_b32 v1, v17
.LBB643_143:
	s_or_b64 exec, exec, s[2:3]
	v_cmp_lt_u32_e32 vcc, v0, v10
	s_waitcnt lgkmcnt(0)
	s_barrier
	s_and_saveexec_b64 s[6:7], vcc
	s_cbranch_execz .LBB643_158
; %bb.144:
	v_lshlrev_b64 v[2:3], 2, v[14:15]
	v_mov_b32_e32 v21, 0
	v_mov_b32_e32 v1, s29
	v_add_co_u32_e32 v4, vcc, s28, v2
	v_addc_co_u32_e32 v1, vcc, v1, v3, vcc
	v_lshlrev_b64 v[2:3], 2, v[20:21]
	v_add_co_u32_e32 v6, vcc, v4, v2
	v_addc_co_u32_e32 v7, vcc, v1, v3, vcc
	v_xad_u32 v1, v0, -1, v10
	s_movk_i32 s2, 0x1700
	v_cmp_gt_u32_e32 vcc, s2, v1
	s_movk_i32 s2, 0x16ff
	v_cmp_lt_u32_e64 s[2:3], s2, v1
	s_and_saveexec_b64 s[8:9], s[2:3]
	s_cbranch_execz .LBB643_155
; %bb.145:
	v_sub_u32_e32 v2, v0, v10
	v_or_b32_e32 v2, 0xff, v2
	v_cmp_ge_u32_e64 s[2:3], v2, v0
	s_mov_b64 s[4:5], -1
	s_and_saveexec_b64 s[10:11], s[2:3]
	s_cbranch_execz .LBB643_154
; %bb.146:
	v_lshrrev_b32_e32 v8, 8, v1
	v_add_u32_e32 v2, -1, v8
	v_or_b32_e32 v1, 0x100, v0
	v_lshrrev_b32_e32 v3, 1, v2
	v_add_u32_e32 v11, 1, v3
	v_cmp_lt_u32_e64 s[2:3], 13, v2
	v_mov_b32_e32 v16, 0
	v_lshlrev_b32_e32 v9, 2, v0
	v_pk_mov_b32 v[2:3], v[0:1], v[0:1] op_sel:[0,1]
	s_and_saveexec_b64 s[12:13], s[2:3]
	s_cbranch_execz .LBB643_150
; %bb.147:
	v_and_b32_e32 v12, -8, v11
	s_mov_b32 s16, 0
	s_mov_b64 s[14:15], 0
	v_mov_b32_e32 v5, 0
	v_mov_b32_e32 v13, v9
	v_pk_mov_b32 v[2:3], v[0:1], v[0:1] op_sel:[0,1]
.LBB643_148:                            ; =>This Inner Loop Header: Depth=1
	v_mov_b32_e32 v4, v2
	v_add_u32_e32 v12, -8, v12
	v_lshlrev_b64 v[48:49], 2, v[4:5]
	v_mov_b32_e32 v4, v3
	ds_read2st64_b32 v[18:19], v13 offset1:4
	s_add_i32 s16, s16, 16
	v_cmp_eq_u32_e64 s[2:3], 0, v12
	v_lshlrev_b64 v[52:53], 2, v[4:5]
	v_add_u32_e32 v4, 0x200, v2
	s_or_b64 s[14:15], s[2:3], s[14:15]
	v_add_co_u32_e64 v52, s[2:3], v6, v52
	v_add_u32_e32 v16, 0x200, v3
	ds_read2st64_b32 v[22:23], v13 offset0:8 offset1:12
	v_mov_b32_e32 v17, v5
	ds_read2st64_b32 v[26:27], v13 offset0:16 offset1:20
	v_add_co_u32_e64 v48, s[4:5], v6, v48
	v_addc_co_u32_e64 v53, s[2:3], v7, v53, s[2:3]
	v_lshlrev_b64 v[54:55], 2, v[4:5]
	v_lshlrev_b64 v[50:51], 2, v[16:17]
	v_addc_co_u32_e64 v49, s[4:5], v7, v49, s[4:5]
	v_add_u32_e32 v4, 0x400, v2
	v_add_co_u32_e64 v54, s[2:3], v6, v54
	v_add_u32_e32 v24, 0x400, v3
	v_mov_b32_e32 v25, v5
	ds_read2st64_b32 v[30:31], v13 offset0:24 offset1:28
	v_add_co_u32_e64 v50, s[4:5], v6, v50
	v_addc_co_u32_e64 v55, s[2:3], v7, v55, s[2:3]
	v_lshlrev_b64 v[56:57], 2, v[4:5]
	ds_read2st64_b32 v[34:35], v13 offset0:32 offset1:36
	ds_read2st64_b32 v[38:39], v13 offset0:40 offset1:44
	;; [unrolled: 1-line block ×4, first 2 shown]
	v_lshlrev_b64 v[24:25], 2, v[24:25]
	v_addc_co_u32_e64 v51, s[4:5], v7, v51, s[4:5]
	v_add_u32_e32 v4, 0x600, v2
	s_waitcnt lgkmcnt(7)
	global_store_dword v[48:49], v18, off
	global_store_dword v[52:53], v19, off
	s_waitcnt lgkmcnt(6)
	global_store_dword v[54:55], v22, off
	global_store_dword v[50:51], v23, off
	v_add_co_u32_e64 v18, s[2:3], v6, v56
	v_add_u32_e32 v28, 0x600, v3
	v_mov_b32_e32 v29, v5
	v_add_co_u32_e64 v24, s[4:5], v6, v24
	v_addc_co_u32_e64 v19, s[2:3], v7, v57, s[2:3]
	v_lshlrev_b64 v[22:23], 2, v[4:5]
	v_lshlrev_b64 v[28:29], 2, v[28:29]
	v_addc_co_u32_e64 v25, s[4:5], v7, v25, s[4:5]
	v_add_u32_e32 v4, 0x800, v2
	s_waitcnt lgkmcnt(5)
	global_store_dword v[18:19], v26, off
	global_store_dword v[24:25], v27, off
	v_add_co_u32_e64 v18, s[2:3], v6, v22
	v_add_u32_e32 v32, 0x800, v3
	v_mov_b32_e32 v33, v5
	v_add_co_u32_e64 v28, s[4:5], v6, v28
	v_addc_co_u32_e64 v19, s[2:3], v7, v23, s[2:3]
	v_lshlrev_b64 v[22:23], 2, v[4:5]
	v_lshlrev_b64 v[32:33], 2, v[32:33]
	v_addc_co_u32_e64 v29, s[4:5], v7, v29, s[4:5]
	v_add_u32_e32 v4, 0xa00, v2
	;; [unrolled: 12-line block ×4, first 2 shown]
	s_waitcnt lgkmcnt(2)
	global_store_dword v[18:19], v38, off
	global_store_dword v[36:37], v39, off
	v_add_co_u32_e64 v18, s[2:3], v6, v22
	v_add_u32_e32 v44, 0xe00, v3
	v_mov_b32_e32 v45, v5
	v_add_co_u32_e64 v40, s[4:5], v6, v40
	v_addc_co_u32_e64 v19, s[2:3], v7, v23, s[2:3]
	v_lshlrev_b64 v[22:23], 2, v[4:5]
	v_lshlrev_b64 v[44:45], 2, v[44:45]
	v_addc_co_u32_e64 v41, s[4:5], v7, v41, s[4:5]
	s_waitcnt lgkmcnt(1)
	global_store_dword v[18:19], v42, off
	global_store_dword v[40:41], v43, off
	v_add_co_u32_e64 v18, s[2:3], v6, v22
	v_add_u32_e32 v13, 0x4000, v13
	v_add_u32_e32 v3, 0x1000, v3
	v_mov_b32_e32 v16, s16
	v_add_co_u32_e64 v44, s[4:5], v6, v44
	v_add_u32_e32 v2, 0x1000, v2
	v_addc_co_u32_e64 v19, s[2:3], v7, v23, s[2:3]
	v_addc_co_u32_e64 v45, s[4:5], v7, v45, s[4:5]
	s_waitcnt lgkmcnt(0)
	global_store_dword v[18:19], v46, off
	global_store_dword v[44:45], v47, off
	s_andn2_b64 exec, exec, s[14:15]
	s_cbranch_execnz .LBB643_148
; %bb.149:
	s_or_b64 exec, exec, s[14:15]
.LBB643_150:
	s_or_b64 exec, exec, s[12:13]
	v_and_b32_e32 v1, 7, v11
	v_cmp_ne_u32_e64 s[2:3], 0, v1
	s_and_saveexec_b64 s[12:13], s[2:3]
	s_cbranch_execz .LBB643_153
; %bb.151:
	v_lshl_or_b32 v9, v16, 10, v9
	s_mov_b64 s[14:15], 0
	v_mov_b32_e32 v5, 0
.LBB643_152:                            ; =>This Inner Loop Header: Depth=1
	ds_read2st64_b32 v[12:13], v9 offset1:4
	v_mov_b32_e32 v4, v2
	v_add_u32_e32 v1, -1, v1
	v_lshlrev_b64 v[16:17], 2, v[4:5]
	v_mov_b32_e32 v4, v3
	v_cmp_eq_u32_e64 s[2:3], 0, v1
	v_add_co_u32_e64 v16, s[4:5], v6, v16
	v_lshlrev_b64 v[18:19], 2, v[4:5]
	v_add_u32_e32 v2, 0x200, v2
	v_add_u32_e32 v9, 0x800, v9
	;; [unrolled: 1-line block ×3, first 2 shown]
	v_addc_co_u32_e64 v17, s[4:5], v7, v17, s[4:5]
	s_or_b64 s[14:15], s[2:3], s[14:15]
	v_add_co_u32_e64 v18, s[2:3], v6, v18
	v_addc_co_u32_e64 v19, s[2:3], v7, v19, s[2:3]
	s_waitcnt lgkmcnt(0)
	global_store_dword v[16:17], v12, off
	global_store_dword v[18:19], v13, off
	s_andn2_b64 exec, exec, s[14:15]
	s_cbranch_execnz .LBB643_152
.LBB643_153:
	s_or_b64 exec, exec, s[12:13]
	v_add_u32_e32 v1, 1, v8
	v_and_b32_e32 v2, 0x1fffffe, v1
	v_cmp_ne_u32_e64 s[2:3], v1, v2
	v_lshl_or_b32 v0, v2, 8, v0
	s_orn2_b64 s[4:5], s[2:3], exec
.LBB643_154:
	s_or_b64 exec, exec, s[10:11]
	s_andn2_b64 s[2:3], vcc, exec
	s_and_b64 s[4:5], s[4:5], exec
	s_or_b64 vcc, s[2:3], s[4:5]
.LBB643_155:
	s_or_b64 exec, exec, s[8:9]
	s_and_b64 exec, exec, vcc
	s_cbranch_execz .LBB643_158
; %bb.156:
	v_lshlrev_b32_e32 v2, 2, v0
	s_mov_b64 s[2:3], 0
	v_mov_b32_e32 v1, 0
.LBB643_157:                            ; =>This Inner Loop Header: Depth=1
	ds_read_b32 v3, v2
	v_lshlrev_b64 v[4:5], 2, v[0:1]
	v_add_co_u32_e32 v4, vcc, v6, v4
	v_add_u32_e32 v0, 0x100, v0
	v_addc_co_u32_e32 v5, vcc, v7, v5, vcc
	v_cmp_ge_u32_e32 vcc, v0, v10
	v_add_u32_e32 v2, 0x400, v2
	s_or_b64 s[2:3], vcc, s[2:3]
	s_waitcnt lgkmcnt(0)
	global_store_dword v[4:5], v3, off
	s_andn2_b64 exec, exec, s[2:3]
	s_cbranch_execnz .LBB643_157
.LBB643_158:
	s_or_b64 exec, exec, s[6:7]
	s_and_b64 s[0:1], s[0:1], s[22:23]
	s_and_saveexec_b64 s[2:3], s[0:1]
	s_cbranch_execz .LBB643_91
.LBB643_159:
	v_add_co_u32_e32 v0, vcc, v14, v10
	v_addc_co_u32_e32 v1, vcc, 0, v15, vcc
	v_add_co_u32_e32 v0, vcc, v0, v20
	v_mov_b32_e32 v2, 0
	v_addc_co_u32_e32 v1, vcc, 0, v1, vcc
	global_store_dwordx2 v2, v[0:1], s[24:25]
	s_endpgm
.LBB643_160:
	s_or_b64 exec, exec, s[6:7]
	s_and_saveexec_b64 s[2:3], s[38:39]
	s_cbranch_execnz .LBB643_48
	s_branch .LBB643_49
	.section	.rodata,"a",@progbits
	.p2align	6, 0x0
	.amdhsa_kernel _ZN7rocprim17ROCPRIM_400000_NS6detail17trampoline_kernelINS0_14default_configENS1_25partition_config_selectorILNS1_17partition_subalgoE8EjNS0_10empty_typeEbEEZZNS1_14partition_implILS5_8ELb0ES3_jPKjPS6_PKS6_NS0_5tupleIJPjS6_EEENSE_IJSB_SB_EEENS0_18inequality_wrapperIN6hipcub16HIPCUB_304000_NS8EqualityEEEPlJS6_EEE10hipError_tPvRmT3_T4_T5_T6_T7_T9_mT8_P12ihipStream_tbDpT10_ENKUlT_T0_E_clISt17integral_constantIbLb0EES16_IbLb1EEEEDaS12_S13_EUlS12_E_NS1_11comp_targetILNS1_3genE4ELNS1_11target_archE910ELNS1_3gpuE8ELNS1_3repE0EEENS1_30default_config_static_selectorELNS0_4arch9wavefront6targetE1EEEvT1_
		.amdhsa_group_segment_fixed_size 10248
		.amdhsa_private_segment_fixed_size 0
		.amdhsa_kernarg_size 128
		.amdhsa_user_sgpr_count 6
		.amdhsa_user_sgpr_private_segment_buffer 1
		.amdhsa_user_sgpr_dispatch_ptr 0
		.amdhsa_user_sgpr_queue_ptr 0
		.amdhsa_user_sgpr_kernarg_segment_ptr 1
		.amdhsa_user_sgpr_dispatch_id 0
		.amdhsa_user_sgpr_flat_scratch_init 0
		.amdhsa_user_sgpr_kernarg_preload_length 0
		.amdhsa_user_sgpr_kernarg_preload_offset 0
		.amdhsa_user_sgpr_private_segment_size 0
		.amdhsa_uses_dynamic_stack 0
		.amdhsa_system_sgpr_private_segment_wavefront_offset 0
		.amdhsa_system_sgpr_workgroup_id_x 1
		.amdhsa_system_sgpr_workgroup_id_y 0
		.amdhsa_system_sgpr_workgroup_id_z 0
		.amdhsa_system_sgpr_workgroup_info 0
		.amdhsa_system_vgpr_workitem_id 0
		.amdhsa_next_free_vgpr 58
		.amdhsa_next_free_sgpr 41
		.amdhsa_accum_offset 60
		.amdhsa_reserve_vcc 1
		.amdhsa_reserve_flat_scratch 0
		.amdhsa_float_round_mode_32 0
		.amdhsa_float_round_mode_16_64 0
		.amdhsa_float_denorm_mode_32 3
		.amdhsa_float_denorm_mode_16_64 3
		.amdhsa_dx10_clamp 1
		.amdhsa_ieee_mode 1
		.amdhsa_fp16_overflow 0
		.amdhsa_tg_split 0
		.amdhsa_exception_fp_ieee_invalid_op 0
		.amdhsa_exception_fp_denorm_src 0
		.amdhsa_exception_fp_ieee_div_zero 0
		.amdhsa_exception_fp_ieee_overflow 0
		.amdhsa_exception_fp_ieee_underflow 0
		.amdhsa_exception_fp_ieee_inexact 0
		.amdhsa_exception_int_div_zero 0
	.end_amdhsa_kernel
	.section	.text._ZN7rocprim17ROCPRIM_400000_NS6detail17trampoline_kernelINS0_14default_configENS1_25partition_config_selectorILNS1_17partition_subalgoE8EjNS0_10empty_typeEbEEZZNS1_14partition_implILS5_8ELb0ES3_jPKjPS6_PKS6_NS0_5tupleIJPjS6_EEENSE_IJSB_SB_EEENS0_18inequality_wrapperIN6hipcub16HIPCUB_304000_NS8EqualityEEEPlJS6_EEE10hipError_tPvRmT3_T4_T5_T6_T7_T9_mT8_P12ihipStream_tbDpT10_ENKUlT_T0_E_clISt17integral_constantIbLb0EES16_IbLb1EEEEDaS12_S13_EUlS12_E_NS1_11comp_targetILNS1_3genE4ELNS1_11target_archE910ELNS1_3gpuE8ELNS1_3repE0EEENS1_30default_config_static_selectorELNS0_4arch9wavefront6targetE1EEEvT1_,"axG",@progbits,_ZN7rocprim17ROCPRIM_400000_NS6detail17trampoline_kernelINS0_14default_configENS1_25partition_config_selectorILNS1_17partition_subalgoE8EjNS0_10empty_typeEbEEZZNS1_14partition_implILS5_8ELb0ES3_jPKjPS6_PKS6_NS0_5tupleIJPjS6_EEENSE_IJSB_SB_EEENS0_18inequality_wrapperIN6hipcub16HIPCUB_304000_NS8EqualityEEEPlJS6_EEE10hipError_tPvRmT3_T4_T5_T6_T7_T9_mT8_P12ihipStream_tbDpT10_ENKUlT_T0_E_clISt17integral_constantIbLb0EES16_IbLb1EEEEDaS12_S13_EUlS12_E_NS1_11comp_targetILNS1_3genE4ELNS1_11target_archE910ELNS1_3gpuE8ELNS1_3repE0EEENS1_30default_config_static_selectorELNS0_4arch9wavefront6targetE1EEEvT1_,comdat
.Lfunc_end643:
	.size	_ZN7rocprim17ROCPRIM_400000_NS6detail17trampoline_kernelINS0_14default_configENS1_25partition_config_selectorILNS1_17partition_subalgoE8EjNS0_10empty_typeEbEEZZNS1_14partition_implILS5_8ELb0ES3_jPKjPS6_PKS6_NS0_5tupleIJPjS6_EEENSE_IJSB_SB_EEENS0_18inequality_wrapperIN6hipcub16HIPCUB_304000_NS8EqualityEEEPlJS6_EEE10hipError_tPvRmT3_T4_T5_T6_T7_T9_mT8_P12ihipStream_tbDpT10_ENKUlT_T0_E_clISt17integral_constantIbLb0EES16_IbLb1EEEEDaS12_S13_EUlS12_E_NS1_11comp_targetILNS1_3genE4ELNS1_11target_archE910ELNS1_3gpuE8ELNS1_3repE0EEENS1_30default_config_static_selectorELNS0_4arch9wavefront6targetE1EEEvT1_, .Lfunc_end643-_ZN7rocprim17ROCPRIM_400000_NS6detail17trampoline_kernelINS0_14default_configENS1_25partition_config_selectorILNS1_17partition_subalgoE8EjNS0_10empty_typeEbEEZZNS1_14partition_implILS5_8ELb0ES3_jPKjPS6_PKS6_NS0_5tupleIJPjS6_EEENSE_IJSB_SB_EEENS0_18inequality_wrapperIN6hipcub16HIPCUB_304000_NS8EqualityEEEPlJS6_EEE10hipError_tPvRmT3_T4_T5_T6_T7_T9_mT8_P12ihipStream_tbDpT10_ENKUlT_T0_E_clISt17integral_constantIbLb0EES16_IbLb1EEEEDaS12_S13_EUlS12_E_NS1_11comp_targetILNS1_3genE4ELNS1_11target_archE910ELNS1_3gpuE8ELNS1_3repE0EEENS1_30default_config_static_selectorELNS0_4arch9wavefront6targetE1EEEvT1_
                                        ; -- End function
	.section	.AMDGPU.csdata,"",@progbits
; Kernel info:
; codeLenInByte = 7468
; NumSgprs: 45
; NumVgprs: 58
; NumAgprs: 0
; TotalNumVgprs: 58
; ScratchSize: 0
; MemoryBound: 0
; FloatMode: 240
; IeeeMode: 1
; LDSByteSize: 10248 bytes/workgroup (compile time only)
; SGPRBlocks: 5
; VGPRBlocks: 7
; NumSGPRsForWavesPerEU: 45
; NumVGPRsForWavesPerEU: 58
; AccumOffset: 60
; Occupancy: 6
; WaveLimiterHint : 1
; COMPUTE_PGM_RSRC2:SCRATCH_EN: 0
; COMPUTE_PGM_RSRC2:USER_SGPR: 6
; COMPUTE_PGM_RSRC2:TRAP_HANDLER: 0
; COMPUTE_PGM_RSRC2:TGID_X_EN: 1
; COMPUTE_PGM_RSRC2:TGID_Y_EN: 0
; COMPUTE_PGM_RSRC2:TGID_Z_EN: 0
; COMPUTE_PGM_RSRC2:TIDIG_COMP_CNT: 0
; COMPUTE_PGM_RSRC3_GFX90A:ACCUM_OFFSET: 14
; COMPUTE_PGM_RSRC3_GFX90A:TG_SPLIT: 0
	.section	.text._ZN7rocprim17ROCPRIM_400000_NS6detail17trampoline_kernelINS0_14default_configENS1_25partition_config_selectorILNS1_17partition_subalgoE8EjNS0_10empty_typeEbEEZZNS1_14partition_implILS5_8ELb0ES3_jPKjPS6_PKS6_NS0_5tupleIJPjS6_EEENSE_IJSB_SB_EEENS0_18inequality_wrapperIN6hipcub16HIPCUB_304000_NS8EqualityEEEPlJS6_EEE10hipError_tPvRmT3_T4_T5_T6_T7_T9_mT8_P12ihipStream_tbDpT10_ENKUlT_T0_E_clISt17integral_constantIbLb0EES16_IbLb1EEEEDaS12_S13_EUlS12_E_NS1_11comp_targetILNS1_3genE3ELNS1_11target_archE908ELNS1_3gpuE7ELNS1_3repE0EEENS1_30default_config_static_selectorELNS0_4arch9wavefront6targetE1EEEvT1_,"axG",@progbits,_ZN7rocprim17ROCPRIM_400000_NS6detail17trampoline_kernelINS0_14default_configENS1_25partition_config_selectorILNS1_17partition_subalgoE8EjNS0_10empty_typeEbEEZZNS1_14partition_implILS5_8ELb0ES3_jPKjPS6_PKS6_NS0_5tupleIJPjS6_EEENSE_IJSB_SB_EEENS0_18inequality_wrapperIN6hipcub16HIPCUB_304000_NS8EqualityEEEPlJS6_EEE10hipError_tPvRmT3_T4_T5_T6_T7_T9_mT8_P12ihipStream_tbDpT10_ENKUlT_T0_E_clISt17integral_constantIbLb0EES16_IbLb1EEEEDaS12_S13_EUlS12_E_NS1_11comp_targetILNS1_3genE3ELNS1_11target_archE908ELNS1_3gpuE7ELNS1_3repE0EEENS1_30default_config_static_selectorELNS0_4arch9wavefront6targetE1EEEvT1_,comdat
	.protected	_ZN7rocprim17ROCPRIM_400000_NS6detail17trampoline_kernelINS0_14default_configENS1_25partition_config_selectorILNS1_17partition_subalgoE8EjNS0_10empty_typeEbEEZZNS1_14partition_implILS5_8ELb0ES3_jPKjPS6_PKS6_NS0_5tupleIJPjS6_EEENSE_IJSB_SB_EEENS0_18inequality_wrapperIN6hipcub16HIPCUB_304000_NS8EqualityEEEPlJS6_EEE10hipError_tPvRmT3_T4_T5_T6_T7_T9_mT8_P12ihipStream_tbDpT10_ENKUlT_T0_E_clISt17integral_constantIbLb0EES16_IbLb1EEEEDaS12_S13_EUlS12_E_NS1_11comp_targetILNS1_3genE3ELNS1_11target_archE908ELNS1_3gpuE7ELNS1_3repE0EEENS1_30default_config_static_selectorELNS0_4arch9wavefront6targetE1EEEvT1_ ; -- Begin function _ZN7rocprim17ROCPRIM_400000_NS6detail17trampoline_kernelINS0_14default_configENS1_25partition_config_selectorILNS1_17partition_subalgoE8EjNS0_10empty_typeEbEEZZNS1_14partition_implILS5_8ELb0ES3_jPKjPS6_PKS6_NS0_5tupleIJPjS6_EEENSE_IJSB_SB_EEENS0_18inequality_wrapperIN6hipcub16HIPCUB_304000_NS8EqualityEEEPlJS6_EEE10hipError_tPvRmT3_T4_T5_T6_T7_T9_mT8_P12ihipStream_tbDpT10_ENKUlT_T0_E_clISt17integral_constantIbLb0EES16_IbLb1EEEEDaS12_S13_EUlS12_E_NS1_11comp_targetILNS1_3genE3ELNS1_11target_archE908ELNS1_3gpuE7ELNS1_3repE0EEENS1_30default_config_static_selectorELNS0_4arch9wavefront6targetE1EEEvT1_
	.globl	_ZN7rocprim17ROCPRIM_400000_NS6detail17trampoline_kernelINS0_14default_configENS1_25partition_config_selectorILNS1_17partition_subalgoE8EjNS0_10empty_typeEbEEZZNS1_14partition_implILS5_8ELb0ES3_jPKjPS6_PKS6_NS0_5tupleIJPjS6_EEENSE_IJSB_SB_EEENS0_18inequality_wrapperIN6hipcub16HIPCUB_304000_NS8EqualityEEEPlJS6_EEE10hipError_tPvRmT3_T4_T5_T6_T7_T9_mT8_P12ihipStream_tbDpT10_ENKUlT_T0_E_clISt17integral_constantIbLb0EES16_IbLb1EEEEDaS12_S13_EUlS12_E_NS1_11comp_targetILNS1_3genE3ELNS1_11target_archE908ELNS1_3gpuE7ELNS1_3repE0EEENS1_30default_config_static_selectorELNS0_4arch9wavefront6targetE1EEEvT1_
	.p2align	8
	.type	_ZN7rocprim17ROCPRIM_400000_NS6detail17trampoline_kernelINS0_14default_configENS1_25partition_config_selectorILNS1_17partition_subalgoE8EjNS0_10empty_typeEbEEZZNS1_14partition_implILS5_8ELb0ES3_jPKjPS6_PKS6_NS0_5tupleIJPjS6_EEENSE_IJSB_SB_EEENS0_18inequality_wrapperIN6hipcub16HIPCUB_304000_NS8EqualityEEEPlJS6_EEE10hipError_tPvRmT3_T4_T5_T6_T7_T9_mT8_P12ihipStream_tbDpT10_ENKUlT_T0_E_clISt17integral_constantIbLb0EES16_IbLb1EEEEDaS12_S13_EUlS12_E_NS1_11comp_targetILNS1_3genE3ELNS1_11target_archE908ELNS1_3gpuE7ELNS1_3repE0EEENS1_30default_config_static_selectorELNS0_4arch9wavefront6targetE1EEEvT1_,@function
_ZN7rocprim17ROCPRIM_400000_NS6detail17trampoline_kernelINS0_14default_configENS1_25partition_config_selectorILNS1_17partition_subalgoE8EjNS0_10empty_typeEbEEZZNS1_14partition_implILS5_8ELb0ES3_jPKjPS6_PKS6_NS0_5tupleIJPjS6_EEENSE_IJSB_SB_EEENS0_18inequality_wrapperIN6hipcub16HIPCUB_304000_NS8EqualityEEEPlJS6_EEE10hipError_tPvRmT3_T4_T5_T6_T7_T9_mT8_P12ihipStream_tbDpT10_ENKUlT_T0_E_clISt17integral_constantIbLb0EES16_IbLb1EEEEDaS12_S13_EUlS12_E_NS1_11comp_targetILNS1_3genE3ELNS1_11target_archE908ELNS1_3gpuE7ELNS1_3repE0EEENS1_30default_config_static_selectorELNS0_4arch9wavefront6targetE1EEEvT1_: ; @_ZN7rocprim17ROCPRIM_400000_NS6detail17trampoline_kernelINS0_14default_configENS1_25partition_config_selectorILNS1_17partition_subalgoE8EjNS0_10empty_typeEbEEZZNS1_14partition_implILS5_8ELb0ES3_jPKjPS6_PKS6_NS0_5tupleIJPjS6_EEENSE_IJSB_SB_EEENS0_18inequality_wrapperIN6hipcub16HIPCUB_304000_NS8EqualityEEEPlJS6_EEE10hipError_tPvRmT3_T4_T5_T6_T7_T9_mT8_P12ihipStream_tbDpT10_ENKUlT_T0_E_clISt17integral_constantIbLb0EES16_IbLb1EEEEDaS12_S13_EUlS12_E_NS1_11comp_targetILNS1_3genE3ELNS1_11target_archE908ELNS1_3gpuE7ELNS1_3repE0EEENS1_30default_config_static_selectorELNS0_4arch9wavefront6targetE1EEEvT1_
; %bb.0:
	.section	.rodata,"a",@progbits
	.p2align	6, 0x0
	.amdhsa_kernel _ZN7rocprim17ROCPRIM_400000_NS6detail17trampoline_kernelINS0_14default_configENS1_25partition_config_selectorILNS1_17partition_subalgoE8EjNS0_10empty_typeEbEEZZNS1_14partition_implILS5_8ELb0ES3_jPKjPS6_PKS6_NS0_5tupleIJPjS6_EEENSE_IJSB_SB_EEENS0_18inequality_wrapperIN6hipcub16HIPCUB_304000_NS8EqualityEEEPlJS6_EEE10hipError_tPvRmT3_T4_T5_T6_T7_T9_mT8_P12ihipStream_tbDpT10_ENKUlT_T0_E_clISt17integral_constantIbLb0EES16_IbLb1EEEEDaS12_S13_EUlS12_E_NS1_11comp_targetILNS1_3genE3ELNS1_11target_archE908ELNS1_3gpuE7ELNS1_3repE0EEENS1_30default_config_static_selectorELNS0_4arch9wavefront6targetE1EEEvT1_
		.amdhsa_group_segment_fixed_size 0
		.amdhsa_private_segment_fixed_size 0
		.amdhsa_kernarg_size 128
		.amdhsa_user_sgpr_count 6
		.amdhsa_user_sgpr_private_segment_buffer 1
		.amdhsa_user_sgpr_dispatch_ptr 0
		.amdhsa_user_sgpr_queue_ptr 0
		.amdhsa_user_sgpr_kernarg_segment_ptr 1
		.amdhsa_user_sgpr_dispatch_id 0
		.amdhsa_user_sgpr_flat_scratch_init 0
		.amdhsa_user_sgpr_kernarg_preload_length 0
		.amdhsa_user_sgpr_kernarg_preload_offset 0
		.amdhsa_user_sgpr_private_segment_size 0
		.amdhsa_uses_dynamic_stack 0
		.amdhsa_system_sgpr_private_segment_wavefront_offset 0
		.amdhsa_system_sgpr_workgroup_id_x 1
		.amdhsa_system_sgpr_workgroup_id_y 0
		.amdhsa_system_sgpr_workgroup_id_z 0
		.amdhsa_system_sgpr_workgroup_info 0
		.amdhsa_system_vgpr_workitem_id 0
		.amdhsa_next_free_vgpr 1
		.amdhsa_next_free_sgpr 0
		.amdhsa_accum_offset 4
		.amdhsa_reserve_vcc 0
		.amdhsa_reserve_flat_scratch 0
		.amdhsa_float_round_mode_32 0
		.amdhsa_float_round_mode_16_64 0
		.amdhsa_float_denorm_mode_32 3
		.amdhsa_float_denorm_mode_16_64 3
		.amdhsa_dx10_clamp 1
		.amdhsa_ieee_mode 1
		.amdhsa_fp16_overflow 0
		.amdhsa_tg_split 0
		.amdhsa_exception_fp_ieee_invalid_op 0
		.amdhsa_exception_fp_denorm_src 0
		.amdhsa_exception_fp_ieee_div_zero 0
		.amdhsa_exception_fp_ieee_overflow 0
		.amdhsa_exception_fp_ieee_underflow 0
		.amdhsa_exception_fp_ieee_inexact 0
		.amdhsa_exception_int_div_zero 0
	.end_amdhsa_kernel
	.section	.text._ZN7rocprim17ROCPRIM_400000_NS6detail17trampoline_kernelINS0_14default_configENS1_25partition_config_selectorILNS1_17partition_subalgoE8EjNS0_10empty_typeEbEEZZNS1_14partition_implILS5_8ELb0ES3_jPKjPS6_PKS6_NS0_5tupleIJPjS6_EEENSE_IJSB_SB_EEENS0_18inequality_wrapperIN6hipcub16HIPCUB_304000_NS8EqualityEEEPlJS6_EEE10hipError_tPvRmT3_T4_T5_T6_T7_T9_mT8_P12ihipStream_tbDpT10_ENKUlT_T0_E_clISt17integral_constantIbLb0EES16_IbLb1EEEEDaS12_S13_EUlS12_E_NS1_11comp_targetILNS1_3genE3ELNS1_11target_archE908ELNS1_3gpuE7ELNS1_3repE0EEENS1_30default_config_static_selectorELNS0_4arch9wavefront6targetE1EEEvT1_,"axG",@progbits,_ZN7rocprim17ROCPRIM_400000_NS6detail17trampoline_kernelINS0_14default_configENS1_25partition_config_selectorILNS1_17partition_subalgoE8EjNS0_10empty_typeEbEEZZNS1_14partition_implILS5_8ELb0ES3_jPKjPS6_PKS6_NS0_5tupleIJPjS6_EEENSE_IJSB_SB_EEENS0_18inequality_wrapperIN6hipcub16HIPCUB_304000_NS8EqualityEEEPlJS6_EEE10hipError_tPvRmT3_T4_T5_T6_T7_T9_mT8_P12ihipStream_tbDpT10_ENKUlT_T0_E_clISt17integral_constantIbLb0EES16_IbLb1EEEEDaS12_S13_EUlS12_E_NS1_11comp_targetILNS1_3genE3ELNS1_11target_archE908ELNS1_3gpuE7ELNS1_3repE0EEENS1_30default_config_static_selectorELNS0_4arch9wavefront6targetE1EEEvT1_,comdat
.Lfunc_end644:
	.size	_ZN7rocprim17ROCPRIM_400000_NS6detail17trampoline_kernelINS0_14default_configENS1_25partition_config_selectorILNS1_17partition_subalgoE8EjNS0_10empty_typeEbEEZZNS1_14partition_implILS5_8ELb0ES3_jPKjPS6_PKS6_NS0_5tupleIJPjS6_EEENSE_IJSB_SB_EEENS0_18inequality_wrapperIN6hipcub16HIPCUB_304000_NS8EqualityEEEPlJS6_EEE10hipError_tPvRmT3_T4_T5_T6_T7_T9_mT8_P12ihipStream_tbDpT10_ENKUlT_T0_E_clISt17integral_constantIbLb0EES16_IbLb1EEEEDaS12_S13_EUlS12_E_NS1_11comp_targetILNS1_3genE3ELNS1_11target_archE908ELNS1_3gpuE7ELNS1_3repE0EEENS1_30default_config_static_selectorELNS0_4arch9wavefront6targetE1EEEvT1_, .Lfunc_end644-_ZN7rocprim17ROCPRIM_400000_NS6detail17trampoline_kernelINS0_14default_configENS1_25partition_config_selectorILNS1_17partition_subalgoE8EjNS0_10empty_typeEbEEZZNS1_14partition_implILS5_8ELb0ES3_jPKjPS6_PKS6_NS0_5tupleIJPjS6_EEENSE_IJSB_SB_EEENS0_18inequality_wrapperIN6hipcub16HIPCUB_304000_NS8EqualityEEEPlJS6_EEE10hipError_tPvRmT3_T4_T5_T6_T7_T9_mT8_P12ihipStream_tbDpT10_ENKUlT_T0_E_clISt17integral_constantIbLb0EES16_IbLb1EEEEDaS12_S13_EUlS12_E_NS1_11comp_targetILNS1_3genE3ELNS1_11target_archE908ELNS1_3gpuE7ELNS1_3repE0EEENS1_30default_config_static_selectorELNS0_4arch9wavefront6targetE1EEEvT1_
                                        ; -- End function
	.section	.AMDGPU.csdata,"",@progbits
; Kernel info:
; codeLenInByte = 0
; NumSgprs: 4
; NumVgprs: 0
; NumAgprs: 0
; TotalNumVgprs: 0
; ScratchSize: 0
; MemoryBound: 0
; FloatMode: 240
; IeeeMode: 1
; LDSByteSize: 0 bytes/workgroup (compile time only)
; SGPRBlocks: 0
; VGPRBlocks: 0
; NumSGPRsForWavesPerEU: 4
; NumVGPRsForWavesPerEU: 1
; AccumOffset: 4
; Occupancy: 8
; WaveLimiterHint : 0
; COMPUTE_PGM_RSRC2:SCRATCH_EN: 0
; COMPUTE_PGM_RSRC2:USER_SGPR: 6
; COMPUTE_PGM_RSRC2:TRAP_HANDLER: 0
; COMPUTE_PGM_RSRC2:TGID_X_EN: 1
; COMPUTE_PGM_RSRC2:TGID_Y_EN: 0
; COMPUTE_PGM_RSRC2:TGID_Z_EN: 0
; COMPUTE_PGM_RSRC2:TIDIG_COMP_CNT: 0
; COMPUTE_PGM_RSRC3_GFX90A:ACCUM_OFFSET: 0
; COMPUTE_PGM_RSRC3_GFX90A:TG_SPLIT: 0
	.section	.text._ZN7rocprim17ROCPRIM_400000_NS6detail17trampoline_kernelINS0_14default_configENS1_25partition_config_selectorILNS1_17partition_subalgoE8EjNS0_10empty_typeEbEEZZNS1_14partition_implILS5_8ELb0ES3_jPKjPS6_PKS6_NS0_5tupleIJPjS6_EEENSE_IJSB_SB_EEENS0_18inequality_wrapperIN6hipcub16HIPCUB_304000_NS8EqualityEEEPlJS6_EEE10hipError_tPvRmT3_T4_T5_T6_T7_T9_mT8_P12ihipStream_tbDpT10_ENKUlT_T0_E_clISt17integral_constantIbLb0EES16_IbLb1EEEEDaS12_S13_EUlS12_E_NS1_11comp_targetILNS1_3genE2ELNS1_11target_archE906ELNS1_3gpuE6ELNS1_3repE0EEENS1_30default_config_static_selectorELNS0_4arch9wavefront6targetE1EEEvT1_,"axG",@progbits,_ZN7rocprim17ROCPRIM_400000_NS6detail17trampoline_kernelINS0_14default_configENS1_25partition_config_selectorILNS1_17partition_subalgoE8EjNS0_10empty_typeEbEEZZNS1_14partition_implILS5_8ELb0ES3_jPKjPS6_PKS6_NS0_5tupleIJPjS6_EEENSE_IJSB_SB_EEENS0_18inequality_wrapperIN6hipcub16HIPCUB_304000_NS8EqualityEEEPlJS6_EEE10hipError_tPvRmT3_T4_T5_T6_T7_T9_mT8_P12ihipStream_tbDpT10_ENKUlT_T0_E_clISt17integral_constantIbLb0EES16_IbLb1EEEEDaS12_S13_EUlS12_E_NS1_11comp_targetILNS1_3genE2ELNS1_11target_archE906ELNS1_3gpuE6ELNS1_3repE0EEENS1_30default_config_static_selectorELNS0_4arch9wavefront6targetE1EEEvT1_,comdat
	.protected	_ZN7rocprim17ROCPRIM_400000_NS6detail17trampoline_kernelINS0_14default_configENS1_25partition_config_selectorILNS1_17partition_subalgoE8EjNS0_10empty_typeEbEEZZNS1_14partition_implILS5_8ELb0ES3_jPKjPS6_PKS6_NS0_5tupleIJPjS6_EEENSE_IJSB_SB_EEENS0_18inequality_wrapperIN6hipcub16HIPCUB_304000_NS8EqualityEEEPlJS6_EEE10hipError_tPvRmT3_T4_T5_T6_T7_T9_mT8_P12ihipStream_tbDpT10_ENKUlT_T0_E_clISt17integral_constantIbLb0EES16_IbLb1EEEEDaS12_S13_EUlS12_E_NS1_11comp_targetILNS1_3genE2ELNS1_11target_archE906ELNS1_3gpuE6ELNS1_3repE0EEENS1_30default_config_static_selectorELNS0_4arch9wavefront6targetE1EEEvT1_ ; -- Begin function _ZN7rocprim17ROCPRIM_400000_NS6detail17trampoline_kernelINS0_14default_configENS1_25partition_config_selectorILNS1_17partition_subalgoE8EjNS0_10empty_typeEbEEZZNS1_14partition_implILS5_8ELb0ES3_jPKjPS6_PKS6_NS0_5tupleIJPjS6_EEENSE_IJSB_SB_EEENS0_18inequality_wrapperIN6hipcub16HIPCUB_304000_NS8EqualityEEEPlJS6_EEE10hipError_tPvRmT3_T4_T5_T6_T7_T9_mT8_P12ihipStream_tbDpT10_ENKUlT_T0_E_clISt17integral_constantIbLb0EES16_IbLb1EEEEDaS12_S13_EUlS12_E_NS1_11comp_targetILNS1_3genE2ELNS1_11target_archE906ELNS1_3gpuE6ELNS1_3repE0EEENS1_30default_config_static_selectorELNS0_4arch9wavefront6targetE1EEEvT1_
	.globl	_ZN7rocprim17ROCPRIM_400000_NS6detail17trampoline_kernelINS0_14default_configENS1_25partition_config_selectorILNS1_17partition_subalgoE8EjNS0_10empty_typeEbEEZZNS1_14partition_implILS5_8ELb0ES3_jPKjPS6_PKS6_NS0_5tupleIJPjS6_EEENSE_IJSB_SB_EEENS0_18inequality_wrapperIN6hipcub16HIPCUB_304000_NS8EqualityEEEPlJS6_EEE10hipError_tPvRmT3_T4_T5_T6_T7_T9_mT8_P12ihipStream_tbDpT10_ENKUlT_T0_E_clISt17integral_constantIbLb0EES16_IbLb1EEEEDaS12_S13_EUlS12_E_NS1_11comp_targetILNS1_3genE2ELNS1_11target_archE906ELNS1_3gpuE6ELNS1_3repE0EEENS1_30default_config_static_selectorELNS0_4arch9wavefront6targetE1EEEvT1_
	.p2align	8
	.type	_ZN7rocprim17ROCPRIM_400000_NS6detail17trampoline_kernelINS0_14default_configENS1_25partition_config_selectorILNS1_17partition_subalgoE8EjNS0_10empty_typeEbEEZZNS1_14partition_implILS5_8ELb0ES3_jPKjPS6_PKS6_NS0_5tupleIJPjS6_EEENSE_IJSB_SB_EEENS0_18inequality_wrapperIN6hipcub16HIPCUB_304000_NS8EqualityEEEPlJS6_EEE10hipError_tPvRmT3_T4_T5_T6_T7_T9_mT8_P12ihipStream_tbDpT10_ENKUlT_T0_E_clISt17integral_constantIbLb0EES16_IbLb1EEEEDaS12_S13_EUlS12_E_NS1_11comp_targetILNS1_3genE2ELNS1_11target_archE906ELNS1_3gpuE6ELNS1_3repE0EEENS1_30default_config_static_selectorELNS0_4arch9wavefront6targetE1EEEvT1_,@function
_ZN7rocprim17ROCPRIM_400000_NS6detail17trampoline_kernelINS0_14default_configENS1_25partition_config_selectorILNS1_17partition_subalgoE8EjNS0_10empty_typeEbEEZZNS1_14partition_implILS5_8ELb0ES3_jPKjPS6_PKS6_NS0_5tupleIJPjS6_EEENSE_IJSB_SB_EEENS0_18inequality_wrapperIN6hipcub16HIPCUB_304000_NS8EqualityEEEPlJS6_EEE10hipError_tPvRmT3_T4_T5_T6_T7_T9_mT8_P12ihipStream_tbDpT10_ENKUlT_T0_E_clISt17integral_constantIbLb0EES16_IbLb1EEEEDaS12_S13_EUlS12_E_NS1_11comp_targetILNS1_3genE2ELNS1_11target_archE906ELNS1_3gpuE6ELNS1_3repE0EEENS1_30default_config_static_selectorELNS0_4arch9wavefront6targetE1EEEvT1_: ; @_ZN7rocprim17ROCPRIM_400000_NS6detail17trampoline_kernelINS0_14default_configENS1_25partition_config_selectorILNS1_17partition_subalgoE8EjNS0_10empty_typeEbEEZZNS1_14partition_implILS5_8ELb0ES3_jPKjPS6_PKS6_NS0_5tupleIJPjS6_EEENSE_IJSB_SB_EEENS0_18inequality_wrapperIN6hipcub16HIPCUB_304000_NS8EqualityEEEPlJS6_EEE10hipError_tPvRmT3_T4_T5_T6_T7_T9_mT8_P12ihipStream_tbDpT10_ENKUlT_T0_E_clISt17integral_constantIbLb0EES16_IbLb1EEEEDaS12_S13_EUlS12_E_NS1_11comp_targetILNS1_3genE2ELNS1_11target_archE906ELNS1_3gpuE6ELNS1_3repE0EEENS1_30default_config_static_selectorELNS0_4arch9wavefront6targetE1EEEvT1_
; %bb.0:
	.section	.rodata,"a",@progbits
	.p2align	6, 0x0
	.amdhsa_kernel _ZN7rocprim17ROCPRIM_400000_NS6detail17trampoline_kernelINS0_14default_configENS1_25partition_config_selectorILNS1_17partition_subalgoE8EjNS0_10empty_typeEbEEZZNS1_14partition_implILS5_8ELb0ES3_jPKjPS6_PKS6_NS0_5tupleIJPjS6_EEENSE_IJSB_SB_EEENS0_18inequality_wrapperIN6hipcub16HIPCUB_304000_NS8EqualityEEEPlJS6_EEE10hipError_tPvRmT3_T4_T5_T6_T7_T9_mT8_P12ihipStream_tbDpT10_ENKUlT_T0_E_clISt17integral_constantIbLb0EES16_IbLb1EEEEDaS12_S13_EUlS12_E_NS1_11comp_targetILNS1_3genE2ELNS1_11target_archE906ELNS1_3gpuE6ELNS1_3repE0EEENS1_30default_config_static_selectorELNS0_4arch9wavefront6targetE1EEEvT1_
		.amdhsa_group_segment_fixed_size 0
		.amdhsa_private_segment_fixed_size 0
		.amdhsa_kernarg_size 128
		.amdhsa_user_sgpr_count 6
		.amdhsa_user_sgpr_private_segment_buffer 1
		.amdhsa_user_sgpr_dispatch_ptr 0
		.amdhsa_user_sgpr_queue_ptr 0
		.amdhsa_user_sgpr_kernarg_segment_ptr 1
		.amdhsa_user_sgpr_dispatch_id 0
		.amdhsa_user_sgpr_flat_scratch_init 0
		.amdhsa_user_sgpr_kernarg_preload_length 0
		.amdhsa_user_sgpr_kernarg_preload_offset 0
		.amdhsa_user_sgpr_private_segment_size 0
		.amdhsa_uses_dynamic_stack 0
		.amdhsa_system_sgpr_private_segment_wavefront_offset 0
		.amdhsa_system_sgpr_workgroup_id_x 1
		.amdhsa_system_sgpr_workgroup_id_y 0
		.amdhsa_system_sgpr_workgroup_id_z 0
		.amdhsa_system_sgpr_workgroup_info 0
		.amdhsa_system_vgpr_workitem_id 0
		.amdhsa_next_free_vgpr 1
		.amdhsa_next_free_sgpr 0
		.amdhsa_accum_offset 4
		.amdhsa_reserve_vcc 0
		.amdhsa_reserve_flat_scratch 0
		.amdhsa_float_round_mode_32 0
		.amdhsa_float_round_mode_16_64 0
		.amdhsa_float_denorm_mode_32 3
		.amdhsa_float_denorm_mode_16_64 3
		.amdhsa_dx10_clamp 1
		.amdhsa_ieee_mode 1
		.amdhsa_fp16_overflow 0
		.amdhsa_tg_split 0
		.amdhsa_exception_fp_ieee_invalid_op 0
		.amdhsa_exception_fp_denorm_src 0
		.amdhsa_exception_fp_ieee_div_zero 0
		.amdhsa_exception_fp_ieee_overflow 0
		.amdhsa_exception_fp_ieee_underflow 0
		.amdhsa_exception_fp_ieee_inexact 0
		.amdhsa_exception_int_div_zero 0
	.end_amdhsa_kernel
	.section	.text._ZN7rocprim17ROCPRIM_400000_NS6detail17trampoline_kernelINS0_14default_configENS1_25partition_config_selectorILNS1_17partition_subalgoE8EjNS0_10empty_typeEbEEZZNS1_14partition_implILS5_8ELb0ES3_jPKjPS6_PKS6_NS0_5tupleIJPjS6_EEENSE_IJSB_SB_EEENS0_18inequality_wrapperIN6hipcub16HIPCUB_304000_NS8EqualityEEEPlJS6_EEE10hipError_tPvRmT3_T4_T5_T6_T7_T9_mT8_P12ihipStream_tbDpT10_ENKUlT_T0_E_clISt17integral_constantIbLb0EES16_IbLb1EEEEDaS12_S13_EUlS12_E_NS1_11comp_targetILNS1_3genE2ELNS1_11target_archE906ELNS1_3gpuE6ELNS1_3repE0EEENS1_30default_config_static_selectorELNS0_4arch9wavefront6targetE1EEEvT1_,"axG",@progbits,_ZN7rocprim17ROCPRIM_400000_NS6detail17trampoline_kernelINS0_14default_configENS1_25partition_config_selectorILNS1_17partition_subalgoE8EjNS0_10empty_typeEbEEZZNS1_14partition_implILS5_8ELb0ES3_jPKjPS6_PKS6_NS0_5tupleIJPjS6_EEENSE_IJSB_SB_EEENS0_18inequality_wrapperIN6hipcub16HIPCUB_304000_NS8EqualityEEEPlJS6_EEE10hipError_tPvRmT3_T4_T5_T6_T7_T9_mT8_P12ihipStream_tbDpT10_ENKUlT_T0_E_clISt17integral_constantIbLb0EES16_IbLb1EEEEDaS12_S13_EUlS12_E_NS1_11comp_targetILNS1_3genE2ELNS1_11target_archE906ELNS1_3gpuE6ELNS1_3repE0EEENS1_30default_config_static_selectorELNS0_4arch9wavefront6targetE1EEEvT1_,comdat
.Lfunc_end645:
	.size	_ZN7rocprim17ROCPRIM_400000_NS6detail17trampoline_kernelINS0_14default_configENS1_25partition_config_selectorILNS1_17partition_subalgoE8EjNS0_10empty_typeEbEEZZNS1_14partition_implILS5_8ELb0ES3_jPKjPS6_PKS6_NS0_5tupleIJPjS6_EEENSE_IJSB_SB_EEENS0_18inequality_wrapperIN6hipcub16HIPCUB_304000_NS8EqualityEEEPlJS6_EEE10hipError_tPvRmT3_T4_T5_T6_T7_T9_mT8_P12ihipStream_tbDpT10_ENKUlT_T0_E_clISt17integral_constantIbLb0EES16_IbLb1EEEEDaS12_S13_EUlS12_E_NS1_11comp_targetILNS1_3genE2ELNS1_11target_archE906ELNS1_3gpuE6ELNS1_3repE0EEENS1_30default_config_static_selectorELNS0_4arch9wavefront6targetE1EEEvT1_, .Lfunc_end645-_ZN7rocprim17ROCPRIM_400000_NS6detail17trampoline_kernelINS0_14default_configENS1_25partition_config_selectorILNS1_17partition_subalgoE8EjNS0_10empty_typeEbEEZZNS1_14partition_implILS5_8ELb0ES3_jPKjPS6_PKS6_NS0_5tupleIJPjS6_EEENSE_IJSB_SB_EEENS0_18inequality_wrapperIN6hipcub16HIPCUB_304000_NS8EqualityEEEPlJS6_EEE10hipError_tPvRmT3_T4_T5_T6_T7_T9_mT8_P12ihipStream_tbDpT10_ENKUlT_T0_E_clISt17integral_constantIbLb0EES16_IbLb1EEEEDaS12_S13_EUlS12_E_NS1_11comp_targetILNS1_3genE2ELNS1_11target_archE906ELNS1_3gpuE6ELNS1_3repE0EEENS1_30default_config_static_selectorELNS0_4arch9wavefront6targetE1EEEvT1_
                                        ; -- End function
	.section	.AMDGPU.csdata,"",@progbits
; Kernel info:
; codeLenInByte = 0
; NumSgprs: 4
; NumVgprs: 0
; NumAgprs: 0
; TotalNumVgprs: 0
; ScratchSize: 0
; MemoryBound: 0
; FloatMode: 240
; IeeeMode: 1
; LDSByteSize: 0 bytes/workgroup (compile time only)
; SGPRBlocks: 0
; VGPRBlocks: 0
; NumSGPRsForWavesPerEU: 4
; NumVGPRsForWavesPerEU: 1
; AccumOffset: 4
; Occupancy: 8
; WaveLimiterHint : 0
; COMPUTE_PGM_RSRC2:SCRATCH_EN: 0
; COMPUTE_PGM_RSRC2:USER_SGPR: 6
; COMPUTE_PGM_RSRC2:TRAP_HANDLER: 0
; COMPUTE_PGM_RSRC2:TGID_X_EN: 1
; COMPUTE_PGM_RSRC2:TGID_Y_EN: 0
; COMPUTE_PGM_RSRC2:TGID_Z_EN: 0
; COMPUTE_PGM_RSRC2:TIDIG_COMP_CNT: 0
; COMPUTE_PGM_RSRC3_GFX90A:ACCUM_OFFSET: 0
; COMPUTE_PGM_RSRC3_GFX90A:TG_SPLIT: 0
	.section	.text._ZN7rocprim17ROCPRIM_400000_NS6detail17trampoline_kernelINS0_14default_configENS1_25partition_config_selectorILNS1_17partition_subalgoE8EjNS0_10empty_typeEbEEZZNS1_14partition_implILS5_8ELb0ES3_jPKjPS6_PKS6_NS0_5tupleIJPjS6_EEENSE_IJSB_SB_EEENS0_18inequality_wrapperIN6hipcub16HIPCUB_304000_NS8EqualityEEEPlJS6_EEE10hipError_tPvRmT3_T4_T5_T6_T7_T9_mT8_P12ihipStream_tbDpT10_ENKUlT_T0_E_clISt17integral_constantIbLb0EES16_IbLb1EEEEDaS12_S13_EUlS12_E_NS1_11comp_targetILNS1_3genE10ELNS1_11target_archE1200ELNS1_3gpuE4ELNS1_3repE0EEENS1_30default_config_static_selectorELNS0_4arch9wavefront6targetE1EEEvT1_,"axG",@progbits,_ZN7rocprim17ROCPRIM_400000_NS6detail17trampoline_kernelINS0_14default_configENS1_25partition_config_selectorILNS1_17partition_subalgoE8EjNS0_10empty_typeEbEEZZNS1_14partition_implILS5_8ELb0ES3_jPKjPS6_PKS6_NS0_5tupleIJPjS6_EEENSE_IJSB_SB_EEENS0_18inequality_wrapperIN6hipcub16HIPCUB_304000_NS8EqualityEEEPlJS6_EEE10hipError_tPvRmT3_T4_T5_T6_T7_T9_mT8_P12ihipStream_tbDpT10_ENKUlT_T0_E_clISt17integral_constantIbLb0EES16_IbLb1EEEEDaS12_S13_EUlS12_E_NS1_11comp_targetILNS1_3genE10ELNS1_11target_archE1200ELNS1_3gpuE4ELNS1_3repE0EEENS1_30default_config_static_selectorELNS0_4arch9wavefront6targetE1EEEvT1_,comdat
	.protected	_ZN7rocprim17ROCPRIM_400000_NS6detail17trampoline_kernelINS0_14default_configENS1_25partition_config_selectorILNS1_17partition_subalgoE8EjNS0_10empty_typeEbEEZZNS1_14partition_implILS5_8ELb0ES3_jPKjPS6_PKS6_NS0_5tupleIJPjS6_EEENSE_IJSB_SB_EEENS0_18inequality_wrapperIN6hipcub16HIPCUB_304000_NS8EqualityEEEPlJS6_EEE10hipError_tPvRmT3_T4_T5_T6_T7_T9_mT8_P12ihipStream_tbDpT10_ENKUlT_T0_E_clISt17integral_constantIbLb0EES16_IbLb1EEEEDaS12_S13_EUlS12_E_NS1_11comp_targetILNS1_3genE10ELNS1_11target_archE1200ELNS1_3gpuE4ELNS1_3repE0EEENS1_30default_config_static_selectorELNS0_4arch9wavefront6targetE1EEEvT1_ ; -- Begin function _ZN7rocprim17ROCPRIM_400000_NS6detail17trampoline_kernelINS0_14default_configENS1_25partition_config_selectorILNS1_17partition_subalgoE8EjNS0_10empty_typeEbEEZZNS1_14partition_implILS5_8ELb0ES3_jPKjPS6_PKS6_NS0_5tupleIJPjS6_EEENSE_IJSB_SB_EEENS0_18inequality_wrapperIN6hipcub16HIPCUB_304000_NS8EqualityEEEPlJS6_EEE10hipError_tPvRmT3_T4_T5_T6_T7_T9_mT8_P12ihipStream_tbDpT10_ENKUlT_T0_E_clISt17integral_constantIbLb0EES16_IbLb1EEEEDaS12_S13_EUlS12_E_NS1_11comp_targetILNS1_3genE10ELNS1_11target_archE1200ELNS1_3gpuE4ELNS1_3repE0EEENS1_30default_config_static_selectorELNS0_4arch9wavefront6targetE1EEEvT1_
	.globl	_ZN7rocprim17ROCPRIM_400000_NS6detail17trampoline_kernelINS0_14default_configENS1_25partition_config_selectorILNS1_17partition_subalgoE8EjNS0_10empty_typeEbEEZZNS1_14partition_implILS5_8ELb0ES3_jPKjPS6_PKS6_NS0_5tupleIJPjS6_EEENSE_IJSB_SB_EEENS0_18inequality_wrapperIN6hipcub16HIPCUB_304000_NS8EqualityEEEPlJS6_EEE10hipError_tPvRmT3_T4_T5_T6_T7_T9_mT8_P12ihipStream_tbDpT10_ENKUlT_T0_E_clISt17integral_constantIbLb0EES16_IbLb1EEEEDaS12_S13_EUlS12_E_NS1_11comp_targetILNS1_3genE10ELNS1_11target_archE1200ELNS1_3gpuE4ELNS1_3repE0EEENS1_30default_config_static_selectorELNS0_4arch9wavefront6targetE1EEEvT1_
	.p2align	8
	.type	_ZN7rocprim17ROCPRIM_400000_NS6detail17trampoline_kernelINS0_14default_configENS1_25partition_config_selectorILNS1_17partition_subalgoE8EjNS0_10empty_typeEbEEZZNS1_14partition_implILS5_8ELb0ES3_jPKjPS6_PKS6_NS0_5tupleIJPjS6_EEENSE_IJSB_SB_EEENS0_18inequality_wrapperIN6hipcub16HIPCUB_304000_NS8EqualityEEEPlJS6_EEE10hipError_tPvRmT3_T4_T5_T6_T7_T9_mT8_P12ihipStream_tbDpT10_ENKUlT_T0_E_clISt17integral_constantIbLb0EES16_IbLb1EEEEDaS12_S13_EUlS12_E_NS1_11comp_targetILNS1_3genE10ELNS1_11target_archE1200ELNS1_3gpuE4ELNS1_3repE0EEENS1_30default_config_static_selectorELNS0_4arch9wavefront6targetE1EEEvT1_,@function
_ZN7rocprim17ROCPRIM_400000_NS6detail17trampoline_kernelINS0_14default_configENS1_25partition_config_selectorILNS1_17partition_subalgoE8EjNS0_10empty_typeEbEEZZNS1_14partition_implILS5_8ELb0ES3_jPKjPS6_PKS6_NS0_5tupleIJPjS6_EEENSE_IJSB_SB_EEENS0_18inequality_wrapperIN6hipcub16HIPCUB_304000_NS8EqualityEEEPlJS6_EEE10hipError_tPvRmT3_T4_T5_T6_T7_T9_mT8_P12ihipStream_tbDpT10_ENKUlT_T0_E_clISt17integral_constantIbLb0EES16_IbLb1EEEEDaS12_S13_EUlS12_E_NS1_11comp_targetILNS1_3genE10ELNS1_11target_archE1200ELNS1_3gpuE4ELNS1_3repE0EEENS1_30default_config_static_selectorELNS0_4arch9wavefront6targetE1EEEvT1_: ; @_ZN7rocprim17ROCPRIM_400000_NS6detail17trampoline_kernelINS0_14default_configENS1_25partition_config_selectorILNS1_17partition_subalgoE8EjNS0_10empty_typeEbEEZZNS1_14partition_implILS5_8ELb0ES3_jPKjPS6_PKS6_NS0_5tupleIJPjS6_EEENSE_IJSB_SB_EEENS0_18inequality_wrapperIN6hipcub16HIPCUB_304000_NS8EqualityEEEPlJS6_EEE10hipError_tPvRmT3_T4_T5_T6_T7_T9_mT8_P12ihipStream_tbDpT10_ENKUlT_T0_E_clISt17integral_constantIbLb0EES16_IbLb1EEEEDaS12_S13_EUlS12_E_NS1_11comp_targetILNS1_3genE10ELNS1_11target_archE1200ELNS1_3gpuE4ELNS1_3repE0EEENS1_30default_config_static_selectorELNS0_4arch9wavefront6targetE1EEEvT1_
; %bb.0:
	.section	.rodata,"a",@progbits
	.p2align	6, 0x0
	.amdhsa_kernel _ZN7rocprim17ROCPRIM_400000_NS6detail17trampoline_kernelINS0_14default_configENS1_25partition_config_selectorILNS1_17partition_subalgoE8EjNS0_10empty_typeEbEEZZNS1_14partition_implILS5_8ELb0ES3_jPKjPS6_PKS6_NS0_5tupleIJPjS6_EEENSE_IJSB_SB_EEENS0_18inequality_wrapperIN6hipcub16HIPCUB_304000_NS8EqualityEEEPlJS6_EEE10hipError_tPvRmT3_T4_T5_T6_T7_T9_mT8_P12ihipStream_tbDpT10_ENKUlT_T0_E_clISt17integral_constantIbLb0EES16_IbLb1EEEEDaS12_S13_EUlS12_E_NS1_11comp_targetILNS1_3genE10ELNS1_11target_archE1200ELNS1_3gpuE4ELNS1_3repE0EEENS1_30default_config_static_selectorELNS0_4arch9wavefront6targetE1EEEvT1_
		.amdhsa_group_segment_fixed_size 0
		.amdhsa_private_segment_fixed_size 0
		.amdhsa_kernarg_size 128
		.amdhsa_user_sgpr_count 6
		.amdhsa_user_sgpr_private_segment_buffer 1
		.amdhsa_user_sgpr_dispatch_ptr 0
		.amdhsa_user_sgpr_queue_ptr 0
		.amdhsa_user_sgpr_kernarg_segment_ptr 1
		.amdhsa_user_sgpr_dispatch_id 0
		.amdhsa_user_sgpr_flat_scratch_init 0
		.amdhsa_user_sgpr_kernarg_preload_length 0
		.amdhsa_user_sgpr_kernarg_preload_offset 0
		.amdhsa_user_sgpr_private_segment_size 0
		.amdhsa_uses_dynamic_stack 0
		.amdhsa_system_sgpr_private_segment_wavefront_offset 0
		.amdhsa_system_sgpr_workgroup_id_x 1
		.amdhsa_system_sgpr_workgroup_id_y 0
		.amdhsa_system_sgpr_workgroup_id_z 0
		.amdhsa_system_sgpr_workgroup_info 0
		.amdhsa_system_vgpr_workitem_id 0
		.amdhsa_next_free_vgpr 1
		.amdhsa_next_free_sgpr 0
		.amdhsa_accum_offset 4
		.amdhsa_reserve_vcc 0
		.amdhsa_reserve_flat_scratch 0
		.amdhsa_float_round_mode_32 0
		.amdhsa_float_round_mode_16_64 0
		.amdhsa_float_denorm_mode_32 3
		.amdhsa_float_denorm_mode_16_64 3
		.amdhsa_dx10_clamp 1
		.amdhsa_ieee_mode 1
		.amdhsa_fp16_overflow 0
		.amdhsa_tg_split 0
		.amdhsa_exception_fp_ieee_invalid_op 0
		.amdhsa_exception_fp_denorm_src 0
		.amdhsa_exception_fp_ieee_div_zero 0
		.amdhsa_exception_fp_ieee_overflow 0
		.amdhsa_exception_fp_ieee_underflow 0
		.amdhsa_exception_fp_ieee_inexact 0
		.amdhsa_exception_int_div_zero 0
	.end_amdhsa_kernel
	.section	.text._ZN7rocprim17ROCPRIM_400000_NS6detail17trampoline_kernelINS0_14default_configENS1_25partition_config_selectorILNS1_17partition_subalgoE8EjNS0_10empty_typeEbEEZZNS1_14partition_implILS5_8ELb0ES3_jPKjPS6_PKS6_NS0_5tupleIJPjS6_EEENSE_IJSB_SB_EEENS0_18inequality_wrapperIN6hipcub16HIPCUB_304000_NS8EqualityEEEPlJS6_EEE10hipError_tPvRmT3_T4_T5_T6_T7_T9_mT8_P12ihipStream_tbDpT10_ENKUlT_T0_E_clISt17integral_constantIbLb0EES16_IbLb1EEEEDaS12_S13_EUlS12_E_NS1_11comp_targetILNS1_3genE10ELNS1_11target_archE1200ELNS1_3gpuE4ELNS1_3repE0EEENS1_30default_config_static_selectorELNS0_4arch9wavefront6targetE1EEEvT1_,"axG",@progbits,_ZN7rocprim17ROCPRIM_400000_NS6detail17trampoline_kernelINS0_14default_configENS1_25partition_config_selectorILNS1_17partition_subalgoE8EjNS0_10empty_typeEbEEZZNS1_14partition_implILS5_8ELb0ES3_jPKjPS6_PKS6_NS0_5tupleIJPjS6_EEENSE_IJSB_SB_EEENS0_18inequality_wrapperIN6hipcub16HIPCUB_304000_NS8EqualityEEEPlJS6_EEE10hipError_tPvRmT3_T4_T5_T6_T7_T9_mT8_P12ihipStream_tbDpT10_ENKUlT_T0_E_clISt17integral_constantIbLb0EES16_IbLb1EEEEDaS12_S13_EUlS12_E_NS1_11comp_targetILNS1_3genE10ELNS1_11target_archE1200ELNS1_3gpuE4ELNS1_3repE0EEENS1_30default_config_static_selectorELNS0_4arch9wavefront6targetE1EEEvT1_,comdat
.Lfunc_end646:
	.size	_ZN7rocprim17ROCPRIM_400000_NS6detail17trampoline_kernelINS0_14default_configENS1_25partition_config_selectorILNS1_17partition_subalgoE8EjNS0_10empty_typeEbEEZZNS1_14partition_implILS5_8ELb0ES3_jPKjPS6_PKS6_NS0_5tupleIJPjS6_EEENSE_IJSB_SB_EEENS0_18inequality_wrapperIN6hipcub16HIPCUB_304000_NS8EqualityEEEPlJS6_EEE10hipError_tPvRmT3_T4_T5_T6_T7_T9_mT8_P12ihipStream_tbDpT10_ENKUlT_T0_E_clISt17integral_constantIbLb0EES16_IbLb1EEEEDaS12_S13_EUlS12_E_NS1_11comp_targetILNS1_3genE10ELNS1_11target_archE1200ELNS1_3gpuE4ELNS1_3repE0EEENS1_30default_config_static_selectorELNS0_4arch9wavefront6targetE1EEEvT1_, .Lfunc_end646-_ZN7rocprim17ROCPRIM_400000_NS6detail17trampoline_kernelINS0_14default_configENS1_25partition_config_selectorILNS1_17partition_subalgoE8EjNS0_10empty_typeEbEEZZNS1_14partition_implILS5_8ELb0ES3_jPKjPS6_PKS6_NS0_5tupleIJPjS6_EEENSE_IJSB_SB_EEENS0_18inequality_wrapperIN6hipcub16HIPCUB_304000_NS8EqualityEEEPlJS6_EEE10hipError_tPvRmT3_T4_T5_T6_T7_T9_mT8_P12ihipStream_tbDpT10_ENKUlT_T0_E_clISt17integral_constantIbLb0EES16_IbLb1EEEEDaS12_S13_EUlS12_E_NS1_11comp_targetILNS1_3genE10ELNS1_11target_archE1200ELNS1_3gpuE4ELNS1_3repE0EEENS1_30default_config_static_selectorELNS0_4arch9wavefront6targetE1EEEvT1_
                                        ; -- End function
	.section	.AMDGPU.csdata,"",@progbits
; Kernel info:
; codeLenInByte = 0
; NumSgprs: 4
; NumVgprs: 0
; NumAgprs: 0
; TotalNumVgprs: 0
; ScratchSize: 0
; MemoryBound: 0
; FloatMode: 240
; IeeeMode: 1
; LDSByteSize: 0 bytes/workgroup (compile time only)
; SGPRBlocks: 0
; VGPRBlocks: 0
; NumSGPRsForWavesPerEU: 4
; NumVGPRsForWavesPerEU: 1
; AccumOffset: 4
; Occupancy: 8
; WaveLimiterHint : 0
; COMPUTE_PGM_RSRC2:SCRATCH_EN: 0
; COMPUTE_PGM_RSRC2:USER_SGPR: 6
; COMPUTE_PGM_RSRC2:TRAP_HANDLER: 0
; COMPUTE_PGM_RSRC2:TGID_X_EN: 1
; COMPUTE_PGM_RSRC2:TGID_Y_EN: 0
; COMPUTE_PGM_RSRC2:TGID_Z_EN: 0
; COMPUTE_PGM_RSRC2:TIDIG_COMP_CNT: 0
; COMPUTE_PGM_RSRC3_GFX90A:ACCUM_OFFSET: 0
; COMPUTE_PGM_RSRC3_GFX90A:TG_SPLIT: 0
	.section	.text._ZN7rocprim17ROCPRIM_400000_NS6detail17trampoline_kernelINS0_14default_configENS1_25partition_config_selectorILNS1_17partition_subalgoE8EjNS0_10empty_typeEbEEZZNS1_14partition_implILS5_8ELb0ES3_jPKjPS6_PKS6_NS0_5tupleIJPjS6_EEENSE_IJSB_SB_EEENS0_18inequality_wrapperIN6hipcub16HIPCUB_304000_NS8EqualityEEEPlJS6_EEE10hipError_tPvRmT3_T4_T5_T6_T7_T9_mT8_P12ihipStream_tbDpT10_ENKUlT_T0_E_clISt17integral_constantIbLb0EES16_IbLb1EEEEDaS12_S13_EUlS12_E_NS1_11comp_targetILNS1_3genE9ELNS1_11target_archE1100ELNS1_3gpuE3ELNS1_3repE0EEENS1_30default_config_static_selectorELNS0_4arch9wavefront6targetE1EEEvT1_,"axG",@progbits,_ZN7rocprim17ROCPRIM_400000_NS6detail17trampoline_kernelINS0_14default_configENS1_25partition_config_selectorILNS1_17partition_subalgoE8EjNS0_10empty_typeEbEEZZNS1_14partition_implILS5_8ELb0ES3_jPKjPS6_PKS6_NS0_5tupleIJPjS6_EEENSE_IJSB_SB_EEENS0_18inequality_wrapperIN6hipcub16HIPCUB_304000_NS8EqualityEEEPlJS6_EEE10hipError_tPvRmT3_T4_T5_T6_T7_T9_mT8_P12ihipStream_tbDpT10_ENKUlT_T0_E_clISt17integral_constantIbLb0EES16_IbLb1EEEEDaS12_S13_EUlS12_E_NS1_11comp_targetILNS1_3genE9ELNS1_11target_archE1100ELNS1_3gpuE3ELNS1_3repE0EEENS1_30default_config_static_selectorELNS0_4arch9wavefront6targetE1EEEvT1_,comdat
	.protected	_ZN7rocprim17ROCPRIM_400000_NS6detail17trampoline_kernelINS0_14default_configENS1_25partition_config_selectorILNS1_17partition_subalgoE8EjNS0_10empty_typeEbEEZZNS1_14partition_implILS5_8ELb0ES3_jPKjPS6_PKS6_NS0_5tupleIJPjS6_EEENSE_IJSB_SB_EEENS0_18inequality_wrapperIN6hipcub16HIPCUB_304000_NS8EqualityEEEPlJS6_EEE10hipError_tPvRmT3_T4_T5_T6_T7_T9_mT8_P12ihipStream_tbDpT10_ENKUlT_T0_E_clISt17integral_constantIbLb0EES16_IbLb1EEEEDaS12_S13_EUlS12_E_NS1_11comp_targetILNS1_3genE9ELNS1_11target_archE1100ELNS1_3gpuE3ELNS1_3repE0EEENS1_30default_config_static_selectorELNS0_4arch9wavefront6targetE1EEEvT1_ ; -- Begin function _ZN7rocprim17ROCPRIM_400000_NS6detail17trampoline_kernelINS0_14default_configENS1_25partition_config_selectorILNS1_17partition_subalgoE8EjNS0_10empty_typeEbEEZZNS1_14partition_implILS5_8ELb0ES3_jPKjPS6_PKS6_NS0_5tupleIJPjS6_EEENSE_IJSB_SB_EEENS0_18inequality_wrapperIN6hipcub16HIPCUB_304000_NS8EqualityEEEPlJS6_EEE10hipError_tPvRmT3_T4_T5_T6_T7_T9_mT8_P12ihipStream_tbDpT10_ENKUlT_T0_E_clISt17integral_constantIbLb0EES16_IbLb1EEEEDaS12_S13_EUlS12_E_NS1_11comp_targetILNS1_3genE9ELNS1_11target_archE1100ELNS1_3gpuE3ELNS1_3repE0EEENS1_30default_config_static_selectorELNS0_4arch9wavefront6targetE1EEEvT1_
	.globl	_ZN7rocprim17ROCPRIM_400000_NS6detail17trampoline_kernelINS0_14default_configENS1_25partition_config_selectorILNS1_17partition_subalgoE8EjNS0_10empty_typeEbEEZZNS1_14partition_implILS5_8ELb0ES3_jPKjPS6_PKS6_NS0_5tupleIJPjS6_EEENSE_IJSB_SB_EEENS0_18inequality_wrapperIN6hipcub16HIPCUB_304000_NS8EqualityEEEPlJS6_EEE10hipError_tPvRmT3_T4_T5_T6_T7_T9_mT8_P12ihipStream_tbDpT10_ENKUlT_T0_E_clISt17integral_constantIbLb0EES16_IbLb1EEEEDaS12_S13_EUlS12_E_NS1_11comp_targetILNS1_3genE9ELNS1_11target_archE1100ELNS1_3gpuE3ELNS1_3repE0EEENS1_30default_config_static_selectorELNS0_4arch9wavefront6targetE1EEEvT1_
	.p2align	8
	.type	_ZN7rocprim17ROCPRIM_400000_NS6detail17trampoline_kernelINS0_14default_configENS1_25partition_config_selectorILNS1_17partition_subalgoE8EjNS0_10empty_typeEbEEZZNS1_14partition_implILS5_8ELb0ES3_jPKjPS6_PKS6_NS0_5tupleIJPjS6_EEENSE_IJSB_SB_EEENS0_18inequality_wrapperIN6hipcub16HIPCUB_304000_NS8EqualityEEEPlJS6_EEE10hipError_tPvRmT3_T4_T5_T6_T7_T9_mT8_P12ihipStream_tbDpT10_ENKUlT_T0_E_clISt17integral_constantIbLb0EES16_IbLb1EEEEDaS12_S13_EUlS12_E_NS1_11comp_targetILNS1_3genE9ELNS1_11target_archE1100ELNS1_3gpuE3ELNS1_3repE0EEENS1_30default_config_static_selectorELNS0_4arch9wavefront6targetE1EEEvT1_,@function
_ZN7rocprim17ROCPRIM_400000_NS6detail17trampoline_kernelINS0_14default_configENS1_25partition_config_selectorILNS1_17partition_subalgoE8EjNS0_10empty_typeEbEEZZNS1_14partition_implILS5_8ELb0ES3_jPKjPS6_PKS6_NS0_5tupleIJPjS6_EEENSE_IJSB_SB_EEENS0_18inequality_wrapperIN6hipcub16HIPCUB_304000_NS8EqualityEEEPlJS6_EEE10hipError_tPvRmT3_T4_T5_T6_T7_T9_mT8_P12ihipStream_tbDpT10_ENKUlT_T0_E_clISt17integral_constantIbLb0EES16_IbLb1EEEEDaS12_S13_EUlS12_E_NS1_11comp_targetILNS1_3genE9ELNS1_11target_archE1100ELNS1_3gpuE3ELNS1_3repE0EEENS1_30default_config_static_selectorELNS0_4arch9wavefront6targetE1EEEvT1_: ; @_ZN7rocprim17ROCPRIM_400000_NS6detail17trampoline_kernelINS0_14default_configENS1_25partition_config_selectorILNS1_17partition_subalgoE8EjNS0_10empty_typeEbEEZZNS1_14partition_implILS5_8ELb0ES3_jPKjPS6_PKS6_NS0_5tupleIJPjS6_EEENSE_IJSB_SB_EEENS0_18inequality_wrapperIN6hipcub16HIPCUB_304000_NS8EqualityEEEPlJS6_EEE10hipError_tPvRmT3_T4_T5_T6_T7_T9_mT8_P12ihipStream_tbDpT10_ENKUlT_T0_E_clISt17integral_constantIbLb0EES16_IbLb1EEEEDaS12_S13_EUlS12_E_NS1_11comp_targetILNS1_3genE9ELNS1_11target_archE1100ELNS1_3gpuE3ELNS1_3repE0EEENS1_30default_config_static_selectorELNS0_4arch9wavefront6targetE1EEEvT1_
; %bb.0:
	.section	.rodata,"a",@progbits
	.p2align	6, 0x0
	.amdhsa_kernel _ZN7rocprim17ROCPRIM_400000_NS6detail17trampoline_kernelINS0_14default_configENS1_25partition_config_selectorILNS1_17partition_subalgoE8EjNS0_10empty_typeEbEEZZNS1_14partition_implILS5_8ELb0ES3_jPKjPS6_PKS6_NS0_5tupleIJPjS6_EEENSE_IJSB_SB_EEENS0_18inequality_wrapperIN6hipcub16HIPCUB_304000_NS8EqualityEEEPlJS6_EEE10hipError_tPvRmT3_T4_T5_T6_T7_T9_mT8_P12ihipStream_tbDpT10_ENKUlT_T0_E_clISt17integral_constantIbLb0EES16_IbLb1EEEEDaS12_S13_EUlS12_E_NS1_11comp_targetILNS1_3genE9ELNS1_11target_archE1100ELNS1_3gpuE3ELNS1_3repE0EEENS1_30default_config_static_selectorELNS0_4arch9wavefront6targetE1EEEvT1_
		.amdhsa_group_segment_fixed_size 0
		.amdhsa_private_segment_fixed_size 0
		.amdhsa_kernarg_size 128
		.amdhsa_user_sgpr_count 6
		.amdhsa_user_sgpr_private_segment_buffer 1
		.amdhsa_user_sgpr_dispatch_ptr 0
		.amdhsa_user_sgpr_queue_ptr 0
		.amdhsa_user_sgpr_kernarg_segment_ptr 1
		.amdhsa_user_sgpr_dispatch_id 0
		.amdhsa_user_sgpr_flat_scratch_init 0
		.amdhsa_user_sgpr_kernarg_preload_length 0
		.amdhsa_user_sgpr_kernarg_preload_offset 0
		.amdhsa_user_sgpr_private_segment_size 0
		.amdhsa_uses_dynamic_stack 0
		.amdhsa_system_sgpr_private_segment_wavefront_offset 0
		.amdhsa_system_sgpr_workgroup_id_x 1
		.amdhsa_system_sgpr_workgroup_id_y 0
		.amdhsa_system_sgpr_workgroup_id_z 0
		.amdhsa_system_sgpr_workgroup_info 0
		.amdhsa_system_vgpr_workitem_id 0
		.amdhsa_next_free_vgpr 1
		.amdhsa_next_free_sgpr 0
		.amdhsa_accum_offset 4
		.amdhsa_reserve_vcc 0
		.amdhsa_reserve_flat_scratch 0
		.amdhsa_float_round_mode_32 0
		.amdhsa_float_round_mode_16_64 0
		.amdhsa_float_denorm_mode_32 3
		.amdhsa_float_denorm_mode_16_64 3
		.amdhsa_dx10_clamp 1
		.amdhsa_ieee_mode 1
		.amdhsa_fp16_overflow 0
		.amdhsa_tg_split 0
		.amdhsa_exception_fp_ieee_invalid_op 0
		.amdhsa_exception_fp_denorm_src 0
		.amdhsa_exception_fp_ieee_div_zero 0
		.amdhsa_exception_fp_ieee_overflow 0
		.amdhsa_exception_fp_ieee_underflow 0
		.amdhsa_exception_fp_ieee_inexact 0
		.amdhsa_exception_int_div_zero 0
	.end_amdhsa_kernel
	.section	.text._ZN7rocprim17ROCPRIM_400000_NS6detail17trampoline_kernelINS0_14default_configENS1_25partition_config_selectorILNS1_17partition_subalgoE8EjNS0_10empty_typeEbEEZZNS1_14partition_implILS5_8ELb0ES3_jPKjPS6_PKS6_NS0_5tupleIJPjS6_EEENSE_IJSB_SB_EEENS0_18inequality_wrapperIN6hipcub16HIPCUB_304000_NS8EqualityEEEPlJS6_EEE10hipError_tPvRmT3_T4_T5_T6_T7_T9_mT8_P12ihipStream_tbDpT10_ENKUlT_T0_E_clISt17integral_constantIbLb0EES16_IbLb1EEEEDaS12_S13_EUlS12_E_NS1_11comp_targetILNS1_3genE9ELNS1_11target_archE1100ELNS1_3gpuE3ELNS1_3repE0EEENS1_30default_config_static_selectorELNS0_4arch9wavefront6targetE1EEEvT1_,"axG",@progbits,_ZN7rocprim17ROCPRIM_400000_NS6detail17trampoline_kernelINS0_14default_configENS1_25partition_config_selectorILNS1_17partition_subalgoE8EjNS0_10empty_typeEbEEZZNS1_14partition_implILS5_8ELb0ES3_jPKjPS6_PKS6_NS0_5tupleIJPjS6_EEENSE_IJSB_SB_EEENS0_18inequality_wrapperIN6hipcub16HIPCUB_304000_NS8EqualityEEEPlJS6_EEE10hipError_tPvRmT3_T4_T5_T6_T7_T9_mT8_P12ihipStream_tbDpT10_ENKUlT_T0_E_clISt17integral_constantIbLb0EES16_IbLb1EEEEDaS12_S13_EUlS12_E_NS1_11comp_targetILNS1_3genE9ELNS1_11target_archE1100ELNS1_3gpuE3ELNS1_3repE0EEENS1_30default_config_static_selectorELNS0_4arch9wavefront6targetE1EEEvT1_,comdat
.Lfunc_end647:
	.size	_ZN7rocprim17ROCPRIM_400000_NS6detail17trampoline_kernelINS0_14default_configENS1_25partition_config_selectorILNS1_17partition_subalgoE8EjNS0_10empty_typeEbEEZZNS1_14partition_implILS5_8ELb0ES3_jPKjPS6_PKS6_NS0_5tupleIJPjS6_EEENSE_IJSB_SB_EEENS0_18inequality_wrapperIN6hipcub16HIPCUB_304000_NS8EqualityEEEPlJS6_EEE10hipError_tPvRmT3_T4_T5_T6_T7_T9_mT8_P12ihipStream_tbDpT10_ENKUlT_T0_E_clISt17integral_constantIbLb0EES16_IbLb1EEEEDaS12_S13_EUlS12_E_NS1_11comp_targetILNS1_3genE9ELNS1_11target_archE1100ELNS1_3gpuE3ELNS1_3repE0EEENS1_30default_config_static_selectorELNS0_4arch9wavefront6targetE1EEEvT1_, .Lfunc_end647-_ZN7rocprim17ROCPRIM_400000_NS6detail17trampoline_kernelINS0_14default_configENS1_25partition_config_selectorILNS1_17partition_subalgoE8EjNS0_10empty_typeEbEEZZNS1_14partition_implILS5_8ELb0ES3_jPKjPS6_PKS6_NS0_5tupleIJPjS6_EEENSE_IJSB_SB_EEENS0_18inequality_wrapperIN6hipcub16HIPCUB_304000_NS8EqualityEEEPlJS6_EEE10hipError_tPvRmT3_T4_T5_T6_T7_T9_mT8_P12ihipStream_tbDpT10_ENKUlT_T0_E_clISt17integral_constantIbLb0EES16_IbLb1EEEEDaS12_S13_EUlS12_E_NS1_11comp_targetILNS1_3genE9ELNS1_11target_archE1100ELNS1_3gpuE3ELNS1_3repE0EEENS1_30default_config_static_selectorELNS0_4arch9wavefront6targetE1EEEvT1_
                                        ; -- End function
	.section	.AMDGPU.csdata,"",@progbits
; Kernel info:
; codeLenInByte = 0
; NumSgprs: 4
; NumVgprs: 0
; NumAgprs: 0
; TotalNumVgprs: 0
; ScratchSize: 0
; MemoryBound: 0
; FloatMode: 240
; IeeeMode: 1
; LDSByteSize: 0 bytes/workgroup (compile time only)
; SGPRBlocks: 0
; VGPRBlocks: 0
; NumSGPRsForWavesPerEU: 4
; NumVGPRsForWavesPerEU: 1
; AccumOffset: 4
; Occupancy: 8
; WaveLimiterHint : 0
; COMPUTE_PGM_RSRC2:SCRATCH_EN: 0
; COMPUTE_PGM_RSRC2:USER_SGPR: 6
; COMPUTE_PGM_RSRC2:TRAP_HANDLER: 0
; COMPUTE_PGM_RSRC2:TGID_X_EN: 1
; COMPUTE_PGM_RSRC2:TGID_Y_EN: 0
; COMPUTE_PGM_RSRC2:TGID_Z_EN: 0
; COMPUTE_PGM_RSRC2:TIDIG_COMP_CNT: 0
; COMPUTE_PGM_RSRC3_GFX90A:ACCUM_OFFSET: 0
; COMPUTE_PGM_RSRC3_GFX90A:TG_SPLIT: 0
	.section	.text._ZN7rocprim17ROCPRIM_400000_NS6detail17trampoline_kernelINS0_14default_configENS1_25partition_config_selectorILNS1_17partition_subalgoE8EjNS0_10empty_typeEbEEZZNS1_14partition_implILS5_8ELb0ES3_jPKjPS6_PKS6_NS0_5tupleIJPjS6_EEENSE_IJSB_SB_EEENS0_18inequality_wrapperIN6hipcub16HIPCUB_304000_NS8EqualityEEEPlJS6_EEE10hipError_tPvRmT3_T4_T5_T6_T7_T9_mT8_P12ihipStream_tbDpT10_ENKUlT_T0_E_clISt17integral_constantIbLb0EES16_IbLb1EEEEDaS12_S13_EUlS12_E_NS1_11comp_targetILNS1_3genE8ELNS1_11target_archE1030ELNS1_3gpuE2ELNS1_3repE0EEENS1_30default_config_static_selectorELNS0_4arch9wavefront6targetE1EEEvT1_,"axG",@progbits,_ZN7rocprim17ROCPRIM_400000_NS6detail17trampoline_kernelINS0_14default_configENS1_25partition_config_selectorILNS1_17partition_subalgoE8EjNS0_10empty_typeEbEEZZNS1_14partition_implILS5_8ELb0ES3_jPKjPS6_PKS6_NS0_5tupleIJPjS6_EEENSE_IJSB_SB_EEENS0_18inequality_wrapperIN6hipcub16HIPCUB_304000_NS8EqualityEEEPlJS6_EEE10hipError_tPvRmT3_T4_T5_T6_T7_T9_mT8_P12ihipStream_tbDpT10_ENKUlT_T0_E_clISt17integral_constantIbLb0EES16_IbLb1EEEEDaS12_S13_EUlS12_E_NS1_11comp_targetILNS1_3genE8ELNS1_11target_archE1030ELNS1_3gpuE2ELNS1_3repE0EEENS1_30default_config_static_selectorELNS0_4arch9wavefront6targetE1EEEvT1_,comdat
	.protected	_ZN7rocprim17ROCPRIM_400000_NS6detail17trampoline_kernelINS0_14default_configENS1_25partition_config_selectorILNS1_17partition_subalgoE8EjNS0_10empty_typeEbEEZZNS1_14partition_implILS5_8ELb0ES3_jPKjPS6_PKS6_NS0_5tupleIJPjS6_EEENSE_IJSB_SB_EEENS0_18inequality_wrapperIN6hipcub16HIPCUB_304000_NS8EqualityEEEPlJS6_EEE10hipError_tPvRmT3_T4_T5_T6_T7_T9_mT8_P12ihipStream_tbDpT10_ENKUlT_T0_E_clISt17integral_constantIbLb0EES16_IbLb1EEEEDaS12_S13_EUlS12_E_NS1_11comp_targetILNS1_3genE8ELNS1_11target_archE1030ELNS1_3gpuE2ELNS1_3repE0EEENS1_30default_config_static_selectorELNS0_4arch9wavefront6targetE1EEEvT1_ ; -- Begin function _ZN7rocprim17ROCPRIM_400000_NS6detail17trampoline_kernelINS0_14default_configENS1_25partition_config_selectorILNS1_17partition_subalgoE8EjNS0_10empty_typeEbEEZZNS1_14partition_implILS5_8ELb0ES3_jPKjPS6_PKS6_NS0_5tupleIJPjS6_EEENSE_IJSB_SB_EEENS0_18inequality_wrapperIN6hipcub16HIPCUB_304000_NS8EqualityEEEPlJS6_EEE10hipError_tPvRmT3_T4_T5_T6_T7_T9_mT8_P12ihipStream_tbDpT10_ENKUlT_T0_E_clISt17integral_constantIbLb0EES16_IbLb1EEEEDaS12_S13_EUlS12_E_NS1_11comp_targetILNS1_3genE8ELNS1_11target_archE1030ELNS1_3gpuE2ELNS1_3repE0EEENS1_30default_config_static_selectorELNS0_4arch9wavefront6targetE1EEEvT1_
	.globl	_ZN7rocprim17ROCPRIM_400000_NS6detail17trampoline_kernelINS0_14default_configENS1_25partition_config_selectorILNS1_17partition_subalgoE8EjNS0_10empty_typeEbEEZZNS1_14partition_implILS5_8ELb0ES3_jPKjPS6_PKS6_NS0_5tupleIJPjS6_EEENSE_IJSB_SB_EEENS0_18inequality_wrapperIN6hipcub16HIPCUB_304000_NS8EqualityEEEPlJS6_EEE10hipError_tPvRmT3_T4_T5_T6_T7_T9_mT8_P12ihipStream_tbDpT10_ENKUlT_T0_E_clISt17integral_constantIbLb0EES16_IbLb1EEEEDaS12_S13_EUlS12_E_NS1_11comp_targetILNS1_3genE8ELNS1_11target_archE1030ELNS1_3gpuE2ELNS1_3repE0EEENS1_30default_config_static_selectorELNS0_4arch9wavefront6targetE1EEEvT1_
	.p2align	8
	.type	_ZN7rocprim17ROCPRIM_400000_NS6detail17trampoline_kernelINS0_14default_configENS1_25partition_config_selectorILNS1_17partition_subalgoE8EjNS0_10empty_typeEbEEZZNS1_14partition_implILS5_8ELb0ES3_jPKjPS6_PKS6_NS0_5tupleIJPjS6_EEENSE_IJSB_SB_EEENS0_18inequality_wrapperIN6hipcub16HIPCUB_304000_NS8EqualityEEEPlJS6_EEE10hipError_tPvRmT3_T4_T5_T6_T7_T9_mT8_P12ihipStream_tbDpT10_ENKUlT_T0_E_clISt17integral_constantIbLb0EES16_IbLb1EEEEDaS12_S13_EUlS12_E_NS1_11comp_targetILNS1_3genE8ELNS1_11target_archE1030ELNS1_3gpuE2ELNS1_3repE0EEENS1_30default_config_static_selectorELNS0_4arch9wavefront6targetE1EEEvT1_,@function
_ZN7rocprim17ROCPRIM_400000_NS6detail17trampoline_kernelINS0_14default_configENS1_25partition_config_selectorILNS1_17partition_subalgoE8EjNS0_10empty_typeEbEEZZNS1_14partition_implILS5_8ELb0ES3_jPKjPS6_PKS6_NS0_5tupleIJPjS6_EEENSE_IJSB_SB_EEENS0_18inequality_wrapperIN6hipcub16HIPCUB_304000_NS8EqualityEEEPlJS6_EEE10hipError_tPvRmT3_T4_T5_T6_T7_T9_mT8_P12ihipStream_tbDpT10_ENKUlT_T0_E_clISt17integral_constantIbLb0EES16_IbLb1EEEEDaS12_S13_EUlS12_E_NS1_11comp_targetILNS1_3genE8ELNS1_11target_archE1030ELNS1_3gpuE2ELNS1_3repE0EEENS1_30default_config_static_selectorELNS0_4arch9wavefront6targetE1EEEvT1_: ; @_ZN7rocprim17ROCPRIM_400000_NS6detail17trampoline_kernelINS0_14default_configENS1_25partition_config_selectorILNS1_17partition_subalgoE8EjNS0_10empty_typeEbEEZZNS1_14partition_implILS5_8ELb0ES3_jPKjPS6_PKS6_NS0_5tupleIJPjS6_EEENSE_IJSB_SB_EEENS0_18inequality_wrapperIN6hipcub16HIPCUB_304000_NS8EqualityEEEPlJS6_EEE10hipError_tPvRmT3_T4_T5_T6_T7_T9_mT8_P12ihipStream_tbDpT10_ENKUlT_T0_E_clISt17integral_constantIbLb0EES16_IbLb1EEEEDaS12_S13_EUlS12_E_NS1_11comp_targetILNS1_3genE8ELNS1_11target_archE1030ELNS1_3gpuE2ELNS1_3repE0EEENS1_30default_config_static_selectorELNS0_4arch9wavefront6targetE1EEEvT1_
; %bb.0:
	.section	.rodata,"a",@progbits
	.p2align	6, 0x0
	.amdhsa_kernel _ZN7rocprim17ROCPRIM_400000_NS6detail17trampoline_kernelINS0_14default_configENS1_25partition_config_selectorILNS1_17partition_subalgoE8EjNS0_10empty_typeEbEEZZNS1_14partition_implILS5_8ELb0ES3_jPKjPS6_PKS6_NS0_5tupleIJPjS6_EEENSE_IJSB_SB_EEENS0_18inequality_wrapperIN6hipcub16HIPCUB_304000_NS8EqualityEEEPlJS6_EEE10hipError_tPvRmT3_T4_T5_T6_T7_T9_mT8_P12ihipStream_tbDpT10_ENKUlT_T0_E_clISt17integral_constantIbLb0EES16_IbLb1EEEEDaS12_S13_EUlS12_E_NS1_11comp_targetILNS1_3genE8ELNS1_11target_archE1030ELNS1_3gpuE2ELNS1_3repE0EEENS1_30default_config_static_selectorELNS0_4arch9wavefront6targetE1EEEvT1_
		.amdhsa_group_segment_fixed_size 0
		.amdhsa_private_segment_fixed_size 0
		.amdhsa_kernarg_size 128
		.amdhsa_user_sgpr_count 6
		.amdhsa_user_sgpr_private_segment_buffer 1
		.amdhsa_user_sgpr_dispatch_ptr 0
		.amdhsa_user_sgpr_queue_ptr 0
		.amdhsa_user_sgpr_kernarg_segment_ptr 1
		.amdhsa_user_sgpr_dispatch_id 0
		.amdhsa_user_sgpr_flat_scratch_init 0
		.amdhsa_user_sgpr_kernarg_preload_length 0
		.amdhsa_user_sgpr_kernarg_preload_offset 0
		.amdhsa_user_sgpr_private_segment_size 0
		.amdhsa_uses_dynamic_stack 0
		.amdhsa_system_sgpr_private_segment_wavefront_offset 0
		.amdhsa_system_sgpr_workgroup_id_x 1
		.amdhsa_system_sgpr_workgroup_id_y 0
		.amdhsa_system_sgpr_workgroup_id_z 0
		.amdhsa_system_sgpr_workgroup_info 0
		.amdhsa_system_vgpr_workitem_id 0
		.amdhsa_next_free_vgpr 1
		.amdhsa_next_free_sgpr 0
		.amdhsa_accum_offset 4
		.amdhsa_reserve_vcc 0
		.amdhsa_reserve_flat_scratch 0
		.amdhsa_float_round_mode_32 0
		.amdhsa_float_round_mode_16_64 0
		.amdhsa_float_denorm_mode_32 3
		.amdhsa_float_denorm_mode_16_64 3
		.amdhsa_dx10_clamp 1
		.amdhsa_ieee_mode 1
		.amdhsa_fp16_overflow 0
		.amdhsa_tg_split 0
		.amdhsa_exception_fp_ieee_invalid_op 0
		.amdhsa_exception_fp_denorm_src 0
		.amdhsa_exception_fp_ieee_div_zero 0
		.amdhsa_exception_fp_ieee_overflow 0
		.amdhsa_exception_fp_ieee_underflow 0
		.amdhsa_exception_fp_ieee_inexact 0
		.amdhsa_exception_int_div_zero 0
	.end_amdhsa_kernel
	.section	.text._ZN7rocprim17ROCPRIM_400000_NS6detail17trampoline_kernelINS0_14default_configENS1_25partition_config_selectorILNS1_17partition_subalgoE8EjNS0_10empty_typeEbEEZZNS1_14partition_implILS5_8ELb0ES3_jPKjPS6_PKS6_NS0_5tupleIJPjS6_EEENSE_IJSB_SB_EEENS0_18inequality_wrapperIN6hipcub16HIPCUB_304000_NS8EqualityEEEPlJS6_EEE10hipError_tPvRmT3_T4_T5_T6_T7_T9_mT8_P12ihipStream_tbDpT10_ENKUlT_T0_E_clISt17integral_constantIbLb0EES16_IbLb1EEEEDaS12_S13_EUlS12_E_NS1_11comp_targetILNS1_3genE8ELNS1_11target_archE1030ELNS1_3gpuE2ELNS1_3repE0EEENS1_30default_config_static_selectorELNS0_4arch9wavefront6targetE1EEEvT1_,"axG",@progbits,_ZN7rocprim17ROCPRIM_400000_NS6detail17trampoline_kernelINS0_14default_configENS1_25partition_config_selectorILNS1_17partition_subalgoE8EjNS0_10empty_typeEbEEZZNS1_14partition_implILS5_8ELb0ES3_jPKjPS6_PKS6_NS0_5tupleIJPjS6_EEENSE_IJSB_SB_EEENS0_18inequality_wrapperIN6hipcub16HIPCUB_304000_NS8EqualityEEEPlJS6_EEE10hipError_tPvRmT3_T4_T5_T6_T7_T9_mT8_P12ihipStream_tbDpT10_ENKUlT_T0_E_clISt17integral_constantIbLb0EES16_IbLb1EEEEDaS12_S13_EUlS12_E_NS1_11comp_targetILNS1_3genE8ELNS1_11target_archE1030ELNS1_3gpuE2ELNS1_3repE0EEENS1_30default_config_static_selectorELNS0_4arch9wavefront6targetE1EEEvT1_,comdat
.Lfunc_end648:
	.size	_ZN7rocprim17ROCPRIM_400000_NS6detail17trampoline_kernelINS0_14default_configENS1_25partition_config_selectorILNS1_17partition_subalgoE8EjNS0_10empty_typeEbEEZZNS1_14partition_implILS5_8ELb0ES3_jPKjPS6_PKS6_NS0_5tupleIJPjS6_EEENSE_IJSB_SB_EEENS0_18inequality_wrapperIN6hipcub16HIPCUB_304000_NS8EqualityEEEPlJS6_EEE10hipError_tPvRmT3_T4_T5_T6_T7_T9_mT8_P12ihipStream_tbDpT10_ENKUlT_T0_E_clISt17integral_constantIbLb0EES16_IbLb1EEEEDaS12_S13_EUlS12_E_NS1_11comp_targetILNS1_3genE8ELNS1_11target_archE1030ELNS1_3gpuE2ELNS1_3repE0EEENS1_30default_config_static_selectorELNS0_4arch9wavefront6targetE1EEEvT1_, .Lfunc_end648-_ZN7rocprim17ROCPRIM_400000_NS6detail17trampoline_kernelINS0_14default_configENS1_25partition_config_selectorILNS1_17partition_subalgoE8EjNS0_10empty_typeEbEEZZNS1_14partition_implILS5_8ELb0ES3_jPKjPS6_PKS6_NS0_5tupleIJPjS6_EEENSE_IJSB_SB_EEENS0_18inequality_wrapperIN6hipcub16HIPCUB_304000_NS8EqualityEEEPlJS6_EEE10hipError_tPvRmT3_T4_T5_T6_T7_T9_mT8_P12ihipStream_tbDpT10_ENKUlT_T0_E_clISt17integral_constantIbLb0EES16_IbLb1EEEEDaS12_S13_EUlS12_E_NS1_11comp_targetILNS1_3genE8ELNS1_11target_archE1030ELNS1_3gpuE2ELNS1_3repE0EEENS1_30default_config_static_selectorELNS0_4arch9wavefront6targetE1EEEvT1_
                                        ; -- End function
	.section	.AMDGPU.csdata,"",@progbits
; Kernel info:
; codeLenInByte = 0
; NumSgprs: 4
; NumVgprs: 0
; NumAgprs: 0
; TotalNumVgprs: 0
; ScratchSize: 0
; MemoryBound: 0
; FloatMode: 240
; IeeeMode: 1
; LDSByteSize: 0 bytes/workgroup (compile time only)
; SGPRBlocks: 0
; VGPRBlocks: 0
; NumSGPRsForWavesPerEU: 4
; NumVGPRsForWavesPerEU: 1
; AccumOffset: 4
; Occupancy: 8
; WaveLimiterHint : 0
; COMPUTE_PGM_RSRC2:SCRATCH_EN: 0
; COMPUTE_PGM_RSRC2:USER_SGPR: 6
; COMPUTE_PGM_RSRC2:TRAP_HANDLER: 0
; COMPUTE_PGM_RSRC2:TGID_X_EN: 1
; COMPUTE_PGM_RSRC2:TGID_Y_EN: 0
; COMPUTE_PGM_RSRC2:TGID_Z_EN: 0
; COMPUTE_PGM_RSRC2:TIDIG_COMP_CNT: 0
; COMPUTE_PGM_RSRC3_GFX90A:ACCUM_OFFSET: 0
; COMPUTE_PGM_RSRC3_GFX90A:TG_SPLIT: 0
	.section	.text._ZN7rocprim17ROCPRIM_400000_NS6detail17trampoline_kernelINS0_14default_configENS1_33run_length_encode_config_selectorIjjNS0_4plusIjEEEEZZNS1_33reduce_by_key_impl_wrapped_configILNS1_25lookback_scan_determinismE0ES3_S7_PKjNS0_17constant_iteratorIjlEEPjPlSF_S6_NS0_8equal_toIjEEEE10hipError_tPvRmT2_T3_mT4_T5_T6_T7_T8_P12ihipStream_tbENKUlT_T0_E_clISt17integral_constantIbLb0EESZ_EEDaSU_SV_EUlSU_E_NS1_11comp_targetILNS1_3genE0ELNS1_11target_archE4294967295ELNS1_3gpuE0ELNS1_3repE0EEENS1_30default_config_static_selectorELNS0_4arch9wavefront6targetE1EEEvT1_,"axG",@progbits,_ZN7rocprim17ROCPRIM_400000_NS6detail17trampoline_kernelINS0_14default_configENS1_33run_length_encode_config_selectorIjjNS0_4plusIjEEEEZZNS1_33reduce_by_key_impl_wrapped_configILNS1_25lookback_scan_determinismE0ES3_S7_PKjNS0_17constant_iteratorIjlEEPjPlSF_S6_NS0_8equal_toIjEEEE10hipError_tPvRmT2_T3_mT4_T5_T6_T7_T8_P12ihipStream_tbENKUlT_T0_E_clISt17integral_constantIbLb0EESZ_EEDaSU_SV_EUlSU_E_NS1_11comp_targetILNS1_3genE0ELNS1_11target_archE4294967295ELNS1_3gpuE0ELNS1_3repE0EEENS1_30default_config_static_selectorELNS0_4arch9wavefront6targetE1EEEvT1_,comdat
	.protected	_ZN7rocprim17ROCPRIM_400000_NS6detail17trampoline_kernelINS0_14default_configENS1_33run_length_encode_config_selectorIjjNS0_4plusIjEEEEZZNS1_33reduce_by_key_impl_wrapped_configILNS1_25lookback_scan_determinismE0ES3_S7_PKjNS0_17constant_iteratorIjlEEPjPlSF_S6_NS0_8equal_toIjEEEE10hipError_tPvRmT2_T3_mT4_T5_T6_T7_T8_P12ihipStream_tbENKUlT_T0_E_clISt17integral_constantIbLb0EESZ_EEDaSU_SV_EUlSU_E_NS1_11comp_targetILNS1_3genE0ELNS1_11target_archE4294967295ELNS1_3gpuE0ELNS1_3repE0EEENS1_30default_config_static_selectorELNS0_4arch9wavefront6targetE1EEEvT1_ ; -- Begin function _ZN7rocprim17ROCPRIM_400000_NS6detail17trampoline_kernelINS0_14default_configENS1_33run_length_encode_config_selectorIjjNS0_4plusIjEEEEZZNS1_33reduce_by_key_impl_wrapped_configILNS1_25lookback_scan_determinismE0ES3_S7_PKjNS0_17constant_iteratorIjlEEPjPlSF_S6_NS0_8equal_toIjEEEE10hipError_tPvRmT2_T3_mT4_T5_T6_T7_T8_P12ihipStream_tbENKUlT_T0_E_clISt17integral_constantIbLb0EESZ_EEDaSU_SV_EUlSU_E_NS1_11comp_targetILNS1_3genE0ELNS1_11target_archE4294967295ELNS1_3gpuE0ELNS1_3repE0EEENS1_30default_config_static_selectorELNS0_4arch9wavefront6targetE1EEEvT1_
	.globl	_ZN7rocprim17ROCPRIM_400000_NS6detail17trampoline_kernelINS0_14default_configENS1_33run_length_encode_config_selectorIjjNS0_4plusIjEEEEZZNS1_33reduce_by_key_impl_wrapped_configILNS1_25lookback_scan_determinismE0ES3_S7_PKjNS0_17constant_iteratorIjlEEPjPlSF_S6_NS0_8equal_toIjEEEE10hipError_tPvRmT2_T3_mT4_T5_T6_T7_T8_P12ihipStream_tbENKUlT_T0_E_clISt17integral_constantIbLb0EESZ_EEDaSU_SV_EUlSU_E_NS1_11comp_targetILNS1_3genE0ELNS1_11target_archE4294967295ELNS1_3gpuE0ELNS1_3repE0EEENS1_30default_config_static_selectorELNS0_4arch9wavefront6targetE1EEEvT1_
	.p2align	8
	.type	_ZN7rocprim17ROCPRIM_400000_NS6detail17trampoline_kernelINS0_14default_configENS1_33run_length_encode_config_selectorIjjNS0_4plusIjEEEEZZNS1_33reduce_by_key_impl_wrapped_configILNS1_25lookback_scan_determinismE0ES3_S7_PKjNS0_17constant_iteratorIjlEEPjPlSF_S6_NS0_8equal_toIjEEEE10hipError_tPvRmT2_T3_mT4_T5_T6_T7_T8_P12ihipStream_tbENKUlT_T0_E_clISt17integral_constantIbLb0EESZ_EEDaSU_SV_EUlSU_E_NS1_11comp_targetILNS1_3genE0ELNS1_11target_archE4294967295ELNS1_3gpuE0ELNS1_3repE0EEENS1_30default_config_static_selectorELNS0_4arch9wavefront6targetE1EEEvT1_,@function
_ZN7rocprim17ROCPRIM_400000_NS6detail17trampoline_kernelINS0_14default_configENS1_33run_length_encode_config_selectorIjjNS0_4plusIjEEEEZZNS1_33reduce_by_key_impl_wrapped_configILNS1_25lookback_scan_determinismE0ES3_S7_PKjNS0_17constant_iteratorIjlEEPjPlSF_S6_NS0_8equal_toIjEEEE10hipError_tPvRmT2_T3_mT4_T5_T6_T7_T8_P12ihipStream_tbENKUlT_T0_E_clISt17integral_constantIbLb0EESZ_EEDaSU_SV_EUlSU_E_NS1_11comp_targetILNS1_3genE0ELNS1_11target_archE4294967295ELNS1_3gpuE0ELNS1_3repE0EEENS1_30default_config_static_selectorELNS0_4arch9wavefront6targetE1EEEvT1_: ; @_ZN7rocprim17ROCPRIM_400000_NS6detail17trampoline_kernelINS0_14default_configENS1_33run_length_encode_config_selectorIjjNS0_4plusIjEEEEZZNS1_33reduce_by_key_impl_wrapped_configILNS1_25lookback_scan_determinismE0ES3_S7_PKjNS0_17constant_iteratorIjlEEPjPlSF_S6_NS0_8equal_toIjEEEE10hipError_tPvRmT2_T3_mT4_T5_T6_T7_T8_P12ihipStream_tbENKUlT_T0_E_clISt17integral_constantIbLb0EESZ_EEDaSU_SV_EUlSU_E_NS1_11comp_targetILNS1_3genE0ELNS1_11target_archE4294967295ELNS1_3gpuE0ELNS1_3repE0EEENS1_30default_config_static_selectorELNS0_4arch9wavefront6targetE1EEEvT1_
; %bb.0:
	.section	.rodata,"a",@progbits
	.p2align	6, 0x0
	.amdhsa_kernel _ZN7rocprim17ROCPRIM_400000_NS6detail17trampoline_kernelINS0_14default_configENS1_33run_length_encode_config_selectorIjjNS0_4plusIjEEEEZZNS1_33reduce_by_key_impl_wrapped_configILNS1_25lookback_scan_determinismE0ES3_S7_PKjNS0_17constant_iteratorIjlEEPjPlSF_S6_NS0_8equal_toIjEEEE10hipError_tPvRmT2_T3_mT4_T5_T6_T7_T8_P12ihipStream_tbENKUlT_T0_E_clISt17integral_constantIbLb0EESZ_EEDaSU_SV_EUlSU_E_NS1_11comp_targetILNS1_3genE0ELNS1_11target_archE4294967295ELNS1_3gpuE0ELNS1_3repE0EEENS1_30default_config_static_selectorELNS0_4arch9wavefront6targetE1EEEvT1_
		.amdhsa_group_segment_fixed_size 0
		.amdhsa_private_segment_fixed_size 0
		.amdhsa_kernarg_size 128
		.amdhsa_user_sgpr_count 6
		.amdhsa_user_sgpr_private_segment_buffer 1
		.amdhsa_user_sgpr_dispatch_ptr 0
		.amdhsa_user_sgpr_queue_ptr 0
		.amdhsa_user_sgpr_kernarg_segment_ptr 1
		.amdhsa_user_sgpr_dispatch_id 0
		.amdhsa_user_sgpr_flat_scratch_init 0
		.amdhsa_user_sgpr_kernarg_preload_length 0
		.amdhsa_user_sgpr_kernarg_preload_offset 0
		.amdhsa_user_sgpr_private_segment_size 0
		.amdhsa_uses_dynamic_stack 0
		.amdhsa_system_sgpr_private_segment_wavefront_offset 0
		.amdhsa_system_sgpr_workgroup_id_x 1
		.amdhsa_system_sgpr_workgroup_id_y 0
		.amdhsa_system_sgpr_workgroup_id_z 0
		.amdhsa_system_sgpr_workgroup_info 0
		.amdhsa_system_vgpr_workitem_id 0
		.amdhsa_next_free_vgpr 1
		.amdhsa_next_free_sgpr 0
		.amdhsa_accum_offset 4
		.amdhsa_reserve_vcc 0
		.amdhsa_reserve_flat_scratch 0
		.amdhsa_float_round_mode_32 0
		.amdhsa_float_round_mode_16_64 0
		.amdhsa_float_denorm_mode_32 3
		.amdhsa_float_denorm_mode_16_64 3
		.amdhsa_dx10_clamp 1
		.amdhsa_ieee_mode 1
		.amdhsa_fp16_overflow 0
		.amdhsa_tg_split 0
		.amdhsa_exception_fp_ieee_invalid_op 0
		.amdhsa_exception_fp_denorm_src 0
		.amdhsa_exception_fp_ieee_div_zero 0
		.amdhsa_exception_fp_ieee_overflow 0
		.amdhsa_exception_fp_ieee_underflow 0
		.amdhsa_exception_fp_ieee_inexact 0
		.amdhsa_exception_int_div_zero 0
	.end_amdhsa_kernel
	.section	.text._ZN7rocprim17ROCPRIM_400000_NS6detail17trampoline_kernelINS0_14default_configENS1_33run_length_encode_config_selectorIjjNS0_4plusIjEEEEZZNS1_33reduce_by_key_impl_wrapped_configILNS1_25lookback_scan_determinismE0ES3_S7_PKjNS0_17constant_iteratorIjlEEPjPlSF_S6_NS0_8equal_toIjEEEE10hipError_tPvRmT2_T3_mT4_T5_T6_T7_T8_P12ihipStream_tbENKUlT_T0_E_clISt17integral_constantIbLb0EESZ_EEDaSU_SV_EUlSU_E_NS1_11comp_targetILNS1_3genE0ELNS1_11target_archE4294967295ELNS1_3gpuE0ELNS1_3repE0EEENS1_30default_config_static_selectorELNS0_4arch9wavefront6targetE1EEEvT1_,"axG",@progbits,_ZN7rocprim17ROCPRIM_400000_NS6detail17trampoline_kernelINS0_14default_configENS1_33run_length_encode_config_selectorIjjNS0_4plusIjEEEEZZNS1_33reduce_by_key_impl_wrapped_configILNS1_25lookback_scan_determinismE0ES3_S7_PKjNS0_17constant_iteratorIjlEEPjPlSF_S6_NS0_8equal_toIjEEEE10hipError_tPvRmT2_T3_mT4_T5_T6_T7_T8_P12ihipStream_tbENKUlT_T0_E_clISt17integral_constantIbLb0EESZ_EEDaSU_SV_EUlSU_E_NS1_11comp_targetILNS1_3genE0ELNS1_11target_archE4294967295ELNS1_3gpuE0ELNS1_3repE0EEENS1_30default_config_static_selectorELNS0_4arch9wavefront6targetE1EEEvT1_,comdat
.Lfunc_end649:
	.size	_ZN7rocprim17ROCPRIM_400000_NS6detail17trampoline_kernelINS0_14default_configENS1_33run_length_encode_config_selectorIjjNS0_4plusIjEEEEZZNS1_33reduce_by_key_impl_wrapped_configILNS1_25lookback_scan_determinismE0ES3_S7_PKjNS0_17constant_iteratorIjlEEPjPlSF_S6_NS0_8equal_toIjEEEE10hipError_tPvRmT2_T3_mT4_T5_T6_T7_T8_P12ihipStream_tbENKUlT_T0_E_clISt17integral_constantIbLb0EESZ_EEDaSU_SV_EUlSU_E_NS1_11comp_targetILNS1_3genE0ELNS1_11target_archE4294967295ELNS1_3gpuE0ELNS1_3repE0EEENS1_30default_config_static_selectorELNS0_4arch9wavefront6targetE1EEEvT1_, .Lfunc_end649-_ZN7rocprim17ROCPRIM_400000_NS6detail17trampoline_kernelINS0_14default_configENS1_33run_length_encode_config_selectorIjjNS0_4plusIjEEEEZZNS1_33reduce_by_key_impl_wrapped_configILNS1_25lookback_scan_determinismE0ES3_S7_PKjNS0_17constant_iteratorIjlEEPjPlSF_S6_NS0_8equal_toIjEEEE10hipError_tPvRmT2_T3_mT4_T5_T6_T7_T8_P12ihipStream_tbENKUlT_T0_E_clISt17integral_constantIbLb0EESZ_EEDaSU_SV_EUlSU_E_NS1_11comp_targetILNS1_3genE0ELNS1_11target_archE4294967295ELNS1_3gpuE0ELNS1_3repE0EEENS1_30default_config_static_selectorELNS0_4arch9wavefront6targetE1EEEvT1_
                                        ; -- End function
	.section	.AMDGPU.csdata,"",@progbits
; Kernel info:
; codeLenInByte = 0
; NumSgprs: 4
; NumVgprs: 0
; NumAgprs: 0
; TotalNumVgprs: 0
; ScratchSize: 0
; MemoryBound: 0
; FloatMode: 240
; IeeeMode: 1
; LDSByteSize: 0 bytes/workgroup (compile time only)
; SGPRBlocks: 0
; VGPRBlocks: 0
; NumSGPRsForWavesPerEU: 4
; NumVGPRsForWavesPerEU: 1
; AccumOffset: 4
; Occupancy: 8
; WaveLimiterHint : 0
; COMPUTE_PGM_RSRC2:SCRATCH_EN: 0
; COMPUTE_PGM_RSRC2:USER_SGPR: 6
; COMPUTE_PGM_RSRC2:TRAP_HANDLER: 0
; COMPUTE_PGM_RSRC2:TGID_X_EN: 1
; COMPUTE_PGM_RSRC2:TGID_Y_EN: 0
; COMPUTE_PGM_RSRC2:TGID_Z_EN: 0
; COMPUTE_PGM_RSRC2:TIDIG_COMP_CNT: 0
; COMPUTE_PGM_RSRC3_GFX90A:ACCUM_OFFSET: 0
; COMPUTE_PGM_RSRC3_GFX90A:TG_SPLIT: 0
	.section	.text._ZN7rocprim17ROCPRIM_400000_NS6detail17trampoline_kernelINS0_14default_configENS1_33run_length_encode_config_selectorIjjNS0_4plusIjEEEEZZNS1_33reduce_by_key_impl_wrapped_configILNS1_25lookback_scan_determinismE0ES3_S7_PKjNS0_17constant_iteratorIjlEEPjPlSF_S6_NS0_8equal_toIjEEEE10hipError_tPvRmT2_T3_mT4_T5_T6_T7_T8_P12ihipStream_tbENKUlT_T0_E_clISt17integral_constantIbLb0EESZ_EEDaSU_SV_EUlSU_E_NS1_11comp_targetILNS1_3genE5ELNS1_11target_archE942ELNS1_3gpuE9ELNS1_3repE0EEENS1_30default_config_static_selectorELNS0_4arch9wavefront6targetE1EEEvT1_,"axG",@progbits,_ZN7rocprim17ROCPRIM_400000_NS6detail17trampoline_kernelINS0_14default_configENS1_33run_length_encode_config_selectorIjjNS0_4plusIjEEEEZZNS1_33reduce_by_key_impl_wrapped_configILNS1_25lookback_scan_determinismE0ES3_S7_PKjNS0_17constant_iteratorIjlEEPjPlSF_S6_NS0_8equal_toIjEEEE10hipError_tPvRmT2_T3_mT4_T5_T6_T7_T8_P12ihipStream_tbENKUlT_T0_E_clISt17integral_constantIbLb0EESZ_EEDaSU_SV_EUlSU_E_NS1_11comp_targetILNS1_3genE5ELNS1_11target_archE942ELNS1_3gpuE9ELNS1_3repE0EEENS1_30default_config_static_selectorELNS0_4arch9wavefront6targetE1EEEvT1_,comdat
	.protected	_ZN7rocprim17ROCPRIM_400000_NS6detail17trampoline_kernelINS0_14default_configENS1_33run_length_encode_config_selectorIjjNS0_4plusIjEEEEZZNS1_33reduce_by_key_impl_wrapped_configILNS1_25lookback_scan_determinismE0ES3_S7_PKjNS0_17constant_iteratorIjlEEPjPlSF_S6_NS0_8equal_toIjEEEE10hipError_tPvRmT2_T3_mT4_T5_T6_T7_T8_P12ihipStream_tbENKUlT_T0_E_clISt17integral_constantIbLb0EESZ_EEDaSU_SV_EUlSU_E_NS1_11comp_targetILNS1_3genE5ELNS1_11target_archE942ELNS1_3gpuE9ELNS1_3repE0EEENS1_30default_config_static_selectorELNS0_4arch9wavefront6targetE1EEEvT1_ ; -- Begin function _ZN7rocprim17ROCPRIM_400000_NS6detail17trampoline_kernelINS0_14default_configENS1_33run_length_encode_config_selectorIjjNS0_4plusIjEEEEZZNS1_33reduce_by_key_impl_wrapped_configILNS1_25lookback_scan_determinismE0ES3_S7_PKjNS0_17constant_iteratorIjlEEPjPlSF_S6_NS0_8equal_toIjEEEE10hipError_tPvRmT2_T3_mT4_T5_T6_T7_T8_P12ihipStream_tbENKUlT_T0_E_clISt17integral_constantIbLb0EESZ_EEDaSU_SV_EUlSU_E_NS1_11comp_targetILNS1_3genE5ELNS1_11target_archE942ELNS1_3gpuE9ELNS1_3repE0EEENS1_30default_config_static_selectorELNS0_4arch9wavefront6targetE1EEEvT1_
	.globl	_ZN7rocprim17ROCPRIM_400000_NS6detail17trampoline_kernelINS0_14default_configENS1_33run_length_encode_config_selectorIjjNS0_4plusIjEEEEZZNS1_33reduce_by_key_impl_wrapped_configILNS1_25lookback_scan_determinismE0ES3_S7_PKjNS0_17constant_iteratorIjlEEPjPlSF_S6_NS0_8equal_toIjEEEE10hipError_tPvRmT2_T3_mT4_T5_T6_T7_T8_P12ihipStream_tbENKUlT_T0_E_clISt17integral_constantIbLb0EESZ_EEDaSU_SV_EUlSU_E_NS1_11comp_targetILNS1_3genE5ELNS1_11target_archE942ELNS1_3gpuE9ELNS1_3repE0EEENS1_30default_config_static_selectorELNS0_4arch9wavefront6targetE1EEEvT1_
	.p2align	8
	.type	_ZN7rocprim17ROCPRIM_400000_NS6detail17trampoline_kernelINS0_14default_configENS1_33run_length_encode_config_selectorIjjNS0_4plusIjEEEEZZNS1_33reduce_by_key_impl_wrapped_configILNS1_25lookback_scan_determinismE0ES3_S7_PKjNS0_17constant_iteratorIjlEEPjPlSF_S6_NS0_8equal_toIjEEEE10hipError_tPvRmT2_T3_mT4_T5_T6_T7_T8_P12ihipStream_tbENKUlT_T0_E_clISt17integral_constantIbLb0EESZ_EEDaSU_SV_EUlSU_E_NS1_11comp_targetILNS1_3genE5ELNS1_11target_archE942ELNS1_3gpuE9ELNS1_3repE0EEENS1_30default_config_static_selectorELNS0_4arch9wavefront6targetE1EEEvT1_,@function
_ZN7rocprim17ROCPRIM_400000_NS6detail17trampoline_kernelINS0_14default_configENS1_33run_length_encode_config_selectorIjjNS0_4plusIjEEEEZZNS1_33reduce_by_key_impl_wrapped_configILNS1_25lookback_scan_determinismE0ES3_S7_PKjNS0_17constant_iteratorIjlEEPjPlSF_S6_NS0_8equal_toIjEEEE10hipError_tPvRmT2_T3_mT4_T5_T6_T7_T8_P12ihipStream_tbENKUlT_T0_E_clISt17integral_constantIbLb0EESZ_EEDaSU_SV_EUlSU_E_NS1_11comp_targetILNS1_3genE5ELNS1_11target_archE942ELNS1_3gpuE9ELNS1_3repE0EEENS1_30default_config_static_selectorELNS0_4arch9wavefront6targetE1EEEvT1_: ; @_ZN7rocprim17ROCPRIM_400000_NS6detail17trampoline_kernelINS0_14default_configENS1_33run_length_encode_config_selectorIjjNS0_4plusIjEEEEZZNS1_33reduce_by_key_impl_wrapped_configILNS1_25lookback_scan_determinismE0ES3_S7_PKjNS0_17constant_iteratorIjlEEPjPlSF_S6_NS0_8equal_toIjEEEE10hipError_tPvRmT2_T3_mT4_T5_T6_T7_T8_P12ihipStream_tbENKUlT_T0_E_clISt17integral_constantIbLb0EESZ_EEDaSU_SV_EUlSU_E_NS1_11comp_targetILNS1_3genE5ELNS1_11target_archE942ELNS1_3gpuE9ELNS1_3repE0EEENS1_30default_config_static_selectorELNS0_4arch9wavefront6targetE1EEEvT1_
; %bb.0:
	.section	.rodata,"a",@progbits
	.p2align	6, 0x0
	.amdhsa_kernel _ZN7rocprim17ROCPRIM_400000_NS6detail17trampoline_kernelINS0_14default_configENS1_33run_length_encode_config_selectorIjjNS0_4plusIjEEEEZZNS1_33reduce_by_key_impl_wrapped_configILNS1_25lookback_scan_determinismE0ES3_S7_PKjNS0_17constant_iteratorIjlEEPjPlSF_S6_NS0_8equal_toIjEEEE10hipError_tPvRmT2_T3_mT4_T5_T6_T7_T8_P12ihipStream_tbENKUlT_T0_E_clISt17integral_constantIbLb0EESZ_EEDaSU_SV_EUlSU_E_NS1_11comp_targetILNS1_3genE5ELNS1_11target_archE942ELNS1_3gpuE9ELNS1_3repE0EEENS1_30default_config_static_selectorELNS0_4arch9wavefront6targetE1EEEvT1_
		.amdhsa_group_segment_fixed_size 0
		.amdhsa_private_segment_fixed_size 0
		.amdhsa_kernarg_size 128
		.amdhsa_user_sgpr_count 6
		.amdhsa_user_sgpr_private_segment_buffer 1
		.amdhsa_user_sgpr_dispatch_ptr 0
		.amdhsa_user_sgpr_queue_ptr 0
		.amdhsa_user_sgpr_kernarg_segment_ptr 1
		.amdhsa_user_sgpr_dispatch_id 0
		.amdhsa_user_sgpr_flat_scratch_init 0
		.amdhsa_user_sgpr_kernarg_preload_length 0
		.amdhsa_user_sgpr_kernarg_preload_offset 0
		.amdhsa_user_sgpr_private_segment_size 0
		.amdhsa_uses_dynamic_stack 0
		.amdhsa_system_sgpr_private_segment_wavefront_offset 0
		.amdhsa_system_sgpr_workgroup_id_x 1
		.amdhsa_system_sgpr_workgroup_id_y 0
		.amdhsa_system_sgpr_workgroup_id_z 0
		.amdhsa_system_sgpr_workgroup_info 0
		.amdhsa_system_vgpr_workitem_id 0
		.amdhsa_next_free_vgpr 1
		.amdhsa_next_free_sgpr 0
		.amdhsa_accum_offset 4
		.amdhsa_reserve_vcc 0
		.amdhsa_reserve_flat_scratch 0
		.amdhsa_float_round_mode_32 0
		.amdhsa_float_round_mode_16_64 0
		.amdhsa_float_denorm_mode_32 3
		.amdhsa_float_denorm_mode_16_64 3
		.amdhsa_dx10_clamp 1
		.amdhsa_ieee_mode 1
		.amdhsa_fp16_overflow 0
		.amdhsa_tg_split 0
		.amdhsa_exception_fp_ieee_invalid_op 0
		.amdhsa_exception_fp_denorm_src 0
		.amdhsa_exception_fp_ieee_div_zero 0
		.amdhsa_exception_fp_ieee_overflow 0
		.amdhsa_exception_fp_ieee_underflow 0
		.amdhsa_exception_fp_ieee_inexact 0
		.amdhsa_exception_int_div_zero 0
	.end_amdhsa_kernel
	.section	.text._ZN7rocprim17ROCPRIM_400000_NS6detail17trampoline_kernelINS0_14default_configENS1_33run_length_encode_config_selectorIjjNS0_4plusIjEEEEZZNS1_33reduce_by_key_impl_wrapped_configILNS1_25lookback_scan_determinismE0ES3_S7_PKjNS0_17constant_iteratorIjlEEPjPlSF_S6_NS0_8equal_toIjEEEE10hipError_tPvRmT2_T3_mT4_T5_T6_T7_T8_P12ihipStream_tbENKUlT_T0_E_clISt17integral_constantIbLb0EESZ_EEDaSU_SV_EUlSU_E_NS1_11comp_targetILNS1_3genE5ELNS1_11target_archE942ELNS1_3gpuE9ELNS1_3repE0EEENS1_30default_config_static_selectorELNS0_4arch9wavefront6targetE1EEEvT1_,"axG",@progbits,_ZN7rocprim17ROCPRIM_400000_NS6detail17trampoline_kernelINS0_14default_configENS1_33run_length_encode_config_selectorIjjNS0_4plusIjEEEEZZNS1_33reduce_by_key_impl_wrapped_configILNS1_25lookback_scan_determinismE0ES3_S7_PKjNS0_17constant_iteratorIjlEEPjPlSF_S6_NS0_8equal_toIjEEEE10hipError_tPvRmT2_T3_mT4_T5_T6_T7_T8_P12ihipStream_tbENKUlT_T0_E_clISt17integral_constantIbLb0EESZ_EEDaSU_SV_EUlSU_E_NS1_11comp_targetILNS1_3genE5ELNS1_11target_archE942ELNS1_3gpuE9ELNS1_3repE0EEENS1_30default_config_static_selectorELNS0_4arch9wavefront6targetE1EEEvT1_,comdat
.Lfunc_end650:
	.size	_ZN7rocprim17ROCPRIM_400000_NS6detail17trampoline_kernelINS0_14default_configENS1_33run_length_encode_config_selectorIjjNS0_4plusIjEEEEZZNS1_33reduce_by_key_impl_wrapped_configILNS1_25lookback_scan_determinismE0ES3_S7_PKjNS0_17constant_iteratorIjlEEPjPlSF_S6_NS0_8equal_toIjEEEE10hipError_tPvRmT2_T3_mT4_T5_T6_T7_T8_P12ihipStream_tbENKUlT_T0_E_clISt17integral_constantIbLb0EESZ_EEDaSU_SV_EUlSU_E_NS1_11comp_targetILNS1_3genE5ELNS1_11target_archE942ELNS1_3gpuE9ELNS1_3repE0EEENS1_30default_config_static_selectorELNS0_4arch9wavefront6targetE1EEEvT1_, .Lfunc_end650-_ZN7rocprim17ROCPRIM_400000_NS6detail17trampoline_kernelINS0_14default_configENS1_33run_length_encode_config_selectorIjjNS0_4plusIjEEEEZZNS1_33reduce_by_key_impl_wrapped_configILNS1_25lookback_scan_determinismE0ES3_S7_PKjNS0_17constant_iteratorIjlEEPjPlSF_S6_NS0_8equal_toIjEEEE10hipError_tPvRmT2_T3_mT4_T5_T6_T7_T8_P12ihipStream_tbENKUlT_T0_E_clISt17integral_constantIbLb0EESZ_EEDaSU_SV_EUlSU_E_NS1_11comp_targetILNS1_3genE5ELNS1_11target_archE942ELNS1_3gpuE9ELNS1_3repE0EEENS1_30default_config_static_selectorELNS0_4arch9wavefront6targetE1EEEvT1_
                                        ; -- End function
	.section	.AMDGPU.csdata,"",@progbits
; Kernel info:
; codeLenInByte = 0
; NumSgprs: 4
; NumVgprs: 0
; NumAgprs: 0
; TotalNumVgprs: 0
; ScratchSize: 0
; MemoryBound: 0
; FloatMode: 240
; IeeeMode: 1
; LDSByteSize: 0 bytes/workgroup (compile time only)
; SGPRBlocks: 0
; VGPRBlocks: 0
; NumSGPRsForWavesPerEU: 4
; NumVGPRsForWavesPerEU: 1
; AccumOffset: 4
; Occupancy: 8
; WaveLimiterHint : 0
; COMPUTE_PGM_RSRC2:SCRATCH_EN: 0
; COMPUTE_PGM_RSRC2:USER_SGPR: 6
; COMPUTE_PGM_RSRC2:TRAP_HANDLER: 0
; COMPUTE_PGM_RSRC2:TGID_X_EN: 1
; COMPUTE_PGM_RSRC2:TGID_Y_EN: 0
; COMPUTE_PGM_RSRC2:TGID_Z_EN: 0
; COMPUTE_PGM_RSRC2:TIDIG_COMP_CNT: 0
; COMPUTE_PGM_RSRC3_GFX90A:ACCUM_OFFSET: 0
; COMPUTE_PGM_RSRC3_GFX90A:TG_SPLIT: 0
	.section	.text._ZN7rocprim17ROCPRIM_400000_NS6detail17trampoline_kernelINS0_14default_configENS1_33run_length_encode_config_selectorIjjNS0_4plusIjEEEEZZNS1_33reduce_by_key_impl_wrapped_configILNS1_25lookback_scan_determinismE0ES3_S7_PKjNS0_17constant_iteratorIjlEEPjPlSF_S6_NS0_8equal_toIjEEEE10hipError_tPvRmT2_T3_mT4_T5_T6_T7_T8_P12ihipStream_tbENKUlT_T0_E_clISt17integral_constantIbLb0EESZ_EEDaSU_SV_EUlSU_E_NS1_11comp_targetILNS1_3genE4ELNS1_11target_archE910ELNS1_3gpuE8ELNS1_3repE0EEENS1_30default_config_static_selectorELNS0_4arch9wavefront6targetE1EEEvT1_,"axG",@progbits,_ZN7rocprim17ROCPRIM_400000_NS6detail17trampoline_kernelINS0_14default_configENS1_33run_length_encode_config_selectorIjjNS0_4plusIjEEEEZZNS1_33reduce_by_key_impl_wrapped_configILNS1_25lookback_scan_determinismE0ES3_S7_PKjNS0_17constant_iteratorIjlEEPjPlSF_S6_NS0_8equal_toIjEEEE10hipError_tPvRmT2_T3_mT4_T5_T6_T7_T8_P12ihipStream_tbENKUlT_T0_E_clISt17integral_constantIbLb0EESZ_EEDaSU_SV_EUlSU_E_NS1_11comp_targetILNS1_3genE4ELNS1_11target_archE910ELNS1_3gpuE8ELNS1_3repE0EEENS1_30default_config_static_selectorELNS0_4arch9wavefront6targetE1EEEvT1_,comdat
	.protected	_ZN7rocprim17ROCPRIM_400000_NS6detail17trampoline_kernelINS0_14default_configENS1_33run_length_encode_config_selectorIjjNS0_4plusIjEEEEZZNS1_33reduce_by_key_impl_wrapped_configILNS1_25lookback_scan_determinismE0ES3_S7_PKjNS0_17constant_iteratorIjlEEPjPlSF_S6_NS0_8equal_toIjEEEE10hipError_tPvRmT2_T3_mT4_T5_T6_T7_T8_P12ihipStream_tbENKUlT_T0_E_clISt17integral_constantIbLb0EESZ_EEDaSU_SV_EUlSU_E_NS1_11comp_targetILNS1_3genE4ELNS1_11target_archE910ELNS1_3gpuE8ELNS1_3repE0EEENS1_30default_config_static_selectorELNS0_4arch9wavefront6targetE1EEEvT1_ ; -- Begin function _ZN7rocprim17ROCPRIM_400000_NS6detail17trampoline_kernelINS0_14default_configENS1_33run_length_encode_config_selectorIjjNS0_4plusIjEEEEZZNS1_33reduce_by_key_impl_wrapped_configILNS1_25lookback_scan_determinismE0ES3_S7_PKjNS0_17constant_iteratorIjlEEPjPlSF_S6_NS0_8equal_toIjEEEE10hipError_tPvRmT2_T3_mT4_T5_T6_T7_T8_P12ihipStream_tbENKUlT_T0_E_clISt17integral_constantIbLb0EESZ_EEDaSU_SV_EUlSU_E_NS1_11comp_targetILNS1_3genE4ELNS1_11target_archE910ELNS1_3gpuE8ELNS1_3repE0EEENS1_30default_config_static_selectorELNS0_4arch9wavefront6targetE1EEEvT1_
	.globl	_ZN7rocprim17ROCPRIM_400000_NS6detail17trampoline_kernelINS0_14default_configENS1_33run_length_encode_config_selectorIjjNS0_4plusIjEEEEZZNS1_33reduce_by_key_impl_wrapped_configILNS1_25lookback_scan_determinismE0ES3_S7_PKjNS0_17constant_iteratorIjlEEPjPlSF_S6_NS0_8equal_toIjEEEE10hipError_tPvRmT2_T3_mT4_T5_T6_T7_T8_P12ihipStream_tbENKUlT_T0_E_clISt17integral_constantIbLb0EESZ_EEDaSU_SV_EUlSU_E_NS1_11comp_targetILNS1_3genE4ELNS1_11target_archE910ELNS1_3gpuE8ELNS1_3repE0EEENS1_30default_config_static_selectorELNS0_4arch9wavefront6targetE1EEEvT1_
	.p2align	8
	.type	_ZN7rocprim17ROCPRIM_400000_NS6detail17trampoline_kernelINS0_14default_configENS1_33run_length_encode_config_selectorIjjNS0_4plusIjEEEEZZNS1_33reduce_by_key_impl_wrapped_configILNS1_25lookback_scan_determinismE0ES3_S7_PKjNS0_17constant_iteratorIjlEEPjPlSF_S6_NS0_8equal_toIjEEEE10hipError_tPvRmT2_T3_mT4_T5_T6_T7_T8_P12ihipStream_tbENKUlT_T0_E_clISt17integral_constantIbLb0EESZ_EEDaSU_SV_EUlSU_E_NS1_11comp_targetILNS1_3genE4ELNS1_11target_archE910ELNS1_3gpuE8ELNS1_3repE0EEENS1_30default_config_static_selectorELNS0_4arch9wavefront6targetE1EEEvT1_,@function
_ZN7rocprim17ROCPRIM_400000_NS6detail17trampoline_kernelINS0_14default_configENS1_33run_length_encode_config_selectorIjjNS0_4plusIjEEEEZZNS1_33reduce_by_key_impl_wrapped_configILNS1_25lookback_scan_determinismE0ES3_S7_PKjNS0_17constant_iteratorIjlEEPjPlSF_S6_NS0_8equal_toIjEEEE10hipError_tPvRmT2_T3_mT4_T5_T6_T7_T8_P12ihipStream_tbENKUlT_T0_E_clISt17integral_constantIbLb0EESZ_EEDaSU_SV_EUlSU_E_NS1_11comp_targetILNS1_3genE4ELNS1_11target_archE910ELNS1_3gpuE8ELNS1_3repE0EEENS1_30default_config_static_selectorELNS0_4arch9wavefront6targetE1EEEvT1_: ; @_ZN7rocprim17ROCPRIM_400000_NS6detail17trampoline_kernelINS0_14default_configENS1_33run_length_encode_config_selectorIjjNS0_4plusIjEEEEZZNS1_33reduce_by_key_impl_wrapped_configILNS1_25lookback_scan_determinismE0ES3_S7_PKjNS0_17constant_iteratorIjlEEPjPlSF_S6_NS0_8equal_toIjEEEE10hipError_tPvRmT2_T3_mT4_T5_T6_T7_T8_P12ihipStream_tbENKUlT_T0_E_clISt17integral_constantIbLb0EESZ_EEDaSU_SV_EUlSU_E_NS1_11comp_targetILNS1_3genE4ELNS1_11target_archE910ELNS1_3gpuE8ELNS1_3repE0EEENS1_30default_config_static_selectorELNS0_4arch9wavefront6targetE1EEEvT1_
; %bb.0:
	s_load_dwordx8 s[36:43], s[4:5], 0x40
	s_load_dwordx4 s[0:3], s[4:5], 0x0
	s_load_dword s7, s[4:5], 0x10
	s_load_dwordx4 s[44:47], s[4:5], 0x60
	s_mov_b64 s[10:11], -1
	s_waitcnt lgkmcnt(0)
	s_mul_i32 s8, s40, s39
	s_mul_hi_u32 s9, s40, s38
	s_add_i32 s8, s9, s8
	s_mul_i32 s9, s41, s38
	s_add_i32 s8, s8, s9
	s_lshl_b64 s[2:3], s[2:3], 2
	s_add_u32 s2, s0, s2
	s_addc_u32 s3, s1, s3
	s_mul_i32 s0, s6, 0xf00
	s_mov_b32 s1, 0
	s_lshl_b64 s[0:1], s[0:1], 2
	s_mul_i32 s9, s40, s38
	s_add_u32 s40, s2, s0
	s_addc_u32 s41, s3, s1
	s_add_u32 s0, s9, s6
	s_addc_u32 s1, s8, 0
	s_add_u32 s8, s42, -1
	s_addc_u32 s9, s43, -1
	s_cmp_eq_u64 s[0:1], s[8:9]
	s_cselect_b64 s[48:49], -1, 0
	s_cmp_lg_u64 s[0:1], s[8:9]
	s_cselect_b64 s[2:3], -1, 0
	s_mul_i32 s33, s8, 0xfffff100
	s_and_b64 vcc, exec, s[48:49]
	s_cbranch_vccnz .LBB651_2
; %bb.1:
	v_lshlrev_b32_e32 v1, 2, v0
	v_mov_b32_e32 v2, s41
	v_add_co_u32_e32 v4, vcc, s40, v1
	v_addc_co_u32_e32 v5, vcc, 0, v2, vcc
	v_add_co_u32_e32 v2, vcc, 0x1000, v4
	v_addc_co_u32_e32 v3, vcc, 0, v5, vcc
	global_load_dword v6, v1, s[40:41]
	global_load_dword v7, v1, s[40:41] offset:1024
	global_load_dword v8, v1, s[40:41] offset:2048
	;; [unrolled: 1-line block ×3, first 2 shown]
	global_load_dword v10, v[2:3], off
	global_load_dword v11, v[2:3], off offset:1024
	global_load_dword v12, v[2:3], off offset:2048
	;; [unrolled: 1-line block ×3, first 2 shown]
	v_add_co_u32_e32 v2, vcc, 0x2000, v4
	v_addc_co_u32_e32 v3, vcc, 0, v5, vcc
	v_add_co_u32_e32 v4, vcc, 0x3000, v4
	v_addc_co_u32_e32 v5, vcc, 0, v5, vcc
	global_load_dword v14, v[2:3], off
	global_load_dword v15, v[2:3], off offset:1024
	global_load_dword v16, v[2:3], off offset:2048
	global_load_dword v17, v[2:3], off offset:3072
	global_load_dword v18, v[4:5], off
	global_load_dword v19, v[4:5], off offset:1024
	global_load_dword v20, v[4:5], off offset:2048
	v_mad_u32_u24 v2, v0, 56, v1
	s_mov_b64 s[8:9], -1
	s_waitcnt vmcnt(13)
	ds_write2st64_b32 v1, v6, v7 offset1:4
	s_waitcnt vmcnt(11)
	ds_write2st64_b32 v1, v8, v9 offset0:8 offset1:12
	s_waitcnt vmcnt(9)
	ds_write2st64_b32 v1, v10, v11 offset0:16 offset1:20
	;; [unrolled: 2-line block ×6, first 2 shown]
	s_waitcnt vmcnt(0)
	ds_write_b32 v1, v20 offset:14336
	s_waitcnt lgkmcnt(0)
	s_barrier
	ds_read2_b32 v[20:21], v2 offset1:1
	ds_read2_b32 v[18:19], v2 offset0:2 offset1:3
	ds_read2_b32 v[16:17], v2 offset0:4 offset1:5
	ds_read2_b32 v[14:15], v2 offset0:6 offset1:7
	ds_read2_b32 v[12:13], v2 offset0:8 offset1:9
	ds_read2_b32 v[10:11], v2 offset0:10 offset1:11
	ds_read2_b32 v[8:9], v2 offset0:12 offset1:13
	ds_read_b32 v1, v2 offset:56
	s_waitcnt lgkmcnt(7)
	v_mov_b32_e32 v22, v20
	s_waitcnt lgkmcnt(6)
	v_mov_b32_e32 v23, v18
	;; [unrolled: 2-line block ×7, first 2 shown]
	s_add_i32 s33, s33, s44
	s_cbranch_execz .LBB651_3
	s_branch .LBB651_34
.LBB651_2:
	s_mov_b64 s[8:9], 0
                                        ; implicit-def: $vgpr1
                                        ; implicit-def: $vgpr8
                                        ; implicit-def: $vgpr10
                                        ; implicit-def: $vgpr12
                                        ; implicit-def: $vgpr14
                                        ; implicit-def: $vgpr16
                                        ; implicit-def: $vgpr18
                                        ; implicit-def: $vgpr20
                                        ; implicit-def: $vgpr2_vgpr3
                                        ; implicit-def: $vgpr4_vgpr5
                                        ; implicit-def: $vgpr22_vgpr23
                                        ; implicit-def: $vgpr6_vgpr7
	s_add_i32 s33, s33, s44
	s_andn2_b64 vcc, exec, s[10:11]
	s_cbranch_vccnz .LBB651_34
.LBB651_3:
	v_cmp_gt_u32_e32 vcc, s33, v0
                                        ; implicit-def: $vgpr1
	s_and_saveexec_b64 s[8:9], vcc
	s_cbranch_execz .LBB651_5
; %bb.4:
	s_waitcnt lgkmcnt(0)
	v_lshlrev_b32_e32 v1, 2, v0
	global_load_dword v1, v1, s[40:41]
.LBB651_5:
	s_or_b64 exec, exec, s[8:9]
	v_or_b32_e32 v2, 0x100, v0
	v_cmp_gt_u32_e32 vcc, s33, v2
                                        ; implicit-def: $vgpr2
	s_and_saveexec_b64 s[8:9], vcc
	s_cbranch_execz .LBB651_7
; %bb.6:
	v_lshlrev_b32_e32 v2, 2, v0
	global_load_dword v2, v2, s[40:41] offset:1024
.LBB651_7:
	s_or_b64 exec, exec, s[8:9]
	v_or_b32_e32 v3, 0x200, v0
	v_cmp_gt_u32_e32 vcc, s33, v3
                                        ; implicit-def: $vgpr3
	s_and_saveexec_b64 s[8:9], vcc
	s_cbranch_execz .LBB651_9
; %bb.8:
	v_lshlrev_b32_e32 v3, 2, v0
	global_load_dword v3, v3, s[40:41] offset:2048
.LBB651_9:
	s_or_b64 exec, exec, s[8:9]
	v_or_b32_e32 v4, 0x300, v0
	v_cmp_gt_u32_e32 vcc, s33, v4
                                        ; implicit-def: $vgpr4
	s_and_saveexec_b64 s[8:9], vcc
	s_cbranch_execz .LBB651_11
; %bb.10:
	v_lshlrev_b32_e32 v4, 2, v0
	global_load_dword v4, v4, s[40:41] offset:3072
.LBB651_11:
	s_or_b64 exec, exec, s[8:9]
	v_or_b32_e32 v6, 0x400, v0
	v_cmp_gt_u32_e32 vcc, s33, v6
                                        ; implicit-def: $vgpr5
	s_and_saveexec_b64 s[8:9], vcc
	s_cbranch_execz .LBB651_13
; %bb.12:
	v_lshlrev_b32_e32 v5, 2, v6
	global_load_dword v5, v5, s[40:41]
.LBB651_13:
	s_or_b64 exec, exec, s[8:9]
	v_or_b32_e32 v7, 0x500, v0
	v_cmp_gt_u32_e32 vcc, s33, v7
                                        ; implicit-def: $vgpr6
	s_and_saveexec_b64 s[8:9], vcc
	s_cbranch_execz .LBB651_15
; %bb.14:
	v_lshlrev_b32_e32 v6, 2, v7
	global_load_dword v6, v6, s[40:41]
.LBB651_15:
	s_or_b64 exec, exec, s[8:9]
	v_or_b32_e32 v8, 0x600, v0
	v_cmp_gt_u32_e32 vcc, s33, v8
                                        ; implicit-def: $vgpr7
	s_and_saveexec_b64 s[8:9], vcc
	s_cbranch_execz .LBB651_17
; %bb.16:
	v_lshlrev_b32_e32 v7, 2, v8
	global_load_dword v7, v7, s[40:41]
.LBB651_17:
	s_or_b64 exec, exec, s[8:9]
	v_or_b32_e32 v9, 0x700, v0
	v_cmp_gt_u32_e32 vcc, s33, v9
                                        ; implicit-def: $vgpr8
	s_and_saveexec_b64 s[8:9], vcc
	s_cbranch_execz .LBB651_19
; %bb.18:
	v_lshlrev_b32_e32 v8, 2, v9
	global_load_dword v8, v8, s[40:41]
.LBB651_19:
	s_or_b64 exec, exec, s[8:9]
	v_or_b32_e32 v10, 0x800, v0
	v_cmp_gt_u32_e32 vcc, s33, v10
                                        ; implicit-def: $vgpr9
	s_and_saveexec_b64 s[8:9], vcc
	s_cbranch_execz .LBB651_21
; %bb.20:
	v_lshlrev_b32_e32 v9, 2, v10
	global_load_dword v9, v9, s[40:41]
.LBB651_21:
	s_or_b64 exec, exec, s[8:9]
	v_or_b32_e32 v11, 0x900, v0
	v_cmp_gt_u32_e32 vcc, s33, v11
                                        ; implicit-def: $vgpr10
	s_and_saveexec_b64 s[8:9], vcc
	s_cbranch_execz .LBB651_23
; %bb.22:
	v_lshlrev_b32_e32 v10, 2, v11
	global_load_dword v10, v10, s[40:41]
.LBB651_23:
	s_or_b64 exec, exec, s[8:9]
	v_or_b32_e32 v12, 0xa00, v0
	v_cmp_gt_u32_e32 vcc, s33, v12
                                        ; implicit-def: $vgpr11
	s_and_saveexec_b64 s[8:9], vcc
	s_cbranch_execz .LBB651_25
; %bb.24:
	v_lshlrev_b32_e32 v11, 2, v12
	global_load_dword v11, v11, s[40:41]
.LBB651_25:
	s_or_b64 exec, exec, s[8:9]
	v_or_b32_e32 v13, 0xb00, v0
	v_cmp_gt_u32_e32 vcc, s33, v13
                                        ; implicit-def: $vgpr12
	s_and_saveexec_b64 s[8:9], vcc
	s_cbranch_execz .LBB651_27
; %bb.26:
	v_lshlrev_b32_e32 v12, 2, v13
	global_load_dword v12, v12, s[40:41]
.LBB651_27:
	s_or_b64 exec, exec, s[8:9]
	v_or_b32_e32 v14, 0xc00, v0
	v_cmp_gt_u32_e32 vcc, s33, v14
                                        ; implicit-def: $vgpr13
	s_and_saveexec_b64 s[8:9], vcc
	s_cbranch_execz .LBB651_29
; %bb.28:
	v_lshlrev_b32_e32 v13, 2, v14
	global_load_dword v13, v13, s[40:41]
.LBB651_29:
	s_or_b64 exec, exec, s[8:9]
	v_or_b32_e32 v15, 0xd00, v0
	v_cmp_gt_u32_e32 vcc, s33, v15
                                        ; implicit-def: $vgpr14
	s_and_saveexec_b64 s[8:9], vcc
	s_cbranch_execz .LBB651_31
; %bb.30:
	v_lshlrev_b32_e32 v14, 2, v15
	global_load_dword v14, v14, s[40:41]
.LBB651_31:
	s_or_b64 exec, exec, s[8:9]
	v_or_b32_e32 v16, 0xe00, v0
	v_cmp_gt_u32_e32 vcc, s33, v16
                                        ; implicit-def: $vgpr15
	s_and_saveexec_b64 s[8:9], vcc
	s_cbranch_execz .LBB651_33
; %bb.32:
	v_lshlrev_b32_e32 v15, 2, v16
	global_load_dword v15, v15, s[40:41]
.LBB651_33:
	s_or_b64 exec, exec, s[8:9]
	v_lshlrev_b32_e32 v16, 2, v0
	s_waitcnt vmcnt(0) lgkmcnt(0)
	ds_write2st64_b32 v16, v1, v2 offset1:4
	ds_write2st64_b32 v16, v3, v4 offset0:8 offset1:12
	ds_write2st64_b32 v16, v5, v6 offset0:16 offset1:20
	;; [unrolled: 1-line block ×6, first 2 shown]
	ds_write_b32 v16, v15 offset:14336
	v_mad_u32_u24 v1, v0, 56, v16
	s_waitcnt lgkmcnt(0)
	s_barrier
	ds_read2_b32 v[20:21], v1 offset1:1
	ds_read2_b32 v[18:19], v1 offset0:2 offset1:3
	ds_read2_b32 v[16:17], v1 offset0:4 offset1:5
	;; [unrolled: 1-line block ×6, first 2 shown]
	ds_read_b32 v1, v1 offset:56
	v_mad_u32_u24 v2, v0, 15, 14
	v_cmp_gt_u32_e64 s[8:9], s33, v2
	s_waitcnt lgkmcnt(7)
	v_mov_b32_e32 v22, v20
	s_waitcnt lgkmcnt(6)
	v_mov_b32_e32 v23, v18
	;; [unrolled: 2-line block ×7, first 2 shown]
.LBB651_34:
	v_mov_b32_e32 v52, s7
                                        ; implicit-def: $vgpr53
	s_and_saveexec_b64 s[10:11], s[8:9]
; %bb.35:
	v_mov_b32_e32 v53, s7
; %bb.36:
	s_or_b64 exec, exec, s[10:11]
	s_load_dwordx2 s[52:53], s[4:5], 0x70
	s_cmp_eq_u64 s[0:1], 0
	s_cselect_b64 s[50:51], -1, 0
	s_cmp_lg_u64 s[0:1], 0
	s_mov_b64 s[42:43], 0
	s_cselect_b64 s[8:9], -1, 0
	s_and_b64 vcc, exec, s[2:3]
	s_waitcnt lgkmcnt(0)
	s_barrier
	s_cbranch_vccz .LBB651_42
; %bb.37:
	s_and_b64 vcc, exec, s[8:9]
	s_cbranch_vccz .LBB651_43
; %bb.38:
	s_add_u32 s2, s40, -4
	s_addc_u32 s3, s41, -1
	s_load_dword s2, s[2:3], 0x0
	v_lshlrev_b32_e32 v24, 2, v0
	v_cmp_ne_u32_e32 vcc, 0, v0
	ds_write_b32 v24, v1
	s_waitcnt lgkmcnt(0)
	v_mov_b32_e32 v7, s2
	s_barrier
	s_and_saveexec_b64 s[2:3], vcc
	s_cbranch_execz .LBB651_40
; %bb.39:
	v_add_u32_e32 v7, -4, v24
	ds_read_b32 v7, v7
.LBB651_40:
	s_or_b64 exec, exec, s[2:3]
	v_cmp_ne_u32_e32 vcc, v22, v21
	v_cndmask_b32_e64 v67, 0, 1, vcc
	v_cmp_ne_u32_e32 vcc, v23, v21
	v_cndmask_b32_e64 v66, 0, 1, vcc
	v_cmp_ne_u32_e32 vcc, v23, v19
	v_cndmask_b32_e64 v65, 0, 1, vcc
	v_cmp_ne_u32_e32 vcc, v4, v19
	v_cndmask_b32_e64 v64, 0, 1, vcc
	v_cmp_ne_u32_e32 vcc, v4, v17
	v_cndmask_b32_e64 v63, 0, 1, vcc
	v_cmp_ne_u32_e32 vcc, v5, v17
	v_cndmask_b32_e64 v62, 0, 1, vcc
	v_cmp_ne_u32_e32 vcc, v5, v15
	v_cndmask_b32_e64 v61, 0, 1, vcc
	v_cmp_ne_u32_e32 vcc, v2, v15
	v_cndmask_b32_e64 v60, 0, 1, vcc
	v_cmp_ne_u32_e32 vcc, v2, v13
	v_cndmask_b32_e64 v59, 0, 1, vcc
	v_cmp_ne_u32_e32 vcc, v3, v13
	v_cndmask_b32_e64 v58, 0, 1, vcc
	v_cmp_ne_u32_e32 vcc, v3, v11
	v_cndmask_b32_e64 v57, 0, 1, vcc
	v_cmp_ne_u32_e32 vcc, v6, v11
	v_cndmask_b32_e64 v56, 0, 1, vcc
	v_cmp_ne_u32_e32 vcc, v6, v9
	v_cndmask_b32_e64 v55, 0, 1, vcc
	v_cmp_ne_u32_e32 vcc, v1, v9
	v_cndmask_b32_e64 v54, 0, 1, vcc
	s_waitcnt lgkmcnt(0)
	v_cmp_ne_u32_e64 s[2:3], v7, v20
	s_mov_b64 s[42:43], -1
.LBB651_41:
                                        ; implicit-def: $sgpr7
	s_branch .LBB651_55
.LBB651_42:
                                        ; implicit-def: $sgpr2_sgpr3
                                        ; implicit-def: $vgpr54
                                        ; implicit-def: $vgpr55
                                        ; implicit-def: $vgpr56
                                        ; implicit-def: $vgpr57
                                        ; implicit-def: $vgpr58
                                        ; implicit-def: $vgpr59
                                        ; implicit-def: $vgpr60
                                        ; implicit-def: $vgpr61
                                        ; implicit-def: $vgpr62
                                        ; implicit-def: $vgpr63
                                        ; implicit-def: $vgpr64
                                        ; implicit-def: $vgpr65
                                        ; implicit-def: $vgpr66
                                        ; implicit-def: $vgpr67
                                        ; implicit-def: $sgpr7
	s_cbranch_execnz .LBB651_47
	s_branch .LBB651_55
.LBB651_43:
                                        ; implicit-def: $sgpr2_sgpr3
                                        ; implicit-def: $vgpr54
                                        ; implicit-def: $vgpr55
                                        ; implicit-def: $vgpr56
                                        ; implicit-def: $vgpr57
                                        ; implicit-def: $vgpr58
                                        ; implicit-def: $vgpr59
                                        ; implicit-def: $vgpr60
                                        ; implicit-def: $vgpr61
                                        ; implicit-def: $vgpr62
                                        ; implicit-def: $vgpr63
                                        ; implicit-def: $vgpr64
                                        ; implicit-def: $vgpr65
                                        ; implicit-def: $vgpr66
                                        ; implicit-def: $vgpr67
	s_cbranch_execz .LBB651_41
; %bb.44:
	v_cmp_ne_u32_e32 vcc, v21, v22
	v_cndmask_b32_e64 v67, 0, 1, vcc
	v_cmp_ne_u32_e32 vcc, v21, v23
	v_cndmask_b32_e64 v66, 0, 1, vcc
	;; [unrolled: 2-line block ×13, first 2 shown]
	v_cmp_ne_u32_e32 vcc, v9, v1
	v_lshlrev_b32_e32 v7, 2, v0
	v_cndmask_b32_e64 v54, 0, 1, vcc
	v_cmp_ne_u32_e32 vcc, 0, v0
	ds_write_b32 v7, v1
	s_waitcnt lgkmcnt(0)
	s_barrier
	s_waitcnt lgkmcnt(0)
                                        ; implicit-def: $sgpr2_sgpr3
	s_and_saveexec_b64 s[10:11], vcc
	s_xor_b64 s[10:11], exec, s[10:11]
	s_cbranch_execz .LBB651_46
; %bb.45:
	v_add_u32_e32 v2, -4, v7
	ds_read_b32 v2, v2
	s_or_b64 s[42:43], s[42:43], exec
	s_waitcnt lgkmcnt(0)
	v_cmp_ne_u32_e32 vcc, v2, v20
	s_and_b64 s[2:3], vcc, exec
.LBB651_46:
	s_or_b64 exec, exec, s[10:11]
	s_mov_b32 s7, 1
	s_branch .LBB651_55
.LBB651_47:
	s_mul_hi_u32 s2, s0, 0xfffff100
	s_mulk_i32 s1, 0xf100
	s_sub_i32 s2, s2, s0
	s_add_i32 s2, s2, s1
	s_mulk_i32 s0, 0xf100
	s_add_u32 s44, s0, s44
	s_addc_u32 s45, s2, s45
	s_and_b64 vcc, exec, s[8:9]
	v_cmp_ne_u32_e64 s[30:31], v9, v1
	v_cmp_ne_u32_e64 s[28:29], v8, v9
	;; [unrolled: 1-line block ×14, first 2 shown]
	v_mad_u32_u24 v2, v0, 15, 14
	v_mad_u32_u24 v42, v0, 15, 13
	;; [unrolled: 1-line block ×14, first 2 shown]
	v_cmp_ne_u32_e64 s[8:9], 0, v0
	s_cbranch_vccz .LBB651_52
; %bb.48:
	v_mov_b32_e32 v3, 0
	s_add_u32 s40, s40, -4
	v_cmp_gt_u64_e32 vcc, s[44:45], v[2:3]
	v_mov_b32_e32 v43, v3
	s_addc_u32 s41, s41, -1
	s_and_b64 s[30:31], vcc, s[30:31]
	v_cmp_gt_u64_e32 vcc, s[44:45], v[42:43]
	v_mov_b32_e32 v41, v3
	s_and_b64 s[28:29], vcc, s[28:29]
	v_cmp_gt_u64_e32 vcc, s[44:45], v[40:41]
	v_mov_b32_e32 v39, v3
	;; [unrolled: 3-line block ×8, first 2 shown]
	s_load_dword s7, s[40:41], 0x0
	s_and_b64 s[14:15], vcc, s[14:15]
	v_cmp_gt_u64_e32 vcc, s[44:45], v[26:27]
	v_mov_b32_e32 v25, v3
	s_and_b64 s[12:13], vcc, s[12:13]
	v_cmp_gt_u64_e32 vcc, s[44:45], v[24:25]
	v_mov_b32_e32 v23, v3
	;; [unrolled: 3-line block ×4, first 2 shown]
	s_and_b64 s[2:3], vcc, s[2:3]
	v_cmp_gt_u64_e32 vcc, s[44:45], v[4:5]
	v_lshlrev_b32_e32 v45, 2, v0
	v_mul_u32_u24_e32 v44, 15, v0
	s_and_b64 s[0:1], vcc, s[0:1]
	s_waitcnt lgkmcnt(0)
	v_mov_b32_e32 v5, s7
	ds_write_b32 v45, v1
	s_waitcnt lgkmcnt(0)
	s_barrier
	s_and_saveexec_b64 s[40:41], s[8:9]
	s_cbranch_execz .LBB651_50
; %bb.49:
	v_add_u32_e32 v5, -4, v45
	ds_read_b32 v5, v5
.LBB651_50:
	s_or_b64 exec, exec, s[40:41]
	v_mov_b32_e32 v45, v3
	v_cndmask_b32_e64 v67, 0, 1, s[0:1]
	v_cmp_gt_u64_e32 vcc, s[44:45], v[44:45]
	s_waitcnt lgkmcnt(0)
	v_cmp_ne_u32_e64 s[0:1], v5, v20
	v_cndmask_b32_e64 v54, 0, 1, s[30:31]
	v_cndmask_b32_e64 v55, 0, 1, s[28:29]
	;; [unrolled: 1-line block ×13, first 2 shown]
	s_and_b64 s[2:3], vcc, s[0:1]
	s_mov_b64 s[42:43], -1
.LBB651_51:
                                        ; implicit-def: $sgpr7
	v_mov_b32_e32 v68, s7
	s_and_saveexec_b64 s[0:1], s[42:43]
	s_cbranch_execnz .LBB651_56
	s_branch .LBB651_57
.LBB651_52:
                                        ; implicit-def: $sgpr2_sgpr3
                                        ; implicit-def: $vgpr54
                                        ; implicit-def: $vgpr55
                                        ; implicit-def: $vgpr56
                                        ; implicit-def: $vgpr57
                                        ; implicit-def: $vgpr58
                                        ; implicit-def: $vgpr59
                                        ; implicit-def: $vgpr60
                                        ; implicit-def: $vgpr61
                                        ; implicit-def: $vgpr62
                                        ; implicit-def: $vgpr63
                                        ; implicit-def: $vgpr64
                                        ; implicit-def: $vgpr65
                                        ; implicit-def: $vgpr66
                                        ; implicit-def: $vgpr67
	s_cbranch_execz .LBB651_51
; %bb.53:
	v_mov_b32_e32 v3, 0
	v_cmp_gt_u64_e32 vcc, s[44:45], v[2:3]
	v_cmp_ne_u32_e64 s[0:1], v9, v1
	s_and_b64 s[0:1], vcc, s[0:1]
	v_mov_b32_e32 v43, v3
	v_cndmask_b32_e64 v54, 0, 1, s[0:1]
	v_cmp_gt_u64_e32 vcc, s[44:45], v[42:43]
	v_cmp_ne_u32_e64 s[0:1], v8, v9
	s_and_b64 s[0:1], vcc, s[0:1]
	v_mov_b32_e32 v41, v3
	v_cndmask_b32_e64 v55, 0, 1, s[0:1]
	;; [unrolled: 5-line block ×13, first 2 shown]
	v_cmp_gt_u64_e32 vcc, s[44:45], v[4:5]
	v_cmp_ne_u32_e64 s[0:1], v20, v21
	s_and_b64 s[0:1], vcc, s[0:1]
	v_lshlrev_b32_e32 v44, 2, v0
	s_mov_b32 s7, 1
	v_cndmask_b32_e64 v67, 0, 1, s[0:1]
	v_cmp_ne_u32_e32 vcc, 0, v0
	ds_write_b32 v44, v1
	s_waitcnt lgkmcnt(0)
	s_barrier
	s_waitcnt lgkmcnt(0)
                                        ; implicit-def: $sgpr2_sgpr3
	s_and_saveexec_b64 s[8:9], vcc
	s_cbranch_execz .LBB651_148
; %bb.54:
	v_add_u32_e32 v2, -4, v44
	ds_read_b32 v4, v2
	v_mul_u32_u24_e32 v2, 15, v0
	v_cmp_gt_u64_e32 vcc, s[44:45], v[2:3]
	s_or_b64 s[42:43], s[42:43], exec
	s_waitcnt lgkmcnt(0)
	v_cmp_ne_u32_e64 s[0:1], v4, v20
	s_and_b64 s[0:1], vcc, s[0:1]
	s_and_b64 s[2:3], s[0:1], exec
	s_or_b64 exec, exec, s[8:9]
.LBB651_55:
	v_mov_b32_e32 v68, s7
	s_and_saveexec_b64 s[0:1], s[42:43]
.LBB651_56:
	v_cndmask_b32_e64 v68, 0, 1, s[2:3]
.LBB651_57:
	s_or_b64 exec, exec, s[0:1]
	s_load_dwordx4 s[40:43], s[4:5], 0x20
	s_load_dwordx2 s[34:35], s[4:5], 0x30
	s_cmp_eq_u64 s[38:39], 0
	v_add3_u32 v2, v67, v68, v66
	s_cselect_b64 s[38:39], -1, 0
	s_cmp_lg_u32 s6, 0
	v_cmp_eq_u32_e64 s[24:25], 0, v67
	v_cmp_eq_u32_e64 s[22:23], 0, v66
	;; [unrolled: 1-line block ×3, first 2 shown]
	v_add3_u32 v72, v2, v65, v64
	v_cmp_eq_u32_e64 s[18:19], 0, v64
	v_cmp_eq_u32_e64 s[16:17], 0, v63
	;; [unrolled: 1-line block ×10, first 2 shown]
	v_cmp_eq_u32_e32 vcc, 0, v54
	v_mbcnt_lo_u32_b32 v71, -1, 0
	v_lshrrev_b32_e32 v69, 6, v0
	v_or_b32_e32 v70, 63, v0
	s_cbranch_scc0 .LBB651_84
; %bb.58:
	v_cndmask_b32_e64 v2, 0, v52, s[24:25]
	v_add_u32_e32 v2, v2, v52
	v_cndmask_b32_e64 v2, 0, v2, s[22:23]
	v_add_u32_e32 v2, v2, v52
	;; [unrolled: 2-line block ×11, first 2 shown]
	v_cndmask_b32_e64 v2, 0, v2, s[2:3]
	v_add3_u32 v3, v72, v63, v62
	v_add_u32_e32 v2, v2, v52
	v_add3_u32 v3, v3, v61, v60
	v_cndmask_b32_e64 v2, 0, v2, s[0:1]
	v_add3_u32 v3, v3, v59, v58
	v_add_u32_e32 v2, v2, v52
	v_add3_u32 v3, v3, v57, v56
	v_cndmask_b32_e32 v2, 0, v2, vcc
	v_add3_u32 v3, v3, v55, v54
	v_add_u32_e32 v2, v2, v53
	v_mbcnt_hi_u32_b32 v25, -1, v71
	v_and_b32_e32 v4, 15, v25
	v_mov_b32_dpp v6, v2 row_shr:1 row_mask:0xf bank_mask:0xf
	v_cmp_eq_u32_e32 vcc, 0, v3
	v_mov_b32_dpp v5, v3 row_shr:1 row_mask:0xf bank_mask:0xf
	v_cndmask_b32_e32 v6, 0, v6, vcc
	v_cmp_eq_u32_e32 vcc, 0, v4
	v_cndmask_b32_e64 v5, v5, 0, vcc
	v_add_u32_e32 v3, v5, v3
	v_cndmask_b32_e64 v5, v6, 0, vcc
	v_add_u32_e32 v2, v5, v2
	v_cmp_eq_u32_e32 vcc, 0, v3
	v_mov_b32_dpp v5, v3 row_shr:2 row_mask:0xf bank_mask:0xf
	v_cmp_lt_u32_e64 s[26:27], 1, v4
	v_mov_b32_dpp v6, v2 row_shr:2 row_mask:0xf bank_mask:0xf
	v_cndmask_b32_e64 v5, 0, v5, s[26:27]
	s_and_b64 vcc, s[26:27], vcc
	v_cndmask_b32_e32 v6, 0, v6, vcc
	v_add_u32_e32 v3, v3, v5
	v_add_u32_e32 v2, v6, v2
	v_cmp_eq_u32_e32 vcc, 0, v3
	v_mov_b32_dpp v5, v3 row_shr:4 row_mask:0xf bank_mask:0xf
	v_cmp_lt_u32_e64 s[26:27], 3, v4
	v_mov_b32_dpp v6, v2 row_shr:4 row_mask:0xf bank_mask:0xf
	v_cndmask_b32_e64 v5, 0, v5, s[26:27]
	s_and_b64 vcc, s[26:27], vcc
	v_cndmask_b32_e32 v6, 0, v6, vcc
	v_add_u32_e32 v3, v5, v3
	v_add_u32_e32 v2, v2, v6
	v_cmp_eq_u32_e32 vcc, 0, v3
	v_cmp_lt_u32_e64 s[26:27], 7, v4
	v_mov_b32_dpp v5, v3 row_shr:8 row_mask:0xf bank_mask:0xf
	v_mov_b32_dpp v6, v2 row_shr:8 row_mask:0xf bank_mask:0xf
	s_and_b64 vcc, s[26:27], vcc
	v_cndmask_b32_e64 v4, 0, v5, s[26:27]
	v_cndmask_b32_e32 v5, 0, v6, vcc
	v_add_u32_e32 v2, v5, v2
	v_add_u32_e32 v3, v4, v3
	v_bfe_i32 v6, v25, 4, 1
	v_mov_b32_dpp v5, v2 row_bcast:15 row_mask:0xf bank_mask:0xf
	v_mov_b32_dpp v4, v3 row_bcast:15 row_mask:0xf bank_mask:0xf
	v_cmp_eq_u32_e32 vcc, 0, v3
	v_cndmask_b32_e32 v5, 0, v5, vcc
	v_and_b32_e32 v4, v6, v4
	v_add_u32_e32 v3, v4, v3
	v_and_b32_e32 v4, v6, v5
	v_add_u32_e32 v4, v4, v2
	v_mov_b32_dpp v2, v3 row_bcast:31 row_mask:0xf bank_mask:0xf
	v_cmp_eq_u32_e32 vcc, 0, v3
	v_cmp_lt_u32_e64 s[26:27], 31, v25
	v_mov_b32_dpp v5, v4 row_bcast:31 row_mask:0xf bank_mask:0xf
	v_cndmask_b32_e64 v2, 0, v2, s[26:27]
	s_and_b64 vcc, s[26:27], vcc
	v_add_u32_e32 v2, v2, v3
	v_cndmask_b32_e32 v3, 0, v5, vcc
	v_add_u32_e32 v3, v3, v4
	v_cmp_eq_u32_e32 vcc, v70, v0
	v_lshlrev_b32_e32 v4, 3, v69
	s_and_saveexec_b64 s[26:27], vcc
	s_cbranch_execz .LBB651_60
; %bb.59:
	ds_write_b64 v4, v[2:3] offset:2064
.LBB651_60:
	s_or_b64 exec, exec, s[26:27]
	v_cmp_gt_u32_e32 vcc, 4, v0
	s_waitcnt lgkmcnt(0)
	s_barrier
	s_and_saveexec_b64 s[30:31], vcc
	s_cbranch_execz .LBB651_62
; %bb.61:
	v_lshlrev_b32_e32 v5, 3, v0
	ds_read_b64 v[6:7], v5 offset:2064
	v_and_b32_e32 v22, 3, v25
	v_cmp_lt_u32_e64 s[26:27], 1, v22
	s_waitcnt lgkmcnt(0)
	v_mov_b32_dpp v24, v7 row_shr:1 row_mask:0xf bank_mask:0xf
	v_cmp_eq_u32_e32 vcc, 0, v6
	v_mov_b32_dpp v23, v6 row_shr:1 row_mask:0xf bank_mask:0xf
	v_cndmask_b32_e32 v24, 0, v24, vcc
	v_cmp_eq_u32_e32 vcc, 0, v22
	v_cndmask_b32_e64 v23, v23, 0, vcc
	v_add_u32_e32 v6, v23, v6
	v_cndmask_b32_e64 v23, v24, 0, vcc
	v_add_u32_e32 v7, v23, v7
	v_cmp_eq_u32_e32 vcc, 0, v6
	v_mov_b32_dpp v23, v6 row_shr:2 row_mask:0xf bank_mask:0xf
	v_mov_b32_dpp v24, v7 row_shr:2 row_mask:0xf bank_mask:0xf
	v_cndmask_b32_e64 v22, 0, v23, s[26:27]
	s_and_b64 vcc, s[26:27], vcc
	v_add_u32_e32 v6, v22, v6
	v_cndmask_b32_e32 v22, 0, v24, vcc
	v_add_u32_e32 v7, v22, v7
	ds_write_b64 v5, v[6:7] offset:2064
.LBB651_62:
	s_or_b64 exec, exec, s[30:31]
	v_cmp_gt_u32_e32 vcc, 64, v0
	v_cmp_lt_u32_e64 s[26:27], 63, v0
	v_mov_b32_e32 v22, 0
	v_mov_b32_e32 v23, 0
	s_waitcnt lgkmcnt(0)
	s_barrier
	s_and_saveexec_b64 s[30:31], s[26:27]
	s_cbranch_execz .LBB651_64
; %bb.63:
	ds_read_b64 v[22:23], v4 offset:2056
	v_cmp_eq_u32_e64 s[26:27], 0, v2
	s_waitcnt lgkmcnt(0)
	v_add_u32_e32 v4, v22, v2
	v_cndmask_b32_e64 v2, 0, v23, s[26:27]
	v_add_u32_e32 v3, v2, v3
	v_mov_b32_e32 v2, v4
.LBB651_64:
	s_or_b64 exec, exec, s[30:31]
	v_add_u32_e32 v4, -1, v25
	v_and_b32_e32 v5, 64, v25
	v_cmp_lt_i32_e64 s[26:27], v4, v5
	v_cndmask_b32_e64 v4, v4, v25, s[26:27]
	v_lshlrev_b32_e32 v4, 2, v4
	ds_bpermute_b32 v30, v4, v2
	ds_bpermute_b32 v31, v4, v3
	v_cmp_eq_u32_e64 s[26:27], 0, v25
	s_and_saveexec_b64 s[44:45], vcc
	s_cbranch_execz .LBB651_83
; %bb.65:
	v_mov_b32_e32 v7, 0
	ds_read_b64 v[2:3], v7 offset:2088
	s_waitcnt lgkmcnt(0)
	v_readfirstlane_b32 s7, v2
	v_readfirstlane_b32 s56, v3
	s_and_saveexec_b64 s[30:31], s[26:27]
	s_cbranch_execz .LBB651_67
; %bb.66:
	s_add_i32 s54, s6, 64
	s_mov_b32 s55, 0
	s_lshl_b64 s[58:59], s[54:55], 4
	s_add_u32 s58, s36, s58
	s_addc_u32 s59, s37, s59
	s_and_b32 s61, s56, 0xff000000
	s_mov_b32 s60, s55
	s_and_b32 s63, s56, 0xff0000
	s_mov_b32 s62, s55
	s_or_b64 s[60:61], s[62:63], s[60:61]
	s_and_b32 s63, s56, 0xff00
	s_or_b64 s[60:61], s[60:61], s[62:63]
	s_and_b32 s63, s56, 0xff
	s_or_b64 s[54:55], s[60:61], s[62:63]
	v_mov_b32_e32 v4, s7
	v_mov_b32_e32 v5, s55
	;; [unrolled: 1-line block ×3, first 2 shown]
	v_pk_mov_b32 v[2:3], s[58:59], s[58:59] op_sel:[0,1]
	;;#ASMSTART
	global_store_dwordx4 v[2:3], v[4:7] off	
s_waitcnt vmcnt(0)
	;;#ASMEND
.LBB651_67:
	s_or_b64 exec, exec, s[30:31]
	v_xad_u32 v24, v25, -1, s6
	v_add_u32_e32 v6, 64, v24
	v_lshlrev_b64 v[2:3], 4, v[6:7]
	v_mov_b32_e32 v4, s37
	v_add_co_u32_e32 v26, vcc, s36, v2
	v_addc_co_u32_e32 v27, vcc, v4, v3, vcc
	;;#ASMSTART
	global_load_dwordx4 v[2:5], v[26:27] off glc	
s_waitcnt vmcnt(0)
	;;#ASMEND
	v_and_b32_e32 v5, 0xff, v3
	v_and_b32_e32 v6, 0xff00, v3
	v_or3_b32 v5, 0, v5, v6
	v_or3_b32 v2, v2, 0, 0
	v_and_b32_e32 v6, 0xff000000, v3
	v_and_b32_e32 v3, 0xff0000, v3
	v_or3_b32 v3, v5, v3, v6
	v_or3_b32 v2, v2, 0, 0
	v_cmp_eq_u16_sdwa s[54:55], v4, v7 src0_sel:BYTE_0 src1_sel:DWORD
	s_and_saveexec_b64 s[30:31], s[54:55]
	s_cbranch_execz .LBB651_71
; %bb.68:
	s_mov_b64 s[54:55], 0
	v_mov_b32_e32 v6, 0
.LBB651_69:                             ; =>This Inner Loop Header: Depth=1
	;;#ASMSTART
	global_load_dwordx4 v[2:5], v[26:27] off glc	
s_waitcnt vmcnt(0)
	;;#ASMEND
	v_cmp_ne_u16_sdwa s[58:59], v4, v6 src0_sel:BYTE_0 src1_sel:DWORD
	s_or_b64 s[54:55], s[58:59], s[54:55]
	s_andn2_b64 exec, exec, s[54:55]
	s_cbranch_execnz .LBB651_69
; %bb.70:
	s_or_b64 exec, exec, s[54:55]
.LBB651_71:
	s_or_b64 exec, exec, s[30:31]
	v_mov_b32_e32 v32, 2
	v_cmp_eq_u16_sdwa s[30:31], v4, v32 src0_sel:BYTE_0 src1_sel:DWORD
	v_lshlrev_b64 v[26:27], v25, -1
	v_and_b32_e32 v5, s31, v27
	v_and_b32_e32 v33, 63, v25
	v_or_b32_e32 v5, 0x80000000, v5
	v_cmp_ne_u32_e32 vcc, 63, v33
	v_and_b32_e32 v6, s30, v26
	v_ffbl_b32_e32 v5, v5
	v_addc_co_u32_e32 v7, vcc, 0, v25, vcc
	v_add_u32_e32 v5, 32, v5
	v_ffbl_b32_e32 v6, v6
	v_lshlrev_b32_e32 v34, 2, v7
	v_min_u32_e32 v5, v6, v5
	ds_bpermute_b32 v6, v34, v3
	v_cmp_eq_u32_e32 vcc, 0, v2
	v_cmp_lt_u32_e64 s[30:31], v33, v5
	ds_bpermute_b32 v7, v34, v2
	s_and_b64 vcc, s[30:31], vcc
	s_waitcnt lgkmcnt(1)
	v_cndmask_b32_e32 v6, 0, v6, vcc
	v_cmp_gt_u32_e32 vcc, 62, v33
	v_add_u32_e32 v3, v6, v3
	v_cndmask_b32_e64 v6, 0, 1, vcc
	v_lshlrev_b32_e32 v6, 1, v6
	v_add_lshl_u32 v35, v6, v25, 2
	s_waitcnt lgkmcnt(0)
	v_cndmask_b32_e64 v7, 0, v7, s[30:31]
	ds_bpermute_b32 v6, v35, v3
	v_add_u32_e32 v2, v7, v2
	ds_bpermute_b32 v7, v35, v2
	v_add_u32_e32 v36, 2, v33
	v_cmp_eq_u32_e32 vcc, 0, v2
	s_waitcnt lgkmcnt(1)
	v_cndmask_b32_e32 v6, 0, v6, vcc
	v_cmp_gt_u32_e32 vcc, v36, v5
	v_cndmask_b32_e64 v6, v6, 0, vcc
	v_add_u32_e32 v3, v6, v3
	s_waitcnt lgkmcnt(0)
	v_cndmask_b32_e64 v6, v7, 0, vcc
	v_cmp_gt_u32_e32 vcc, 60, v33
	v_cndmask_b32_e64 v7, 0, 1, vcc
	v_lshlrev_b32_e32 v7, 2, v7
	v_add_lshl_u32 v37, v7, v25, 2
	ds_bpermute_b32 v7, v37, v3
	v_add_u32_e32 v2, v2, v6
	ds_bpermute_b32 v6, v37, v2
	v_add_u32_e32 v38, 4, v33
	v_cmp_eq_u32_e32 vcc, 0, v2
	s_waitcnt lgkmcnt(1)
	v_cndmask_b32_e32 v7, 0, v7, vcc
	v_cmp_gt_u32_e32 vcc, v38, v5
	v_cndmask_b32_e64 v7, v7, 0, vcc
	s_waitcnt lgkmcnt(0)
	v_cndmask_b32_e64 v6, v6, 0, vcc
	v_cmp_gt_u32_e32 vcc, 56, v33
	v_add_u32_e32 v3, v3, v7
	v_cndmask_b32_e64 v7, 0, 1, vcc
	v_lshlrev_b32_e32 v7, 3, v7
	v_add_lshl_u32 v39, v7, v25, 2
	ds_bpermute_b32 v7, v39, v3
	v_add_u32_e32 v2, v2, v6
	ds_bpermute_b32 v6, v39, v2
	v_add_u32_e32 v40, 8, v33
	v_cmp_eq_u32_e32 vcc, 0, v2
	s_waitcnt lgkmcnt(1)
	v_cndmask_b32_e32 v7, 0, v7, vcc
	v_cmp_gt_u32_e32 vcc, v40, v5
	v_cndmask_b32_e64 v7, v7, 0, vcc
	s_waitcnt lgkmcnt(0)
	v_cndmask_b32_e64 v6, v6, 0, vcc
	v_cmp_gt_u32_e32 vcc, 48, v33
	v_add_u32_e32 v3, v3, v7
	;; [unrolled: 16-line block ×3, first 2 shown]
	v_cndmask_b32_e64 v7, 0, 1, vcc
	v_lshlrev_b32_e32 v7, 5, v7
	v_add_lshl_u32 v43, v7, v25, 2
	ds_bpermute_b32 v7, v43, v3
	v_add_u32_e32 v2, v2, v6
	ds_bpermute_b32 v6, v43, v2
	v_add_u32_e32 v44, 32, v33
	v_cmp_eq_u32_e32 vcc, 0, v2
	s_waitcnt lgkmcnt(1)
	v_cndmask_b32_e32 v7, 0, v7, vcc
	v_cmp_gt_u32_e32 vcc, v44, v5
	v_cndmask_b32_e64 v5, v7, 0, vcc
	v_add_u32_e32 v3, v5, v3
	s_waitcnt lgkmcnt(0)
	v_cndmask_b32_e64 v5, v6, 0, vcc
	v_add_u32_e32 v2, v5, v2
	v_mov_b32_e32 v25, 0
	s_branch .LBB651_73
.LBB651_72:                             ;   in Loop: Header=BB651_73 Depth=1
	s_or_b64 exec, exec, s[30:31]
	v_cmp_eq_u16_sdwa s[30:31], v4, v32 src0_sel:BYTE_0 src1_sel:DWORD
	v_and_b32_e32 v5, s31, v27
	v_or_b32_e32 v5, 0x80000000, v5
	v_and_b32_e32 v28, s30, v26
	v_ffbl_b32_e32 v5, v5
	v_add_u32_e32 v5, 32, v5
	v_ffbl_b32_e32 v28, v28
	v_min_u32_e32 v5, v28, v5
	ds_bpermute_b32 v28, v34, v3
	v_cmp_eq_u32_e32 vcc, 0, v2
	v_cmp_lt_u32_e64 s[30:31], v33, v5
	ds_bpermute_b32 v29, v34, v2
	s_and_b64 vcc, s[30:31], vcc
	s_waitcnt lgkmcnt(1)
	v_cndmask_b32_e32 v28, 0, v28, vcc
	v_add_u32_e32 v3, v28, v3
	ds_bpermute_b32 v28, v35, v3
	s_waitcnt lgkmcnt(1)
	v_cndmask_b32_e64 v29, 0, v29, s[30:31]
	v_add_u32_e32 v2, v29, v2
	v_cmp_eq_u32_e32 vcc, 0, v2
	ds_bpermute_b32 v29, v35, v2
	s_waitcnt lgkmcnt(1)
	v_cndmask_b32_e32 v28, 0, v28, vcc
	v_cmp_gt_u32_e32 vcc, v36, v5
	v_cndmask_b32_e64 v28, v28, 0, vcc
	v_add_u32_e32 v3, v28, v3
	ds_bpermute_b32 v28, v37, v3
	s_waitcnt lgkmcnt(1)
	v_cndmask_b32_e64 v29, v29, 0, vcc
	v_add_u32_e32 v2, v2, v29
	v_cmp_eq_u32_e32 vcc, 0, v2
	ds_bpermute_b32 v29, v37, v2
	s_waitcnt lgkmcnt(1)
	v_cndmask_b32_e32 v28, 0, v28, vcc
	v_cmp_gt_u32_e32 vcc, v38, v5
	v_cndmask_b32_e64 v28, v28, 0, vcc
	v_add_u32_e32 v3, v3, v28
	ds_bpermute_b32 v28, v39, v3
	s_waitcnt lgkmcnt(1)
	v_cndmask_b32_e64 v29, v29, 0, vcc
	v_add_u32_e32 v2, v2, v29
	ds_bpermute_b32 v29, v39, v2
	v_cmp_eq_u32_e32 vcc, 0, v2
	s_waitcnt lgkmcnt(1)
	v_cndmask_b32_e32 v28, 0, v28, vcc
	v_cmp_gt_u32_e32 vcc, v40, v5
	v_cndmask_b32_e64 v28, v28, 0, vcc
	v_add_u32_e32 v3, v3, v28
	ds_bpermute_b32 v28, v41, v3
	s_waitcnt lgkmcnt(1)
	v_cndmask_b32_e64 v29, v29, 0, vcc
	v_add_u32_e32 v2, v2, v29
	ds_bpermute_b32 v29, v41, v2
	v_cmp_eq_u32_e32 vcc, 0, v2
	;; [unrolled: 11-line block ×3, first 2 shown]
	s_waitcnt lgkmcnt(1)
	v_cndmask_b32_e32 v28, 0, v28, vcc
	v_cmp_gt_u32_e32 vcc, v44, v5
	v_cndmask_b32_e64 v5, v28, 0, vcc
	v_add_u32_e32 v3, v5, v3
	s_waitcnt lgkmcnt(0)
	v_cndmask_b32_e64 v5, v29, 0, vcc
	v_cmp_eq_u32_e32 vcc, 0, v6
	v_cndmask_b32_e32 v3, 0, v3, vcc
	v_subrev_u32_e32 v24, 64, v24
	v_add3_u32 v2, v2, v6, v5
	v_add_u32_e32 v3, v3, v7
.LBB651_73:                             ; =>This Loop Header: Depth=1
                                        ;     Child Loop BB651_76 Depth 2
	v_cmp_ne_u16_sdwa s[30:31], v4, v32 src0_sel:BYTE_0 src1_sel:DWORD
	v_mov_b32_e32 v7, v3
	v_cndmask_b32_e64 v3, 0, 1, s[30:31]
	;;#ASMSTART
	;;#ASMEND
	v_cmp_ne_u32_e32 vcc, 0, v3
	s_cmp_lg_u64 vcc, exec
	v_mov_b32_e32 v6, v2
	s_cbranch_scc1 .LBB651_78
; %bb.74:                               ;   in Loop: Header=BB651_73 Depth=1
	v_lshlrev_b64 v[2:3], 4, v[24:25]
	v_mov_b32_e32 v4, s37
	v_add_co_u32_e32 v28, vcc, s36, v2
	v_addc_co_u32_e32 v29, vcc, v4, v3, vcc
	;;#ASMSTART
	global_load_dwordx4 v[2:5], v[28:29] off glc	
s_waitcnt vmcnt(0)
	;;#ASMEND
	v_and_b32_e32 v5, 0xff, v3
	v_and_b32_e32 v45, 0xff00, v3
	v_or3_b32 v5, 0, v5, v45
	v_or3_b32 v2, v2, 0, 0
	v_and_b32_e32 v45, 0xff000000, v3
	v_and_b32_e32 v3, 0xff0000, v3
	v_or3_b32 v3, v5, v3, v45
	v_or3_b32 v2, v2, 0, 0
	v_cmp_eq_u16_sdwa s[54:55], v4, v25 src0_sel:BYTE_0 src1_sel:DWORD
	s_and_saveexec_b64 s[30:31], s[54:55]
	s_cbranch_execz .LBB651_72
; %bb.75:                               ;   in Loop: Header=BB651_73 Depth=1
	s_mov_b64 s[54:55], 0
.LBB651_76:                             ;   Parent Loop BB651_73 Depth=1
                                        ; =>  This Inner Loop Header: Depth=2
	;;#ASMSTART
	global_load_dwordx4 v[2:5], v[28:29] off glc	
s_waitcnt vmcnt(0)
	;;#ASMEND
	v_cmp_ne_u16_sdwa s[58:59], v4, v25 src0_sel:BYTE_0 src1_sel:DWORD
	s_or_b64 s[54:55], s[58:59], s[54:55]
	s_andn2_b64 exec, exec, s[54:55]
	s_cbranch_execnz .LBB651_76
; %bb.77:                               ;   in Loop: Header=BB651_73 Depth=1
	s_or_b64 exec, exec, s[54:55]
	s_branch .LBB651_72
.LBB651_78:                             ;   in Loop: Header=BB651_73 Depth=1
                                        ; implicit-def: $vgpr3
                                        ; implicit-def: $vgpr2
                                        ; implicit-def: $vgpr4
	s_cbranch_execz .LBB651_73
; %bb.79:
	s_and_saveexec_b64 s[30:31], s[26:27]
	s_cbranch_execz .LBB651_81
; %bb.80:
	s_cmp_eq_u32 s7, 0
	s_cselect_b64 vcc, -1, 0
	s_mov_b32 s55, 0
	v_cndmask_b32_e32 v2, 0, v7, vcc
	s_add_i32 s54, s6, 64
	v_add_u32_e32 v2, s56, v2
	s_lshl_b64 s[54:55], s[54:55], 4
	s_add_u32 s54, s36, s54
	v_and_b32_e32 v3, 0xff000000, v2
	v_and_b32_e32 v4, 0xff0000, v2
	s_addc_u32 s55, s37, s55
	v_or_b32_e32 v3, v4, v3
	v_and_b32_e32 v4, 0xff00, v2
	v_and_b32_e32 v2, 0xff, v2
	v_add_u32_e32 v24, s7, v6
	v_mov_b32_e32 v27, 0
	v_or3_b32 v25, v3, v4, v2
	v_mov_b32_e32 v26, 2
	v_pk_mov_b32 v[2:3], s[54:55], s[54:55] op_sel:[0,1]
	;;#ASMSTART
	global_store_dwordx4 v[2:3], v[24:27] off	
s_waitcnt vmcnt(0)
	;;#ASMEND
	v_mov_b32_e32 v4, s7
	v_mov_b32_e32 v5, s56
	ds_write_b128 v27, v[4:7] offset:2048
.LBB651_81:
	s_or_b64 exec, exec, s[30:31]
	v_cmp_eq_u32_e32 vcc, 0, v0
	s_and_b64 exec, exec, vcc
	s_cbranch_execz .LBB651_83
; %bb.82:
	v_mov_b32_e32 v2, 0
	ds_write_b64 v2, v[6:7] offset:2088
.LBB651_83:
	s_or_b64 exec, exec, s[44:45]
	v_mov_b32_e32 v4, 0
	s_waitcnt lgkmcnt(0)
	s_barrier
	ds_read_b64 v[2:3], v4 offset:2088
	v_cndmask_b32_e64 v6, v30, v22, s[26:27]
	v_cmp_eq_u32_e32 vcc, 0, v6
	v_cndmask_b32_e64 v5, v31, v23, s[26:27]
	s_waitcnt lgkmcnt(0)
	v_cndmask_b32_e32 v7, 0, v3, vcc
	v_add_u32_e32 v5, v7, v5
	v_cmp_eq_u32_e32 vcc, 0, v0
	v_cndmask_b32_e32 v51, v5, v3, vcc
	v_cndmask_b32_e64 v3, v6, 0, vcc
	v_cmp_eq_u32_e32 vcc, 0, v68
	v_add_u32_e32 v50, v2, v3
	v_cndmask_b32_e32 v2, 0, v51, vcc
	v_add_u32_e32 v49, v2, v52
	v_cndmask_b32_e64 v2, 0, v49, s[24:25]
	v_add_u32_e32 v47, v2, v52
	v_cndmask_b32_e64 v2, 0, v47, s[22:23]
	;; [unrolled: 2-line block ×8, first 2 shown]
	v_add_u32_e32 v48, v50, v68
	v_add_u32_e32 v33, v2, v52
	v_add_u32_e32 v46, v48, v67
	v_cndmask_b32_e64 v2, 0, v33, s[8:9]
	v_add_u32_e32 v44, v46, v66
	v_add_u32_e32 v31, v2, v52
	v_add_u32_e32 v42, v44, v65
	v_cndmask_b32_e64 v2, 0, v31, s[28:29]
	;; [unrolled: 4-line block ×3, first 2 shown]
	v_add_u32_e32 v36, v38, v62
	v_add_u32_e32 v27, v2, v52
	s_barrier
	ds_read_b128 v[2:5], v4 offset:2048
	v_add_u32_e32 v34, v36, v61
	v_add_u32_e32 v32, v34, v60
	v_add_u32_e32 v30, v32, v59
	v_add_u32_e32 v28, v30, v58
	v_cndmask_b32_e64 v6, 0, v27, s[2:3]
	v_add_u32_e32 v26, v28, v57
	v_add_u32_e32 v23, v6, v52
	s_waitcnt lgkmcnt(0)
	v_cmp_eq_u32_e32 vcc, 0, v2
	v_add_u32_e32 v22, v26, v56
	v_cndmask_b32_e64 v6, 0, v23, s[0:1]
	v_cndmask_b32_e32 v5, 0, v5, vcc
	v_add_u32_e32 v24, v22, v55
	v_add_u32_e32 v25, v6, v52
	;; [unrolled: 1-line block ×3, first 2 shown]
	s_branch .LBB651_96
.LBB651_84:
                                        ; implicit-def: $vgpr2
                                        ; implicit-def: $vgpr6
                                        ; implicit-def: $vgpr24_vgpr25
                                        ; implicit-def: $vgpr22_vgpr23
                                        ; implicit-def: $vgpr26_vgpr27
                                        ; implicit-def: $vgpr28_vgpr29
                                        ; implicit-def: $vgpr50_vgpr51
                                        ; implicit-def: $vgpr48_vgpr49
                                        ; implicit-def: $vgpr46_vgpr47
                                        ; implicit-def: $vgpr44_vgpr45
                                        ; implicit-def: $vgpr42_vgpr43
                                        ; implicit-def: $vgpr40_vgpr41
                                        ; implicit-def: $vgpr38_vgpr39
                                        ; implicit-def: $vgpr36_vgpr37
                                        ; implicit-def: $vgpr34_vgpr35
                                        ; implicit-def: $vgpr32_vgpr33
                                        ; implicit-def: $vgpr30_vgpr31
	s_cbranch_execz .LBB651_96
; %bb.85:
	s_and_b64 s[0:1], s[38:39], exec
	s_cselect_b32 s1, 0, s53
	s_cselect_b32 s0, 0, s52
	s_cmp_eq_u64 s[0:1], 0
	v_mov_b32_e32 v6, v52
	s_cbranch_scc1 .LBB651_87
; %bb.86:
	v_mov_b32_e32 v2, 0
	global_load_dword v6, v2, s[0:1]
.LBB651_87:
	v_cmp_eq_u32_e64 s[0:1], 0, v67
	v_cndmask_b32_e64 v2, 0, v52, s[0:1]
	v_add_u32_e32 v2, v2, v52
	v_cmp_eq_u32_e64 s[2:3], 0, v66
	v_cndmask_b32_e64 v2, 0, v2, s[2:3]
	v_add_u32_e32 v2, v2, v52
	;; [unrolled: 3-line block ×11, first 2 shown]
	v_cmp_eq_u32_e64 s[22:23], 0, v56
	v_cndmask_b32_e64 v2, 0, v2, s[22:23]
	v_add3_u32 v3, v72, v63, v62
	v_add_u32_e32 v2, v2, v52
	v_cmp_eq_u32_e32 vcc, 0, v55
	v_add3_u32 v3, v3, v61, v60
	v_cndmask_b32_e32 v2, 0, v2, vcc
	v_add3_u32 v3, v3, v59, v58
	v_add_u32_e32 v2, v2, v52
	v_cmp_eq_u32_e64 s[24:25], 0, v54
	v_add3_u32 v3, v3, v57, v56
	v_cndmask_b32_e64 v2, 0, v2, s[24:25]
	v_add3_u32 v3, v3, v55, v54
	v_add_u32_e32 v2, v2, v53
	v_mbcnt_hi_u32_b32 v7, -1, v71
	v_and_b32_e32 v4, 15, v7
	v_mov_b32_dpp v22, v2 row_shr:1 row_mask:0xf bank_mask:0xf
	v_cmp_eq_u32_e64 s[24:25], 0, v3
	v_mov_b32_dpp v5, v3 row_shr:1 row_mask:0xf bank_mask:0xf
	v_cndmask_b32_e64 v22, 0, v22, s[24:25]
	v_cmp_eq_u32_e64 s[24:25], 0, v4
	v_cndmask_b32_e64 v5, v5, 0, s[24:25]
	v_add_u32_e32 v3, v5, v3
	v_cndmask_b32_e64 v5, v22, 0, s[24:25]
	v_add_u32_e32 v2, v5, v2
	v_cmp_eq_u32_e64 s[24:25], 0, v3
	v_mov_b32_dpp v5, v3 row_shr:2 row_mask:0xf bank_mask:0xf
	v_cmp_lt_u32_e64 s[26:27], 1, v4
	v_mov_b32_dpp v22, v2 row_shr:2 row_mask:0xf bank_mask:0xf
	v_cndmask_b32_e64 v5, 0, v5, s[26:27]
	s_and_b64 s[24:25], s[26:27], s[24:25]
	v_cndmask_b32_e64 v22, 0, v22, s[24:25]
	v_add_u32_e32 v3, v3, v5
	v_add_u32_e32 v2, v22, v2
	v_cmp_eq_u32_e64 s[24:25], 0, v3
	v_mov_b32_dpp v5, v3 row_shr:4 row_mask:0xf bank_mask:0xf
	v_cmp_lt_u32_e64 s[26:27], 3, v4
	v_mov_b32_dpp v22, v2 row_shr:4 row_mask:0xf bank_mask:0xf
	v_cndmask_b32_e64 v5, 0, v5, s[26:27]
	s_and_b64 s[24:25], s[26:27], s[24:25]
	v_cndmask_b32_e64 v22, 0, v22, s[24:25]
	v_add_u32_e32 v3, v5, v3
	v_add_u32_e32 v2, v2, v22
	v_cmp_eq_u32_e64 s[24:25], 0, v3
	v_cmp_lt_u32_e64 s[26:27], 7, v4
	v_mov_b32_dpp v5, v3 row_shr:8 row_mask:0xf bank_mask:0xf
	v_mov_b32_dpp v22, v2 row_shr:8 row_mask:0xf bank_mask:0xf
	s_and_b64 s[24:25], s[26:27], s[24:25]
	v_cndmask_b32_e64 v4, 0, v5, s[26:27]
	v_cndmask_b32_e64 v5, 0, v22, s[24:25]
	v_add_u32_e32 v2, v5, v2
	v_add_u32_e32 v3, v4, v3
	v_bfe_i32 v22, v7, 4, 1
	v_mov_b32_dpp v5, v2 row_bcast:15 row_mask:0xf bank_mask:0xf
	v_mov_b32_dpp v4, v3 row_bcast:15 row_mask:0xf bank_mask:0xf
	v_cmp_eq_u32_e64 s[24:25], 0, v3
	v_cndmask_b32_e64 v5, 0, v5, s[24:25]
	v_and_b32_e32 v4, v22, v4
	v_add_u32_e32 v3, v4, v3
	v_and_b32_e32 v4, v22, v5
	v_add_u32_e32 v4, v4, v2
	v_mov_b32_dpp v2, v3 row_bcast:31 row_mask:0xf bank_mask:0xf
	v_cmp_eq_u32_e64 s[24:25], 0, v3
	v_cmp_lt_u32_e64 s[26:27], 31, v7
	v_mov_b32_dpp v5, v4 row_bcast:31 row_mask:0xf bank_mask:0xf
	v_cndmask_b32_e64 v2, 0, v2, s[26:27]
	s_and_b64 s[24:25], s[26:27], s[24:25]
	v_add_u32_e32 v2, v2, v3
	v_cndmask_b32_e64 v3, 0, v5, s[24:25]
	v_add_u32_e32 v3, v3, v4
	v_cmp_eq_u32_e64 s[24:25], v70, v0
	v_lshlrev_b32_e32 v5, 3, v69
	s_and_saveexec_b64 s[26:27], s[24:25]
	s_cbranch_execz .LBB651_89
; %bb.88:
	ds_write_b64 v5, v[2:3] offset:2064
.LBB651_89:
	s_or_b64 exec, exec, s[26:27]
	v_cmp_gt_u32_e64 s[24:25], 4, v0
	s_waitcnt lgkmcnt(0)
	s_barrier
	s_and_saveexec_b64 s[28:29], s[24:25]
	s_cbranch_execz .LBB651_91
; %bb.90:
	v_lshlrev_b32_e32 v4, 3, v0
	ds_read_b64 v[22:23], v4 offset:2064
	v_and_b32_e32 v24, 3, v7
	v_cmp_lt_u32_e64 s[26:27], 1, v24
	s_waitcnt lgkmcnt(0)
	v_mov_b32_dpp v26, v23 row_shr:1 row_mask:0xf bank_mask:0xf
	v_cmp_eq_u32_e64 s[24:25], 0, v22
	v_mov_b32_dpp v25, v22 row_shr:1 row_mask:0xf bank_mask:0xf
	v_cndmask_b32_e64 v26, 0, v26, s[24:25]
	v_cmp_eq_u32_e64 s[24:25], 0, v24
	v_cndmask_b32_e64 v25, v25, 0, s[24:25]
	v_add_u32_e32 v22, v25, v22
	v_cndmask_b32_e64 v25, v26, 0, s[24:25]
	v_add_u32_e32 v23, v25, v23
	v_cmp_eq_u32_e64 s[24:25], 0, v22
	v_mov_b32_dpp v25, v22 row_shr:2 row_mask:0xf bank_mask:0xf
	v_mov_b32_dpp v26, v23 row_shr:2 row_mask:0xf bank_mask:0xf
	v_cndmask_b32_e64 v24, 0, v25, s[26:27]
	s_and_b64 s[24:25], s[26:27], s[24:25]
	v_add_u32_e32 v22, v24, v22
	v_cndmask_b32_e64 v24, 0, v26, s[24:25]
	v_add_u32_e32 v23, v24, v23
	ds_write_b64 v4, v[22:23] offset:2064
.LBB651_91:
	s_or_b64 exec, exec, s[28:29]
	v_cmp_lt_u32_e64 s[24:25], 63, v0
	v_mov_b32_e32 v23, 0
	v_mov_b32_e32 v4, 0
	s_waitcnt vmcnt(0)
	v_mov_b32_e32 v22, v6
	s_waitcnt lgkmcnt(0)
	s_barrier
	s_and_saveexec_b64 s[26:27], s[24:25]
	s_cbranch_execz .LBB651_93
; %bb.92:
	ds_read_b64 v[4:5], v5 offset:2056
	s_waitcnt lgkmcnt(0)
	v_cmp_eq_u32_e64 s[24:25], 0, v4
	v_cndmask_b32_e64 v22, 0, v6, s[24:25]
	v_add_u32_e32 v22, v22, v5
.LBB651_93:
	s_or_b64 exec, exec, s[26:27]
	v_cmp_eq_u32_e64 s[24:25], 0, v2
	v_add_u32_e32 v5, v4, v2
	v_cndmask_b32_e64 v2, 0, v22, s[24:25]
	v_add_u32_e32 v2, v2, v3
	v_add_u32_e32 v3, -1, v7
	v_and_b32_e32 v24, 64, v7
	v_cmp_lt_i32_e64 s[24:25], v3, v24
	v_cndmask_b32_e64 v3, v3, v7, s[24:25]
	v_lshlrev_b32_e32 v3, 2, v3
	ds_bpermute_b32 v5, v3, v5
	ds_bpermute_b32 v2, v3, v2
	v_cmp_eq_u32_e64 s[24:25], 0, v7
	v_cmp_eq_u32_e64 s[26:27], 0, v68
	s_waitcnt lgkmcnt(1)
	v_cndmask_b32_e64 v3, v5, v4, s[24:25]
	s_waitcnt lgkmcnt(0)
	v_cndmask_b32_e64 v2, v2, v22, s[24:25]
	v_cmp_eq_u32_e64 s[24:25], 0, v0
	v_cndmask_b32_e64 v51, v2, v6, s[24:25]
	v_cndmask_b32_e64 v2, 0, v51, s[26:27]
	v_add_u32_e32 v49, v2, v52
	v_cndmask_b32_e64 v2, 0, v49, s[0:1]
	v_add_u32_e32 v47, v2, v52
	;; [unrolled: 2-line block ×8, first 2 shown]
	v_cndmask_b32_e64 v50, v3, 0, s[24:25]
	v_cndmask_b32_e64 v2, 0, v35, s[14:15]
	v_add_u32_e32 v48, v50, v68
	v_add_u32_e32 v33, v2, v52
	v_add_u32_e32 v46, v48, v67
	v_cndmask_b32_e64 v2, 0, v33, s[16:17]
	v_add_u32_e32 v44, v46, v66
	v_add_u32_e32 v31, v2, v52
	v_add_u32_e32 v42, v44, v65
	;; [unrolled: 4-line block ×3, first 2 shown]
	v_cndmask_b32_e64 v2, 0, v29, s[20:21]
	v_add_u32_e32 v36, v38, v62
	v_add_u32_e32 v27, v2, v52
	ds_read_b64 v[2:3], v23 offset:2088
	v_add_u32_e32 v34, v36, v61
	v_add_u32_e32 v32, v34, v60
	;; [unrolled: 1-line block ×3, first 2 shown]
	v_cndmask_b32_e64 v4, 0, v27, s[22:23]
	v_add_u32_e32 v28, v30, v58
	v_add_u32_e32 v23, v4, v52
	;; [unrolled: 1-line block ×3, first 2 shown]
	v_cndmask_b32_e32 v4, 0, v23, vcc
	s_waitcnt lgkmcnt(0)
	v_cmp_eq_u32_e32 vcc, 0, v2
	v_add_u32_e32 v22, v26, v56
	v_add_u32_e32 v25, v4, v52
	v_cndmask_b32_e32 v4, 0, v6, vcc
	v_add_u32_e32 v24, v22, v55
	v_add_u32_e32 v6, v4, v3
	s_and_saveexec_b64 s[0:1], s[24:25]
	s_cbranch_execz .LBB651_95
; %bb.94:
	s_add_u32 s2, s36, 0x400
	v_and_b32_e32 v3, 0xff000000, v6
	v_and_b32_e32 v4, 0xff0000, v6
	s_addc_u32 s3, s37, 0
	v_or_b32_e32 v3, v4, v3
	v_and_b32_e32 v4, 0xff00, v6
	v_and_b32_e32 v7, 0xff, v6
	v_mov_b32_e32 v5, 0
	v_or3_b32 v3, v3, v4, v7
	v_mov_b32_e32 v4, 2
	v_pk_mov_b32 v[52:53], s[2:3], s[2:3] op_sel:[0,1]
	;;#ASMSTART
	global_store_dwordx4 v[52:53], v[2:5] off	
s_waitcnt vmcnt(0)
	;;#ASMEND
.LBB651_95:
	s_or_b64 exec, exec, s[0:1]
	v_mov_b32_e32 v4, 0
.LBB651_96:
	s_and_b64 s[0:1], s[38:39], exec
	s_cselect_b32 s1, 0, s47
	s_cselect_b32 s0, 0, s46
	s_cmp_eq_u64 s[0:1], 0
	v_pk_mov_b32 v[52:53], 0, 0
	s_waitcnt lgkmcnt(0)
	s_barrier
	s_cbranch_scc1 .LBB651_98
; %bb.97:
	v_mov_b32_e32 v3, 0
	global_load_dwordx2 v[52:53], v3, s[0:1]
.LBB651_98:
	s_waitcnt vmcnt(0)
	v_lshlrev_b64 v[70:71], 2, v[52:53]
	v_mov_b32_e32 v3, s41
	v_add_co_u32_e32 v7, vcc, s40, v70
	v_mov_b32_e32 v5, 0
	v_addc_co_u32_e32 v69, vcc, v3, v71, vcc
	v_lshlrev_b64 v[70:71], 2, v[4:5]
	v_add_co_u32_e32 v3, vcc, v7, v70
	v_addc_co_u32_e32 v7, vcc, v69, v71, vcc
	v_cmp_eq_u32_e32 vcc, 0, v68
	v_cndmask_b32_e64 v69, 1, 2, vcc
	v_cmp_eq_u32_e32 vcc, 0, v67
	v_cndmask_b32_e64 v70, 1, 2, vcc
	v_cmp_eq_u32_e32 vcc, 0, v66
	v_and_b32_e32 v69, v70, v69
	v_cndmask_b32_e64 v70, 1, 2, vcc
	v_cmp_eq_u32_e32 vcc, 0, v65
	v_and_b32_e32 v69, v69, v70
	;; [unrolled: 3-line block ×13, first 2 shown]
	v_cndmask_b32_e64 v70, 1, 2, vcc
	s_movk_i32 s30, 0x100
	v_and_b32_e32 v69, v69, v70
	v_cmp_gt_u32_e32 vcc, s30, v2
	v_cmp_ne_u32_e64 s[28:29], 0, v68
	v_cmp_ne_u32_e64 s[26:27], 0, v67
	;; [unrolled: 1-line block ×15, first 2 shown]
	s_mov_b64 s[36:37], -1
	v_cmp_gt_i16_e64 s[30:31], 2, v69
	s_cbranch_vccz .LBB651_105
; %bb.99:
	s_and_saveexec_b64 s[36:37], s[30:31]
	s_cbranch_execz .LBB651_104
; %bb.100:
	v_cmp_ne_u16_e32 vcc, 1, v69
	s_mov_b64 s[38:39], 0
	s_and_saveexec_b64 s[30:31], vcc
	s_xor_b64 s[30:31], exec, s[30:31]
	s_cbranch_execnz .LBB651_149
; %bb.101:
	s_andn2_saveexec_b64 s[30:31], s[30:31]
	s_cbranch_execnz .LBB651_165
.LBB651_102:
	s_or_b64 exec, exec, s[30:31]
	s_and_b64 exec, exec, s[38:39]
	s_cbranch_execz .LBB651_104
.LBB651_103:
	v_sub_u32_e32 v70, v24, v4
	v_mov_b32_e32 v71, 0
	v_lshlrev_b64 v[70:71], 2, v[70:71]
	v_add_co_u32_e32 v70, vcc, v3, v70
	v_addc_co_u32_e32 v71, vcc, v7, v71, vcc
	global_store_dword v[70:71], v1, off
.LBB651_104:
	s_or_b64 exec, exec, s[36:37]
	s_mov_b64 s[36:37], 0
.LBB651_105:
	s_and_b64 vcc, exec, s[36:37]
	s_cbranch_vccz .LBB651_127
; %bb.106:
	v_cmp_gt_i16_e32 vcc, 2, v69
	s_and_saveexec_b64 s[30:31], vcc
	s_cbranch_execz .LBB651_111
; %bb.107:
	v_cmp_ne_u16_e32 vcc, 1, v69
	s_mov_b64 s[38:39], 0
	s_and_saveexec_b64 s[36:37], vcc
	s_xor_b64 s[36:37], exec, s[36:37]
	s_cbranch_execnz .LBB651_166
; %bb.108:
	s_andn2_saveexec_b64 s[0:1], s[36:37]
	s_cbranch_execnz .LBB651_182
.LBB651_109:
	s_or_b64 exec, exec, s[0:1]
	s_and_b64 exec, exec, s[38:39]
	s_cbranch_execz .LBB651_111
.LBB651_110:
	v_sub_u32_e32 v8, v24, v4
	v_lshlrev_b32_e32 v8, 2, v8
	ds_write_b32 v8, v1
.LBB651_111:
	s_or_b64 exec, exec, s[30:31]
	v_cmp_lt_u32_e32 vcc, v0, v2
	s_waitcnt lgkmcnt(0)
	s_barrier
	s_and_saveexec_b64 s[2:3], vcc
	s_cbranch_execz .LBB651_126
; %bb.112:
	v_xad_u32 v1, v0, -1, v2
	s_movk_i32 s0, 0x1700
	v_cmp_gt_u32_e64 s[4:5], s0, v1
	s_movk_i32 s0, 0x16ff
	v_cmp_lt_u32_e32 vcc, s0, v1
	v_mov_b32_e32 v8, v0
	s_and_saveexec_b64 s[6:7], vcc
	s_cbranch_execz .LBB651_123
; %bb.113:
	v_sub_u32_e32 v8, v0, v2
	v_or_b32_e32 v8, 0xff, v8
	v_cmp_ge_u32_e32 vcc, v8, v0
	s_mov_b64 s[0:1], -1
	v_mov_b32_e32 v8, v0
	s_and_saveexec_b64 s[8:9], vcc
	s_cbranch_execz .LBB651_122
; %bb.114:
	v_lshrrev_b32_e32 v12, 8, v1
	v_add_u32_e32 v8, -1, v12
	v_or_b32_e32 v1, 0x100, v0
	v_lshrrev_b32_e32 v9, 1, v8
	v_add_u32_e32 v13, 1, v9
	v_cmp_lt_u32_e32 vcc, 13, v8
	v_mov_b32_e32 v16, 0
	v_pk_mov_b32 v[8:9], v[0:1], v[0:1] op_sel:[0,1]
	s_and_saveexec_b64 s[10:11], vcc
	s_cbranch_execz .LBB651_118
; %bb.115:
	v_and_b32_e32 v14, -8, v13
	v_lshlrev_b32_e32 v15, 2, v0
	s_mov_b32 s14, 0
	s_mov_b64 s[12:13], 0
	v_mov_b32_e32 v11, 0
	v_pk_mov_b32 v[8:9], v[0:1], v[0:1] op_sel:[0,1]
.LBB651_116:                            ; =>This Inner Loop Header: Depth=1
	v_mov_b32_e32 v10, v8
	v_add_u32_e32 v14, -8, v14
	v_lshlrev_b64 v[94:95], 2, v[10:11]
	v_mov_b32_e32 v10, v9
	ds_read2st64_b32 v[18:19], v15 offset1:4
	s_add_i32 s14, s14, 16
	v_cmp_eq_u32_e32 vcc, 0, v14
	v_lshlrev_b64 v[98:99], 2, v[10:11]
	v_add_u32_e32 v10, 0x200, v8
	s_or_b64 s[12:13], vcc, s[12:13]
	v_add_co_u32_e32 v98, vcc, v3, v98
	v_add_u32_e32 v16, 0x200, v9
	ds_read2st64_b32 v[20:21], v15 offset0:8 offset1:12
	v_mov_b32_e32 v17, v11
	ds_read2st64_b32 v[72:73], v15 offset0:16 offset1:20
	v_add_co_u32_e64 v94, s[0:1], v3, v94
	v_addc_co_u32_e32 v99, vcc, v7, v99, vcc
	v_lshlrev_b64 v[100:101], 2, v[10:11]
	v_lshlrev_b64 v[96:97], 2, v[16:17]
	v_addc_co_u32_e64 v95, s[0:1], v7, v95, s[0:1]
	v_add_u32_e32 v10, 0x400, v8
	v_add_co_u32_e32 v100, vcc, v3, v100
	v_add_u32_e32 v70, 0x400, v9
	v_mov_b32_e32 v71, v11
	ds_read2st64_b32 v[76:77], v15 offset0:24 offset1:28
	v_add_co_u32_e64 v96, s[0:1], v3, v96
	v_addc_co_u32_e32 v101, vcc, v7, v101, vcc
	v_lshlrev_b64 v[102:103], 2, v[10:11]
	ds_read2st64_b32 v[80:81], v15 offset0:32 offset1:36
	ds_read2st64_b32 v[84:85], v15 offset0:40 offset1:44
	;; [unrolled: 1-line block ×4, first 2 shown]
	v_lshlrev_b64 v[70:71], 2, v[70:71]
	v_addc_co_u32_e64 v97, s[0:1], v7, v97, s[0:1]
	v_add_u32_e32 v10, 0x600, v8
	s_waitcnt lgkmcnt(7)
	global_store_dword v[94:95], v18, off
	global_store_dword v[98:99], v19, off
	s_waitcnt lgkmcnt(6)
	global_store_dword v[100:101], v20, off
	global_store_dword v[96:97], v21, off
	v_add_co_u32_e32 v18, vcc, v3, v102
	v_add_u32_e32 v74, 0x600, v9
	v_mov_b32_e32 v75, v11
	v_add_co_u32_e64 v70, s[0:1], v3, v70
	v_addc_co_u32_e32 v19, vcc, v7, v103, vcc
	v_lshlrev_b64 v[20:21], 2, v[10:11]
	v_lshlrev_b64 v[74:75], 2, v[74:75]
	v_addc_co_u32_e64 v71, s[0:1], v7, v71, s[0:1]
	v_add_u32_e32 v10, 0x800, v8
	s_waitcnt lgkmcnt(5)
	global_store_dword v[18:19], v72, off
	global_store_dword v[70:71], v73, off
	v_add_co_u32_e32 v18, vcc, v3, v20
	v_add_u32_e32 v78, 0x800, v9
	v_mov_b32_e32 v79, v11
	v_add_co_u32_e64 v74, s[0:1], v3, v74
	v_addc_co_u32_e32 v19, vcc, v7, v21, vcc
	v_lshlrev_b64 v[20:21], 2, v[10:11]
	v_lshlrev_b64 v[78:79], 2, v[78:79]
	v_addc_co_u32_e64 v75, s[0:1], v7, v75, s[0:1]
	v_add_u32_e32 v10, 0xa00, v8
	;; [unrolled: 12-line block ×4, first 2 shown]
	s_waitcnt lgkmcnt(2)
	global_store_dword v[18:19], v84, off
	global_store_dword v[82:83], v85, off
	v_add_co_u32_e32 v18, vcc, v3, v20
	v_add_u32_e32 v90, 0xe00, v9
	v_mov_b32_e32 v91, v11
	v_add_co_u32_e64 v86, s[0:1], v3, v86
	v_addc_co_u32_e32 v19, vcc, v7, v21, vcc
	v_lshlrev_b64 v[20:21], 2, v[10:11]
	v_lshlrev_b64 v[90:91], 2, v[90:91]
	v_addc_co_u32_e64 v87, s[0:1], v7, v87, s[0:1]
	s_waitcnt lgkmcnt(1)
	global_store_dword v[18:19], v88, off
	global_store_dword v[86:87], v89, off
	v_add_co_u32_e32 v18, vcc, v3, v20
	v_add_u32_e32 v15, 0x4000, v15
	v_add_u32_e32 v9, 0x1000, v9
	v_mov_b32_e32 v16, s14
	v_add_co_u32_e64 v90, s[0:1], v3, v90
	v_add_u32_e32 v8, 0x1000, v8
	v_addc_co_u32_e32 v19, vcc, v7, v21, vcc
	v_addc_co_u32_e64 v91, s[0:1], v7, v91, s[0:1]
	s_waitcnt lgkmcnt(0)
	global_store_dword v[18:19], v92, off
	global_store_dword v[90:91], v93, off
	s_andn2_b64 exec, exec, s[12:13]
	s_cbranch_execnz .LBB651_116
; %bb.117:
	s_or_b64 exec, exec, s[12:13]
.LBB651_118:
	s_or_b64 exec, exec, s[10:11]
	v_and_b32_e32 v1, 7, v13
	v_cmp_ne_u32_e32 vcc, 0, v1
	s_and_saveexec_b64 s[10:11], vcc
	s_cbranch_execz .LBB651_121
; %bb.119:
	v_lshlrev_b32_e32 v10, 2, v0
	v_lshl_or_b32 v13, v16, 10, v10
	s_mov_b64 s[12:13], 0
	v_mov_b32_e32 v11, 0
.LBB651_120:                            ; =>This Inner Loop Header: Depth=1
	ds_read2st64_b32 v[14:15], v13 offset1:4
	v_mov_b32_e32 v10, v8
	v_add_u32_e32 v1, -1, v1
	v_lshlrev_b64 v[16:17], 2, v[10:11]
	v_mov_b32_e32 v10, v9
	v_cmp_eq_u32_e32 vcc, 0, v1
	v_add_co_u32_e64 v16, s[0:1], v3, v16
	v_lshlrev_b64 v[18:19], 2, v[10:11]
	v_add_u32_e32 v8, 0x200, v8
	v_add_u32_e32 v13, 0x800, v13
	;; [unrolled: 1-line block ×3, first 2 shown]
	v_addc_co_u32_e64 v17, s[0:1], v7, v17, s[0:1]
	s_or_b64 s[12:13], vcc, s[12:13]
	v_add_co_u32_e32 v18, vcc, v3, v18
	v_addc_co_u32_e32 v19, vcc, v7, v19, vcc
	s_waitcnt lgkmcnt(0)
	global_store_dword v[16:17], v14, off
	global_store_dword v[18:19], v15, off
	s_andn2_b64 exec, exec, s[12:13]
	s_cbranch_execnz .LBB651_120
.LBB651_121:
	s_or_b64 exec, exec, s[10:11]
	v_add_u32_e32 v1, 1, v12
	v_and_b32_e32 v9, 0x1fffffe, v1
	v_cmp_ne_u32_e32 vcc, v1, v9
	v_lshl_or_b32 v8, v9, 8, v0
	s_orn2_b64 s[0:1], vcc, exec
.LBB651_122:
	s_or_b64 exec, exec, s[8:9]
	s_andn2_b64 s[4:5], s[4:5], exec
	s_and_b64 s[0:1], s[0:1], exec
	s_or_b64 s[4:5], s[4:5], s[0:1]
.LBB651_123:
	s_or_b64 exec, exec, s[6:7]
	s_and_b64 exec, exec, s[4:5]
	s_cbranch_execz .LBB651_126
; %bb.124:
	v_lshlrev_b32_e32 v1, 2, v8
	s_mov_b64 s[0:1], 0
	v_mov_b32_e32 v9, 0
.LBB651_125:                            ; =>This Inner Loop Header: Depth=1
	ds_read_b32 v12, v1
	v_lshlrev_b64 v[10:11], 2, v[8:9]
	v_add_co_u32_e32 v10, vcc, v3, v10
	v_add_u32_e32 v8, 0x100, v8
	v_addc_co_u32_e32 v11, vcc, v7, v11, vcc
	v_cmp_ge_u32_e32 vcc, v8, v2
	v_add_u32_e32 v1, 0x400, v1
	s_or_b64 s[0:1], vcc, s[0:1]
	s_waitcnt lgkmcnt(0)
	global_store_dword v[10:11], v12, off
	s_andn2_b64 exec, exec, s[0:1]
	s_cbranch_execnz .LBB651_125
.LBB651_126:
	s_or_b64 exec, exec, s[2:3]
.LBB651_127:
	s_cmpk_lg_i32 s33, 0xf00
	s_cselect_b64 s[0:1], -1, 0
	v_cndmask_b32_e64 v11, 0, 1, s[50:51]
	s_and_b64 s[0:1], s[48:49], s[0:1]
	v_cmp_eq_u32_e32 vcc, 0, v0
	v_sub_u32_e32 v1, v2, v11
	v_cndmask_b32_e64 v3, 0, 1, s[0:1]
	s_and_b64 s[0:1], vcc, s[50:51]
	v_add_u32_e32 v1, v1, v3
	v_cndmask_b32_e64 v3, v68, 0, s[0:1]
	s_mul_hi_u32 s0, s33, 0x88888889
	s_lshr_b32 s0, s0, 3
	v_mad_i32_i24 v7, v0, -15, s33
	v_cmp_eq_u32_e32 vcc, s0, v0
	v_cmp_ne_u32_e64 s[0:1], 0, v7
	v_cndmask_b32_e64 v8, 1, v3, s[0:1]
	v_cmp_ne_u32_e64 s[0:1], 1, v7
	v_cndmask_b32_e64 v9, 1, v67, s[0:1]
	v_cmp_ne_u32_e64 s[0:1], 2, v7
	v_cndmask_b32_e64 v10, 1, v66, s[0:1]
	v_cmp_ne_u32_e64 s[0:1], 3, v7
	v_cndmask_b32_e64 v12, 1, v65, s[0:1]
	v_cmp_ne_u32_e64 s[0:1], 4, v7
	v_cndmask_b32_e64 v13, 1, v64, s[0:1]
	v_cmp_ne_u32_e64 s[0:1], 5, v7
	v_cndmask_b32_e64 v14, 1, v63, s[0:1]
	v_cmp_ne_u32_e64 s[0:1], 6, v7
	v_cndmask_b32_e64 v15, 1, v62, s[0:1]
	v_cmp_ne_u32_e64 s[0:1], 7, v7
	v_cndmask_b32_e64 v16, 1, v61, s[0:1]
	v_cmp_ne_u32_e64 s[0:1], 8, v7
	v_cndmask_b32_e64 v17, 1, v60, s[0:1]
	v_cmp_ne_u32_e64 s[0:1], 9, v7
	v_cndmask_b32_e64 v18, 1, v59, s[0:1]
	v_cmp_ne_u32_e64 s[0:1], 10, v7
	v_cndmask_b32_e64 v19, 1, v58, s[0:1]
	v_cmp_ne_u32_e64 s[0:1], 11, v7
	v_cndmask_b32_e64 v20, 1, v57, s[0:1]
	v_cmp_ne_u32_e64 s[0:1], 12, v7
	v_cndmask_b32_e64 v21, 1, v56, s[0:1]
	v_cmp_ne_u32_e64 s[0:1], 13, v7
	v_cndmask_b32_e64 v68, 1, v55, s[0:1]
	v_cmp_ne_u32_e64 s[0:1], 14, v7
	s_and_b64 vcc, s[48:49], vcc
	v_cndmask_b32_e64 v7, 1, v54, s[0:1]
	v_cndmask_b32_e32 v20, v57, v20, vcc
	v_cndmask_b32_e32 v19, v58, v19, vcc
	;; [unrolled: 1-line block ×4, first 2 shown]
	v_lshlrev_b64 v[8:9], 3, v[52:53]
	v_cndmask_b32_e32 v54, v54, v7, vcc
	v_cndmask_b32_e32 v55, v55, v68, vcc
	;; [unrolled: 1-line block ×11, first 2 shown]
	v_mov_b32_e32 v3, s43
	v_add_co_u32_e32 v7, vcc, s42, v8
	v_addc_co_u32_e32 v3, vcc, v3, v9, vcc
	v_lshlrev_b64 v[8:9], 3, v[4:5]
	v_add_co_u32_e32 v5, vcc, v7, v8
	v_addc_co_u32_e32 v10, vcc, v3, v9, vcc
	v_lshlrev_b32_e32 v3, 3, v11
	v_add_co_u32_e32 v3, vcc, v3, v5
	v_addc_co_u32_e32 v7, vcc, 0, v10, vcc
	v_add_co_u32_e32 v3, vcc, -8, v3
	v_addc_co_u32_e32 v7, vcc, -1, v7, vcc
	v_cmp_eq_u32_e32 vcc, 0, v58
	v_cndmask_b32_e64 v9, 1, 2, vcc
	v_cmp_eq_u32_e32 vcc, 0, v57
	v_add_u32_e32 v8, v4, v11
	v_cndmask_b32_e64 v11, 1, 2, vcc
	v_cmp_eq_u32_e32 vcc, 0, v56
	v_and_b32_e32 v9, v11, v9
	v_cndmask_b32_e64 v11, 1, 2, vcc
	v_cmp_eq_u32_e32 vcc, 0, v12
	v_and_b32_e32 v9, v9, v11
	;; [unrolled: 3-line block ×13, first 2 shown]
	v_cndmask_b32_e64 v11, 1, 2, vcc
	s_movk_i32 s30, 0x100
	v_and_b32_e32 v9, v9, v11
	v_cmp_gt_u32_e32 vcc, s30, v1
	v_cmp_ne_u32_e64 s[28:29], 0, v58
	v_cmp_ne_u32_e64 s[26:27], 0, v57
	;; [unrolled: 1-line block ×15, first 2 shown]
	s_mov_b64 s[36:37], -1
	v_cmp_gt_i16_e64 s[30:31], 2, v9
	s_barrier
	s_cbranch_vccz .LBB651_134
; %bb.128:
	s_and_saveexec_b64 s[36:37], s[30:31]
	s_cbranch_execz .LBB651_133
; %bb.129:
	v_cmp_ne_u16_e32 vcc, 1, v9
	s_mov_b64 s[38:39], 0
	s_and_saveexec_b64 s[30:31], vcc
	s_xor_b64 s[30:31], exec, s[30:31]
	s_cbranch_execnz .LBB651_183
; %bb.130:
	s_andn2_saveexec_b64 s[30:31], s[30:31]
	s_cbranch_execnz .LBB651_199
.LBB651_131:
	s_or_b64 exec, exec, s[30:31]
	s_and_b64 exec, exec, s[38:39]
	s_cbranch_execz .LBB651_133
.LBB651_132:
	v_mov_b32_e32 v13, 0
	v_sub_u32_e32 v14, v24, v8
	v_mov_b32_e32 v15, v13
	v_lshlrev_b64 v[14:15], 3, v[14:15]
	v_add_co_u32_e32 v14, vcc, v3, v14
	v_mov_b32_e32 v12, v25
	v_addc_co_u32_e32 v15, vcc, v7, v15, vcc
	global_store_dwordx2 v[14:15], v[12:13], off
.LBB651_133:
	s_or_b64 exec, exec, s[36:37]
	s_mov_b64 s[36:37], 0
.LBB651_134:
	s_and_b64 vcc, exec, s[36:37]
	s_cbranch_vccz .LBB651_144
; %bb.135:
	v_cmp_gt_i16_e32 vcc, 2, v9
	s_and_saveexec_b64 s[30:31], vcc
	s_cbranch_execz .LBB651_140
; %bb.136:
	v_cmp_ne_u16_e32 vcc, 1, v9
	s_mov_b64 s[38:39], 0
	s_and_saveexec_b64 s[36:37], vcc
	s_xor_b64 s[36:37], exec, s[36:37]
	s_cbranch_execnz .LBB651_200
; %bb.137:
	s_andn2_saveexec_b64 s[0:1], s[36:37]
	s_cbranch_execnz .LBB651_216
.LBB651_138:
	s_or_b64 exec, exec, s[0:1]
	s_and_b64 exec, exec, s[38:39]
	s_cbranch_execz .LBB651_140
.LBB651_139:
	v_sub_u32_e32 v8, v24, v8
	v_lshlrev_b32_e32 v8, 2, v8
	ds_write_b32 v8, v25
.LBB651_140:
	s_or_b64 exec, exec, s[30:31]
	v_cmp_lt_u32_e32 vcc, v0, v1
	s_waitcnt lgkmcnt(0)
	s_barrier
	s_and_saveexec_b64 s[0:1], vcc
	s_cbranch_execz .LBB651_143
; %bb.141:
	v_lshlrev_b32_e32 v11, 2, v0
	s_mov_b64 s[2:3], 0
	v_mov_b32_e32 v9, 0
	v_mov_b32_e32 v8, v0
.LBB651_142:                            ; =>This Inner Loop Header: Depth=1
	ds_read_b32 v12, v11
	v_lshlrev_b64 v[14:15], 3, v[8:9]
	v_add_co_u32_e32 v14, vcc, v3, v14
	v_add_u32_e32 v8, 0x100, v8
	v_addc_co_u32_e32 v15, vcc, v7, v15, vcc
	v_cmp_ge_u32_e32 vcc, v8, v1
	v_mov_b32_e32 v13, v9
	v_add_u32_e32 v11, 0x400, v11
	s_or_b64 s[2:3], vcc, s[2:3]
	s_waitcnt lgkmcnt(0)
	global_store_dwordx2 v[14:15], v[12:13], off
	s_andn2_b64 exec, exec, s[2:3]
	s_cbranch_execnz .LBB651_142
.LBB651_143:
	s_or_b64 exec, exec, s[0:1]
.LBB651_144:
	s_movk_i32 s0, 0xff
	v_cmp_eq_u32_e32 vcc, s0, v0
	s_and_b64 s[0:1], vcc, s[48:49]
	s_and_saveexec_b64 s[2:3], s[0:1]
	s_cbranch_execz .LBB651_147
; %bb.145:
	v_add_co_u32_e32 v0, vcc, v2, v4
	v_addc_co_u32_e64 v1, s[0:1], 0, 0, vcc
	v_add_co_u32_e32 v0, vcc, v0, v52
	v_mov_b32_e32 v3, 0
	v_addc_co_u32_e32 v1, vcc, v1, v53, vcc
	s_cmpk_lg_i32 s33, 0xf00
	global_store_dwordx2 v3, v[0:1], s[34:35]
	s_cbranch_scc1 .LBB651_147
; %bb.146:
	v_lshlrev_b64 v[0:1], 3, v[2:3]
	v_add_co_u32_e32 v0, vcc, v5, v0
	v_mov_b32_e32 v7, v3
	v_addc_co_u32_e32 v1, vcc, v10, v1, vcc
	global_store_dwordx2 v[0:1], v[6:7], off offset:-8
.LBB651_147:
	s_endpgm
.LBB651_148:
	s_or_b64 exec, exec, s[8:9]
	v_mov_b32_e32 v68, s7
	s_and_saveexec_b64 s[0:1], s[42:43]
	s_cbranch_execnz .LBB651_56
	s_branch .LBB651_57
.LBB651_149:
	s_and_saveexec_b64 s[38:39], s[28:29]
	s_cbranch_execnz .LBB651_217
; %bb.150:
	s_or_b64 exec, exec, s[38:39]
	s_and_saveexec_b64 s[38:39], s[26:27]
	s_cbranch_execnz .LBB651_218
.LBB651_151:
	s_or_b64 exec, exec, s[38:39]
	s_and_saveexec_b64 s[38:39], s[24:25]
	s_cbranch_execnz .LBB651_219
.LBB651_152:
	s_or_b64 exec, exec, s[38:39]
	s_and_saveexec_b64 s[38:39], s[22:23]
	s_cbranch_execnz .LBB651_220
.LBB651_153:
	s_or_b64 exec, exec, s[38:39]
	s_and_saveexec_b64 s[38:39], s[20:21]
	s_cbranch_execnz .LBB651_221
.LBB651_154:
	s_or_b64 exec, exec, s[38:39]
	s_and_saveexec_b64 s[38:39], s[18:19]
	s_cbranch_execnz .LBB651_222
.LBB651_155:
	s_or_b64 exec, exec, s[38:39]
	s_and_saveexec_b64 s[38:39], s[16:17]
	s_cbranch_execnz .LBB651_223
.LBB651_156:
	s_or_b64 exec, exec, s[38:39]
	s_and_saveexec_b64 s[38:39], s[14:15]
	s_cbranch_execnz .LBB651_224
.LBB651_157:
	s_or_b64 exec, exec, s[38:39]
	s_and_saveexec_b64 s[38:39], s[12:13]
	s_cbranch_execnz .LBB651_225
.LBB651_158:
	s_or_b64 exec, exec, s[38:39]
	s_and_saveexec_b64 s[38:39], s[10:11]
	s_cbranch_execnz .LBB651_226
.LBB651_159:
	s_or_b64 exec, exec, s[38:39]
	s_and_saveexec_b64 s[38:39], s[8:9]
	s_cbranch_execnz .LBB651_227
.LBB651_160:
	s_or_b64 exec, exec, s[38:39]
	s_and_saveexec_b64 s[38:39], s[6:7]
	s_cbranch_execnz .LBB651_228
.LBB651_161:
	s_or_b64 exec, exec, s[38:39]
	s_and_saveexec_b64 s[38:39], s[4:5]
	s_cbranch_execnz .LBB651_229
.LBB651_162:
	s_or_b64 exec, exec, s[38:39]
	s_and_saveexec_b64 s[38:39], s[2:3]
	s_cbranch_execz .LBB651_164
.LBB651_163:
	v_sub_u32_e32 v70, v22, v4
	v_mov_b32_e32 v71, 0
	v_lshlrev_b64 v[70:71], 2, v[70:71]
	v_add_co_u32_e32 v70, vcc, v3, v70
	v_addc_co_u32_e32 v71, vcc, v7, v71, vcc
	global_store_dword v[70:71], v9, off
.LBB651_164:
	s_or_b64 exec, exec, s[38:39]
	s_and_b64 s[38:39], s[0:1], exec
	s_andn2_saveexec_b64 s[30:31], s[30:31]
	s_cbranch_execz .LBB651_102
.LBB651_165:
	v_sub_u32_e32 v70, v50, v4
	v_mov_b32_e32 v71, 0
	v_lshlrev_b64 v[72:73], 2, v[70:71]
	v_add_co_u32_e32 v72, vcc, v3, v72
	v_addc_co_u32_e32 v73, vcc, v7, v73, vcc
	v_sub_u32_e32 v70, v48, v4
	global_store_dword v[72:73], v20, off
	v_lshlrev_b64 v[72:73], 2, v[70:71]
	v_add_co_u32_e32 v72, vcc, v3, v72
	v_addc_co_u32_e32 v73, vcc, v7, v73, vcc
	v_sub_u32_e32 v70, v46, v4
	global_store_dword v[72:73], v21, off
	;; [unrolled: 5-line block ×12, first 2 shown]
	v_lshlrev_b64 v[72:73], 2, v[70:71]
	v_add_co_u32_e32 v72, vcc, v3, v72
	v_sub_u32_e32 v70, v22, v4
	v_addc_co_u32_e32 v73, vcc, v7, v73, vcc
	v_lshlrev_b64 v[70:71], 2, v[70:71]
	v_add_co_u32_e32 v70, vcc, v3, v70
	v_addc_co_u32_e32 v71, vcc, v7, v71, vcc
	s_or_b64 s[38:39], s[38:39], exec
	global_store_dword v[72:73], v8, off
	global_store_dword v[70:71], v9, off
	s_or_b64 exec, exec, s[30:31]
	s_and_b64 exec, exec, s[38:39]
	s_cbranch_execnz .LBB651_103
	s_branch .LBB651_104
.LBB651_166:
	s_and_saveexec_b64 s[38:39], s[28:29]
	s_cbranch_execnz .LBB651_230
; %bb.167:
	s_or_b64 exec, exec, s[38:39]
	s_and_saveexec_b64 s[28:29], s[26:27]
	s_cbranch_execnz .LBB651_231
.LBB651_168:
	s_or_b64 exec, exec, s[28:29]
	s_and_saveexec_b64 s[26:27], s[24:25]
	s_cbranch_execnz .LBB651_232
.LBB651_169:
	s_or_b64 exec, exec, s[26:27]
	s_and_saveexec_b64 s[24:25], s[22:23]
	s_cbranch_execnz .LBB651_233
.LBB651_170:
	s_or_b64 exec, exec, s[24:25]
	s_and_saveexec_b64 s[22:23], s[20:21]
	s_cbranch_execnz .LBB651_234
.LBB651_171:
	s_or_b64 exec, exec, s[22:23]
	s_and_saveexec_b64 s[20:21], s[18:19]
	s_cbranch_execnz .LBB651_235
.LBB651_172:
	s_or_b64 exec, exec, s[20:21]
	s_and_saveexec_b64 s[18:19], s[16:17]
	s_cbranch_execnz .LBB651_236
.LBB651_173:
	s_or_b64 exec, exec, s[18:19]
	s_and_saveexec_b64 s[16:17], s[14:15]
	s_cbranch_execnz .LBB651_237
.LBB651_174:
	s_or_b64 exec, exec, s[16:17]
	s_and_saveexec_b64 s[14:15], s[12:13]
	s_cbranch_execnz .LBB651_238
.LBB651_175:
	s_or_b64 exec, exec, s[14:15]
	s_and_saveexec_b64 s[12:13], s[10:11]
	s_cbranch_execnz .LBB651_239
.LBB651_176:
	s_or_b64 exec, exec, s[12:13]
	s_and_saveexec_b64 s[10:11], s[8:9]
	s_cbranch_execnz .LBB651_240
.LBB651_177:
	s_or_b64 exec, exec, s[10:11]
	s_and_saveexec_b64 s[8:9], s[6:7]
	s_cbranch_execnz .LBB651_241
.LBB651_178:
	s_or_b64 exec, exec, s[8:9]
	s_and_saveexec_b64 s[6:7], s[4:5]
	s_cbranch_execnz .LBB651_242
.LBB651_179:
	s_or_b64 exec, exec, s[6:7]
	s_and_saveexec_b64 s[4:5], s[2:3]
	s_cbranch_execz .LBB651_181
.LBB651_180:
	v_sub_u32_e32 v8, v22, v4
	v_lshlrev_b32_e32 v8, 2, v8
	ds_write_b32 v8, v9
.LBB651_181:
	s_or_b64 exec, exec, s[4:5]
	s_and_b64 s[38:39], s[0:1], exec
                                        ; implicit-def: $vgpr9
                                        ; implicit-def: $vgpr11
                                        ; implicit-def: $vgpr13
                                        ; implicit-def: $vgpr15
                                        ; implicit-def: $vgpr17
                                        ; implicit-def: $vgpr19
                                        ; implicit-def: $vgpr21
	s_andn2_saveexec_b64 s[0:1], s[36:37]
	s_cbranch_execz .LBB651_109
.LBB651_182:
	v_sub_u32_e32 v69, v50, v4
	v_lshlrev_b32_e32 v69, 2, v69
	ds_write_b32 v69, v20
	v_sub_u32_e32 v20, v48, v4
	v_lshlrev_b32_e32 v20, 2, v20
	ds_write_b32 v20, v21
	;; [unrolled: 3-line block ×13, first 2 shown]
	v_sub_u32_e32 v8, v22, v4
	v_lshlrev_b32_e32 v8, 2, v8
	s_or_b64 s[38:39], s[38:39], exec
	ds_write_b32 v8, v9
	s_or_b64 exec, exec, s[0:1]
	s_and_b64 exec, exec, s[38:39]
	s_cbranch_execnz .LBB651_110
	s_branch .LBB651_111
.LBB651_183:
	s_and_saveexec_b64 s[38:39], s[28:29]
	s_cbranch_execnz .LBB651_243
; %bb.184:
	s_or_b64 exec, exec, s[38:39]
	s_and_saveexec_b64 s[38:39], s[26:27]
	s_cbranch_execnz .LBB651_244
.LBB651_185:
	s_or_b64 exec, exec, s[38:39]
	s_and_saveexec_b64 s[38:39], s[24:25]
	s_cbranch_execnz .LBB651_245
.LBB651_186:
	s_or_b64 exec, exec, s[38:39]
	s_and_saveexec_b64 s[38:39], s[22:23]
	s_cbranch_execnz .LBB651_246
.LBB651_187:
	s_or_b64 exec, exec, s[38:39]
	s_and_saveexec_b64 s[38:39], s[20:21]
	s_cbranch_execnz .LBB651_247
.LBB651_188:
	s_or_b64 exec, exec, s[38:39]
	s_and_saveexec_b64 s[38:39], s[18:19]
	s_cbranch_execnz .LBB651_248
.LBB651_189:
	s_or_b64 exec, exec, s[38:39]
	s_and_saveexec_b64 s[38:39], s[16:17]
	s_cbranch_execnz .LBB651_249
.LBB651_190:
	s_or_b64 exec, exec, s[38:39]
	s_and_saveexec_b64 s[38:39], s[14:15]
	s_cbranch_execnz .LBB651_250
.LBB651_191:
	s_or_b64 exec, exec, s[38:39]
	s_and_saveexec_b64 s[38:39], s[12:13]
	s_cbranch_execnz .LBB651_251
.LBB651_192:
	s_or_b64 exec, exec, s[38:39]
	s_and_saveexec_b64 s[38:39], s[10:11]
	s_cbranch_execnz .LBB651_252
.LBB651_193:
	s_or_b64 exec, exec, s[38:39]
	s_and_saveexec_b64 s[38:39], s[8:9]
	s_cbranch_execnz .LBB651_253
.LBB651_194:
	s_or_b64 exec, exec, s[38:39]
	s_and_saveexec_b64 s[38:39], s[6:7]
	s_cbranch_execnz .LBB651_254
.LBB651_195:
	s_or_b64 exec, exec, s[38:39]
	s_and_saveexec_b64 s[38:39], s[4:5]
	s_cbranch_execnz .LBB651_255
.LBB651_196:
	s_or_b64 exec, exec, s[38:39]
	s_and_saveexec_b64 s[38:39], s[2:3]
	s_cbranch_execz .LBB651_198
.LBB651_197:
	v_sub_u32_e32 v12, v22, v8
	v_mov_b32_e32 v13, 0
	v_lshlrev_b64 v[14:15], 3, v[12:13]
	v_add_co_u32_e32 v14, vcc, v3, v14
	v_addc_co_u32_e32 v15, vcc, v7, v15, vcc
	v_mov_b32_e32 v12, v23
	global_store_dwordx2 v[14:15], v[12:13], off
.LBB651_198:
	s_or_b64 exec, exec, s[38:39]
	s_and_b64 s[38:39], s[0:1], exec
	s_andn2_saveexec_b64 s[30:31], s[30:31]
	s_cbranch_execz .LBB651_131
.LBB651_199:
	v_mov_b32_e32 v13, 0
	v_sub_u32_e32 v14, v50, v8
	v_mov_b32_e32 v15, v13
	v_lshlrev_b64 v[14:15], 3, v[14:15]
	v_add_co_u32_e32 v14, vcc, v3, v14
	v_mov_b32_e32 v12, v51
	v_addc_co_u32_e32 v15, vcc, v7, v15, vcc
	global_store_dwordx2 v[14:15], v[12:13], off
	v_sub_u32_e32 v14, v48, v8
	v_mov_b32_e32 v15, v13
	v_lshlrev_b64 v[14:15], 3, v[14:15]
	v_add_co_u32_e32 v14, vcc, v3, v14
	v_mov_b32_e32 v12, v49
	v_addc_co_u32_e32 v15, vcc, v7, v15, vcc
	global_store_dwordx2 v[14:15], v[12:13], off
	;; [unrolled: 7-line block ×13, first 2 shown]
	v_sub_u32_e32 v14, v22, v8
	v_mov_b32_e32 v15, v13
	v_lshlrev_b64 v[14:15], 3, v[14:15]
	v_add_co_u32_e32 v14, vcc, v3, v14
	v_mov_b32_e32 v12, v23
	v_addc_co_u32_e32 v15, vcc, v7, v15, vcc
	s_or_b64 s[38:39], s[38:39], exec
	global_store_dwordx2 v[14:15], v[12:13], off
	s_or_b64 exec, exec, s[30:31]
	s_and_b64 exec, exec, s[38:39]
	s_cbranch_execnz .LBB651_132
	s_branch .LBB651_133
.LBB651_200:
	s_and_saveexec_b64 s[38:39], s[28:29]
	s_cbranch_execnz .LBB651_256
; %bb.201:
	s_or_b64 exec, exec, s[38:39]
	s_and_saveexec_b64 s[28:29], s[26:27]
	s_cbranch_execnz .LBB651_257
.LBB651_202:
	s_or_b64 exec, exec, s[28:29]
	s_and_saveexec_b64 s[26:27], s[24:25]
	s_cbranch_execnz .LBB651_258
.LBB651_203:
	s_or_b64 exec, exec, s[26:27]
	s_and_saveexec_b64 s[24:25], s[22:23]
	s_cbranch_execnz .LBB651_259
.LBB651_204:
	s_or_b64 exec, exec, s[24:25]
	s_and_saveexec_b64 s[22:23], s[20:21]
	s_cbranch_execnz .LBB651_260
.LBB651_205:
	s_or_b64 exec, exec, s[22:23]
	s_and_saveexec_b64 s[20:21], s[18:19]
	s_cbranch_execnz .LBB651_261
.LBB651_206:
	s_or_b64 exec, exec, s[20:21]
	s_and_saveexec_b64 s[18:19], s[16:17]
	s_cbranch_execnz .LBB651_262
.LBB651_207:
	s_or_b64 exec, exec, s[18:19]
	s_and_saveexec_b64 s[16:17], s[14:15]
	s_cbranch_execnz .LBB651_263
.LBB651_208:
	s_or_b64 exec, exec, s[16:17]
	s_and_saveexec_b64 s[14:15], s[12:13]
	s_cbranch_execnz .LBB651_264
.LBB651_209:
	s_or_b64 exec, exec, s[14:15]
	s_and_saveexec_b64 s[12:13], s[10:11]
	s_cbranch_execnz .LBB651_265
.LBB651_210:
	s_or_b64 exec, exec, s[12:13]
	s_and_saveexec_b64 s[10:11], s[8:9]
	s_cbranch_execnz .LBB651_266
.LBB651_211:
	s_or_b64 exec, exec, s[10:11]
	s_and_saveexec_b64 s[8:9], s[6:7]
	s_cbranch_execnz .LBB651_267
.LBB651_212:
	s_or_b64 exec, exec, s[8:9]
	s_and_saveexec_b64 s[6:7], s[4:5]
	s_cbranch_execnz .LBB651_268
.LBB651_213:
	s_or_b64 exec, exec, s[6:7]
	s_and_saveexec_b64 s[4:5], s[2:3]
	s_cbranch_execz .LBB651_215
.LBB651_214:
	v_sub_u32_e32 v9, v22, v8
	v_lshlrev_b32_e32 v9, 2, v9
	ds_write_b32 v9, v23
.LBB651_215:
	s_or_b64 exec, exec, s[4:5]
	s_and_b64 s[38:39], s[0:1], exec
                                        ; implicit-def: $vgpr22_vgpr23
                                        ; implicit-def: $vgpr26_vgpr27
                                        ; implicit-def: $vgpr28_vgpr29
                                        ; implicit-def: $vgpr50_vgpr51
                                        ; implicit-def: $vgpr48_vgpr49
                                        ; implicit-def: $vgpr46_vgpr47
                                        ; implicit-def: $vgpr44_vgpr45
                                        ; implicit-def: $vgpr42_vgpr43
                                        ; implicit-def: $vgpr40_vgpr41
                                        ; implicit-def: $vgpr38_vgpr39
                                        ; implicit-def: $vgpr36_vgpr37
                                        ; implicit-def: $vgpr34_vgpr35
                                        ; implicit-def: $vgpr32_vgpr33
                                        ; implicit-def: $vgpr30_vgpr31
	s_andn2_saveexec_b64 s[0:1], s[36:37]
	s_cbranch_execz .LBB651_138
.LBB651_216:
	v_sub_u32_e32 v9, v50, v8
	v_lshlrev_b32_e32 v9, 2, v9
	ds_write_b32 v9, v51
	v_sub_u32_e32 v9, v48, v8
	v_lshlrev_b32_e32 v9, 2, v9
	ds_write_b32 v9, v49
	;; [unrolled: 3-line block ×13, first 2 shown]
	v_sub_u32_e32 v9, v22, v8
	v_lshlrev_b32_e32 v9, 2, v9
	s_or_b64 s[38:39], s[38:39], exec
	ds_write_b32 v9, v23
	s_or_b64 exec, exec, s[0:1]
	s_and_b64 exec, exec, s[38:39]
	s_cbranch_execnz .LBB651_139
	s_branch .LBB651_140
.LBB651_217:
	v_sub_u32_e32 v70, v50, v4
	v_mov_b32_e32 v71, 0
	v_lshlrev_b64 v[70:71], 2, v[70:71]
	v_add_co_u32_e32 v70, vcc, v3, v70
	v_addc_co_u32_e32 v71, vcc, v7, v71, vcc
	global_store_dword v[70:71], v20, off
	s_or_b64 exec, exec, s[38:39]
	s_and_saveexec_b64 s[38:39], s[26:27]
	s_cbranch_execz .LBB651_151
.LBB651_218:
	v_sub_u32_e32 v70, v48, v4
	v_mov_b32_e32 v71, 0
	v_lshlrev_b64 v[70:71], 2, v[70:71]
	v_add_co_u32_e32 v70, vcc, v3, v70
	v_addc_co_u32_e32 v71, vcc, v7, v71, vcc
	global_store_dword v[70:71], v21, off
	s_or_b64 exec, exec, s[38:39]
	s_and_saveexec_b64 s[38:39], s[24:25]
	s_cbranch_execz .LBB651_152
.LBB651_219:
	v_sub_u32_e32 v70, v46, v4
	v_mov_b32_e32 v71, 0
	v_lshlrev_b64 v[70:71], 2, v[70:71]
	v_add_co_u32_e32 v70, vcc, v3, v70
	v_addc_co_u32_e32 v71, vcc, v7, v71, vcc
	global_store_dword v[70:71], v18, off
	s_or_b64 exec, exec, s[38:39]
	s_and_saveexec_b64 s[38:39], s[22:23]
	s_cbranch_execz .LBB651_153
.LBB651_220:
	v_sub_u32_e32 v70, v44, v4
	v_mov_b32_e32 v71, 0
	v_lshlrev_b64 v[70:71], 2, v[70:71]
	v_add_co_u32_e32 v70, vcc, v3, v70
	v_addc_co_u32_e32 v71, vcc, v7, v71, vcc
	global_store_dword v[70:71], v19, off
	s_or_b64 exec, exec, s[38:39]
	s_and_saveexec_b64 s[38:39], s[20:21]
	s_cbranch_execz .LBB651_154
.LBB651_221:
	v_sub_u32_e32 v70, v42, v4
	v_mov_b32_e32 v71, 0
	v_lshlrev_b64 v[70:71], 2, v[70:71]
	v_add_co_u32_e32 v70, vcc, v3, v70
	v_addc_co_u32_e32 v71, vcc, v7, v71, vcc
	global_store_dword v[70:71], v16, off
	s_or_b64 exec, exec, s[38:39]
	s_and_saveexec_b64 s[38:39], s[18:19]
	s_cbranch_execz .LBB651_155
.LBB651_222:
	v_sub_u32_e32 v70, v40, v4
	v_mov_b32_e32 v71, 0
	v_lshlrev_b64 v[70:71], 2, v[70:71]
	v_add_co_u32_e32 v70, vcc, v3, v70
	v_addc_co_u32_e32 v71, vcc, v7, v71, vcc
	global_store_dword v[70:71], v17, off
	s_or_b64 exec, exec, s[38:39]
	s_and_saveexec_b64 s[38:39], s[16:17]
	s_cbranch_execz .LBB651_156
.LBB651_223:
	v_sub_u32_e32 v70, v38, v4
	v_mov_b32_e32 v71, 0
	v_lshlrev_b64 v[70:71], 2, v[70:71]
	v_add_co_u32_e32 v70, vcc, v3, v70
	v_addc_co_u32_e32 v71, vcc, v7, v71, vcc
	global_store_dword v[70:71], v14, off
	s_or_b64 exec, exec, s[38:39]
	s_and_saveexec_b64 s[38:39], s[14:15]
	s_cbranch_execz .LBB651_157
.LBB651_224:
	v_sub_u32_e32 v70, v36, v4
	v_mov_b32_e32 v71, 0
	v_lshlrev_b64 v[70:71], 2, v[70:71]
	v_add_co_u32_e32 v70, vcc, v3, v70
	v_addc_co_u32_e32 v71, vcc, v7, v71, vcc
	global_store_dword v[70:71], v15, off
	s_or_b64 exec, exec, s[38:39]
	s_and_saveexec_b64 s[38:39], s[12:13]
	s_cbranch_execz .LBB651_158
.LBB651_225:
	v_sub_u32_e32 v70, v34, v4
	v_mov_b32_e32 v71, 0
	v_lshlrev_b64 v[70:71], 2, v[70:71]
	v_add_co_u32_e32 v70, vcc, v3, v70
	v_addc_co_u32_e32 v71, vcc, v7, v71, vcc
	global_store_dword v[70:71], v12, off
	s_or_b64 exec, exec, s[38:39]
	s_and_saveexec_b64 s[38:39], s[10:11]
	s_cbranch_execz .LBB651_159
.LBB651_226:
	v_sub_u32_e32 v70, v32, v4
	v_mov_b32_e32 v71, 0
	v_lshlrev_b64 v[70:71], 2, v[70:71]
	v_add_co_u32_e32 v70, vcc, v3, v70
	v_addc_co_u32_e32 v71, vcc, v7, v71, vcc
	global_store_dword v[70:71], v13, off
	s_or_b64 exec, exec, s[38:39]
	s_and_saveexec_b64 s[38:39], s[8:9]
	s_cbranch_execz .LBB651_160
.LBB651_227:
	v_sub_u32_e32 v70, v30, v4
	v_mov_b32_e32 v71, 0
	v_lshlrev_b64 v[70:71], 2, v[70:71]
	v_add_co_u32_e32 v70, vcc, v3, v70
	v_addc_co_u32_e32 v71, vcc, v7, v71, vcc
	global_store_dword v[70:71], v10, off
	s_or_b64 exec, exec, s[38:39]
	s_and_saveexec_b64 s[38:39], s[6:7]
	s_cbranch_execz .LBB651_161
.LBB651_228:
	v_sub_u32_e32 v70, v28, v4
	v_mov_b32_e32 v71, 0
	v_lshlrev_b64 v[70:71], 2, v[70:71]
	v_add_co_u32_e32 v70, vcc, v3, v70
	v_addc_co_u32_e32 v71, vcc, v7, v71, vcc
	global_store_dword v[70:71], v11, off
	s_or_b64 exec, exec, s[38:39]
	s_and_saveexec_b64 s[38:39], s[4:5]
	s_cbranch_execz .LBB651_162
.LBB651_229:
	v_sub_u32_e32 v70, v26, v4
	v_mov_b32_e32 v71, 0
	v_lshlrev_b64 v[70:71], 2, v[70:71]
	v_add_co_u32_e32 v70, vcc, v3, v70
	v_addc_co_u32_e32 v71, vcc, v7, v71, vcc
	global_store_dword v[70:71], v8, off
	s_or_b64 exec, exec, s[38:39]
	s_and_saveexec_b64 s[38:39], s[2:3]
	s_cbranch_execnz .LBB651_163
	s_branch .LBB651_164
.LBB651_230:
	v_sub_u32_e32 v69, v50, v4
	v_lshlrev_b32_e32 v69, 2, v69
	ds_write_b32 v69, v20
	s_or_b64 exec, exec, s[38:39]
	s_and_saveexec_b64 s[28:29], s[26:27]
	s_cbranch_execz .LBB651_168
.LBB651_231:
	v_sub_u32_e32 v20, v48, v4
	v_lshlrev_b32_e32 v20, 2, v20
	ds_write_b32 v20, v21
	s_or_b64 exec, exec, s[28:29]
	s_and_saveexec_b64 s[26:27], s[24:25]
	s_cbranch_execz .LBB651_169
.LBB651_232:
	v_sub_u32_e32 v20, v46, v4
	v_lshlrev_b32_e32 v20, 2, v20
	ds_write_b32 v20, v18
	s_or_b64 exec, exec, s[26:27]
	s_and_saveexec_b64 s[24:25], s[22:23]
	s_cbranch_execz .LBB651_170
.LBB651_233:
	v_sub_u32_e32 v18, v44, v4
	v_lshlrev_b32_e32 v18, 2, v18
	ds_write_b32 v18, v19
	s_or_b64 exec, exec, s[24:25]
	s_and_saveexec_b64 s[22:23], s[20:21]
	s_cbranch_execz .LBB651_171
.LBB651_234:
	v_sub_u32_e32 v18, v42, v4
	v_lshlrev_b32_e32 v18, 2, v18
	ds_write_b32 v18, v16
	s_or_b64 exec, exec, s[22:23]
	s_and_saveexec_b64 s[20:21], s[18:19]
	s_cbranch_execz .LBB651_172
.LBB651_235:
	v_sub_u32_e32 v16, v40, v4
	v_lshlrev_b32_e32 v16, 2, v16
	ds_write_b32 v16, v17
	s_or_b64 exec, exec, s[20:21]
	s_and_saveexec_b64 s[18:19], s[16:17]
	s_cbranch_execz .LBB651_173
.LBB651_236:
	v_sub_u32_e32 v16, v38, v4
	v_lshlrev_b32_e32 v16, 2, v16
	ds_write_b32 v16, v14
	s_or_b64 exec, exec, s[18:19]
	s_and_saveexec_b64 s[16:17], s[14:15]
	s_cbranch_execz .LBB651_174
.LBB651_237:
	v_sub_u32_e32 v14, v36, v4
	v_lshlrev_b32_e32 v14, 2, v14
	ds_write_b32 v14, v15
	s_or_b64 exec, exec, s[16:17]
	s_and_saveexec_b64 s[14:15], s[12:13]
	s_cbranch_execz .LBB651_175
.LBB651_238:
	v_sub_u32_e32 v14, v34, v4
	v_lshlrev_b32_e32 v14, 2, v14
	ds_write_b32 v14, v12
	s_or_b64 exec, exec, s[14:15]
	s_and_saveexec_b64 s[12:13], s[10:11]
	s_cbranch_execz .LBB651_176
.LBB651_239:
	v_sub_u32_e32 v12, v32, v4
	v_lshlrev_b32_e32 v12, 2, v12
	ds_write_b32 v12, v13
	s_or_b64 exec, exec, s[12:13]
	s_and_saveexec_b64 s[10:11], s[8:9]
	s_cbranch_execz .LBB651_177
.LBB651_240:
	v_sub_u32_e32 v12, v30, v4
	v_lshlrev_b32_e32 v12, 2, v12
	ds_write_b32 v12, v10
	s_or_b64 exec, exec, s[10:11]
	s_and_saveexec_b64 s[8:9], s[6:7]
	s_cbranch_execz .LBB651_178
.LBB651_241:
	v_sub_u32_e32 v10, v28, v4
	v_lshlrev_b32_e32 v10, 2, v10
	ds_write_b32 v10, v11
	s_or_b64 exec, exec, s[8:9]
	s_and_saveexec_b64 s[6:7], s[4:5]
	s_cbranch_execz .LBB651_179
.LBB651_242:
	v_sub_u32_e32 v10, v26, v4
	v_lshlrev_b32_e32 v10, 2, v10
	ds_write_b32 v10, v8
	s_or_b64 exec, exec, s[6:7]
	s_and_saveexec_b64 s[4:5], s[2:3]
	s_cbranch_execnz .LBB651_180
	s_branch .LBB651_181
.LBB651_243:
	v_sub_u32_e32 v12, v50, v8
	v_mov_b32_e32 v13, 0
	v_lshlrev_b64 v[14:15], 3, v[12:13]
	v_add_co_u32_e32 v14, vcc, v3, v14
	v_addc_co_u32_e32 v15, vcc, v7, v15, vcc
	v_mov_b32_e32 v12, v51
	global_store_dwordx2 v[14:15], v[12:13], off
	s_or_b64 exec, exec, s[38:39]
	s_and_saveexec_b64 s[38:39], s[26:27]
	s_cbranch_execz .LBB651_185
.LBB651_244:
	v_sub_u32_e32 v12, v48, v8
	v_mov_b32_e32 v13, 0
	v_lshlrev_b64 v[14:15], 3, v[12:13]
	v_add_co_u32_e32 v14, vcc, v3, v14
	v_addc_co_u32_e32 v15, vcc, v7, v15, vcc
	v_mov_b32_e32 v12, v49
	global_store_dwordx2 v[14:15], v[12:13], off
	s_or_b64 exec, exec, s[38:39]
	s_and_saveexec_b64 s[38:39], s[24:25]
	s_cbranch_execz .LBB651_186
.LBB651_245:
	v_sub_u32_e32 v12, v46, v8
	v_mov_b32_e32 v13, 0
	v_lshlrev_b64 v[14:15], 3, v[12:13]
	v_add_co_u32_e32 v14, vcc, v3, v14
	v_addc_co_u32_e32 v15, vcc, v7, v15, vcc
	v_mov_b32_e32 v12, v47
	global_store_dwordx2 v[14:15], v[12:13], off
	s_or_b64 exec, exec, s[38:39]
	s_and_saveexec_b64 s[38:39], s[22:23]
	s_cbranch_execz .LBB651_187
.LBB651_246:
	v_sub_u32_e32 v12, v44, v8
	v_mov_b32_e32 v13, 0
	v_lshlrev_b64 v[14:15], 3, v[12:13]
	v_add_co_u32_e32 v14, vcc, v3, v14
	v_addc_co_u32_e32 v15, vcc, v7, v15, vcc
	v_mov_b32_e32 v12, v45
	global_store_dwordx2 v[14:15], v[12:13], off
	s_or_b64 exec, exec, s[38:39]
	s_and_saveexec_b64 s[38:39], s[20:21]
	s_cbranch_execz .LBB651_188
.LBB651_247:
	v_sub_u32_e32 v12, v42, v8
	v_mov_b32_e32 v13, 0
	v_lshlrev_b64 v[14:15], 3, v[12:13]
	v_add_co_u32_e32 v14, vcc, v3, v14
	v_addc_co_u32_e32 v15, vcc, v7, v15, vcc
	v_mov_b32_e32 v12, v43
	global_store_dwordx2 v[14:15], v[12:13], off
	s_or_b64 exec, exec, s[38:39]
	s_and_saveexec_b64 s[38:39], s[18:19]
	s_cbranch_execz .LBB651_189
.LBB651_248:
	v_sub_u32_e32 v12, v40, v8
	v_mov_b32_e32 v13, 0
	v_lshlrev_b64 v[14:15], 3, v[12:13]
	v_add_co_u32_e32 v14, vcc, v3, v14
	v_addc_co_u32_e32 v15, vcc, v7, v15, vcc
	v_mov_b32_e32 v12, v41
	global_store_dwordx2 v[14:15], v[12:13], off
	s_or_b64 exec, exec, s[38:39]
	s_and_saveexec_b64 s[38:39], s[16:17]
	s_cbranch_execz .LBB651_190
.LBB651_249:
	v_sub_u32_e32 v12, v38, v8
	v_mov_b32_e32 v13, 0
	v_lshlrev_b64 v[14:15], 3, v[12:13]
	v_add_co_u32_e32 v14, vcc, v3, v14
	v_addc_co_u32_e32 v15, vcc, v7, v15, vcc
	v_mov_b32_e32 v12, v39
	global_store_dwordx2 v[14:15], v[12:13], off
	s_or_b64 exec, exec, s[38:39]
	s_and_saveexec_b64 s[38:39], s[14:15]
	s_cbranch_execz .LBB651_191
.LBB651_250:
	v_sub_u32_e32 v12, v36, v8
	v_mov_b32_e32 v13, 0
	v_lshlrev_b64 v[14:15], 3, v[12:13]
	v_add_co_u32_e32 v14, vcc, v3, v14
	v_addc_co_u32_e32 v15, vcc, v7, v15, vcc
	v_mov_b32_e32 v12, v37
	global_store_dwordx2 v[14:15], v[12:13], off
	s_or_b64 exec, exec, s[38:39]
	s_and_saveexec_b64 s[38:39], s[12:13]
	s_cbranch_execz .LBB651_192
.LBB651_251:
	v_sub_u32_e32 v12, v34, v8
	v_mov_b32_e32 v13, 0
	v_lshlrev_b64 v[14:15], 3, v[12:13]
	v_add_co_u32_e32 v14, vcc, v3, v14
	v_addc_co_u32_e32 v15, vcc, v7, v15, vcc
	v_mov_b32_e32 v12, v35
	global_store_dwordx2 v[14:15], v[12:13], off
	s_or_b64 exec, exec, s[38:39]
	s_and_saveexec_b64 s[38:39], s[10:11]
	s_cbranch_execz .LBB651_193
.LBB651_252:
	v_sub_u32_e32 v12, v32, v8
	v_mov_b32_e32 v13, 0
	v_lshlrev_b64 v[14:15], 3, v[12:13]
	v_add_co_u32_e32 v14, vcc, v3, v14
	v_addc_co_u32_e32 v15, vcc, v7, v15, vcc
	v_mov_b32_e32 v12, v33
	global_store_dwordx2 v[14:15], v[12:13], off
	s_or_b64 exec, exec, s[38:39]
	s_and_saveexec_b64 s[38:39], s[8:9]
	s_cbranch_execz .LBB651_194
.LBB651_253:
	v_sub_u32_e32 v12, v30, v8
	v_mov_b32_e32 v13, 0
	v_lshlrev_b64 v[14:15], 3, v[12:13]
	v_add_co_u32_e32 v14, vcc, v3, v14
	v_addc_co_u32_e32 v15, vcc, v7, v15, vcc
	v_mov_b32_e32 v12, v31
	global_store_dwordx2 v[14:15], v[12:13], off
	s_or_b64 exec, exec, s[38:39]
	s_and_saveexec_b64 s[38:39], s[6:7]
	s_cbranch_execz .LBB651_195
.LBB651_254:
	v_sub_u32_e32 v12, v28, v8
	v_mov_b32_e32 v13, 0
	v_lshlrev_b64 v[14:15], 3, v[12:13]
	v_add_co_u32_e32 v14, vcc, v3, v14
	v_addc_co_u32_e32 v15, vcc, v7, v15, vcc
	v_mov_b32_e32 v12, v29
	global_store_dwordx2 v[14:15], v[12:13], off
	s_or_b64 exec, exec, s[38:39]
	s_and_saveexec_b64 s[38:39], s[4:5]
	s_cbranch_execz .LBB651_196
.LBB651_255:
	v_sub_u32_e32 v12, v26, v8
	v_mov_b32_e32 v13, 0
	v_lshlrev_b64 v[14:15], 3, v[12:13]
	v_add_co_u32_e32 v14, vcc, v3, v14
	v_addc_co_u32_e32 v15, vcc, v7, v15, vcc
	v_mov_b32_e32 v12, v27
	global_store_dwordx2 v[14:15], v[12:13], off
	s_or_b64 exec, exec, s[38:39]
	s_and_saveexec_b64 s[38:39], s[2:3]
	s_cbranch_execnz .LBB651_197
	s_branch .LBB651_198
.LBB651_256:
	v_sub_u32_e32 v9, v50, v8
	v_lshlrev_b32_e32 v9, 2, v9
	ds_write_b32 v9, v51
	s_or_b64 exec, exec, s[38:39]
	s_and_saveexec_b64 s[28:29], s[26:27]
	s_cbranch_execz .LBB651_202
.LBB651_257:
	v_sub_u32_e32 v9, v48, v8
	v_lshlrev_b32_e32 v9, 2, v9
	ds_write_b32 v9, v49
	s_or_b64 exec, exec, s[28:29]
	s_and_saveexec_b64 s[26:27], s[24:25]
	s_cbranch_execz .LBB651_203
.LBB651_258:
	v_sub_u32_e32 v9, v46, v8
	v_lshlrev_b32_e32 v9, 2, v9
	ds_write_b32 v9, v47
	s_or_b64 exec, exec, s[26:27]
	s_and_saveexec_b64 s[24:25], s[22:23]
	s_cbranch_execz .LBB651_204
.LBB651_259:
	v_sub_u32_e32 v9, v44, v8
	v_lshlrev_b32_e32 v9, 2, v9
	ds_write_b32 v9, v45
	s_or_b64 exec, exec, s[24:25]
	s_and_saveexec_b64 s[22:23], s[20:21]
	s_cbranch_execz .LBB651_205
.LBB651_260:
	v_sub_u32_e32 v9, v42, v8
	v_lshlrev_b32_e32 v9, 2, v9
	ds_write_b32 v9, v43
	s_or_b64 exec, exec, s[22:23]
	s_and_saveexec_b64 s[20:21], s[18:19]
	s_cbranch_execz .LBB651_206
.LBB651_261:
	v_sub_u32_e32 v9, v40, v8
	v_lshlrev_b32_e32 v9, 2, v9
	ds_write_b32 v9, v41
	s_or_b64 exec, exec, s[20:21]
	s_and_saveexec_b64 s[18:19], s[16:17]
	s_cbranch_execz .LBB651_207
.LBB651_262:
	v_sub_u32_e32 v9, v38, v8
	v_lshlrev_b32_e32 v9, 2, v9
	ds_write_b32 v9, v39
	s_or_b64 exec, exec, s[18:19]
	s_and_saveexec_b64 s[16:17], s[14:15]
	s_cbranch_execz .LBB651_208
.LBB651_263:
	v_sub_u32_e32 v9, v36, v8
	v_lshlrev_b32_e32 v9, 2, v9
	ds_write_b32 v9, v37
	s_or_b64 exec, exec, s[16:17]
	s_and_saveexec_b64 s[14:15], s[12:13]
	s_cbranch_execz .LBB651_209
.LBB651_264:
	v_sub_u32_e32 v9, v34, v8
	v_lshlrev_b32_e32 v9, 2, v9
	ds_write_b32 v9, v35
	s_or_b64 exec, exec, s[14:15]
	s_and_saveexec_b64 s[12:13], s[10:11]
	s_cbranch_execz .LBB651_210
.LBB651_265:
	v_sub_u32_e32 v9, v32, v8
	v_lshlrev_b32_e32 v9, 2, v9
	ds_write_b32 v9, v33
	s_or_b64 exec, exec, s[12:13]
	s_and_saveexec_b64 s[10:11], s[8:9]
	s_cbranch_execz .LBB651_211
.LBB651_266:
	v_sub_u32_e32 v9, v30, v8
	v_lshlrev_b32_e32 v9, 2, v9
	ds_write_b32 v9, v31
	s_or_b64 exec, exec, s[10:11]
	s_and_saveexec_b64 s[8:9], s[6:7]
	s_cbranch_execz .LBB651_212
.LBB651_267:
	v_sub_u32_e32 v9, v28, v8
	v_lshlrev_b32_e32 v9, 2, v9
	ds_write_b32 v9, v29
	s_or_b64 exec, exec, s[8:9]
	s_and_saveexec_b64 s[6:7], s[4:5]
	s_cbranch_execz .LBB651_213
.LBB651_268:
	v_sub_u32_e32 v9, v26, v8
	v_lshlrev_b32_e32 v9, 2, v9
	ds_write_b32 v9, v27
	s_or_b64 exec, exec, s[6:7]
	s_and_saveexec_b64 s[4:5], s[2:3]
	s_cbranch_execnz .LBB651_214
	s_branch .LBB651_215
	.section	.rodata,"a",@progbits
	.p2align	6, 0x0
	.amdhsa_kernel _ZN7rocprim17ROCPRIM_400000_NS6detail17trampoline_kernelINS0_14default_configENS1_33run_length_encode_config_selectorIjjNS0_4plusIjEEEEZZNS1_33reduce_by_key_impl_wrapped_configILNS1_25lookback_scan_determinismE0ES3_S7_PKjNS0_17constant_iteratorIjlEEPjPlSF_S6_NS0_8equal_toIjEEEE10hipError_tPvRmT2_T3_mT4_T5_T6_T7_T8_P12ihipStream_tbENKUlT_T0_E_clISt17integral_constantIbLb0EESZ_EEDaSU_SV_EUlSU_E_NS1_11comp_targetILNS1_3genE4ELNS1_11target_archE910ELNS1_3gpuE8ELNS1_3repE0EEENS1_30default_config_static_selectorELNS0_4arch9wavefront6targetE1EEEvT1_
		.amdhsa_group_segment_fixed_size 15360
		.amdhsa_private_segment_fixed_size 0
		.amdhsa_kernarg_size 128
		.amdhsa_user_sgpr_count 6
		.amdhsa_user_sgpr_private_segment_buffer 1
		.amdhsa_user_sgpr_dispatch_ptr 0
		.amdhsa_user_sgpr_queue_ptr 0
		.amdhsa_user_sgpr_kernarg_segment_ptr 1
		.amdhsa_user_sgpr_dispatch_id 0
		.amdhsa_user_sgpr_flat_scratch_init 0
		.amdhsa_user_sgpr_kernarg_preload_length 0
		.amdhsa_user_sgpr_kernarg_preload_offset 0
		.amdhsa_user_sgpr_private_segment_size 0
		.amdhsa_uses_dynamic_stack 0
		.amdhsa_system_sgpr_private_segment_wavefront_offset 0
		.amdhsa_system_sgpr_workgroup_id_x 1
		.amdhsa_system_sgpr_workgroup_id_y 0
		.amdhsa_system_sgpr_workgroup_id_z 0
		.amdhsa_system_sgpr_workgroup_info 0
		.amdhsa_system_vgpr_workitem_id 0
		.amdhsa_next_free_vgpr 104
		.amdhsa_next_free_sgpr 64
		.amdhsa_accum_offset 104
		.amdhsa_reserve_vcc 1
		.amdhsa_reserve_flat_scratch 0
		.amdhsa_float_round_mode_32 0
		.amdhsa_float_round_mode_16_64 0
		.amdhsa_float_denorm_mode_32 3
		.amdhsa_float_denorm_mode_16_64 3
		.amdhsa_dx10_clamp 1
		.amdhsa_ieee_mode 1
		.amdhsa_fp16_overflow 0
		.amdhsa_tg_split 0
		.amdhsa_exception_fp_ieee_invalid_op 0
		.amdhsa_exception_fp_denorm_src 0
		.amdhsa_exception_fp_ieee_div_zero 0
		.amdhsa_exception_fp_ieee_overflow 0
		.amdhsa_exception_fp_ieee_underflow 0
		.amdhsa_exception_fp_ieee_inexact 0
		.amdhsa_exception_int_div_zero 0
	.end_amdhsa_kernel
	.section	.text._ZN7rocprim17ROCPRIM_400000_NS6detail17trampoline_kernelINS0_14default_configENS1_33run_length_encode_config_selectorIjjNS0_4plusIjEEEEZZNS1_33reduce_by_key_impl_wrapped_configILNS1_25lookback_scan_determinismE0ES3_S7_PKjNS0_17constant_iteratorIjlEEPjPlSF_S6_NS0_8equal_toIjEEEE10hipError_tPvRmT2_T3_mT4_T5_T6_T7_T8_P12ihipStream_tbENKUlT_T0_E_clISt17integral_constantIbLb0EESZ_EEDaSU_SV_EUlSU_E_NS1_11comp_targetILNS1_3genE4ELNS1_11target_archE910ELNS1_3gpuE8ELNS1_3repE0EEENS1_30default_config_static_selectorELNS0_4arch9wavefront6targetE1EEEvT1_,"axG",@progbits,_ZN7rocprim17ROCPRIM_400000_NS6detail17trampoline_kernelINS0_14default_configENS1_33run_length_encode_config_selectorIjjNS0_4plusIjEEEEZZNS1_33reduce_by_key_impl_wrapped_configILNS1_25lookback_scan_determinismE0ES3_S7_PKjNS0_17constant_iteratorIjlEEPjPlSF_S6_NS0_8equal_toIjEEEE10hipError_tPvRmT2_T3_mT4_T5_T6_T7_T8_P12ihipStream_tbENKUlT_T0_E_clISt17integral_constantIbLb0EESZ_EEDaSU_SV_EUlSU_E_NS1_11comp_targetILNS1_3genE4ELNS1_11target_archE910ELNS1_3gpuE8ELNS1_3repE0EEENS1_30default_config_static_selectorELNS0_4arch9wavefront6targetE1EEEvT1_,comdat
.Lfunc_end651:
	.size	_ZN7rocprim17ROCPRIM_400000_NS6detail17trampoline_kernelINS0_14default_configENS1_33run_length_encode_config_selectorIjjNS0_4plusIjEEEEZZNS1_33reduce_by_key_impl_wrapped_configILNS1_25lookback_scan_determinismE0ES3_S7_PKjNS0_17constant_iteratorIjlEEPjPlSF_S6_NS0_8equal_toIjEEEE10hipError_tPvRmT2_T3_mT4_T5_T6_T7_T8_P12ihipStream_tbENKUlT_T0_E_clISt17integral_constantIbLb0EESZ_EEDaSU_SV_EUlSU_E_NS1_11comp_targetILNS1_3genE4ELNS1_11target_archE910ELNS1_3gpuE8ELNS1_3repE0EEENS1_30default_config_static_selectorELNS0_4arch9wavefront6targetE1EEEvT1_, .Lfunc_end651-_ZN7rocprim17ROCPRIM_400000_NS6detail17trampoline_kernelINS0_14default_configENS1_33run_length_encode_config_selectorIjjNS0_4plusIjEEEEZZNS1_33reduce_by_key_impl_wrapped_configILNS1_25lookback_scan_determinismE0ES3_S7_PKjNS0_17constant_iteratorIjlEEPjPlSF_S6_NS0_8equal_toIjEEEE10hipError_tPvRmT2_T3_mT4_T5_T6_T7_T8_P12ihipStream_tbENKUlT_T0_E_clISt17integral_constantIbLb0EESZ_EEDaSU_SV_EUlSU_E_NS1_11comp_targetILNS1_3genE4ELNS1_11target_archE910ELNS1_3gpuE8ELNS1_3repE0EEENS1_30default_config_static_selectorELNS0_4arch9wavefront6targetE1EEEvT1_
                                        ; -- End function
	.section	.AMDGPU.csdata,"",@progbits
; Kernel info:
; codeLenInByte = 14916
; NumSgprs: 68
; NumVgprs: 104
; NumAgprs: 0
; TotalNumVgprs: 104
; ScratchSize: 0
; MemoryBound: 0
; FloatMode: 240
; IeeeMode: 1
; LDSByteSize: 15360 bytes/workgroup (compile time only)
; SGPRBlocks: 8
; VGPRBlocks: 12
; NumSGPRsForWavesPerEU: 68
; NumVGPRsForWavesPerEU: 104
; AccumOffset: 104
; Occupancy: 4
; WaveLimiterHint : 1
; COMPUTE_PGM_RSRC2:SCRATCH_EN: 0
; COMPUTE_PGM_RSRC2:USER_SGPR: 6
; COMPUTE_PGM_RSRC2:TRAP_HANDLER: 0
; COMPUTE_PGM_RSRC2:TGID_X_EN: 1
; COMPUTE_PGM_RSRC2:TGID_Y_EN: 0
; COMPUTE_PGM_RSRC2:TGID_Z_EN: 0
; COMPUTE_PGM_RSRC2:TIDIG_COMP_CNT: 0
; COMPUTE_PGM_RSRC3_GFX90A:ACCUM_OFFSET: 25
; COMPUTE_PGM_RSRC3_GFX90A:TG_SPLIT: 0
	.section	.text._ZN7rocprim17ROCPRIM_400000_NS6detail17trampoline_kernelINS0_14default_configENS1_33run_length_encode_config_selectorIjjNS0_4plusIjEEEEZZNS1_33reduce_by_key_impl_wrapped_configILNS1_25lookback_scan_determinismE0ES3_S7_PKjNS0_17constant_iteratorIjlEEPjPlSF_S6_NS0_8equal_toIjEEEE10hipError_tPvRmT2_T3_mT4_T5_T6_T7_T8_P12ihipStream_tbENKUlT_T0_E_clISt17integral_constantIbLb0EESZ_EEDaSU_SV_EUlSU_E_NS1_11comp_targetILNS1_3genE3ELNS1_11target_archE908ELNS1_3gpuE7ELNS1_3repE0EEENS1_30default_config_static_selectorELNS0_4arch9wavefront6targetE1EEEvT1_,"axG",@progbits,_ZN7rocprim17ROCPRIM_400000_NS6detail17trampoline_kernelINS0_14default_configENS1_33run_length_encode_config_selectorIjjNS0_4plusIjEEEEZZNS1_33reduce_by_key_impl_wrapped_configILNS1_25lookback_scan_determinismE0ES3_S7_PKjNS0_17constant_iteratorIjlEEPjPlSF_S6_NS0_8equal_toIjEEEE10hipError_tPvRmT2_T3_mT4_T5_T6_T7_T8_P12ihipStream_tbENKUlT_T0_E_clISt17integral_constantIbLb0EESZ_EEDaSU_SV_EUlSU_E_NS1_11comp_targetILNS1_3genE3ELNS1_11target_archE908ELNS1_3gpuE7ELNS1_3repE0EEENS1_30default_config_static_selectorELNS0_4arch9wavefront6targetE1EEEvT1_,comdat
	.protected	_ZN7rocprim17ROCPRIM_400000_NS6detail17trampoline_kernelINS0_14default_configENS1_33run_length_encode_config_selectorIjjNS0_4plusIjEEEEZZNS1_33reduce_by_key_impl_wrapped_configILNS1_25lookback_scan_determinismE0ES3_S7_PKjNS0_17constant_iteratorIjlEEPjPlSF_S6_NS0_8equal_toIjEEEE10hipError_tPvRmT2_T3_mT4_T5_T6_T7_T8_P12ihipStream_tbENKUlT_T0_E_clISt17integral_constantIbLb0EESZ_EEDaSU_SV_EUlSU_E_NS1_11comp_targetILNS1_3genE3ELNS1_11target_archE908ELNS1_3gpuE7ELNS1_3repE0EEENS1_30default_config_static_selectorELNS0_4arch9wavefront6targetE1EEEvT1_ ; -- Begin function _ZN7rocprim17ROCPRIM_400000_NS6detail17trampoline_kernelINS0_14default_configENS1_33run_length_encode_config_selectorIjjNS0_4plusIjEEEEZZNS1_33reduce_by_key_impl_wrapped_configILNS1_25lookback_scan_determinismE0ES3_S7_PKjNS0_17constant_iteratorIjlEEPjPlSF_S6_NS0_8equal_toIjEEEE10hipError_tPvRmT2_T3_mT4_T5_T6_T7_T8_P12ihipStream_tbENKUlT_T0_E_clISt17integral_constantIbLb0EESZ_EEDaSU_SV_EUlSU_E_NS1_11comp_targetILNS1_3genE3ELNS1_11target_archE908ELNS1_3gpuE7ELNS1_3repE0EEENS1_30default_config_static_selectorELNS0_4arch9wavefront6targetE1EEEvT1_
	.globl	_ZN7rocprim17ROCPRIM_400000_NS6detail17trampoline_kernelINS0_14default_configENS1_33run_length_encode_config_selectorIjjNS0_4plusIjEEEEZZNS1_33reduce_by_key_impl_wrapped_configILNS1_25lookback_scan_determinismE0ES3_S7_PKjNS0_17constant_iteratorIjlEEPjPlSF_S6_NS0_8equal_toIjEEEE10hipError_tPvRmT2_T3_mT4_T5_T6_T7_T8_P12ihipStream_tbENKUlT_T0_E_clISt17integral_constantIbLb0EESZ_EEDaSU_SV_EUlSU_E_NS1_11comp_targetILNS1_3genE3ELNS1_11target_archE908ELNS1_3gpuE7ELNS1_3repE0EEENS1_30default_config_static_selectorELNS0_4arch9wavefront6targetE1EEEvT1_
	.p2align	8
	.type	_ZN7rocprim17ROCPRIM_400000_NS6detail17trampoline_kernelINS0_14default_configENS1_33run_length_encode_config_selectorIjjNS0_4plusIjEEEEZZNS1_33reduce_by_key_impl_wrapped_configILNS1_25lookback_scan_determinismE0ES3_S7_PKjNS0_17constant_iteratorIjlEEPjPlSF_S6_NS0_8equal_toIjEEEE10hipError_tPvRmT2_T3_mT4_T5_T6_T7_T8_P12ihipStream_tbENKUlT_T0_E_clISt17integral_constantIbLb0EESZ_EEDaSU_SV_EUlSU_E_NS1_11comp_targetILNS1_3genE3ELNS1_11target_archE908ELNS1_3gpuE7ELNS1_3repE0EEENS1_30default_config_static_selectorELNS0_4arch9wavefront6targetE1EEEvT1_,@function
_ZN7rocprim17ROCPRIM_400000_NS6detail17trampoline_kernelINS0_14default_configENS1_33run_length_encode_config_selectorIjjNS0_4plusIjEEEEZZNS1_33reduce_by_key_impl_wrapped_configILNS1_25lookback_scan_determinismE0ES3_S7_PKjNS0_17constant_iteratorIjlEEPjPlSF_S6_NS0_8equal_toIjEEEE10hipError_tPvRmT2_T3_mT4_T5_T6_T7_T8_P12ihipStream_tbENKUlT_T0_E_clISt17integral_constantIbLb0EESZ_EEDaSU_SV_EUlSU_E_NS1_11comp_targetILNS1_3genE3ELNS1_11target_archE908ELNS1_3gpuE7ELNS1_3repE0EEENS1_30default_config_static_selectorELNS0_4arch9wavefront6targetE1EEEvT1_: ; @_ZN7rocprim17ROCPRIM_400000_NS6detail17trampoline_kernelINS0_14default_configENS1_33run_length_encode_config_selectorIjjNS0_4plusIjEEEEZZNS1_33reduce_by_key_impl_wrapped_configILNS1_25lookback_scan_determinismE0ES3_S7_PKjNS0_17constant_iteratorIjlEEPjPlSF_S6_NS0_8equal_toIjEEEE10hipError_tPvRmT2_T3_mT4_T5_T6_T7_T8_P12ihipStream_tbENKUlT_T0_E_clISt17integral_constantIbLb0EESZ_EEDaSU_SV_EUlSU_E_NS1_11comp_targetILNS1_3genE3ELNS1_11target_archE908ELNS1_3gpuE7ELNS1_3repE0EEENS1_30default_config_static_selectorELNS0_4arch9wavefront6targetE1EEEvT1_
; %bb.0:
	.section	.rodata,"a",@progbits
	.p2align	6, 0x0
	.amdhsa_kernel _ZN7rocprim17ROCPRIM_400000_NS6detail17trampoline_kernelINS0_14default_configENS1_33run_length_encode_config_selectorIjjNS0_4plusIjEEEEZZNS1_33reduce_by_key_impl_wrapped_configILNS1_25lookback_scan_determinismE0ES3_S7_PKjNS0_17constant_iteratorIjlEEPjPlSF_S6_NS0_8equal_toIjEEEE10hipError_tPvRmT2_T3_mT4_T5_T6_T7_T8_P12ihipStream_tbENKUlT_T0_E_clISt17integral_constantIbLb0EESZ_EEDaSU_SV_EUlSU_E_NS1_11comp_targetILNS1_3genE3ELNS1_11target_archE908ELNS1_3gpuE7ELNS1_3repE0EEENS1_30default_config_static_selectorELNS0_4arch9wavefront6targetE1EEEvT1_
		.amdhsa_group_segment_fixed_size 0
		.amdhsa_private_segment_fixed_size 0
		.amdhsa_kernarg_size 128
		.amdhsa_user_sgpr_count 6
		.amdhsa_user_sgpr_private_segment_buffer 1
		.amdhsa_user_sgpr_dispatch_ptr 0
		.amdhsa_user_sgpr_queue_ptr 0
		.amdhsa_user_sgpr_kernarg_segment_ptr 1
		.amdhsa_user_sgpr_dispatch_id 0
		.amdhsa_user_sgpr_flat_scratch_init 0
		.amdhsa_user_sgpr_kernarg_preload_length 0
		.amdhsa_user_sgpr_kernarg_preload_offset 0
		.amdhsa_user_sgpr_private_segment_size 0
		.amdhsa_uses_dynamic_stack 0
		.amdhsa_system_sgpr_private_segment_wavefront_offset 0
		.amdhsa_system_sgpr_workgroup_id_x 1
		.amdhsa_system_sgpr_workgroup_id_y 0
		.amdhsa_system_sgpr_workgroup_id_z 0
		.amdhsa_system_sgpr_workgroup_info 0
		.amdhsa_system_vgpr_workitem_id 0
		.amdhsa_next_free_vgpr 1
		.amdhsa_next_free_sgpr 0
		.amdhsa_accum_offset 4
		.amdhsa_reserve_vcc 0
		.amdhsa_reserve_flat_scratch 0
		.amdhsa_float_round_mode_32 0
		.amdhsa_float_round_mode_16_64 0
		.amdhsa_float_denorm_mode_32 3
		.amdhsa_float_denorm_mode_16_64 3
		.amdhsa_dx10_clamp 1
		.amdhsa_ieee_mode 1
		.amdhsa_fp16_overflow 0
		.amdhsa_tg_split 0
		.amdhsa_exception_fp_ieee_invalid_op 0
		.amdhsa_exception_fp_denorm_src 0
		.amdhsa_exception_fp_ieee_div_zero 0
		.amdhsa_exception_fp_ieee_overflow 0
		.amdhsa_exception_fp_ieee_underflow 0
		.amdhsa_exception_fp_ieee_inexact 0
		.amdhsa_exception_int_div_zero 0
	.end_amdhsa_kernel
	.section	.text._ZN7rocprim17ROCPRIM_400000_NS6detail17trampoline_kernelINS0_14default_configENS1_33run_length_encode_config_selectorIjjNS0_4plusIjEEEEZZNS1_33reduce_by_key_impl_wrapped_configILNS1_25lookback_scan_determinismE0ES3_S7_PKjNS0_17constant_iteratorIjlEEPjPlSF_S6_NS0_8equal_toIjEEEE10hipError_tPvRmT2_T3_mT4_T5_T6_T7_T8_P12ihipStream_tbENKUlT_T0_E_clISt17integral_constantIbLb0EESZ_EEDaSU_SV_EUlSU_E_NS1_11comp_targetILNS1_3genE3ELNS1_11target_archE908ELNS1_3gpuE7ELNS1_3repE0EEENS1_30default_config_static_selectorELNS0_4arch9wavefront6targetE1EEEvT1_,"axG",@progbits,_ZN7rocprim17ROCPRIM_400000_NS6detail17trampoline_kernelINS0_14default_configENS1_33run_length_encode_config_selectorIjjNS0_4plusIjEEEEZZNS1_33reduce_by_key_impl_wrapped_configILNS1_25lookback_scan_determinismE0ES3_S7_PKjNS0_17constant_iteratorIjlEEPjPlSF_S6_NS0_8equal_toIjEEEE10hipError_tPvRmT2_T3_mT4_T5_T6_T7_T8_P12ihipStream_tbENKUlT_T0_E_clISt17integral_constantIbLb0EESZ_EEDaSU_SV_EUlSU_E_NS1_11comp_targetILNS1_3genE3ELNS1_11target_archE908ELNS1_3gpuE7ELNS1_3repE0EEENS1_30default_config_static_selectorELNS0_4arch9wavefront6targetE1EEEvT1_,comdat
.Lfunc_end652:
	.size	_ZN7rocprim17ROCPRIM_400000_NS6detail17trampoline_kernelINS0_14default_configENS1_33run_length_encode_config_selectorIjjNS0_4plusIjEEEEZZNS1_33reduce_by_key_impl_wrapped_configILNS1_25lookback_scan_determinismE0ES3_S7_PKjNS0_17constant_iteratorIjlEEPjPlSF_S6_NS0_8equal_toIjEEEE10hipError_tPvRmT2_T3_mT4_T5_T6_T7_T8_P12ihipStream_tbENKUlT_T0_E_clISt17integral_constantIbLb0EESZ_EEDaSU_SV_EUlSU_E_NS1_11comp_targetILNS1_3genE3ELNS1_11target_archE908ELNS1_3gpuE7ELNS1_3repE0EEENS1_30default_config_static_selectorELNS0_4arch9wavefront6targetE1EEEvT1_, .Lfunc_end652-_ZN7rocprim17ROCPRIM_400000_NS6detail17trampoline_kernelINS0_14default_configENS1_33run_length_encode_config_selectorIjjNS0_4plusIjEEEEZZNS1_33reduce_by_key_impl_wrapped_configILNS1_25lookback_scan_determinismE0ES3_S7_PKjNS0_17constant_iteratorIjlEEPjPlSF_S6_NS0_8equal_toIjEEEE10hipError_tPvRmT2_T3_mT4_T5_T6_T7_T8_P12ihipStream_tbENKUlT_T0_E_clISt17integral_constantIbLb0EESZ_EEDaSU_SV_EUlSU_E_NS1_11comp_targetILNS1_3genE3ELNS1_11target_archE908ELNS1_3gpuE7ELNS1_3repE0EEENS1_30default_config_static_selectorELNS0_4arch9wavefront6targetE1EEEvT1_
                                        ; -- End function
	.section	.AMDGPU.csdata,"",@progbits
; Kernel info:
; codeLenInByte = 0
; NumSgprs: 4
; NumVgprs: 0
; NumAgprs: 0
; TotalNumVgprs: 0
; ScratchSize: 0
; MemoryBound: 0
; FloatMode: 240
; IeeeMode: 1
; LDSByteSize: 0 bytes/workgroup (compile time only)
; SGPRBlocks: 0
; VGPRBlocks: 0
; NumSGPRsForWavesPerEU: 4
; NumVGPRsForWavesPerEU: 1
; AccumOffset: 4
; Occupancy: 8
; WaveLimiterHint : 0
; COMPUTE_PGM_RSRC2:SCRATCH_EN: 0
; COMPUTE_PGM_RSRC2:USER_SGPR: 6
; COMPUTE_PGM_RSRC2:TRAP_HANDLER: 0
; COMPUTE_PGM_RSRC2:TGID_X_EN: 1
; COMPUTE_PGM_RSRC2:TGID_Y_EN: 0
; COMPUTE_PGM_RSRC2:TGID_Z_EN: 0
; COMPUTE_PGM_RSRC2:TIDIG_COMP_CNT: 0
; COMPUTE_PGM_RSRC3_GFX90A:ACCUM_OFFSET: 0
; COMPUTE_PGM_RSRC3_GFX90A:TG_SPLIT: 0
	.section	.text._ZN7rocprim17ROCPRIM_400000_NS6detail17trampoline_kernelINS0_14default_configENS1_33run_length_encode_config_selectorIjjNS0_4plusIjEEEEZZNS1_33reduce_by_key_impl_wrapped_configILNS1_25lookback_scan_determinismE0ES3_S7_PKjNS0_17constant_iteratorIjlEEPjPlSF_S6_NS0_8equal_toIjEEEE10hipError_tPvRmT2_T3_mT4_T5_T6_T7_T8_P12ihipStream_tbENKUlT_T0_E_clISt17integral_constantIbLb0EESZ_EEDaSU_SV_EUlSU_E_NS1_11comp_targetILNS1_3genE2ELNS1_11target_archE906ELNS1_3gpuE6ELNS1_3repE0EEENS1_30default_config_static_selectorELNS0_4arch9wavefront6targetE1EEEvT1_,"axG",@progbits,_ZN7rocprim17ROCPRIM_400000_NS6detail17trampoline_kernelINS0_14default_configENS1_33run_length_encode_config_selectorIjjNS0_4plusIjEEEEZZNS1_33reduce_by_key_impl_wrapped_configILNS1_25lookback_scan_determinismE0ES3_S7_PKjNS0_17constant_iteratorIjlEEPjPlSF_S6_NS0_8equal_toIjEEEE10hipError_tPvRmT2_T3_mT4_T5_T6_T7_T8_P12ihipStream_tbENKUlT_T0_E_clISt17integral_constantIbLb0EESZ_EEDaSU_SV_EUlSU_E_NS1_11comp_targetILNS1_3genE2ELNS1_11target_archE906ELNS1_3gpuE6ELNS1_3repE0EEENS1_30default_config_static_selectorELNS0_4arch9wavefront6targetE1EEEvT1_,comdat
	.protected	_ZN7rocprim17ROCPRIM_400000_NS6detail17trampoline_kernelINS0_14default_configENS1_33run_length_encode_config_selectorIjjNS0_4plusIjEEEEZZNS1_33reduce_by_key_impl_wrapped_configILNS1_25lookback_scan_determinismE0ES3_S7_PKjNS0_17constant_iteratorIjlEEPjPlSF_S6_NS0_8equal_toIjEEEE10hipError_tPvRmT2_T3_mT4_T5_T6_T7_T8_P12ihipStream_tbENKUlT_T0_E_clISt17integral_constantIbLb0EESZ_EEDaSU_SV_EUlSU_E_NS1_11comp_targetILNS1_3genE2ELNS1_11target_archE906ELNS1_3gpuE6ELNS1_3repE0EEENS1_30default_config_static_selectorELNS0_4arch9wavefront6targetE1EEEvT1_ ; -- Begin function _ZN7rocprim17ROCPRIM_400000_NS6detail17trampoline_kernelINS0_14default_configENS1_33run_length_encode_config_selectorIjjNS0_4plusIjEEEEZZNS1_33reduce_by_key_impl_wrapped_configILNS1_25lookback_scan_determinismE0ES3_S7_PKjNS0_17constant_iteratorIjlEEPjPlSF_S6_NS0_8equal_toIjEEEE10hipError_tPvRmT2_T3_mT4_T5_T6_T7_T8_P12ihipStream_tbENKUlT_T0_E_clISt17integral_constantIbLb0EESZ_EEDaSU_SV_EUlSU_E_NS1_11comp_targetILNS1_3genE2ELNS1_11target_archE906ELNS1_3gpuE6ELNS1_3repE0EEENS1_30default_config_static_selectorELNS0_4arch9wavefront6targetE1EEEvT1_
	.globl	_ZN7rocprim17ROCPRIM_400000_NS6detail17trampoline_kernelINS0_14default_configENS1_33run_length_encode_config_selectorIjjNS0_4plusIjEEEEZZNS1_33reduce_by_key_impl_wrapped_configILNS1_25lookback_scan_determinismE0ES3_S7_PKjNS0_17constant_iteratorIjlEEPjPlSF_S6_NS0_8equal_toIjEEEE10hipError_tPvRmT2_T3_mT4_T5_T6_T7_T8_P12ihipStream_tbENKUlT_T0_E_clISt17integral_constantIbLb0EESZ_EEDaSU_SV_EUlSU_E_NS1_11comp_targetILNS1_3genE2ELNS1_11target_archE906ELNS1_3gpuE6ELNS1_3repE0EEENS1_30default_config_static_selectorELNS0_4arch9wavefront6targetE1EEEvT1_
	.p2align	8
	.type	_ZN7rocprim17ROCPRIM_400000_NS6detail17trampoline_kernelINS0_14default_configENS1_33run_length_encode_config_selectorIjjNS0_4plusIjEEEEZZNS1_33reduce_by_key_impl_wrapped_configILNS1_25lookback_scan_determinismE0ES3_S7_PKjNS0_17constant_iteratorIjlEEPjPlSF_S6_NS0_8equal_toIjEEEE10hipError_tPvRmT2_T3_mT4_T5_T6_T7_T8_P12ihipStream_tbENKUlT_T0_E_clISt17integral_constantIbLb0EESZ_EEDaSU_SV_EUlSU_E_NS1_11comp_targetILNS1_3genE2ELNS1_11target_archE906ELNS1_3gpuE6ELNS1_3repE0EEENS1_30default_config_static_selectorELNS0_4arch9wavefront6targetE1EEEvT1_,@function
_ZN7rocprim17ROCPRIM_400000_NS6detail17trampoline_kernelINS0_14default_configENS1_33run_length_encode_config_selectorIjjNS0_4plusIjEEEEZZNS1_33reduce_by_key_impl_wrapped_configILNS1_25lookback_scan_determinismE0ES3_S7_PKjNS0_17constant_iteratorIjlEEPjPlSF_S6_NS0_8equal_toIjEEEE10hipError_tPvRmT2_T3_mT4_T5_T6_T7_T8_P12ihipStream_tbENKUlT_T0_E_clISt17integral_constantIbLb0EESZ_EEDaSU_SV_EUlSU_E_NS1_11comp_targetILNS1_3genE2ELNS1_11target_archE906ELNS1_3gpuE6ELNS1_3repE0EEENS1_30default_config_static_selectorELNS0_4arch9wavefront6targetE1EEEvT1_: ; @_ZN7rocprim17ROCPRIM_400000_NS6detail17trampoline_kernelINS0_14default_configENS1_33run_length_encode_config_selectorIjjNS0_4plusIjEEEEZZNS1_33reduce_by_key_impl_wrapped_configILNS1_25lookback_scan_determinismE0ES3_S7_PKjNS0_17constant_iteratorIjlEEPjPlSF_S6_NS0_8equal_toIjEEEE10hipError_tPvRmT2_T3_mT4_T5_T6_T7_T8_P12ihipStream_tbENKUlT_T0_E_clISt17integral_constantIbLb0EESZ_EEDaSU_SV_EUlSU_E_NS1_11comp_targetILNS1_3genE2ELNS1_11target_archE906ELNS1_3gpuE6ELNS1_3repE0EEENS1_30default_config_static_selectorELNS0_4arch9wavefront6targetE1EEEvT1_
; %bb.0:
	.section	.rodata,"a",@progbits
	.p2align	6, 0x0
	.amdhsa_kernel _ZN7rocprim17ROCPRIM_400000_NS6detail17trampoline_kernelINS0_14default_configENS1_33run_length_encode_config_selectorIjjNS0_4plusIjEEEEZZNS1_33reduce_by_key_impl_wrapped_configILNS1_25lookback_scan_determinismE0ES3_S7_PKjNS0_17constant_iteratorIjlEEPjPlSF_S6_NS0_8equal_toIjEEEE10hipError_tPvRmT2_T3_mT4_T5_T6_T7_T8_P12ihipStream_tbENKUlT_T0_E_clISt17integral_constantIbLb0EESZ_EEDaSU_SV_EUlSU_E_NS1_11comp_targetILNS1_3genE2ELNS1_11target_archE906ELNS1_3gpuE6ELNS1_3repE0EEENS1_30default_config_static_selectorELNS0_4arch9wavefront6targetE1EEEvT1_
		.amdhsa_group_segment_fixed_size 0
		.amdhsa_private_segment_fixed_size 0
		.amdhsa_kernarg_size 128
		.amdhsa_user_sgpr_count 6
		.amdhsa_user_sgpr_private_segment_buffer 1
		.amdhsa_user_sgpr_dispatch_ptr 0
		.amdhsa_user_sgpr_queue_ptr 0
		.amdhsa_user_sgpr_kernarg_segment_ptr 1
		.amdhsa_user_sgpr_dispatch_id 0
		.amdhsa_user_sgpr_flat_scratch_init 0
		.amdhsa_user_sgpr_kernarg_preload_length 0
		.amdhsa_user_sgpr_kernarg_preload_offset 0
		.amdhsa_user_sgpr_private_segment_size 0
		.amdhsa_uses_dynamic_stack 0
		.amdhsa_system_sgpr_private_segment_wavefront_offset 0
		.amdhsa_system_sgpr_workgroup_id_x 1
		.amdhsa_system_sgpr_workgroup_id_y 0
		.amdhsa_system_sgpr_workgroup_id_z 0
		.amdhsa_system_sgpr_workgroup_info 0
		.amdhsa_system_vgpr_workitem_id 0
		.amdhsa_next_free_vgpr 1
		.amdhsa_next_free_sgpr 0
		.amdhsa_accum_offset 4
		.amdhsa_reserve_vcc 0
		.amdhsa_reserve_flat_scratch 0
		.amdhsa_float_round_mode_32 0
		.amdhsa_float_round_mode_16_64 0
		.amdhsa_float_denorm_mode_32 3
		.amdhsa_float_denorm_mode_16_64 3
		.amdhsa_dx10_clamp 1
		.amdhsa_ieee_mode 1
		.amdhsa_fp16_overflow 0
		.amdhsa_tg_split 0
		.amdhsa_exception_fp_ieee_invalid_op 0
		.amdhsa_exception_fp_denorm_src 0
		.amdhsa_exception_fp_ieee_div_zero 0
		.amdhsa_exception_fp_ieee_overflow 0
		.amdhsa_exception_fp_ieee_underflow 0
		.amdhsa_exception_fp_ieee_inexact 0
		.amdhsa_exception_int_div_zero 0
	.end_amdhsa_kernel
	.section	.text._ZN7rocprim17ROCPRIM_400000_NS6detail17trampoline_kernelINS0_14default_configENS1_33run_length_encode_config_selectorIjjNS0_4plusIjEEEEZZNS1_33reduce_by_key_impl_wrapped_configILNS1_25lookback_scan_determinismE0ES3_S7_PKjNS0_17constant_iteratorIjlEEPjPlSF_S6_NS0_8equal_toIjEEEE10hipError_tPvRmT2_T3_mT4_T5_T6_T7_T8_P12ihipStream_tbENKUlT_T0_E_clISt17integral_constantIbLb0EESZ_EEDaSU_SV_EUlSU_E_NS1_11comp_targetILNS1_3genE2ELNS1_11target_archE906ELNS1_3gpuE6ELNS1_3repE0EEENS1_30default_config_static_selectorELNS0_4arch9wavefront6targetE1EEEvT1_,"axG",@progbits,_ZN7rocprim17ROCPRIM_400000_NS6detail17trampoline_kernelINS0_14default_configENS1_33run_length_encode_config_selectorIjjNS0_4plusIjEEEEZZNS1_33reduce_by_key_impl_wrapped_configILNS1_25lookback_scan_determinismE0ES3_S7_PKjNS0_17constant_iteratorIjlEEPjPlSF_S6_NS0_8equal_toIjEEEE10hipError_tPvRmT2_T3_mT4_T5_T6_T7_T8_P12ihipStream_tbENKUlT_T0_E_clISt17integral_constantIbLb0EESZ_EEDaSU_SV_EUlSU_E_NS1_11comp_targetILNS1_3genE2ELNS1_11target_archE906ELNS1_3gpuE6ELNS1_3repE0EEENS1_30default_config_static_selectorELNS0_4arch9wavefront6targetE1EEEvT1_,comdat
.Lfunc_end653:
	.size	_ZN7rocprim17ROCPRIM_400000_NS6detail17trampoline_kernelINS0_14default_configENS1_33run_length_encode_config_selectorIjjNS0_4plusIjEEEEZZNS1_33reduce_by_key_impl_wrapped_configILNS1_25lookback_scan_determinismE0ES3_S7_PKjNS0_17constant_iteratorIjlEEPjPlSF_S6_NS0_8equal_toIjEEEE10hipError_tPvRmT2_T3_mT4_T5_T6_T7_T8_P12ihipStream_tbENKUlT_T0_E_clISt17integral_constantIbLb0EESZ_EEDaSU_SV_EUlSU_E_NS1_11comp_targetILNS1_3genE2ELNS1_11target_archE906ELNS1_3gpuE6ELNS1_3repE0EEENS1_30default_config_static_selectorELNS0_4arch9wavefront6targetE1EEEvT1_, .Lfunc_end653-_ZN7rocprim17ROCPRIM_400000_NS6detail17trampoline_kernelINS0_14default_configENS1_33run_length_encode_config_selectorIjjNS0_4plusIjEEEEZZNS1_33reduce_by_key_impl_wrapped_configILNS1_25lookback_scan_determinismE0ES3_S7_PKjNS0_17constant_iteratorIjlEEPjPlSF_S6_NS0_8equal_toIjEEEE10hipError_tPvRmT2_T3_mT4_T5_T6_T7_T8_P12ihipStream_tbENKUlT_T0_E_clISt17integral_constantIbLb0EESZ_EEDaSU_SV_EUlSU_E_NS1_11comp_targetILNS1_3genE2ELNS1_11target_archE906ELNS1_3gpuE6ELNS1_3repE0EEENS1_30default_config_static_selectorELNS0_4arch9wavefront6targetE1EEEvT1_
                                        ; -- End function
	.section	.AMDGPU.csdata,"",@progbits
; Kernel info:
; codeLenInByte = 0
; NumSgprs: 4
; NumVgprs: 0
; NumAgprs: 0
; TotalNumVgprs: 0
; ScratchSize: 0
; MemoryBound: 0
; FloatMode: 240
; IeeeMode: 1
; LDSByteSize: 0 bytes/workgroup (compile time only)
; SGPRBlocks: 0
; VGPRBlocks: 0
; NumSGPRsForWavesPerEU: 4
; NumVGPRsForWavesPerEU: 1
; AccumOffset: 4
; Occupancy: 8
; WaveLimiterHint : 0
; COMPUTE_PGM_RSRC2:SCRATCH_EN: 0
; COMPUTE_PGM_RSRC2:USER_SGPR: 6
; COMPUTE_PGM_RSRC2:TRAP_HANDLER: 0
; COMPUTE_PGM_RSRC2:TGID_X_EN: 1
; COMPUTE_PGM_RSRC2:TGID_Y_EN: 0
; COMPUTE_PGM_RSRC2:TGID_Z_EN: 0
; COMPUTE_PGM_RSRC2:TIDIG_COMP_CNT: 0
; COMPUTE_PGM_RSRC3_GFX90A:ACCUM_OFFSET: 0
; COMPUTE_PGM_RSRC3_GFX90A:TG_SPLIT: 0
	.section	.text._ZN7rocprim17ROCPRIM_400000_NS6detail17trampoline_kernelINS0_14default_configENS1_33run_length_encode_config_selectorIjjNS0_4plusIjEEEEZZNS1_33reduce_by_key_impl_wrapped_configILNS1_25lookback_scan_determinismE0ES3_S7_PKjNS0_17constant_iteratorIjlEEPjPlSF_S6_NS0_8equal_toIjEEEE10hipError_tPvRmT2_T3_mT4_T5_T6_T7_T8_P12ihipStream_tbENKUlT_T0_E_clISt17integral_constantIbLb0EESZ_EEDaSU_SV_EUlSU_E_NS1_11comp_targetILNS1_3genE10ELNS1_11target_archE1201ELNS1_3gpuE5ELNS1_3repE0EEENS1_30default_config_static_selectorELNS0_4arch9wavefront6targetE1EEEvT1_,"axG",@progbits,_ZN7rocprim17ROCPRIM_400000_NS6detail17trampoline_kernelINS0_14default_configENS1_33run_length_encode_config_selectorIjjNS0_4plusIjEEEEZZNS1_33reduce_by_key_impl_wrapped_configILNS1_25lookback_scan_determinismE0ES3_S7_PKjNS0_17constant_iteratorIjlEEPjPlSF_S6_NS0_8equal_toIjEEEE10hipError_tPvRmT2_T3_mT4_T5_T6_T7_T8_P12ihipStream_tbENKUlT_T0_E_clISt17integral_constantIbLb0EESZ_EEDaSU_SV_EUlSU_E_NS1_11comp_targetILNS1_3genE10ELNS1_11target_archE1201ELNS1_3gpuE5ELNS1_3repE0EEENS1_30default_config_static_selectorELNS0_4arch9wavefront6targetE1EEEvT1_,comdat
	.protected	_ZN7rocprim17ROCPRIM_400000_NS6detail17trampoline_kernelINS0_14default_configENS1_33run_length_encode_config_selectorIjjNS0_4plusIjEEEEZZNS1_33reduce_by_key_impl_wrapped_configILNS1_25lookback_scan_determinismE0ES3_S7_PKjNS0_17constant_iteratorIjlEEPjPlSF_S6_NS0_8equal_toIjEEEE10hipError_tPvRmT2_T3_mT4_T5_T6_T7_T8_P12ihipStream_tbENKUlT_T0_E_clISt17integral_constantIbLb0EESZ_EEDaSU_SV_EUlSU_E_NS1_11comp_targetILNS1_3genE10ELNS1_11target_archE1201ELNS1_3gpuE5ELNS1_3repE0EEENS1_30default_config_static_selectorELNS0_4arch9wavefront6targetE1EEEvT1_ ; -- Begin function _ZN7rocprim17ROCPRIM_400000_NS6detail17trampoline_kernelINS0_14default_configENS1_33run_length_encode_config_selectorIjjNS0_4plusIjEEEEZZNS1_33reduce_by_key_impl_wrapped_configILNS1_25lookback_scan_determinismE0ES3_S7_PKjNS0_17constant_iteratorIjlEEPjPlSF_S6_NS0_8equal_toIjEEEE10hipError_tPvRmT2_T3_mT4_T5_T6_T7_T8_P12ihipStream_tbENKUlT_T0_E_clISt17integral_constantIbLb0EESZ_EEDaSU_SV_EUlSU_E_NS1_11comp_targetILNS1_3genE10ELNS1_11target_archE1201ELNS1_3gpuE5ELNS1_3repE0EEENS1_30default_config_static_selectorELNS0_4arch9wavefront6targetE1EEEvT1_
	.globl	_ZN7rocprim17ROCPRIM_400000_NS6detail17trampoline_kernelINS0_14default_configENS1_33run_length_encode_config_selectorIjjNS0_4plusIjEEEEZZNS1_33reduce_by_key_impl_wrapped_configILNS1_25lookback_scan_determinismE0ES3_S7_PKjNS0_17constant_iteratorIjlEEPjPlSF_S6_NS0_8equal_toIjEEEE10hipError_tPvRmT2_T3_mT4_T5_T6_T7_T8_P12ihipStream_tbENKUlT_T0_E_clISt17integral_constantIbLb0EESZ_EEDaSU_SV_EUlSU_E_NS1_11comp_targetILNS1_3genE10ELNS1_11target_archE1201ELNS1_3gpuE5ELNS1_3repE0EEENS1_30default_config_static_selectorELNS0_4arch9wavefront6targetE1EEEvT1_
	.p2align	8
	.type	_ZN7rocprim17ROCPRIM_400000_NS6detail17trampoline_kernelINS0_14default_configENS1_33run_length_encode_config_selectorIjjNS0_4plusIjEEEEZZNS1_33reduce_by_key_impl_wrapped_configILNS1_25lookback_scan_determinismE0ES3_S7_PKjNS0_17constant_iteratorIjlEEPjPlSF_S6_NS0_8equal_toIjEEEE10hipError_tPvRmT2_T3_mT4_T5_T6_T7_T8_P12ihipStream_tbENKUlT_T0_E_clISt17integral_constantIbLb0EESZ_EEDaSU_SV_EUlSU_E_NS1_11comp_targetILNS1_3genE10ELNS1_11target_archE1201ELNS1_3gpuE5ELNS1_3repE0EEENS1_30default_config_static_selectorELNS0_4arch9wavefront6targetE1EEEvT1_,@function
_ZN7rocprim17ROCPRIM_400000_NS6detail17trampoline_kernelINS0_14default_configENS1_33run_length_encode_config_selectorIjjNS0_4plusIjEEEEZZNS1_33reduce_by_key_impl_wrapped_configILNS1_25lookback_scan_determinismE0ES3_S7_PKjNS0_17constant_iteratorIjlEEPjPlSF_S6_NS0_8equal_toIjEEEE10hipError_tPvRmT2_T3_mT4_T5_T6_T7_T8_P12ihipStream_tbENKUlT_T0_E_clISt17integral_constantIbLb0EESZ_EEDaSU_SV_EUlSU_E_NS1_11comp_targetILNS1_3genE10ELNS1_11target_archE1201ELNS1_3gpuE5ELNS1_3repE0EEENS1_30default_config_static_selectorELNS0_4arch9wavefront6targetE1EEEvT1_: ; @_ZN7rocprim17ROCPRIM_400000_NS6detail17trampoline_kernelINS0_14default_configENS1_33run_length_encode_config_selectorIjjNS0_4plusIjEEEEZZNS1_33reduce_by_key_impl_wrapped_configILNS1_25lookback_scan_determinismE0ES3_S7_PKjNS0_17constant_iteratorIjlEEPjPlSF_S6_NS0_8equal_toIjEEEE10hipError_tPvRmT2_T3_mT4_T5_T6_T7_T8_P12ihipStream_tbENKUlT_T0_E_clISt17integral_constantIbLb0EESZ_EEDaSU_SV_EUlSU_E_NS1_11comp_targetILNS1_3genE10ELNS1_11target_archE1201ELNS1_3gpuE5ELNS1_3repE0EEENS1_30default_config_static_selectorELNS0_4arch9wavefront6targetE1EEEvT1_
; %bb.0:
	.section	.rodata,"a",@progbits
	.p2align	6, 0x0
	.amdhsa_kernel _ZN7rocprim17ROCPRIM_400000_NS6detail17trampoline_kernelINS0_14default_configENS1_33run_length_encode_config_selectorIjjNS0_4plusIjEEEEZZNS1_33reduce_by_key_impl_wrapped_configILNS1_25lookback_scan_determinismE0ES3_S7_PKjNS0_17constant_iteratorIjlEEPjPlSF_S6_NS0_8equal_toIjEEEE10hipError_tPvRmT2_T3_mT4_T5_T6_T7_T8_P12ihipStream_tbENKUlT_T0_E_clISt17integral_constantIbLb0EESZ_EEDaSU_SV_EUlSU_E_NS1_11comp_targetILNS1_3genE10ELNS1_11target_archE1201ELNS1_3gpuE5ELNS1_3repE0EEENS1_30default_config_static_selectorELNS0_4arch9wavefront6targetE1EEEvT1_
		.amdhsa_group_segment_fixed_size 0
		.amdhsa_private_segment_fixed_size 0
		.amdhsa_kernarg_size 128
		.amdhsa_user_sgpr_count 6
		.amdhsa_user_sgpr_private_segment_buffer 1
		.amdhsa_user_sgpr_dispatch_ptr 0
		.amdhsa_user_sgpr_queue_ptr 0
		.amdhsa_user_sgpr_kernarg_segment_ptr 1
		.amdhsa_user_sgpr_dispatch_id 0
		.amdhsa_user_sgpr_flat_scratch_init 0
		.amdhsa_user_sgpr_kernarg_preload_length 0
		.amdhsa_user_sgpr_kernarg_preload_offset 0
		.amdhsa_user_sgpr_private_segment_size 0
		.amdhsa_uses_dynamic_stack 0
		.amdhsa_system_sgpr_private_segment_wavefront_offset 0
		.amdhsa_system_sgpr_workgroup_id_x 1
		.amdhsa_system_sgpr_workgroup_id_y 0
		.amdhsa_system_sgpr_workgroup_id_z 0
		.amdhsa_system_sgpr_workgroup_info 0
		.amdhsa_system_vgpr_workitem_id 0
		.amdhsa_next_free_vgpr 1
		.amdhsa_next_free_sgpr 0
		.amdhsa_accum_offset 4
		.amdhsa_reserve_vcc 0
		.amdhsa_reserve_flat_scratch 0
		.amdhsa_float_round_mode_32 0
		.amdhsa_float_round_mode_16_64 0
		.amdhsa_float_denorm_mode_32 3
		.amdhsa_float_denorm_mode_16_64 3
		.amdhsa_dx10_clamp 1
		.amdhsa_ieee_mode 1
		.amdhsa_fp16_overflow 0
		.amdhsa_tg_split 0
		.amdhsa_exception_fp_ieee_invalid_op 0
		.amdhsa_exception_fp_denorm_src 0
		.amdhsa_exception_fp_ieee_div_zero 0
		.amdhsa_exception_fp_ieee_overflow 0
		.amdhsa_exception_fp_ieee_underflow 0
		.amdhsa_exception_fp_ieee_inexact 0
		.amdhsa_exception_int_div_zero 0
	.end_amdhsa_kernel
	.section	.text._ZN7rocprim17ROCPRIM_400000_NS6detail17trampoline_kernelINS0_14default_configENS1_33run_length_encode_config_selectorIjjNS0_4plusIjEEEEZZNS1_33reduce_by_key_impl_wrapped_configILNS1_25lookback_scan_determinismE0ES3_S7_PKjNS0_17constant_iteratorIjlEEPjPlSF_S6_NS0_8equal_toIjEEEE10hipError_tPvRmT2_T3_mT4_T5_T6_T7_T8_P12ihipStream_tbENKUlT_T0_E_clISt17integral_constantIbLb0EESZ_EEDaSU_SV_EUlSU_E_NS1_11comp_targetILNS1_3genE10ELNS1_11target_archE1201ELNS1_3gpuE5ELNS1_3repE0EEENS1_30default_config_static_selectorELNS0_4arch9wavefront6targetE1EEEvT1_,"axG",@progbits,_ZN7rocprim17ROCPRIM_400000_NS6detail17trampoline_kernelINS0_14default_configENS1_33run_length_encode_config_selectorIjjNS0_4plusIjEEEEZZNS1_33reduce_by_key_impl_wrapped_configILNS1_25lookback_scan_determinismE0ES3_S7_PKjNS0_17constant_iteratorIjlEEPjPlSF_S6_NS0_8equal_toIjEEEE10hipError_tPvRmT2_T3_mT4_T5_T6_T7_T8_P12ihipStream_tbENKUlT_T0_E_clISt17integral_constantIbLb0EESZ_EEDaSU_SV_EUlSU_E_NS1_11comp_targetILNS1_3genE10ELNS1_11target_archE1201ELNS1_3gpuE5ELNS1_3repE0EEENS1_30default_config_static_selectorELNS0_4arch9wavefront6targetE1EEEvT1_,comdat
.Lfunc_end654:
	.size	_ZN7rocprim17ROCPRIM_400000_NS6detail17trampoline_kernelINS0_14default_configENS1_33run_length_encode_config_selectorIjjNS0_4plusIjEEEEZZNS1_33reduce_by_key_impl_wrapped_configILNS1_25lookback_scan_determinismE0ES3_S7_PKjNS0_17constant_iteratorIjlEEPjPlSF_S6_NS0_8equal_toIjEEEE10hipError_tPvRmT2_T3_mT4_T5_T6_T7_T8_P12ihipStream_tbENKUlT_T0_E_clISt17integral_constantIbLb0EESZ_EEDaSU_SV_EUlSU_E_NS1_11comp_targetILNS1_3genE10ELNS1_11target_archE1201ELNS1_3gpuE5ELNS1_3repE0EEENS1_30default_config_static_selectorELNS0_4arch9wavefront6targetE1EEEvT1_, .Lfunc_end654-_ZN7rocprim17ROCPRIM_400000_NS6detail17trampoline_kernelINS0_14default_configENS1_33run_length_encode_config_selectorIjjNS0_4plusIjEEEEZZNS1_33reduce_by_key_impl_wrapped_configILNS1_25lookback_scan_determinismE0ES3_S7_PKjNS0_17constant_iteratorIjlEEPjPlSF_S6_NS0_8equal_toIjEEEE10hipError_tPvRmT2_T3_mT4_T5_T6_T7_T8_P12ihipStream_tbENKUlT_T0_E_clISt17integral_constantIbLb0EESZ_EEDaSU_SV_EUlSU_E_NS1_11comp_targetILNS1_3genE10ELNS1_11target_archE1201ELNS1_3gpuE5ELNS1_3repE0EEENS1_30default_config_static_selectorELNS0_4arch9wavefront6targetE1EEEvT1_
                                        ; -- End function
	.section	.AMDGPU.csdata,"",@progbits
; Kernel info:
; codeLenInByte = 0
; NumSgprs: 4
; NumVgprs: 0
; NumAgprs: 0
; TotalNumVgprs: 0
; ScratchSize: 0
; MemoryBound: 0
; FloatMode: 240
; IeeeMode: 1
; LDSByteSize: 0 bytes/workgroup (compile time only)
; SGPRBlocks: 0
; VGPRBlocks: 0
; NumSGPRsForWavesPerEU: 4
; NumVGPRsForWavesPerEU: 1
; AccumOffset: 4
; Occupancy: 8
; WaveLimiterHint : 0
; COMPUTE_PGM_RSRC2:SCRATCH_EN: 0
; COMPUTE_PGM_RSRC2:USER_SGPR: 6
; COMPUTE_PGM_RSRC2:TRAP_HANDLER: 0
; COMPUTE_PGM_RSRC2:TGID_X_EN: 1
; COMPUTE_PGM_RSRC2:TGID_Y_EN: 0
; COMPUTE_PGM_RSRC2:TGID_Z_EN: 0
; COMPUTE_PGM_RSRC2:TIDIG_COMP_CNT: 0
; COMPUTE_PGM_RSRC3_GFX90A:ACCUM_OFFSET: 0
; COMPUTE_PGM_RSRC3_GFX90A:TG_SPLIT: 0
	.section	.text._ZN7rocprim17ROCPRIM_400000_NS6detail17trampoline_kernelINS0_14default_configENS1_33run_length_encode_config_selectorIjjNS0_4plusIjEEEEZZNS1_33reduce_by_key_impl_wrapped_configILNS1_25lookback_scan_determinismE0ES3_S7_PKjNS0_17constant_iteratorIjlEEPjPlSF_S6_NS0_8equal_toIjEEEE10hipError_tPvRmT2_T3_mT4_T5_T6_T7_T8_P12ihipStream_tbENKUlT_T0_E_clISt17integral_constantIbLb0EESZ_EEDaSU_SV_EUlSU_E_NS1_11comp_targetILNS1_3genE10ELNS1_11target_archE1200ELNS1_3gpuE4ELNS1_3repE0EEENS1_30default_config_static_selectorELNS0_4arch9wavefront6targetE1EEEvT1_,"axG",@progbits,_ZN7rocprim17ROCPRIM_400000_NS6detail17trampoline_kernelINS0_14default_configENS1_33run_length_encode_config_selectorIjjNS0_4plusIjEEEEZZNS1_33reduce_by_key_impl_wrapped_configILNS1_25lookback_scan_determinismE0ES3_S7_PKjNS0_17constant_iteratorIjlEEPjPlSF_S6_NS0_8equal_toIjEEEE10hipError_tPvRmT2_T3_mT4_T5_T6_T7_T8_P12ihipStream_tbENKUlT_T0_E_clISt17integral_constantIbLb0EESZ_EEDaSU_SV_EUlSU_E_NS1_11comp_targetILNS1_3genE10ELNS1_11target_archE1200ELNS1_3gpuE4ELNS1_3repE0EEENS1_30default_config_static_selectorELNS0_4arch9wavefront6targetE1EEEvT1_,comdat
	.protected	_ZN7rocprim17ROCPRIM_400000_NS6detail17trampoline_kernelINS0_14default_configENS1_33run_length_encode_config_selectorIjjNS0_4plusIjEEEEZZNS1_33reduce_by_key_impl_wrapped_configILNS1_25lookback_scan_determinismE0ES3_S7_PKjNS0_17constant_iteratorIjlEEPjPlSF_S6_NS0_8equal_toIjEEEE10hipError_tPvRmT2_T3_mT4_T5_T6_T7_T8_P12ihipStream_tbENKUlT_T0_E_clISt17integral_constantIbLb0EESZ_EEDaSU_SV_EUlSU_E_NS1_11comp_targetILNS1_3genE10ELNS1_11target_archE1200ELNS1_3gpuE4ELNS1_3repE0EEENS1_30default_config_static_selectorELNS0_4arch9wavefront6targetE1EEEvT1_ ; -- Begin function _ZN7rocprim17ROCPRIM_400000_NS6detail17trampoline_kernelINS0_14default_configENS1_33run_length_encode_config_selectorIjjNS0_4plusIjEEEEZZNS1_33reduce_by_key_impl_wrapped_configILNS1_25lookback_scan_determinismE0ES3_S7_PKjNS0_17constant_iteratorIjlEEPjPlSF_S6_NS0_8equal_toIjEEEE10hipError_tPvRmT2_T3_mT4_T5_T6_T7_T8_P12ihipStream_tbENKUlT_T0_E_clISt17integral_constantIbLb0EESZ_EEDaSU_SV_EUlSU_E_NS1_11comp_targetILNS1_3genE10ELNS1_11target_archE1200ELNS1_3gpuE4ELNS1_3repE0EEENS1_30default_config_static_selectorELNS0_4arch9wavefront6targetE1EEEvT1_
	.globl	_ZN7rocprim17ROCPRIM_400000_NS6detail17trampoline_kernelINS0_14default_configENS1_33run_length_encode_config_selectorIjjNS0_4plusIjEEEEZZNS1_33reduce_by_key_impl_wrapped_configILNS1_25lookback_scan_determinismE0ES3_S7_PKjNS0_17constant_iteratorIjlEEPjPlSF_S6_NS0_8equal_toIjEEEE10hipError_tPvRmT2_T3_mT4_T5_T6_T7_T8_P12ihipStream_tbENKUlT_T0_E_clISt17integral_constantIbLb0EESZ_EEDaSU_SV_EUlSU_E_NS1_11comp_targetILNS1_3genE10ELNS1_11target_archE1200ELNS1_3gpuE4ELNS1_3repE0EEENS1_30default_config_static_selectorELNS0_4arch9wavefront6targetE1EEEvT1_
	.p2align	8
	.type	_ZN7rocprim17ROCPRIM_400000_NS6detail17trampoline_kernelINS0_14default_configENS1_33run_length_encode_config_selectorIjjNS0_4plusIjEEEEZZNS1_33reduce_by_key_impl_wrapped_configILNS1_25lookback_scan_determinismE0ES3_S7_PKjNS0_17constant_iteratorIjlEEPjPlSF_S6_NS0_8equal_toIjEEEE10hipError_tPvRmT2_T3_mT4_T5_T6_T7_T8_P12ihipStream_tbENKUlT_T0_E_clISt17integral_constantIbLb0EESZ_EEDaSU_SV_EUlSU_E_NS1_11comp_targetILNS1_3genE10ELNS1_11target_archE1200ELNS1_3gpuE4ELNS1_3repE0EEENS1_30default_config_static_selectorELNS0_4arch9wavefront6targetE1EEEvT1_,@function
_ZN7rocprim17ROCPRIM_400000_NS6detail17trampoline_kernelINS0_14default_configENS1_33run_length_encode_config_selectorIjjNS0_4plusIjEEEEZZNS1_33reduce_by_key_impl_wrapped_configILNS1_25lookback_scan_determinismE0ES3_S7_PKjNS0_17constant_iteratorIjlEEPjPlSF_S6_NS0_8equal_toIjEEEE10hipError_tPvRmT2_T3_mT4_T5_T6_T7_T8_P12ihipStream_tbENKUlT_T0_E_clISt17integral_constantIbLb0EESZ_EEDaSU_SV_EUlSU_E_NS1_11comp_targetILNS1_3genE10ELNS1_11target_archE1200ELNS1_3gpuE4ELNS1_3repE0EEENS1_30default_config_static_selectorELNS0_4arch9wavefront6targetE1EEEvT1_: ; @_ZN7rocprim17ROCPRIM_400000_NS6detail17trampoline_kernelINS0_14default_configENS1_33run_length_encode_config_selectorIjjNS0_4plusIjEEEEZZNS1_33reduce_by_key_impl_wrapped_configILNS1_25lookback_scan_determinismE0ES3_S7_PKjNS0_17constant_iteratorIjlEEPjPlSF_S6_NS0_8equal_toIjEEEE10hipError_tPvRmT2_T3_mT4_T5_T6_T7_T8_P12ihipStream_tbENKUlT_T0_E_clISt17integral_constantIbLb0EESZ_EEDaSU_SV_EUlSU_E_NS1_11comp_targetILNS1_3genE10ELNS1_11target_archE1200ELNS1_3gpuE4ELNS1_3repE0EEENS1_30default_config_static_selectorELNS0_4arch9wavefront6targetE1EEEvT1_
; %bb.0:
	.section	.rodata,"a",@progbits
	.p2align	6, 0x0
	.amdhsa_kernel _ZN7rocprim17ROCPRIM_400000_NS6detail17trampoline_kernelINS0_14default_configENS1_33run_length_encode_config_selectorIjjNS0_4plusIjEEEEZZNS1_33reduce_by_key_impl_wrapped_configILNS1_25lookback_scan_determinismE0ES3_S7_PKjNS0_17constant_iteratorIjlEEPjPlSF_S6_NS0_8equal_toIjEEEE10hipError_tPvRmT2_T3_mT4_T5_T6_T7_T8_P12ihipStream_tbENKUlT_T0_E_clISt17integral_constantIbLb0EESZ_EEDaSU_SV_EUlSU_E_NS1_11comp_targetILNS1_3genE10ELNS1_11target_archE1200ELNS1_3gpuE4ELNS1_3repE0EEENS1_30default_config_static_selectorELNS0_4arch9wavefront6targetE1EEEvT1_
		.amdhsa_group_segment_fixed_size 0
		.amdhsa_private_segment_fixed_size 0
		.amdhsa_kernarg_size 128
		.amdhsa_user_sgpr_count 6
		.amdhsa_user_sgpr_private_segment_buffer 1
		.amdhsa_user_sgpr_dispatch_ptr 0
		.amdhsa_user_sgpr_queue_ptr 0
		.amdhsa_user_sgpr_kernarg_segment_ptr 1
		.amdhsa_user_sgpr_dispatch_id 0
		.amdhsa_user_sgpr_flat_scratch_init 0
		.amdhsa_user_sgpr_kernarg_preload_length 0
		.amdhsa_user_sgpr_kernarg_preload_offset 0
		.amdhsa_user_sgpr_private_segment_size 0
		.amdhsa_uses_dynamic_stack 0
		.amdhsa_system_sgpr_private_segment_wavefront_offset 0
		.amdhsa_system_sgpr_workgroup_id_x 1
		.amdhsa_system_sgpr_workgroup_id_y 0
		.amdhsa_system_sgpr_workgroup_id_z 0
		.amdhsa_system_sgpr_workgroup_info 0
		.amdhsa_system_vgpr_workitem_id 0
		.amdhsa_next_free_vgpr 1
		.amdhsa_next_free_sgpr 0
		.amdhsa_accum_offset 4
		.amdhsa_reserve_vcc 0
		.amdhsa_reserve_flat_scratch 0
		.amdhsa_float_round_mode_32 0
		.amdhsa_float_round_mode_16_64 0
		.amdhsa_float_denorm_mode_32 3
		.amdhsa_float_denorm_mode_16_64 3
		.amdhsa_dx10_clamp 1
		.amdhsa_ieee_mode 1
		.amdhsa_fp16_overflow 0
		.amdhsa_tg_split 0
		.amdhsa_exception_fp_ieee_invalid_op 0
		.amdhsa_exception_fp_denorm_src 0
		.amdhsa_exception_fp_ieee_div_zero 0
		.amdhsa_exception_fp_ieee_overflow 0
		.amdhsa_exception_fp_ieee_underflow 0
		.amdhsa_exception_fp_ieee_inexact 0
		.amdhsa_exception_int_div_zero 0
	.end_amdhsa_kernel
	.section	.text._ZN7rocprim17ROCPRIM_400000_NS6detail17trampoline_kernelINS0_14default_configENS1_33run_length_encode_config_selectorIjjNS0_4plusIjEEEEZZNS1_33reduce_by_key_impl_wrapped_configILNS1_25lookback_scan_determinismE0ES3_S7_PKjNS0_17constant_iteratorIjlEEPjPlSF_S6_NS0_8equal_toIjEEEE10hipError_tPvRmT2_T3_mT4_T5_T6_T7_T8_P12ihipStream_tbENKUlT_T0_E_clISt17integral_constantIbLb0EESZ_EEDaSU_SV_EUlSU_E_NS1_11comp_targetILNS1_3genE10ELNS1_11target_archE1200ELNS1_3gpuE4ELNS1_3repE0EEENS1_30default_config_static_selectorELNS0_4arch9wavefront6targetE1EEEvT1_,"axG",@progbits,_ZN7rocprim17ROCPRIM_400000_NS6detail17trampoline_kernelINS0_14default_configENS1_33run_length_encode_config_selectorIjjNS0_4plusIjEEEEZZNS1_33reduce_by_key_impl_wrapped_configILNS1_25lookback_scan_determinismE0ES3_S7_PKjNS0_17constant_iteratorIjlEEPjPlSF_S6_NS0_8equal_toIjEEEE10hipError_tPvRmT2_T3_mT4_T5_T6_T7_T8_P12ihipStream_tbENKUlT_T0_E_clISt17integral_constantIbLb0EESZ_EEDaSU_SV_EUlSU_E_NS1_11comp_targetILNS1_3genE10ELNS1_11target_archE1200ELNS1_3gpuE4ELNS1_3repE0EEENS1_30default_config_static_selectorELNS0_4arch9wavefront6targetE1EEEvT1_,comdat
.Lfunc_end655:
	.size	_ZN7rocprim17ROCPRIM_400000_NS6detail17trampoline_kernelINS0_14default_configENS1_33run_length_encode_config_selectorIjjNS0_4plusIjEEEEZZNS1_33reduce_by_key_impl_wrapped_configILNS1_25lookback_scan_determinismE0ES3_S7_PKjNS0_17constant_iteratorIjlEEPjPlSF_S6_NS0_8equal_toIjEEEE10hipError_tPvRmT2_T3_mT4_T5_T6_T7_T8_P12ihipStream_tbENKUlT_T0_E_clISt17integral_constantIbLb0EESZ_EEDaSU_SV_EUlSU_E_NS1_11comp_targetILNS1_3genE10ELNS1_11target_archE1200ELNS1_3gpuE4ELNS1_3repE0EEENS1_30default_config_static_selectorELNS0_4arch9wavefront6targetE1EEEvT1_, .Lfunc_end655-_ZN7rocprim17ROCPRIM_400000_NS6detail17trampoline_kernelINS0_14default_configENS1_33run_length_encode_config_selectorIjjNS0_4plusIjEEEEZZNS1_33reduce_by_key_impl_wrapped_configILNS1_25lookback_scan_determinismE0ES3_S7_PKjNS0_17constant_iteratorIjlEEPjPlSF_S6_NS0_8equal_toIjEEEE10hipError_tPvRmT2_T3_mT4_T5_T6_T7_T8_P12ihipStream_tbENKUlT_T0_E_clISt17integral_constantIbLb0EESZ_EEDaSU_SV_EUlSU_E_NS1_11comp_targetILNS1_3genE10ELNS1_11target_archE1200ELNS1_3gpuE4ELNS1_3repE0EEENS1_30default_config_static_selectorELNS0_4arch9wavefront6targetE1EEEvT1_
                                        ; -- End function
	.section	.AMDGPU.csdata,"",@progbits
; Kernel info:
; codeLenInByte = 0
; NumSgprs: 4
; NumVgprs: 0
; NumAgprs: 0
; TotalNumVgprs: 0
; ScratchSize: 0
; MemoryBound: 0
; FloatMode: 240
; IeeeMode: 1
; LDSByteSize: 0 bytes/workgroup (compile time only)
; SGPRBlocks: 0
; VGPRBlocks: 0
; NumSGPRsForWavesPerEU: 4
; NumVGPRsForWavesPerEU: 1
; AccumOffset: 4
; Occupancy: 8
; WaveLimiterHint : 0
; COMPUTE_PGM_RSRC2:SCRATCH_EN: 0
; COMPUTE_PGM_RSRC2:USER_SGPR: 6
; COMPUTE_PGM_RSRC2:TRAP_HANDLER: 0
; COMPUTE_PGM_RSRC2:TGID_X_EN: 1
; COMPUTE_PGM_RSRC2:TGID_Y_EN: 0
; COMPUTE_PGM_RSRC2:TGID_Z_EN: 0
; COMPUTE_PGM_RSRC2:TIDIG_COMP_CNT: 0
; COMPUTE_PGM_RSRC3_GFX90A:ACCUM_OFFSET: 0
; COMPUTE_PGM_RSRC3_GFX90A:TG_SPLIT: 0
	.section	.text._ZN7rocprim17ROCPRIM_400000_NS6detail17trampoline_kernelINS0_14default_configENS1_33run_length_encode_config_selectorIjjNS0_4plusIjEEEEZZNS1_33reduce_by_key_impl_wrapped_configILNS1_25lookback_scan_determinismE0ES3_S7_PKjNS0_17constant_iteratorIjlEEPjPlSF_S6_NS0_8equal_toIjEEEE10hipError_tPvRmT2_T3_mT4_T5_T6_T7_T8_P12ihipStream_tbENKUlT_T0_E_clISt17integral_constantIbLb0EESZ_EEDaSU_SV_EUlSU_E_NS1_11comp_targetILNS1_3genE9ELNS1_11target_archE1100ELNS1_3gpuE3ELNS1_3repE0EEENS1_30default_config_static_selectorELNS0_4arch9wavefront6targetE1EEEvT1_,"axG",@progbits,_ZN7rocprim17ROCPRIM_400000_NS6detail17trampoline_kernelINS0_14default_configENS1_33run_length_encode_config_selectorIjjNS0_4plusIjEEEEZZNS1_33reduce_by_key_impl_wrapped_configILNS1_25lookback_scan_determinismE0ES3_S7_PKjNS0_17constant_iteratorIjlEEPjPlSF_S6_NS0_8equal_toIjEEEE10hipError_tPvRmT2_T3_mT4_T5_T6_T7_T8_P12ihipStream_tbENKUlT_T0_E_clISt17integral_constantIbLb0EESZ_EEDaSU_SV_EUlSU_E_NS1_11comp_targetILNS1_3genE9ELNS1_11target_archE1100ELNS1_3gpuE3ELNS1_3repE0EEENS1_30default_config_static_selectorELNS0_4arch9wavefront6targetE1EEEvT1_,comdat
	.protected	_ZN7rocprim17ROCPRIM_400000_NS6detail17trampoline_kernelINS0_14default_configENS1_33run_length_encode_config_selectorIjjNS0_4plusIjEEEEZZNS1_33reduce_by_key_impl_wrapped_configILNS1_25lookback_scan_determinismE0ES3_S7_PKjNS0_17constant_iteratorIjlEEPjPlSF_S6_NS0_8equal_toIjEEEE10hipError_tPvRmT2_T3_mT4_T5_T6_T7_T8_P12ihipStream_tbENKUlT_T0_E_clISt17integral_constantIbLb0EESZ_EEDaSU_SV_EUlSU_E_NS1_11comp_targetILNS1_3genE9ELNS1_11target_archE1100ELNS1_3gpuE3ELNS1_3repE0EEENS1_30default_config_static_selectorELNS0_4arch9wavefront6targetE1EEEvT1_ ; -- Begin function _ZN7rocprim17ROCPRIM_400000_NS6detail17trampoline_kernelINS0_14default_configENS1_33run_length_encode_config_selectorIjjNS0_4plusIjEEEEZZNS1_33reduce_by_key_impl_wrapped_configILNS1_25lookback_scan_determinismE0ES3_S7_PKjNS0_17constant_iteratorIjlEEPjPlSF_S6_NS0_8equal_toIjEEEE10hipError_tPvRmT2_T3_mT4_T5_T6_T7_T8_P12ihipStream_tbENKUlT_T0_E_clISt17integral_constantIbLb0EESZ_EEDaSU_SV_EUlSU_E_NS1_11comp_targetILNS1_3genE9ELNS1_11target_archE1100ELNS1_3gpuE3ELNS1_3repE0EEENS1_30default_config_static_selectorELNS0_4arch9wavefront6targetE1EEEvT1_
	.globl	_ZN7rocprim17ROCPRIM_400000_NS6detail17trampoline_kernelINS0_14default_configENS1_33run_length_encode_config_selectorIjjNS0_4plusIjEEEEZZNS1_33reduce_by_key_impl_wrapped_configILNS1_25lookback_scan_determinismE0ES3_S7_PKjNS0_17constant_iteratorIjlEEPjPlSF_S6_NS0_8equal_toIjEEEE10hipError_tPvRmT2_T3_mT4_T5_T6_T7_T8_P12ihipStream_tbENKUlT_T0_E_clISt17integral_constantIbLb0EESZ_EEDaSU_SV_EUlSU_E_NS1_11comp_targetILNS1_3genE9ELNS1_11target_archE1100ELNS1_3gpuE3ELNS1_3repE0EEENS1_30default_config_static_selectorELNS0_4arch9wavefront6targetE1EEEvT1_
	.p2align	8
	.type	_ZN7rocprim17ROCPRIM_400000_NS6detail17trampoline_kernelINS0_14default_configENS1_33run_length_encode_config_selectorIjjNS0_4plusIjEEEEZZNS1_33reduce_by_key_impl_wrapped_configILNS1_25lookback_scan_determinismE0ES3_S7_PKjNS0_17constant_iteratorIjlEEPjPlSF_S6_NS0_8equal_toIjEEEE10hipError_tPvRmT2_T3_mT4_T5_T6_T7_T8_P12ihipStream_tbENKUlT_T0_E_clISt17integral_constantIbLb0EESZ_EEDaSU_SV_EUlSU_E_NS1_11comp_targetILNS1_3genE9ELNS1_11target_archE1100ELNS1_3gpuE3ELNS1_3repE0EEENS1_30default_config_static_selectorELNS0_4arch9wavefront6targetE1EEEvT1_,@function
_ZN7rocprim17ROCPRIM_400000_NS6detail17trampoline_kernelINS0_14default_configENS1_33run_length_encode_config_selectorIjjNS0_4plusIjEEEEZZNS1_33reduce_by_key_impl_wrapped_configILNS1_25lookback_scan_determinismE0ES3_S7_PKjNS0_17constant_iteratorIjlEEPjPlSF_S6_NS0_8equal_toIjEEEE10hipError_tPvRmT2_T3_mT4_T5_T6_T7_T8_P12ihipStream_tbENKUlT_T0_E_clISt17integral_constantIbLb0EESZ_EEDaSU_SV_EUlSU_E_NS1_11comp_targetILNS1_3genE9ELNS1_11target_archE1100ELNS1_3gpuE3ELNS1_3repE0EEENS1_30default_config_static_selectorELNS0_4arch9wavefront6targetE1EEEvT1_: ; @_ZN7rocprim17ROCPRIM_400000_NS6detail17trampoline_kernelINS0_14default_configENS1_33run_length_encode_config_selectorIjjNS0_4plusIjEEEEZZNS1_33reduce_by_key_impl_wrapped_configILNS1_25lookback_scan_determinismE0ES3_S7_PKjNS0_17constant_iteratorIjlEEPjPlSF_S6_NS0_8equal_toIjEEEE10hipError_tPvRmT2_T3_mT4_T5_T6_T7_T8_P12ihipStream_tbENKUlT_T0_E_clISt17integral_constantIbLb0EESZ_EEDaSU_SV_EUlSU_E_NS1_11comp_targetILNS1_3genE9ELNS1_11target_archE1100ELNS1_3gpuE3ELNS1_3repE0EEENS1_30default_config_static_selectorELNS0_4arch9wavefront6targetE1EEEvT1_
; %bb.0:
	.section	.rodata,"a",@progbits
	.p2align	6, 0x0
	.amdhsa_kernel _ZN7rocprim17ROCPRIM_400000_NS6detail17trampoline_kernelINS0_14default_configENS1_33run_length_encode_config_selectorIjjNS0_4plusIjEEEEZZNS1_33reduce_by_key_impl_wrapped_configILNS1_25lookback_scan_determinismE0ES3_S7_PKjNS0_17constant_iteratorIjlEEPjPlSF_S6_NS0_8equal_toIjEEEE10hipError_tPvRmT2_T3_mT4_T5_T6_T7_T8_P12ihipStream_tbENKUlT_T0_E_clISt17integral_constantIbLb0EESZ_EEDaSU_SV_EUlSU_E_NS1_11comp_targetILNS1_3genE9ELNS1_11target_archE1100ELNS1_3gpuE3ELNS1_3repE0EEENS1_30default_config_static_selectorELNS0_4arch9wavefront6targetE1EEEvT1_
		.amdhsa_group_segment_fixed_size 0
		.amdhsa_private_segment_fixed_size 0
		.amdhsa_kernarg_size 128
		.amdhsa_user_sgpr_count 6
		.amdhsa_user_sgpr_private_segment_buffer 1
		.amdhsa_user_sgpr_dispatch_ptr 0
		.amdhsa_user_sgpr_queue_ptr 0
		.amdhsa_user_sgpr_kernarg_segment_ptr 1
		.amdhsa_user_sgpr_dispatch_id 0
		.amdhsa_user_sgpr_flat_scratch_init 0
		.amdhsa_user_sgpr_kernarg_preload_length 0
		.amdhsa_user_sgpr_kernarg_preload_offset 0
		.amdhsa_user_sgpr_private_segment_size 0
		.amdhsa_uses_dynamic_stack 0
		.amdhsa_system_sgpr_private_segment_wavefront_offset 0
		.amdhsa_system_sgpr_workgroup_id_x 1
		.amdhsa_system_sgpr_workgroup_id_y 0
		.amdhsa_system_sgpr_workgroup_id_z 0
		.amdhsa_system_sgpr_workgroup_info 0
		.amdhsa_system_vgpr_workitem_id 0
		.amdhsa_next_free_vgpr 1
		.amdhsa_next_free_sgpr 0
		.amdhsa_accum_offset 4
		.amdhsa_reserve_vcc 0
		.amdhsa_reserve_flat_scratch 0
		.amdhsa_float_round_mode_32 0
		.amdhsa_float_round_mode_16_64 0
		.amdhsa_float_denorm_mode_32 3
		.amdhsa_float_denorm_mode_16_64 3
		.amdhsa_dx10_clamp 1
		.amdhsa_ieee_mode 1
		.amdhsa_fp16_overflow 0
		.amdhsa_tg_split 0
		.amdhsa_exception_fp_ieee_invalid_op 0
		.amdhsa_exception_fp_denorm_src 0
		.amdhsa_exception_fp_ieee_div_zero 0
		.amdhsa_exception_fp_ieee_overflow 0
		.amdhsa_exception_fp_ieee_underflow 0
		.amdhsa_exception_fp_ieee_inexact 0
		.amdhsa_exception_int_div_zero 0
	.end_amdhsa_kernel
	.section	.text._ZN7rocprim17ROCPRIM_400000_NS6detail17trampoline_kernelINS0_14default_configENS1_33run_length_encode_config_selectorIjjNS0_4plusIjEEEEZZNS1_33reduce_by_key_impl_wrapped_configILNS1_25lookback_scan_determinismE0ES3_S7_PKjNS0_17constant_iteratorIjlEEPjPlSF_S6_NS0_8equal_toIjEEEE10hipError_tPvRmT2_T3_mT4_T5_T6_T7_T8_P12ihipStream_tbENKUlT_T0_E_clISt17integral_constantIbLb0EESZ_EEDaSU_SV_EUlSU_E_NS1_11comp_targetILNS1_3genE9ELNS1_11target_archE1100ELNS1_3gpuE3ELNS1_3repE0EEENS1_30default_config_static_selectorELNS0_4arch9wavefront6targetE1EEEvT1_,"axG",@progbits,_ZN7rocprim17ROCPRIM_400000_NS6detail17trampoline_kernelINS0_14default_configENS1_33run_length_encode_config_selectorIjjNS0_4plusIjEEEEZZNS1_33reduce_by_key_impl_wrapped_configILNS1_25lookback_scan_determinismE0ES3_S7_PKjNS0_17constant_iteratorIjlEEPjPlSF_S6_NS0_8equal_toIjEEEE10hipError_tPvRmT2_T3_mT4_T5_T6_T7_T8_P12ihipStream_tbENKUlT_T0_E_clISt17integral_constantIbLb0EESZ_EEDaSU_SV_EUlSU_E_NS1_11comp_targetILNS1_3genE9ELNS1_11target_archE1100ELNS1_3gpuE3ELNS1_3repE0EEENS1_30default_config_static_selectorELNS0_4arch9wavefront6targetE1EEEvT1_,comdat
.Lfunc_end656:
	.size	_ZN7rocprim17ROCPRIM_400000_NS6detail17trampoline_kernelINS0_14default_configENS1_33run_length_encode_config_selectorIjjNS0_4plusIjEEEEZZNS1_33reduce_by_key_impl_wrapped_configILNS1_25lookback_scan_determinismE0ES3_S7_PKjNS0_17constant_iteratorIjlEEPjPlSF_S6_NS0_8equal_toIjEEEE10hipError_tPvRmT2_T3_mT4_T5_T6_T7_T8_P12ihipStream_tbENKUlT_T0_E_clISt17integral_constantIbLb0EESZ_EEDaSU_SV_EUlSU_E_NS1_11comp_targetILNS1_3genE9ELNS1_11target_archE1100ELNS1_3gpuE3ELNS1_3repE0EEENS1_30default_config_static_selectorELNS0_4arch9wavefront6targetE1EEEvT1_, .Lfunc_end656-_ZN7rocprim17ROCPRIM_400000_NS6detail17trampoline_kernelINS0_14default_configENS1_33run_length_encode_config_selectorIjjNS0_4plusIjEEEEZZNS1_33reduce_by_key_impl_wrapped_configILNS1_25lookback_scan_determinismE0ES3_S7_PKjNS0_17constant_iteratorIjlEEPjPlSF_S6_NS0_8equal_toIjEEEE10hipError_tPvRmT2_T3_mT4_T5_T6_T7_T8_P12ihipStream_tbENKUlT_T0_E_clISt17integral_constantIbLb0EESZ_EEDaSU_SV_EUlSU_E_NS1_11comp_targetILNS1_3genE9ELNS1_11target_archE1100ELNS1_3gpuE3ELNS1_3repE0EEENS1_30default_config_static_selectorELNS0_4arch9wavefront6targetE1EEEvT1_
                                        ; -- End function
	.section	.AMDGPU.csdata,"",@progbits
; Kernel info:
; codeLenInByte = 0
; NumSgprs: 4
; NumVgprs: 0
; NumAgprs: 0
; TotalNumVgprs: 0
; ScratchSize: 0
; MemoryBound: 0
; FloatMode: 240
; IeeeMode: 1
; LDSByteSize: 0 bytes/workgroup (compile time only)
; SGPRBlocks: 0
; VGPRBlocks: 0
; NumSGPRsForWavesPerEU: 4
; NumVGPRsForWavesPerEU: 1
; AccumOffset: 4
; Occupancy: 8
; WaveLimiterHint : 0
; COMPUTE_PGM_RSRC2:SCRATCH_EN: 0
; COMPUTE_PGM_RSRC2:USER_SGPR: 6
; COMPUTE_PGM_RSRC2:TRAP_HANDLER: 0
; COMPUTE_PGM_RSRC2:TGID_X_EN: 1
; COMPUTE_PGM_RSRC2:TGID_Y_EN: 0
; COMPUTE_PGM_RSRC2:TGID_Z_EN: 0
; COMPUTE_PGM_RSRC2:TIDIG_COMP_CNT: 0
; COMPUTE_PGM_RSRC3_GFX90A:ACCUM_OFFSET: 0
; COMPUTE_PGM_RSRC3_GFX90A:TG_SPLIT: 0
	.section	.text._ZN7rocprim17ROCPRIM_400000_NS6detail17trampoline_kernelINS0_14default_configENS1_33run_length_encode_config_selectorIjjNS0_4plusIjEEEEZZNS1_33reduce_by_key_impl_wrapped_configILNS1_25lookback_scan_determinismE0ES3_S7_PKjNS0_17constant_iteratorIjlEEPjPlSF_S6_NS0_8equal_toIjEEEE10hipError_tPvRmT2_T3_mT4_T5_T6_T7_T8_P12ihipStream_tbENKUlT_T0_E_clISt17integral_constantIbLb0EESZ_EEDaSU_SV_EUlSU_E_NS1_11comp_targetILNS1_3genE8ELNS1_11target_archE1030ELNS1_3gpuE2ELNS1_3repE0EEENS1_30default_config_static_selectorELNS0_4arch9wavefront6targetE1EEEvT1_,"axG",@progbits,_ZN7rocprim17ROCPRIM_400000_NS6detail17trampoline_kernelINS0_14default_configENS1_33run_length_encode_config_selectorIjjNS0_4plusIjEEEEZZNS1_33reduce_by_key_impl_wrapped_configILNS1_25lookback_scan_determinismE0ES3_S7_PKjNS0_17constant_iteratorIjlEEPjPlSF_S6_NS0_8equal_toIjEEEE10hipError_tPvRmT2_T3_mT4_T5_T6_T7_T8_P12ihipStream_tbENKUlT_T0_E_clISt17integral_constantIbLb0EESZ_EEDaSU_SV_EUlSU_E_NS1_11comp_targetILNS1_3genE8ELNS1_11target_archE1030ELNS1_3gpuE2ELNS1_3repE0EEENS1_30default_config_static_selectorELNS0_4arch9wavefront6targetE1EEEvT1_,comdat
	.protected	_ZN7rocprim17ROCPRIM_400000_NS6detail17trampoline_kernelINS0_14default_configENS1_33run_length_encode_config_selectorIjjNS0_4plusIjEEEEZZNS1_33reduce_by_key_impl_wrapped_configILNS1_25lookback_scan_determinismE0ES3_S7_PKjNS0_17constant_iteratorIjlEEPjPlSF_S6_NS0_8equal_toIjEEEE10hipError_tPvRmT2_T3_mT4_T5_T6_T7_T8_P12ihipStream_tbENKUlT_T0_E_clISt17integral_constantIbLb0EESZ_EEDaSU_SV_EUlSU_E_NS1_11comp_targetILNS1_3genE8ELNS1_11target_archE1030ELNS1_3gpuE2ELNS1_3repE0EEENS1_30default_config_static_selectorELNS0_4arch9wavefront6targetE1EEEvT1_ ; -- Begin function _ZN7rocprim17ROCPRIM_400000_NS6detail17trampoline_kernelINS0_14default_configENS1_33run_length_encode_config_selectorIjjNS0_4plusIjEEEEZZNS1_33reduce_by_key_impl_wrapped_configILNS1_25lookback_scan_determinismE0ES3_S7_PKjNS0_17constant_iteratorIjlEEPjPlSF_S6_NS0_8equal_toIjEEEE10hipError_tPvRmT2_T3_mT4_T5_T6_T7_T8_P12ihipStream_tbENKUlT_T0_E_clISt17integral_constantIbLb0EESZ_EEDaSU_SV_EUlSU_E_NS1_11comp_targetILNS1_3genE8ELNS1_11target_archE1030ELNS1_3gpuE2ELNS1_3repE0EEENS1_30default_config_static_selectorELNS0_4arch9wavefront6targetE1EEEvT1_
	.globl	_ZN7rocprim17ROCPRIM_400000_NS6detail17trampoline_kernelINS0_14default_configENS1_33run_length_encode_config_selectorIjjNS0_4plusIjEEEEZZNS1_33reduce_by_key_impl_wrapped_configILNS1_25lookback_scan_determinismE0ES3_S7_PKjNS0_17constant_iteratorIjlEEPjPlSF_S6_NS0_8equal_toIjEEEE10hipError_tPvRmT2_T3_mT4_T5_T6_T7_T8_P12ihipStream_tbENKUlT_T0_E_clISt17integral_constantIbLb0EESZ_EEDaSU_SV_EUlSU_E_NS1_11comp_targetILNS1_3genE8ELNS1_11target_archE1030ELNS1_3gpuE2ELNS1_3repE0EEENS1_30default_config_static_selectorELNS0_4arch9wavefront6targetE1EEEvT1_
	.p2align	8
	.type	_ZN7rocprim17ROCPRIM_400000_NS6detail17trampoline_kernelINS0_14default_configENS1_33run_length_encode_config_selectorIjjNS0_4plusIjEEEEZZNS1_33reduce_by_key_impl_wrapped_configILNS1_25lookback_scan_determinismE0ES3_S7_PKjNS0_17constant_iteratorIjlEEPjPlSF_S6_NS0_8equal_toIjEEEE10hipError_tPvRmT2_T3_mT4_T5_T6_T7_T8_P12ihipStream_tbENKUlT_T0_E_clISt17integral_constantIbLb0EESZ_EEDaSU_SV_EUlSU_E_NS1_11comp_targetILNS1_3genE8ELNS1_11target_archE1030ELNS1_3gpuE2ELNS1_3repE0EEENS1_30default_config_static_selectorELNS0_4arch9wavefront6targetE1EEEvT1_,@function
_ZN7rocprim17ROCPRIM_400000_NS6detail17trampoline_kernelINS0_14default_configENS1_33run_length_encode_config_selectorIjjNS0_4plusIjEEEEZZNS1_33reduce_by_key_impl_wrapped_configILNS1_25lookback_scan_determinismE0ES3_S7_PKjNS0_17constant_iteratorIjlEEPjPlSF_S6_NS0_8equal_toIjEEEE10hipError_tPvRmT2_T3_mT4_T5_T6_T7_T8_P12ihipStream_tbENKUlT_T0_E_clISt17integral_constantIbLb0EESZ_EEDaSU_SV_EUlSU_E_NS1_11comp_targetILNS1_3genE8ELNS1_11target_archE1030ELNS1_3gpuE2ELNS1_3repE0EEENS1_30default_config_static_selectorELNS0_4arch9wavefront6targetE1EEEvT1_: ; @_ZN7rocprim17ROCPRIM_400000_NS6detail17trampoline_kernelINS0_14default_configENS1_33run_length_encode_config_selectorIjjNS0_4plusIjEEEEZZNS1_33reduce_by_key_impl_wrapped_configILNS1_25lookback_scan_determinismE0ES3_S7_PKjNS0_17constant_iteratorIjlEEPjPlSF_S6_NS0_8equal_toIjEEEE10hipError_tPvRmT2_T3_mT4_T5_T6_T7_T8_P12ihipStream_tbENKUlT_T0_E_clISt17integral_constantIbLb0EESZ_EEDaSU_SV_EUlSU_E_NS1_11comp_targetILNS1_3genE8ELNS1_11target_archE1030ELNS1_3gpuE2ELNS1_3repE0EEENS1_30default_config_static_selectorELNS0_4arch9wavefront6targetE1EEEvT1_
; %bb.0:
	.section	.rodata,"a",@progbits
	.p2align	6, 0x0
	.amdhsa_kernel _ZN7rocprim17ROCPRIM_400000_NS6detail17trampoline_kernelINS0_14default_configENS1_33run_length_encode_config_selectorIjjNS0_4plusIjEEEEZZNS1_33reduce_by_key_impl_wrapped_configILNS1_25lookback_scan_determinismE0ES3_S7_PKjNS0_17constant_iteratorIjlEEPjPlSF_S6_NS0_8equal_toIjEEEE10hipError_tPvRmT2_T3_mT4_T5_T6_T7_T8_P12ihipStream_tbENKUlT_T0_E_clISt17integral_constantIbLb0EESZ_EEDaSU_SV_EUlSU_E_NS1_11comp_targetILNS1_3genE8ELNS1_11target_archE1030ELNS1_3gpuE2ELNS1_3repE0EEENS1_30default_config_static_selectorELNS0_4arch9wavefront6targetE1EEEvT1_
		.amdhsa_group_segment_fixed_size 0
		.amdhsa_private_segment_fixed_size 0
		.amdhsa_kernarg_size 128
		.amdhsa_user_sgpr_count 6
		.amdhsa_user_sgpr_private_segment_buffer 1
		.amdhsa_user_sgpr_dispatch_ptr 0
		.amdhsa_user_sgpr_queue_ptr 0
		.amdhsa_user_sgpr_kernarg_segment_ptr 1
		.amdhsa_user_sgpr_dispatch_id 0
		.amdhsa_user_sgpr_flat_scratch_init 0
		.amdhsa_user_sgpr_kernarg_preload_length 0
		.amdhsa_user_sgpr_kernarg_preload_offset 0
		.amdhsa_user_sgpr_private_segment_size 0
		.amdhsa_uses_dynamic_stack 0
		.amdhsa_system_sgpr_private_segment_wavefront_offset 0
		.amdhsa_system_sgpr_workgroup_id_x 1
		.amdhsa_system_sgpr_workgroup_id_y 0
		.amdhsa_system_sgpr_workgroup_id_z 0
		.amdhsa_system_sgpr_workgroup_info 0
		.amdhsa_system_vgpr_workitem_id 0
		.amdhsa_next_free_vgpr 1
		.amdhsa_next_free_sgpr 0
		.amdhsa_accum_offset 4
		.amdhsa_reserve_vcc 0
		.amdhsa_reserve_flat_scratch 0
		.amdhsa_float_round_mode_32 0
		.amdhsa_float_round_mode_16_64 0
		.amdhsa_float_denorm_mode_32 3
		.amdhsa_float_denorm_mode_16_64 3
		.amdhsa_dx10_clamp 1
		.amdhsa_ieee_mode 1
		.amdhsa_fp16_overflow 0
		.amdhsa_tg_split 0
		.amdhsa_exception_fp_ieee_invalid_op 0
		.amdhsa_exception_fp_denorm_src 0
		.amdhsa_exception_fp_ieee_div_zero 0
		.amdhsa_exception_fp_ieee_overflow 0
		.amdhsa_exception_fp_ieee_underflow 0
		.amdhsa_exception_fp_ieee_inexact 0
		.amdhsa_exception_int_div_zero 0
	.end_amdhsa_kernel
	.section	.text._ZN7rocprim17ROCPRIM_400000_NS6detail17trampoline_kernelINS0_14default_configENS1_33run_length_encode_config_selectorIjjNS0_4plusIjEEEEZZNS1_33reduce_by_key_impl_wrapped_configILNS1_25lookback_scan_determinismE0ES3_S7_PKjNS0_17constant_iteratorIjlEEPjPlSF_S6_NS0_8equal_toIjEEEE10hipError_tPvRmT2_T3_mT4_T5_T6_T7_T8_P12ihipStream_tbENKUlT_T0_E_clISt17integral_constantIbLb0EESZ_EEDaSU_SV_EUlSU_E_NS1_11comp_targetILNS1_3genE8ELNS1_11target_archE1030ELNS1_3gpuE2ELNS1_3repE0EEENS1_30default_config_static_selectorELNS0_4arch9wavefront6targetE1EEEvT1_,"axG",@progbits,_ZN7rocprim17ROCPRIM_400000_NS6detail17trampoline_kernelINS0_14default_configENS1_33run_length_encode_config_selectorIjjNS0_4plusIjEEEEZZNS1_33reduce_by_key_impl_wrapped_configILNS1_25lookback_scan_determinismE0ES3_S7_PKjNS0_17constant_iteratorIjlEEPjPlSF_S6_NS0_8equal_toIjEEEE10hipError_tPvRmT2_T3_mT4_T5_T6_T7_T8_P12ihipStream_tbENKUlT_T0_E_clISt17integral_constantIbLb0EESZ_EEDaSU_SV_EUlSU_E_NS1_11comp_targetILNS1_3genE8ELNS1_11target_archE1030ELNS1_3gpuE2ELNS1_3repE0EEENS1_30default_config_static_selectorELNS0_4arch9wavefront6targetE1EEEvT1_,comdat
.Lfunc_end657:
	.size	_ZN7rocprim17ROCPRIM_400000_NS6detail17trampoline_kernelINS0_14default_configENS1_33run_length_encode_config_selectorIjjNS0_4plusIjEEEEZZNS1_33reduce_by_key_impl_wrapped_configILNS1_25lookback_scan_determinismE0ES3_S7_PKjNS0_17constant_iteratorIjlEEPjPlSF_S6_NS0_8equal_toIjEEEE10hipError_tPvRmT2_T3_mT4_T5_T6_T7_T8_P12ihipStream_tbENKUlT_T0_E_clISt17integral_constantIbLb0EESZ_EEDaSU_SV_EUlSU_E_NS1_11comp_targetILNS1_3genE8ELNS1_11target_archE1030ELNS1_3gpuE2ELNS1_3repE0EEENS1_30default_config_static_selectorELNS0_4arch9wavefront6targetE1EEEvT1_, .Lfunc_end657-_ZN7rocprim17ROCPRIM_400000_NS6detail17trampoline_kernelINS0_14default_configENS1_33run_length_encode_config_selectorIjjNS0_4plusIjEEEEZZNS1_33reduce_by_key_impl_wrapped_configILNS1_25lookback_scan_determinismE0ES3_S7_PKjNS0_17constant_iteratorIjlEEPjPlSF_S6_NS0_8equal_toIjEEEE10hipError_tPvRmT2_T3_mT4_T5_T6_T7_T8_P12ihipStream_tbENKUlT_T0_E_clISt17integral_constantIbLb0EESZ_EEDaSU_SV_EUlSU_E_NS1_11comp_targetILNS1_3genE8ELNS1_11target_archE1030ELNS1_3gpuE2ELNS1_3repE0EEENS1_30default_config_static_selectorELNS0_4arch9wavefront6targetE1EEEvT1_
                                        ; -- End function
	.section	.AMDGPU.csdata,"",@progbits
; Kernel info:
; codeLenInByte = 0
; NumSgprs: 4
; NumVgprs: 0
; NumAgprs: 0
; TotalNumVgprs: 0
; ScratchSize: 0
; MemoryBound: 0
; FloatMode: 240
; IeeeMode: 1
; LDSByteSize: 0 bytes/workgroup (compile time only)
; SGPRBlocks: 0
; VGPRBlocks: 0
; NumSGPRsForWavesPerEU: 4
; NumVGPRsForWavesPerEU: 1
; AccumOffset: 4
; Occupancy: 8
; WaveLimiterHint : 0
; COMPUTE_PGM_RSRC2:SCRATCH_EN: 0
; COMPUTE_PGM_RSRC2:USER_SGPR: 6
; COMPUTE_PGM_RSRC2:TRAP_HANDLER: 0
; COMPUTE_PGM_RSRC2:TGID_X_EN: 1
; COMPUTE_PGM_RSRC2:TGID_Y_EN: 0
; COMPUTE_PGM_RSRC2:TGID_Z_EN: 0
; COMPUTE_PGM_RSRC2:TIDIG_COMP_CNT: 0
; COMPUTE_PGM_RSRC3_GFX90A:ACCUM_OFFSET: 0
; COMPUTE_PGM_RSRC3_GFX90A:TG_SPLIT: 0
	.section	.text._ZN7rocprim17ROCPRIM_400000_NS6detail17trampoline_kernelINS0_14default_configENS1_33run_length_encode_config_selectorIjjNS0_4plusIjEEEEZZNS1_33reduce_by_key_impl_wrapped_configILNS1_25lookback_scan_determinismE0ES3_S7_PKjNS0_17constant_iteratorIjlEEPjPlSF_S6_NS0_8equal_toIjEEEE10hipError_tPvRmT2_T3_mT4_T5_T6_T7_T8_P12ihipStream_tbENKUlT_T0_E_clISt17integral_constantIbLb1EESZ_EEDaSU_SV_EUlSU_E_NS1_11comp_targetILNS1_3genE0ELNS1_11target_archE4294967295ELNS1_3gpuE0ELNS1_3repE0EEENS1_30default_config_static_selectorELNS0_4arch9wavefront6targetE1EEEvT1_,"axG",@progbits,_ZN7rocprim17ROCPRIM_400000_NS6detail17trampoline_kernelINS0_14default_configENS1_33run_length_encode_config_selectorIjjNS0_4plusIjEEEEZZNS1_33reduce_by_key_impl_wrapped_configILNS1_25lookback_scan_determinismE0ES3_S7_PKjNS0_17constant_iteratorIjlEEPjPlSF_S6_NS0_8equal_toIjEEEE10hipError_tPvRmT2_T3_mT4_T5_T6_T7_T8_P12ihipStream_tbENKUlT_T0_E_clISt17integral_constantIbLb1EESZ_EEDaSU_SV_EUlSU_E_NS1_11comp_targetILNS1_3genE0ELNS1_11target_archE4294967295ELNS1_3gpuE0ELNS1_3repE0EEENS1_30default_config_static_selectorELNS0_4arch9wavefront6targetE1EEEvT1_,comdat
	.protected	_ZN7rocprim17ROCPRIM_400000_NS6detail17trampoline_kernelINS0_14default_configENS1_33run_length_encode_config_selectorIjjNS0_4plusIjEEEEZZNS1_33reduce_by_key_impl_wrapped_configILNS1_25lookback_scan_determinismE0ES3_S7_PKjNS0_17constant_iteratorIjlEEPjPlSF_S6_NS0_8equal_toIjEEEE10hipError_tPvRmT2_T3_mT4_T5_T6_T7_T8_P12ihipStream_tbENKUlT_T0_E_clISt17integral_constantIbLb1EESZ_EEDaSU_SV_EUlSU_E_NS1_11comp_targetILNS1_3genE0ELNS1_11target_archE4294967295ELNS1_3gpuE0ELNS1_3repE0EEENS1_30default_config_static_selectorELNS0_4arch9wavefront6targetE1EEEvT1_ ; -- Begin function _ZN7rocprim17ROCPRIM_400000_NS6detail17trampoline_kernelINS0_14default_configENS1_33run_length_encode_config_selectorIjjNS0_4plusIjEEEEZZNS1_33reduce_by_key_impl_wrapped_configILNS1_25lookback_scan_determinismE0ES3_S7_PKjNS0_17constant_iteratorIjlEEPjPlSF_S6_NS0_8equal_toIjEEEE10hipError_tPvRmT2_T3_mT4_T5_T6_T7_T8_P12ihipStream_tbENKUlT_T0_E_clISt17integral_constantIbLb1EESZ_EEDaSU_SV_EUlSU_E_NS1_11comp_targetILNS1_3genE0ELNS1_11target_archE4294967295ELNS1_3gpuE0ELNS1_3repE0EEENS1_30default_config_static_selectorELNS0_4arch9wavefront6targetE1EEEvT1_
	.globl	_ZN7rocprim17ROCPRIM_400000_NS6detail17trampoline_kernelINS0_14default_configENS1_33run_length_encode_config_selectorIjjNS0_4plusIjEEEEZZNS1_33reduce_by_key_impl_wrapped_configILNS1_25lookback_scan_determinismE0ES3_S7_PKjNS0_17constant_iteratorIjlEEPjPlSF_S6_NS0_8equal_toIjEEEE10hipError_tPvRmT2_T3_mT4_T5_T6_T7_T8_P12ihipStream_tbENKUlT_T0_E_clISt17integral_constantIbLb1EESZ_EEDaSU_SV_EUlSU_E_NS1_11comp_targetILNS1_3genE0ELNS1_11target_archE4294967295ELNS1_3gpuE0ELNS1_3repE0EEENS1_30default_config_static_selectorELNS0_4arch9wavefront6targetE1EEEvT1_
	.p2align	8
	.type	_ZN7rocprim17ROCPRIM_400000_NS6detail17trampoline_kernelINS0_14default_configENS1_33run_length_encode_config_selectorIjjNS0_4plusIjEEEEZZNS1_33reduce_by_key_impl_wrapped_configILNS1_25lookback_scan_determinismE0ES3_S7_PKjNS0_17constant_iteratorIjlEEPjPlSF_S6_NS0_8equal_toIjEEEE10hipError_tPvRmT2_T3_mT4_T5_T6_T7_T8_P12ihipStream_tbENKUlT_T0_E_clISt17integral_constantIbLb1EESZ_EEDaSU_SV_EUlSU_E_NS1_11comp_targetILNS1_3genE0ELNS1_11target_archE4294967295ELNS1_3gpuE0ELNS1_3repE0EEENS1_30default_config_static_selectorELNS0_4arch9wavefront6targetE1EEEvT1_,@function
_ZN7rocprim17ROCPRIM_400000_NS6detail17trampoline_kernelINS0_14default_configENS1_33run_length_encode_config_selectorIjjNS0_4plusIjEEEEZZNS1_33reduce_by_key_impl_wrapped_configILNS1_25lookback_scan_determinismE0ES3_S7_PKjNS0_17constant_iteratorIjlEEPjPlSF_S6_NS0_8equal_toIjEEEE10hipError_tPvRmT2_T3_mT4_T5_T6_T7_T8_P12ihipStream_tbENKUlT_T0_E_clISt17integral_constantIbLb1EESZ_EEDaSU_SV_EUlSU_E_NS1_11comp_targetILNS1_3genE0ELNS1_11target_archE4294967295ELNS1_3gpuE0ELNS1_3repE0EEENS1_30default_config_static_selectorELNS0_4arch9wavefront6targetE1EEEvT1_: ; @_ZN7rocprim17ROCPRIM_400000_NS6detail17trampoline_kernelINS0_14default_configENS1_33run_length_encode_config_selectorIjjNS0_4plusIjEEEEZZNS1_33reduce_by_key_impl_wrapped_configILNS1_25lookback_scan_determinismE0ES3_S7_PKjNS0_17constant_iteratorIjlEEPjPlSF_S6_NS0_8equal_toIjEEEE10hipError_tPvRmT2_T3_mT4_T5_T6_T7_T8_P12ihipStream_tbENKUlT_T0_E_clISt17integral_constantIbLb1EESZ_EEDaSU_SV_EUlSU_E_NS1_11comp_targetILNS1_3genE0ELNS1_11target_archE4294967295ELNS1_3gpuE0ELNS1_3repE0EEENS1_30default_config_static_selectorELNS0_4arch9wavefront6targetE1EEEvT1_
; %bb.0:
	.section	.rodata,"a",@progbits
	.p2align	6, 0x0
	.amdhsa_kernel _ZN7rocprim17ROCPRIM_400000_NS6detail17trampoline_kernelINS0_14default_configENS1_33run_length_encode_config_selectorIjjNS0_4plusIjEEEEZZNS1_33reduce_by_key_impl_wrapped_configILNS1_25lookback_scan_determinismE0ES3_S7_PKjNS0_17constant_iteratorIjlEEPjPlSF_S6_NS0_8equal_toIjEEEE10hipError_tPvRmT2_T3_mT4_T5_T6_T7_T8_P12ihipStream_tbENKUlT_T0_E_clISt17integral_constantIbLb1EESZ_EEDaSU_SV_EUlSU_E_NS1_11comp_targetILNS1_3genE0ELNS1_11target_archE4294967295ELNS1_3gpuE0ELNS1_3repE0EEENS1_30default_config_static_selectorELNS0_4arch9wavefront6targetE1EEEvT1_
		.amdhsa_group_segment_fixed_size 0
		.amdhsa_private_segment_fixed_size 0
		.amdhsa_kernarg_size 128
		.amdhsa_user_sgpr_count 6
		.amdhsa_user_sgpr_private_segment_buffer 1
		.amdhsa_user_sgpr_dispatch_ptr 0
		.amdhsa_user_sgpr_queue_ptr 0
		.amdhsa_user_sgpr_kernarg_segment_ptr 1
		.amdhsa_user_sgpr_dispatch_id 0
		.amdhsa_user_sgpr_flat_scratch_init 0
		.amdhsa_user_sgpr_kernarg_preload_length 0
		.amdhsa_user_sgpr_kernarg_preload_offset 0
		.amdhsa_user_sgpr_private_segment_size 0
		.amdhsa_uses_dynamic_stack 0
		.amdhsa_system_sgpr_private_segment_wavefront_offset 0
		.amdhsa_system_sgpr_workgroup_id_x 1
		.amdhsa_system_sgpr_workgroup_id_y 0
		.amdhsa_system_sgpr_workgroup_id_z 0
		.amdhsa_system_sgpr_workgroup_info 0
		.amdhsa_system_vgpr_workitem_id 0
		.amdhsa_next_free_vgpr 1
		.amdhsa_next_free_sgpr 0
		.amdhsa_accum_offset 4
		.amdhsa_reserve_vcc 0
		.amdhsa_reserve_flat_scratch 0
		.amdhsa_float_round_mode_32 0
		.amdhsa_float_round_mode_16_64 0
		.amdhsa_float_denorm_mode_32 3
		.amdhsa_float_denorm_mode_16_64 3
		.amdhsa_dx10_clamp 1
		.amdhsa_ieee_mode 1
		.amdhsa_fp16_overflow 0
		.amdhsa_tg_split 0
		.amdhsa_exception_fp_ieee_invalid_op 0
		.amdhsa_exception_fp_denorm_src 0
		.amdhsa_exception_fp_ieee_div_zero 0
		.amdhsa_exception_fp_ieee_overflow 0
		.amdhsa_exception_fp_ieee_underflow 0
		.amdhsa_exception_fp_ieee_inexact 0
		.amdhsa_exception_int_div_zero 0
	.end_amdhsa_kernel
	.section	.text._ZN7rocprim17ROCPRIM_400000_NS6detail17trampoline_kernelINS0_14default_configENS1_33run_length_encode_config_selectorIjjNS0_4plusIjEEEEZZNS1_33reduce_by_key_impl_wrapped_configILNS1_25lookback_scan_determinismE0ES3_S7_PKjNS0_17constant_iteratorIjlEEPjPlSF_S6_NS0_8equal_toIjEEEE10hipError_tPvRmT2_T3_mT4_T5_T6_T7_T8_P12ihipStream_tbENKUlT_T0_E_clISt17integral_constantIbLb1EESZ_EEDaSU_SV_EUlSU_E_NS1_11comp_targetILNS1_3genE0ELNS1_11target_archE4294967295ELNS1_3gpuE0ELNS1_3repE0EEENS1_30default_config_static_selectorELNS0_4arch9wavefront6targetE1EEEvT1_,"axG",@progbits,_ZN7rocprim17ROCPRIM_400000_NS6detail17trampoline_kernelINS0_14default_configENS1_33run_length_encode_config_selectorIjjNS0_4plusIjEEEEZZNS1_33reduce_by_key_impl_wrapped_configILNS1_25lookback_scan_determinismE0ES3_S7_PKjNS0_17constant_iteratorIjlEEPjPlSF_S6_NS0_8equal_toIjEEEE10hipError_tPvRmT2_T3_mT4_T5_T6_T7_T8_P12ihipStream_tbENKUlT_T0_E_clISt17integral_constantIbLb1EESZ_EEDaSU_SV_EUlSU_E_NS1_11comp_targetILNS1_3genE0ELNS1_11target_archE4294967295ELNS1_3gpuE0ELNS1_3repE0EEENS1_30default_config_static_selectorELNS0_4arch9wavefront6targetE1EEEvT1_,comdat
.Lfunc_end658:
	.size	_ZN7rocprim17ROCPRIM_400000_NS6detail17trampoline_kernelINS0_14default_configENS1_33run_length_encode_config_selectorIjjNS0_4plusIjEEEEZZNS1_33reduce_by_key_impl_wrapped_configILNS1_25lookback_scan_determinismE0ES3_S7_PKjNS0_17constant_iteratorIjlEEPjPlSF_S6_NS0_8equal_toIjEEEE10hipError_tPvRmT2_T3_mT4_T5_T6_T7_T8_P12ihipStream_tbENKUlT_T0_E_clISt17integral_constantIbLb1EESZ_EEDaSU_SV_EUlSU_E_NS1_11comp_targetILNS1_3genE0ELNS1_11target_archE4294967295ELNS1_3gpuE0ELNS1_3repE0EEENS1_30default_config_static_selectorELNS0_4arch9wavefront6targetE1EEEvT1_, .Lfunc_end658-_ZN7rocprim17ROCPRIM_400000_NS6detail17trampoline_kernelINS0_14default_configENS1_33run_length_encode_config_selectorIjjNS0_4plusIjEEEEZZNS1_33reduce_by_key_impl_wrapped_configILNS1_25lookback_scan_determinismE0ES3_S7_PKjNS0_17constant_iteratorIjlEEPjPlSF_S6_NS0_8equal_toIjEEEE10hipError_tPvRmT2_T3_mT4_T5_T6_T7_T8_P12ihipStream_tbENKUlT_T0_E_clISt17integral_constantIbLb1EESZ_EEDaSU_SV_EUlSU_E_NS1_11comp_targetILNS1_3genE0ELNS1_11target_archE4294967295ELNS1_3gpuE0ELNS1_3repE0EEENS1_30default_config_static_selectorELNS0_4arch9wavefront6targetE1EEEvT1_
                                        ; -- End function
	.section	.AMDGPU.csdata,"",@progbits
; Kernel info:
; codeLenInByte = 0
; NumSgprs: 4
; NumVgprs: 0
; NumAgprs: 0
; TotalNumVgprs: 0
; ScratchSize: 0
; MemoryBound: 0
; FloatMode: 240
; IeeeMode: 1
; LDSByteSize: 0 bytes/workgroup (compile time only)
; SGPRBlocks: 0
; VGPRBlocks: 0
; NumSGPRsForWavesPerEU: 4
; NumVGPRsForWavesPerEU: 1
; AccumOffset: 4
; Occupancy: 8
; WaveLimiterHint : 0
; COMPUTE_PGM_RSRC2:SCRATCH_EN: 0
; COMPUTE_PGM_RSRC2:USER_SGPR: 6
; COMPUTE_PGM_RSRC2:TRAP_HANDLER: 0
; COMPUTE_PGM_RSRC2:TGID_X_EN: 1
; COMPUTE_PGM_RSRC2:TGID_Y_EN: 0
; COMPUTE_PGM_RSRC2:TGID_Z_EN: 0
; COMPUTE_PGM_RSRC2:TIDIG_COMP_CNT: 0
; COMPUTE_PGM_RSRC3_GFX90A:ACCUM_OFFSET: 0
; COMPUTE_PGM_RSRC3_GFX90A:TG_SPLIT: 0
	.section	.text._ZN7rocprim17ROCPRIM_400000_NS6detail17trampoline_kernelINS0_14default_configENS1_33run_length_encode_config_selectorIjjNS0_4plusIjEEEEZZNS1_33reduce_by_key_impl_wrapped_configILNS1_25lookback_scan_determinismE0ES3_S7_PKjNS0_17constant_iteratorIjlEEPjPlSF_S6_NS0_8equal_toIjEEEE10hipError_tPvRmT2_T3_mT4_T5_T6_T7_T8_P12ihipStream_tbENKUlT_T0_E_clISt17integral_constantIbLb1EESZ_EEDaSU_SV_EUlSU_E_NS1_11comp_targetILNS1_3genE5ELNS1_11target_archE942ELNS1_3gpuE9ELNS1_3repE0EEENS1_30default_config_static_selectorELNS0_4arch9wavefront6targetE1EEEvT1_,"axG",@progbits,_ZN7rocprim17ROCPRIM_400000_NS6detail17trampoline_kernelINS0_14default_configENS1_33run_length_encode_config_selectorIjjNS0_4plusIjEEEEZZNS1_33reduce_by_key_impl_wrapped_configILNS1_25lookback_scan_determinismE0ES3_S7_PKjNS0_17constant_iteratorIjlEEPjPlSF_S6_NS0_8equal_toIjEEEE10hipError_tPvRmT2_T3_mT4_T5_T6_T7_T8_P12ihipStream_tbENKUlT_T0_E_clISt17integral_constantIbLb1EESZ_EEDaSU_SV_EUlSU_E_NS1_11comp_targetILNS1_3genE5ELNS1_11target_archE942ELNS1_3gpuE9ELNS1_3repE0EEENS1_30default_config_static_selectorELNS0_4arch9wavefront6targetE1EEEvT1_,comdat
	.protected	_ZN7rocprim17ROCPRIM_400000_NS6detail17trampoline_kernelINS0_14default_configENS1_33run_length_encode_config_selectorIjjNS0_4plusIjEEEEZZNS1_33reduce_by_key_impl_wrapped_configILNS1_25lookback_scan_determinismE0ES3_S7_PKjNS0_17constant_iteratorIjlEEPjPlSF_S6_NS0_8equal_toIjEEEE10hipError_tPvRmT2_T3_mT4_T5_T6_T7_T8_P12ihipStream_tbENKUlT_T0_E_clISt17integral_constantIbLb1EESZ_EEDaSU_SV_EUlSU_E_NS1_11comp_targetILNS1_3genE5ELNS1_11target_archE942ELNS1_3gpuE9ELNS1_3repE0EEENS1_30default_config_static_selectorELNS0_4arch9wavefront6targetE1EEEvT1_ ; -- Begin function _ZN7rocprim17ROCPRIM_400000_NS6detail17trampoline_kernelINS0_14default_configENS1_33run_length_encode_config_selectorIjjNS0_4plusIjEEEEZZNS1_33reduce_by_key_impl_wrapped_configILNS1_25lookback_scan_determinismE0ES3_S7_PKjNS0_17constant_iteratorIjlEEPjPlSF_S6_NS0_8equal_toIjEEEE10hipError_tPvRmT2_T3_mT4_T5_T6_T7_T8_P12ihipStream_tbENKUlT_T0_E_clISt17integral_constantIbLb1EESZ_EEDaSU_SV_EUlSU_E_NS1_11comp_targetILNS1_3genE5ELNS1_11target_archE942ELNS1_3gpuE9ELNS1_3repE0EEENS1_30default_config_static_selectorELNS0_4arch9wavefront6targetE1EEEvT1_
	.globl	_ZN7rocprim17ROCPRIM_400000_NS6detail17trampoline_kernelINS0_14default_configENS1_33run_length_encode_config_selectorIjjNS0_4plusIjEEEEZZNS1_33reduce_by_key_impl_wrapped_configILNS1_25lookback_scan_determinismE0ES3_S7_PKjNS0_17constant_iteratorIjlEEPjPlSF_S6_NS0_8equal_toIjEEEE10hipError_tPvRmT2_T3_mT4_T5_T6_T7_T8_P12ihipStream_tbENKUlT_T0_E_clISt17integral_constantIbLb1EESZ_EEDaSU_SV_EUlSU_E_NS1_11comp_targetILNS1_3genE5ELNS1_11target_archE942ELNS1_3gpuE9ELNS1_3repE0EEENS1_30default_config_static_selectorELNS0_4arch9wavefront6targetE1EEEvT1_
	.p2align	8
	.type	_ZN7rocprim17ROCPRIM_400000_NS6detail17trampoline_kernelINS0_14default_configENS1_33run_length_encode_config_selectorIjjNS0_4plusIjEEEEZZNS1_33reduce_by_key_impl_wrapped_configILNS1_25lookback_scan_determinismE0ES3_S7_PKjNS0_17constant_iteratorIjlEEPjPlSF_S6_NS0_8equal_toIjEEEE10hipError_tPvRmT2_T3_mT4_T5_T6_T7_T8_P12ihipStream_tbENKUlT_T0_E_clISt17integral_constantIbLb1EESZ_EEDaSU_SV_EUlSU_E_NS1_11comp_targetILNS1_3genE5ELNS1_11target_archE942ELNS1_3gpuE9ELNS1_3repE0EEENS1_30default_config_static_selectorELNS0_4arch9wavefront6targetE1EEEvT1_,@function
_ZN7rocprim17ROCPRIM_400000_NS6detail17trampoline_kernelINS0_14default_configENS1_33run_length_encode_config_selectorIjjNS0_4plusIjEEEEZZNS1_33reduce_by_key_impl_wrapped_configILNS1_25lookback_scan_determinismE0ES3_S7_PKjNS0_17constant_iteratorIjlEEPjPlSF_S6_NS0_8equal_toIjEEEE10hipError_tPvRmT2_T3_mT4_T5_T6_T7_T8_P12ihipStream_tbENKUlT_T0_E_clISt17integral_constantIbLb1EESZ_EEDaSU_SV_EUlSU_E_NS1_11comp_targetILNS1_3genE5ELNS1_11target_archE942ELNS1_3gpuE9ELNS1_3repE0EEENS1_30default_config_static_selectorELNS0_4arch9wavefront6targetE1EEEvT1_: ; @_ZN7rocprim17ROCPRIM_400000_NS6detail17trampoline_kernelINS0_14default_configENS1_33run_length_encode_config_selectorIjjNS0_4plusIjEEEEZZNS1_33reduce_by_key_impl_wrapped_configILNS1_25lookback_scan_determinismE0ES3_S7_PKjNS0_17constant_iteratorIjlEEPjPlSF_S6_NS0_8equal_toIjEEEE10hipError_tPvRmT2_T3_mT4_T5_T6_T7_T8_P12ihipStream_tbENKUlT_T0_E_clISt17integral_constantIbLb1EESZ_EEDaSU_SV_EUlSU_E_NS1_11comp_targetILNS1_3genE5ELNS1_11target_archE942ELNS1_3gpuE9ELNS1_3repE0EEENS1_30default_config_static_selectorELNS0_4arch9wavefront6targetE1EEEvT1_
; %bb.0:
	.section	.rodata,"a",@progbits
	.p2align	6, 0x0
	.amdhsa_kernel _ZN7rocprim17ROCPRIM_400000_NS6detail17trampoline_kernelINS0_14default_configENS1_33run_length_encode_config_selectorIjjNS0_4plusIjEEEEZZNS1_33reduce_by_key_impl_wrapped_configILNS1_25lookback_scan_determinismE0ES3_S7_PKjNS0_17constant_iteratorIjlEEPjPlSF_S6_NS0_8equal_toIjEEEE10hipError_tPvRmT2_T3_mT4_T5_T6_T7_T8_P12ihipStream_tbENKUlT_T0_E_clISt17integral_constantIbLb1EESZ_EEDaSU_SV_EUlSU_E_NS1_11comp_targetILNS1_3genE5ELNS1_11target_archE942ELNS1_3gpuE9ELNS1_3repE0EEENS1_30default_config_static_selectorELNS0_4arch9wavefront6targetE1EEEvT1_
		.amdhsa_group_segment_fixed_size 0
		.amdhsa_private_segment_fixed_size 0
		.amdhsa_kernarg_size 128
		.amdhsa_user_sgpr_count 6
		.amdhsa_user_sgpr_private_segment_buffer 1
		.amdhsa_user_sgpr_dispatch_ptr 0
		.amdhsa_user_sgpr_queue_ptr 0
		.amdhsa_user_sgpr_kernarg_segment_ptr 1
		.amdhsa_user_sgpr_dispatch_id 0
		.amdhsa_user_sgpr_flat_scratch_init 0
		.amdhsa_user_sgpr_kernarg_preload_length 0
		.amdhsa_user_sgpr_kernarg_preload_offset 0
		.amdhsa_user_sgpr_private_segment_size 0
		.amdhsa_uses_dynamic_stack 0
		.amdhsa_system_sgpr_private_segment_wavefront_offset 0
		.amdhsa_system_sgpr_workgroup_id_x 1
		.amdhsa_system_sgpr_workgroup_id_y 0
		.amdhsa_system_sgpr_workgroup_id_z 0
		.amdhsa_system_sgpr_workgroup_info 0
		.amdhsa_system_vgpr_workitem_id 0
		.amdhsa_next_free_vgpr 1
		.amdhsa_next_free_sgpr 0
		.amdhsa_accum_offset 4
		.amdhsa_reserve_vcc 0
		.amdhsa_reserve_flat_scratch 0
		.amdhsa_float_round_mode_32 0
		.amdhsa_float_round_mode_16_64 0
		.amdhsa_float_denorm_mode_32 3
		.amdhsa_float_denorm_mode_16_64 3
		.amdhsa_dx10_clamp 1
		.amdhsa_ieee_mode 1
		.amdhsa_fp16_overflow 0
		.amdhsa_tg_split 0
		.amdhsa_exception_fp_ieee_invalid_op 0
		.amdhsa_exception_fp_denorm_src 0
		.amdhsa_exception_fp_ieee_div_zero 0
		.amdhsa_exception_fp_ieee_overflow 0
		.amdhsa_exception_fp_ieee_underflow 0
		.amdhsa_exception_fp_ieee_inexact 0
		.amdhsa_exception_int_div_zero 0
	.end_amdhsa_kernel
	.section	.text._ZN7rocprim17ROCPRIM_400000_NS6detail17trampoline_kernelINS0_14default_configENS1_33run_length_encode_config_selectorIjjNS0_4plusIjEEEEZZNS1_33reduce_by_key_impl_wrapped_configILNS1_25lookback_scan_determinismE0ES3_S7_PKjNS0_17constant_iteratorIjlEEPjPlSF_S6_NS0_8equal_toIjEEEE10hipError_tPvRmT2_T3_mT4_T5_T6_T7_T8_P12ihipStream_tbENKUlT_T0_E_clISt17integral_constantIbLb1EESZ_EEDaSU_SV_EUlSU_E_NS1_11comp_targetILNS1_3genE5ELNS1_11target_archE942ELNS1_3gpuE9ELNS1_3repE0EEENS1_30default_config_static_selectorELNS0_4arch9wavefront6targetE1EEEvT1_,"axG",@progbits,_ZN7rocprim17ROCPRIM_400000_NS6detail17trampoline_kernelINS0_14default_configENS1_33run_length_encode_config_selectorIjjNS0_4plusIjEEEEZZNS1_33reduce_by_key_impl_wrapped_configILNS1_25lookback_scan_determinismE0ES3_S7_PKjNS0_17constant_iteratorIjlEEPjPlSF_S6_NS0_8equal_toIjEEEE10hipError_tPvRmT2_T3_mT4_T5_T6_T7_T8_P12ihipStream_tbENKUlT_T0_E_clISt17integral_constantIbLb1EESZ_EEDaSU_SV_EUlSU_E_NS1_11comp_targetILNS1_3genE5ELNS1_11target_archE942ELNS1_3gpuE9ELNS1_3repE0EEENS1_30default_config_static_selectorELNS0_4arch9wavefront6targetE1EEEvT1_,comdat
.Lfunc_end659:
	.size	_ZN7rocprim17ROCPRIM_400000_NS6detail17trampoline_kernelINS0_14default_configENS1_33run_length_encode_config_selectorIjjNS0_4plusIjEEEEZZNS1_33reduce_by_key_impl_wrapped_configILNS1_25lookback_scan_determinismE0ES3_S7_PKjNS0_17constant_iteratorIjlEEPjPlSF_S6_NS0_8equal_toIjEEEE10hipError_tPvRmT2_T3_mT4_T5_T6_T7_T8_P12ihipStream_tbENKUlT_T0_E_clISt17integral_constantIbLb1EESZ_EEDaSU_SV_EUlSU_E_NS1_11comp_targetILNS1_3genE5ELNS1_11target_archE942ELNS1_3gpuE9ELNS1_3repE0EEENS1_30default_config_static_selectorELNS0_4arch9wavefront6targetE1EEEvT1_, .Lfunc_end659-_ZN7rocprim17ROCPRIM_400000_NS6detail17trampoline_kernelINS0_14default_configENS1_33run_length_encode_config_selectorIjjNS0_4plusIjEEEEZZNS1_33reduce_by_key_impl_wrapped_configILNS1_25lookback_scan_determinismE0ES3_S7_PKjNS0_17constant_iteratorIjlEEPjPlSF_S6_NS0_8equal_toIjEEEE10hipError_tPvRmT2_T3_mT4_T5_T6_T7_T8_P12ihipStream_tbENKUlT_T0_E_clISt17integral_constantIbLb1EESZ_EEDaSU_SV_EUlSU_E_NS1_11comp_targetILNS1_3genE5ELNS1_11target_archE942ELNS1_3gpuE9ELNS1_3repE0EEENS1_30default_config_static_selectorELNS0_4arch9wavefront6targetE1EEEvT1_
                                        ; -- End function
	.section	.AMDGPU.csdata,"",@progbits
; Kernel info:
; codeLenInByte = 0
; NumSgprs: 4
; NumVgprs: 0
; NumAgprs: 0
; TotalNumVgprs: 0
; ScratchSize: 0
; MemoryBound: 0
; FloatMode: 240
; IeeeMode: 1
; LDSByteSize: 0 bytes/workgroup (compile time only)
; SGPRBlocks: 0
; VGPRBlocks: 0
; NumSGPRsForWavesPerEU: 4
; NumVGPRsForWavesPerEU: 1
; AccumOffset: 4
; Occupancy: 8
; WaveLimiterHint : 0
; COMPUTE_PGM_RSRC2:SCRATCH_EN: 0
; COMPUTE_PGM_RSRC2:USER_SGPR: 6
; COMPUTE_PGM_RSRC2:TRAP_HANDLER: 0
; COMPUTE_PGM_RSRC2:TGID_X_EN: 1
; COMPUTE_PGM_RSRC2:TGID_Y_EN: 0
; COMPUTE_PGM_RSRC2:TGID_Z_EN: 0
; COMPUTE_PGM_RSRC2:TIDIG_COMP_CNT: 0
; COMPUTE_PGM_RSRC3_GFX90A:ACCUM_OFFSET: 0
; COMPUTE_PGM_RSRC3_GFX90A:TG_SPLIT: 0
	.section	.text._ZN7rocprim17ROCPRIM_400000_NS6detail17trampoline_kernelINS0_14default_configENS1_33run_length_encode_config_selectorIjjNS0_4plusIjEEEEZZNS1_33reduce_by_key_impl_wrapped_configILNS1_25lookback_scan_determinismE0ES3_S7_PKjNS0_17constant_iteratorIjlEEPjPlSF_S6_NS0_8equal_toIjEEEE10hipError_tPvRmT2_T3_mT4_T5_T6_T7_T8_P12ihipStream_tbENKUlT_T0_E_clISt17integral_constantIbLb1EESZ_EEDaSU_SV_EUlSU_E_NS1_11comp_targetILNS1_3genE4ELNS1_11target_archE910ELNS1_3gpuE8ELNS1_3repE0EEENS1_30default_config_static_selectorELNS0_4arch9wavefront6targetE1EEEvT1_,"axG",@progbits,_ZN7rocprim17ROCPRIM_400000_NS6detail17trampoline_kernelINS0_14default_configENS1_33run_length_encode_config_selectorIjjNS0_4plusIjEEEEZZNS1_33reduce_by_key_impl_wrapped_configILNS1_25lookback_scan_determinismE0ES3_S7_PKjNS0_17constant_iteratorIjlEEPjPlSF_S6_NS0_8equal_toIjEEEE10hipError_tPvRmT2_T3_mT4_T5_T6_T7_T8_P12ihipStream_tbENKUlT_T0_E_clISt17integral_constantIbLb1EESZ_EEDaSU_SV_EUlSU_E_NS1_11comp_targetILNS1_3genE4ELNS1_11target_archE910ELNS1_3gpuE8ELNS1_3repE0EEENS1_30default_config_static_selectorELNS0_4arch9wavefront6targetE1EEEvT1_,comdat
	.protected	_ZN7rocprim17ROCPRIM_400000_NS6detail17trampoline_kernelINS0_14default_configENS1_33run_length_encode_config_selectorIjjNS0_4plusIjEEEEZZNS1_33reduce_by_key_impl_wrapped_configILNS1_25lookback_scan_determinismE0ES3_S7_PKjNS0_17constant_iteratorIjlEEPjPlSF_S6_NS0_8equal_toIjEEEE10hipError_tPvRmT2_T3_mT4_T5_T6_T7_T8_P12ihipStream_tbENKUlT_T0_E_clISt17integral_constantIbLb1EESZ_EEDaSU_SV_EUlSU_E_NS1_11comp_targetILNS1_3genE4ELNS1_11target_archE910ELNS1_3gpuE8ELNS1_3repE0EEENS1_30default_config_static_selectorELNS0_4arch9wavefront6targetE1EEEvT1_ ; -- Begin function _ZN7rocprim17ROCPRIM_400000_NS6detail17trampoline_kernelINS0_14default_configENS1_33run_length_encode_config_selectorIjjNS0_4plusIjEEEEZZNS1_33reduce_by_key_impl_wrapped_configILNS1_25lookback_scan_determinismE0ES3_S7_PKjNS0_17constant_iteratorIjlEEPjPlSF_S6_NS0_8equal_toIjEEEE10hipError_tPvRmT2_T3_mT4_T5_T6_T7_T8_P12ihipStream_tbENKUlT_T0_E_clISt17integral_constantIbLb1EESZ_EEDaSU_SV_EUlSU_E_NS1_11comp_targetILNS1_3genE4ELNS1_11target_archE910ELNS1_3gpuE8ELNS1_3repE0EEENS1_30default_config_static_selectorELNS0_4arch9wavefront6targetE1EEEvT1_
	.globl	_ZN7rocprim17ROCPRIM_400000_NS6detail17trampoline_kernelINS0_14default_configENS1_33run_length_encode_config_selectorIjjNS0_4plusIjEEEEZZNS1_33reduce_by_key_impl_wrapped_configILNS1_25lookback_scan_determinismE0ES3_S7_PKjNS0_17constant_iteratorIjlEEPjPlSF_S6_NS0_8equal_toIjEEEE10hipError_tPvRmT2_T3_mT4_T5_T6_T7_T8_P12ihipStream_tbENKUlT_T0_E_clISt17integral_constantIbLb1EESZ_EEDaSU_SV_EUlSU_E_NS1_11comp_targetILNS1_3genE4ELNS1_11target_archE910ELNS1_3gpuE8ELNS1_3repE0EEENS1_30default_config_static_selectorELNS0_4arch9wavefront6targetE1EEEvT1_
	.p2align	8
	.type	_ZN7rocprim17ROCPRIM_400000_NS6detail17trampoline_kernelINS0_14default_configENS1_33run_length_encode_config_selectorIjjNS0_4plusIjEEEEZZNS1_33reduce_by_key_impl_wrapped_configILNS1_25lookback_scan_determinismE0ES3_S7_PKjNS0_17constant_iteratorIjlEEPjPlSF_S6_NS0_8equal_toIjEEEE10hipError_tPvRmT2_T3_mT4_T5_T6_T7_T8_P12ihipStream_tbENKUlT_T0_E_clISt17integral_constantIbLb1EESZ_EEDaSU_SV_EUlSU_E_NS1_11comp_targetILNS1_3genE4ELNS1_11target_archE910ELNS1_3gpuE8ELNS1_3repE0EEENS1_30default_config_static_selectorELNS0_4arch9wavefront6targetE1EEEvT1_,@function
_ZN7rocprim17ROCPRIM_400000_NS6detail17trampoline_kernelINS0_14default_configENS1_33run_length_encode_config_selectorIjjNS0_4plusIjEEEEZZNS1_33reduce_by_key_impl_wrapped_configILNS1_25lookback_scan_determinismE0ES3_S7_PKjNS0_17constant_iteratorIjlEEPjPlSF_S6_NS0_8equal_toIjEEEE10hipError_tPvRmT2_T3_mT4_T5_T6_T7_T8_P12ihipStream_tbENKUlT_T0_E_clISt17integral_constantIbLb1EESZ_EEDaSU_SV_EUlSU_E_NS1_11comp_targetILNS1_3genE4ELNS1_11target_archE910ELNS1_3gpuE8ELNS1_3repE0EEENS1_30default_config_static_selectorELNS0_4arch9wavefront6targetE1EEEvT1_: ; @_ZN7rocprim17ROCPRIM_400000_NS6detail17trampoline_kernelINS0_14default_configENS1_33run_length_encode_config_selectorIjjNS0_4plusIjEEEEZZNS1_33reduce_by_key_impl_wrapped_configILNS1_25lookback_scan_determinismE0ES3_S7_PKjNS0_17constant_iteratorIjlEEPjPlSF_S6_NS0_8equal_toIjEEEE10hipError_tPvRmT2_T3_mT4_T5_T6_T7_T8_P12ihipStream_tbENKUlT_T0_E_clISt17integral_constantIbLb1EESZ_EEDaSU_SV_EUlSU_E_NS1_11comp_targetILNS1_3genE4ELNS1_11target_archE910ELNS1_3gpuE8ELNS1_3repE0EEENS1_30default_config_static_selectorELNS0_4arch9wavefront6targetE1EEEvT1_
; %bb.0:
	s_load_dword s12, s[4:5], 0x10
	s_load_dwordx4 s[44:47], s[4:5], 0x20
	s_load_dwordx2 s[52:53], s[4:5], 0x30
	s_load_dwordx2 s[34:35], s[4:5], 0x70
	s_load_dwordx4 s[48:51], s[4:5], 0x60
	s_load_dwordx8 s[36:43], s[4:5], 0x40
	v_cmp_ne_u32_e64 s[2:3], 0, v0
	v_cmp_eq_u32_e64 s[0:1], 0, v0
	s_and_saveexec_b64 s[6:7], s[0:1]
	s_cbranch_execz .LBB660_4
; %bb.1:
	s_mov_b64 s[10:11], exec
	v_mbcnt_lo_u32_b32 v1, s10, 0
	v_mbcnt_hi_u32_b32 v1, s11, v1
	v_cmp_eq_u32_e32 vcc, 0, v1
                                        ; implicit-def: $vgpr2
	s_and_saveexec_b64 s[8:9], vcc
	s_cbranch_execz .LBB660_3
; %bb.2:
	s_load_dwordx2 s[14:15], s[4:5], 0x78
	s_bcnt1_i32_b64 s10, s[10:11]
	v_mov_b32_e32 v2, 0
	v_mov_b32_e32 v3, s10
	s_waitcnt lgkmcnt(0)
	global_atomic_add v2, v2, v3, s[14:15] glc
.LBB660_3:
	s_or_b64 exec, exec, s[8:9]
	s_waitcnt vmcnt(0)
	v_readfirstlane_b32 s8, v2
	v_add_u32_e32 v1, s8, v1
	v_mov_b32_e32 v2, 0
	ds_write_b32 v2, v1
.LBB660_4:
	s_or_b64 exec, exec, s[6:7]
	s_load_dwordx4 s[4:7], s[4:5], 0x0
	v_mov_b32_e32 v3, 0
	s_waitcnt lgkmcnt(0)
	s_barrier
	ds_read_b32 v1, v3
	s_mul_i32 s8, s40, s39
	s_mul_hi_u32 s9, s40, s38
	s_add_i32 s8, s9, s8
	s_mul_i32 s9, s41, s38
	s_add_i32 s8, s8, s9
	s_lshl_b64 s[6:7], s[6:7], 2
	s_add_u32 s4, s4, s6
	s_movk_i32 s6, 0xf00
	s_waitcnt lgkmcnt(0)
	v_mul_lo_u32 v2, v1, s6
	s_mul_i32 s9, s40, s38
	s_addc_u32 s5, s5, s7
	v_readfirstlane_b32 s56, v1
	v_lshlrev_b64 v[2:3], 2, v[2:3]
	v_add_co_u32_e32 v2, vcc, s4, v2
	s_add_u32 s4, s9, s56
	v_mov_b32_e32 v1, s5
	s_addc_u32 s5, s8, 0
	s_add_u32 s6, s42, -1
	s_addc_u32 s7, s43, -1
	s_cmp_eq_u64 s[4:5], s[6:7]
	v_addc_co_u32_e32 v3, vcc, v1, v3, vcc
	s_cselect_b64 s[40:41], -1, 0
	s_cmp_lg_u64 s[4:5], s[6:7]
	s_mov_b64 s[10:11], -1
	s_cselect_b64 s[8:9], -1, 0
	s_mul_i32 s33, s6, 0xfffff100
	s_and_b64 vcc, exec, s[40:41]
	s_barrier
	s_cbranch_vccnz .LBB660_6
; %bb.5:
	v_lshlrev_b32_e32 v1, 2, v0
	v_add_co_u32_e32 v6, vcc, v2, v1
	v_addc_co_u32_e32 v7, vcc, 0, v3, vcc
	v_add_co_u32_e32 v4, vcc, 0x1000, v6
	v_readfirstlane_b32 s6, v2
	v_readfirstlane_b32 s7, v3
	v_addc_co_u32_e32 v5, vcc, 0, v7, vcc
	s_nop 3
	global_load_dword v8, v1, s[6:7]
	global_load_dword v9, v1, s[6:7] offset:1024
	global_load_dword v10, v1, s[6:7] offset:2048
	;; [unrolled: 1-line block ×3, first 2 shown]
	global_load_dword v12, v[4:5], off
	global_load_dword v13, v[4:5], off offset:1024
	global_load_dword v14, v[4:5], off offset:2048
	;; [unrolled: 1-line block ×3, first 2 shown]
	v_add_co_u32_e32 v4, vcc, 0x2000, v6
	v_addc_co_u32_e32 v5, vcc, 0, v7, vcc
	v_add_co_u32_e32 v6, vcc, 0x3000, v6
	v_addc_co_u32_e32 v7, vcc, 0, v7, vcc
	global_load_dword v16, v[4:5], off
	global_load_dword v17, v[4:5], off offset:1024
	global_load_dword v18, v[4:5], off offset:2048
	;; [unrolled: 1-line block ×3, first 2 shown]
	global_load_dword v20, v[6:7], off
	global_load_dword v21, v[6:7], off offset:1024
	global_load_dword v22, v[6:7], off offset:2048
	v_mad_u32_u24 v4, v0, 56, v1
	s_mov_b64 s[6:7], -1
	s_waitcnt vmcnt(13)
	ds_write2st64_b32 v1, v8, v9 offset1:4
	s_waitcnt vmcnt(11)
	ds_write2st64_b32 v1, v10, v11 offset0:8 offset1:12
	s_waitcnt vmcnt(9)
	ds_write2st64_b32 v1, v12, v13 offset0:16 offset1:20
	;; [unrolled: 2-line block ×6, first 2 shown]
	s_waitcnt vmcnt(0)
	ds_write_b32 v1, v22 offset:14336
	s_waitcnt lgkmcnt(0)
	s_barrier
	ds_read2_b32 v[20:21], v4 offset1:1
	ds_read2_b32 v[18:19], v4 offset0:2 offset1:3
	ds_read2_b32 v[16:17], v4 offset0:4 offset1:5
	;; [unrolled: 1-line block ×6, first 2 shown]
	ds_read_b32 v1, v4 offset:56
	s_waitcnt lgkmcnt(7)
	v_mov_b32_e32 v24, v20
	s_waitcnt lgkmcnt(6)
	v_mov_b32_e32 v25, v18
	;; [unrolled: 2-line block ×7, first 2 shown]
	s_add_i32 s33, s33, s48
	s_cbranch_execz .LBB660_7
	s_branch .LBB660_38
.LBB660_6:
	s_mov_b64 s[6:7], 0
                                        ; implicit-def: $vgpr1
                                        ; implicit-def: $vgpr8
                                        ; implicit-def: $vgpr10
                                        ; implicit-def: $vgpr12
                                        ; implicit-def: $vgpr14
                                        ; implicit-def: $vgpr16
                                        ; implicit-def: $vgpr18
                                        ; implicit-def: $vgpr20
                                        ; implicit-def: $vgpr4_vgpr5
                                        ; implicit-def: $vgpr6_vgpr7
                                        ; implicit-def: $vgpr24_vgpr25
                                        ; implicit-def: $vgpr22_vgpr23
	s_add_i32 s33, s33, s48
	s_andn2_b64 vcc, exec, s[10:11]
	s_cbranch_vccnz .LBB660_38
.LBB660_7:
	v_cmp_gt_u32_e32 vcc, s33, v0
                                        ; implicit-def: $vgpr1
	s_and_saveexec_b64 s[6:7], vcc
	s_cbranch_execz .LBB660_9
; %bb.8:
	s_waitcnt lgkmcnt(0)
	v_lshlrev_b32_e32 v1, 2, v0
	v_readfirstlane_b32 s10, v2
	v_readfirstlane_b32 s11, v3
	s_nop 4
	global_load_dword v1, v1, s[10:11]
.LBB660_9:
	s_or_b64 exec, exec, s[6:7]
	v_or_b32_e32 v4, 0x100, v0
	v_cmp_gt_u32_e32 vcc, s33, v4
                                        ; implicit-def: $vgpr4
	s_and_saveexec_b64 s[6:7], vcc
	s_cbranch_execz .LBB660_11
; %bb.10:
	v_lshlrev_b32_e32 v4, 2, v0
	v_readfirstlane_b32 s10, v2
	v_readfirstlane_b32 s11, v3
	s_nop 4
	global_load_dword v4, v4, s[10:11] offset:1024
.LBB660_11:
	s_or_b64 exec, exec, s[6:7]
	v_or_b32_e32 v5, 0x200, v0
	v_cmp_gt_u32_e32 vcc, s33, v5
                                        ; implicit-def: $vgpr5
	s_and_saveexec_b64 s[6:7], vcc
	s_cbranch_execz .LBB660_13
; %bb.12:
	v_lshlrev_b32_e32 v5, 2, v0
	v_readfirstlane_b32 s10, v2
	v_readfirstlane_b32 s11, v3
	s_nop 4
	global_load_dword v5, v5, s[10:11] offset:2048
.LBB660_13:
	s_or_b64 exec, exec, s[6:7]
	v_or_b32_e32 v6, 0x300, v0
	v_cmp_gt_u32_e32 vcc, s33, v6
                                        ; implicit-def: $vgpr6
	s_and_saveexec_b64 s[6:7], vcc
	s_cbranch_execz .LBB660_15
; %bb.14:
	v_lshlrev_b32_e32 v6, 2, v0
	v_readfirstlane_b32 s10, v2
	v_readfirstlane_b32 s11, v3
	s_nop 4
	global_load_dword v6, v6, s[10:11] offset:3072
.LBB660_15:
	s_or_b64 exec, exec, s[6:7]
	v_or_b32_e32 v8, 0x400, v0
	v_cmp_gt_u32_e32 vcc, s33, v8
                                        ; implicit-def: $vgpr7
	s_and_saveexec_b64 s[6:7], vcc
	s_cbranch_execz .LBB660_17
; %bb.16:
	v_lshlrev_b32_e32 v7, 2, v8
	v_readfirstlane_b32 s10, v2
	v_readfirstlane_b32 s11, v3
	s_nop 4
	global_load_dword v7, v7, s[10:11]
.LBB660_17:
	s_or_b64 exec, exec, s[6:7]
	v_or_b32_e32 v9, 0x500, v0
	v_cmp_gt_u32_e32 vcc, s33, v9
                                        ; implicit-def: $vgpr8
	s_and_saveexec_b64 s[6:7], vcc
	s_cbranch_execz .LBB660_19
; %bb.18:
	v_lshlrev_b32_e32 v8, 2, v9
	v_readfirstlane_b32 s10, v2
	v_readfirstlane_b32 s11, v3
	s_nop 4
	global_load_dword v8, v8, s[10:11]
.LBB660_19:
	s_or_b64 exec, exec, s[6:7]
	v_or_b32_e32 v10, 0x600, v0
	v_cmp_gt_u32_e32 vcc, s33, v10
                                        ; implicit-def: $vgpr9
	s_and_saveexec_b64 s[6:7], vcc
	s_cbranch_execz .LBB660_21
; %bb.20:
	v_lshlrev_b32_e32 v9, 2, v10
	v_readfirstlane_b32 s10, v2
	v_readfirstlane_b32 s11, v3
	s_nop 4
	global_load_dword v9, v9, s[10:11]
.LBB660_21:
	s_or_b64 exec, exec, s[6:7]
	v_or_b32_e32 v11, 0x700, v0
	v_cmp_gt_u32_e32 vcc, s33, v11
                                        ; implicit-def: $vgpr10
	s_and_saveexec_b64 s[6:7], vcc
	s_cbranch_execz .LBB660_23
; %bb.22:
	v_lshlrev_b32_e32 v10, 2, v11
	v_readfirstlane_b32 s10, v2
	v_readfirstlane_b32 s11, v3
	s_nop 4
	global_load_dword v10, v10, s[10:11]
.LBB660_23:
	s_or_b64 exec, exec, s[6:7]
	v_or_b32_e32 v12, 0x800, v0
	v_cmp_gt_u32_e32 vcc, s33, v12
                                        ; implicit-def: $vgpr11
	s_and_saveexec_b64 s[6:7], vcc
	s_cbranch_execz .LBB660_25
; %bb.24:
	v_lshlrev_b32_e32 v11, 2, v12
	v_readfirstlane_b32 s10, v2
	v_readfirstlane_b32 s11, v3
	s_nop 4
	global_load_dword v11, v11, s[10:11]
.LBB660_25:
	s_or_b64 exec, exec, s[6:7]
	v_or_b32_e32 v13, 0x900, v0
	v_cmp_gt_u32_e32 vcc, s33, v13
                                        ; implicit-def: $vgpr12
	s_and_saveexec_b64 s[6:7], vcc
	s_cbranch_execz .LBB660_27
; %bb.26:
	v_lshlrev_b32_e32 v12, 2, v13
	v_readfirstlane_b32 s10, v2
	v_readfirstlane_b32 s11, v3
	s_nop 4
	global_load_dword v12, v12, s[10:11]
.LBB660_27:
	s_or_b64 exec, exec, s[6:7]
	v_or_b32_e32 v14, 0xa00, v0
	v_cmp_gt_u32_e32 vcc, s33, v14
                                        ; implicit-def: $vgpr13
	s_and_saveexec_b64 s[6:7], vcc
	s_cbranch_execz .LBB660_29
; %bb.28:
	v_lshlrev_b32_e32 v13, 2, v14
	v_readfirstlane_b32 s10, v2
	v_readfirstlane_b32 s11, v3
	s_nop 4
	global_load_dword v13, v13, s[10:11]
.LBB660_29:
	s_or_b64 exec, exec, s[6:7]
	v_or_b32_e32 v15, 0xb00, v0
	v_cmp_gt_u32_e32 vcc, s33, v15
                                        ; implicit-def: $vgpr14
	s_and_saveexec_b64 s[6:7], vcc
	s_cbranch_execz .LBB660_31
; %bb.30:
	v_lshlrev_b32_e32 v14, 2, v15
	v_readfirstlane_b32 s10, v2
	v_readfirstlane_b32 s11, v3
	s_nop 4
	global_load_dword v14, v14, s[10:11]
.LBB660_31:
	s_or_b64 exec, exec, s[6:7]
	v_or_b32_e32 v16, 0xc00, v0
	v_cmp_gt_u32_e32 vcc, s33, v16
                                        ; implicit-def: $vgpr15
	s_and_saveexec_b64 s[6:7], vcc
	s_cbranch_execz .LBB660_33
; %bb.32:
	v_lshlrev_b32_e32 v15, 2, v16
	v_readfirstlane_b32 s10, v2
	v_readfirstlane_b32 s11, v3
	s_nop 4
	global_load_dword v15, v15, s[10:11]
.LBB660_33:
	s_or_b64 exec, exec, s[6:7]
	v_or_b32_e32 v17, 0xd00, v0
	v_cmp_gt_u32_e32 vcc, s33, v17
                                        ; implicit-def: $vgpr16
	s_and_saveexec_b64 s[6:7], vcc
	s_cbranch_execz .LBB660_35
; %bb.34:
	v_lshlrev_b32_e32 v16, 2, v17
	v_readfirstlane_b32 s10, v2
	v_readfirstlane_b32 s11, v3
	s_nop 4
	global_load_dword v16, v16, s[10:11]
.LBB660_35:
	s_or_b64 exec, exec, s[6:7]
	v_or_b32_e32 v18, 0xe00, v0
	v_cmp_gt_u32_e32 vcc, s33, v18
                                        ; implicit-def: $vgpr17
	s_and_saveexec_b64 s[6:7], vcc
	s_cbranch_execz .LBB660_37
; %bb.36:
	v_lshlrev_b32_e32 v17, 2, v18
	v_readfirstlane_b32 s10, v2
	v_readfirstlane_b32 s11, v3
	s_nop 4
	global_load_dword v17, v17, s[10:11]
.LBB660_37:
	s_or_b64 exec, exec, s[6:7]
	v_lshlrev_b32_e32 v18, 2, v0
	s_waitcnt vmcnt(0) lgkmcnt(0)
	ds_write2st64_b32 v18, v1, v4 offset1:4
	ds_write2st64_b32 v18, v5, v6 offset0:8 offset1:12
	ds_write2st64_b32 v18, v7, v8 offset0:16 offset1:20
	;; [unrolled: 1-line block ×6, first 2 shown]
	ds_write_b32 v18, v17 offset:14336
	v_mad_u32_u24 v1, v0, 56, v18
	s_waitcnt lgkmcnt(0)
	s_barrier
	ds_read2_b32 v[20:21], v1 offset1:1
	ds_read2_b32 v[18:19], v1 offset0:2 offset1:3
	ds_read2_b32 v[16:17], v1 offset0:4 offset1:5
	;; [unrolled: 1-line block ×6, first 2 shown]
	ds_read_b32 v1, v1 offset:56
	v_mad_u32_u24 v4, v0, 15, 14
	v_cmp_gt_u32_e64 s[6:7], s33, v4
	s_waitcnt lgkmcnt(7)
	v_mov_b32_e32 v24, v20
	s_waitcnt lgkmcnt(6)
	v_mov_b32_e32 v25, v18
	;; [unrolled: 2-line block ×7, first 2 shown]
.LBB660_38:
	v_mov_b32_e32 v52, s12
                                        ; implicit-def: $vgpr53
	s_and_saveexec_b64 s[10:11], s[6:7]
; %bb.39:
	v_mov_b32_e32 v53, s12
; %bb.40:
	s_or_b64 exec, exec, s[10:11]
	s_cmp_eq_u64 s[4:5], 0
	s_cselect_b64 s[42:43], -1, 0
	s_cmp_lg_u64 s[4:5], 0
	s_mov_b64 s[6:7], 0
	s_cselect_b64 s[10:11], -1, 0
	s_and_b64 vcc, exec, s[8:9]
	s_waitcnt lgkmcnt(0)
	s_barrier
	s_cbranch_vccz .LBB660_46
; %bb.41:
	s_and_b64 vcc, exec, s[10:11]
	s_cbranch_vccz .LBB660_47
; %bb.42:
	global_load_dword v23, v[2:3], off offset:-4
	v_lshlrev_b32_e32 v26, 2, v0
	ds_write_b32 v26, v1
	s_waitcnt lgkmcnt(0)
	s_barrier
	s_and_saveexec_b64 s[6:7], s[2:3]
	s_cbranch_execz .LBB660_44
; %bb.43:
	s_waitcnt vmcnt(0)
	v_add_u32_e32 v23, -4, v26
	ds_read_b32 v23, v23
.LBB660_44:
	s_or_b64 exec, exec, s[6:7]
	v_cmp_ne_u32_e32 vcc, v24, v21
	v_cndmask_b32_e64 v67, 0, 1, vcc
	v_cmp_ne_u32_e32 vcc, v25, v21
	v_cndmask_b32_e64 v66, 0, 1, vcc
	;; [unrolled: 2-line block ×14, first 2 shown]
	s_waitcnt vmcnt(0) lgkmcnt(0)
	v_cmp_ne_u32_e64 s[8:9], v23, v20
	s_mov_b64 s[6:7], -1
.LBB660_45:
                                        ; implicit-def: $sgpr14
	s_branch .LBB660_59
.LBB660_46:
                                        ; implicit-def: $sgpr8_sgpr9
                                        ; implicit-def: $vgpr54
                                        ; implicit-def: $vgpr55
                                        ; implicit-def: $vgpr56
                                        ; implicit-def: $vgpr57
                                        ; implicit-def: $vgpr58
                                        ; implicit-def: $vgpr59
                                        ; implicit-def: $vgpr60
                                        ; implicit-def: $vgpr61
                                        ; implicit-def: $vgpr62
                                        ; implicit-def: $vgpr63
                                        ; implicit-def: $vgpr64
                                        ; implicit-def: $vgpr65
                                        ; implicit-def: $vgpr66
                                        ; implicit-def: $vgpr67
                                        ; implicit-def: $sgpr14
	s_cbranch_execnz .LBB660_51
	s_branch .LBB660_59
.LBB660_47:
                                        ; implicit-def: $sgpr8_sgpr9
                                        ; implicit-def: $vgpr54
                                        ; implicit-def: $vgpr55
                                        ; implicit-def: $vgpr56
                                        ; implicit-def: $vgpr57
                                        ; implicit-def: $vgpr58
                                        ; implicit-def: $vgpr59
                                        ; implicit-def: $vgpr60
                                        ; implicit-def: $vgpr61
                                        ; implicit-def: $vgpr62
                                        ; implicit-def: $vgpr63
                                        ; implicit-def: $vgpr64
                                        ; implicit-def: $vgpr65
                                        ; implicit-def: $vgpr66
                                        ; implicit-def: $vgpr67
	s_cbranch_execz .LBB660_45
; %bb.48:
	v_cmp_ne_u32_e32 vcc, v21, v24
	v_cndmask_b32_e64 v67, 0, 1, vcc
	v_cmp_ne_u32_e32 vcc, v21, v25
	v_cndmask_b32_e64 v66, 0, 1, vcc
	;; [unrolled: 2-line block ×13, first 2 shown]
	v_cmp_ne_u32_e32 vcc, v9, v1
	v_lshlrev_b32_e32 v23, 2, v0
	v_cndmask_b32_e64 v54, 0, 1, vcc
	ds_write_b32 v23, v1
	s_waitcnt lgkmcnt(0)
	s_barrier
	s_waitcnt lgkmcnt(0)
                                        ; implicit-def: $sgpr8_sgpr9
	s_and_saveexec_b64 s[12:13], s[2:3]
	s_xor_b64 s[12:13], exec, s[12:13]
	s_cbranch_execz .LBB660_50
; %bb.49:
	v_add_u32_e32 v4, -4, v23
	ds_read_b32 v4, v4
	s_or_b64 s[6:7], s[6:7], exec
	s_waitcnt lgkmcnt(0)
	v_cmp_ne_u32_e32 vcc, v4, v20
	s_and_b64 s[8:9], vcc, exec
.LBB660_50:
	s_or_b64 exec, exec, s[12:13]
	s_mov_b32 s14, 1
	s_branch .LBB660_59
.LBB660_51:
	s_mul_hi_u32 s8, s4, 0xfffff100
	s_mulk_i32 s5, 0xf100
	s_sub_i32 s8, s8, s4
	s_add_i32 s8, s8, s5
	s_mulk_i32 s4, 0xf100
	s_add_u32 s12, s4, s48
	s_addc_u32 s13, s8, s49
	s_and_b64 vcc, exec, s[10:11]
	s_cbranch_vccz .LBB660_56
; %bb.52:
	global_load_dword v6, v[2:3], off offset:-4
	v_mad_u32_u24 v4, v0, 15, 14
	v_mov_b32_e32 v5, 0
	v_cmp_gt_u64_e32 vcc, s[12:13], v[4:5]
	v_cmp_ne_u32_e64 s[4:5], v9, v1
	v_mad_u32_u24 v4, v0, 15, 13
	s_and_b64 s[6:7], vcc, s[4:5]
	v_cmp_gt_u64_e32 vcc, s[12:13], v[4:5]
	v_cmp_ne_u32_e64 s[4:5], v8, v9
	v_mad_u32_u24 v4, v0, 15, 12
	s_and_b64 s[8:9], vcc, s[4:5]
	;; [unrolled: 4-line block ×13, first 2 shown]
	v_cmp_gt_u64_e32 vcc, s[12:13], v[4:5]
	v_cmp_ne_u32_e64 s[4:5], v20, v21
	v_lshlrev_b32_e32 v3, 2, v0
	v_mul_u32_u24_e32 v2, 15, v0
	s_and_b64 s[4:5], vcc, s[4:5]
	ds_write_b32 v3, v1
	s_waitcnt lgkmcnt(0)
	s_barrier
	s_and_saveexec_b64 s[54:55], s[2:3]
	s_cbranch_execz .LBB660_54
; %bb.53:
	v_add_u32_e32 v3, -4, v3
	s_waitcnt vmcnt(0)
	ds_read_b32 v6, v3
.LBB660_54:
	s_or_b64 exec, exec, s[54:55]
	v_mov_b32_e32 v3, v5
	v_cndmask_b32_e64 v67, 0, 1, s[4:5]
	v_cmp_gt_u64_e32 vcc, s[12:13], v[2:3]
	s_waitcnt vmcnt(0) lgkmcnt(0)
	v_cmp_ne_u32_e64 s[4:5], v6, v20
	v_cndmask_b32_e64 v54, 0, 1, s[6:7]
	v_cndmask_b32_e64 v55, 0, 1, s[8:9]
	;; [unrolled: 1-line block ×13, first 2 shown]
	s_and_b64 s[8:9], vcc, s[4:5]
	s_mov_b64 s[6:7], -1
.LBB660_55:
                                        ; implicit-def: $sgpr14
	v_mov_b32_e32 v68, s14
	s_and_saveexec_b64 s[2:3], s[6:7]
	s_cbranch_execnz .LBB660_60
	s_branch .LBB660_61
.LBB660_56:
                                        ; implicit-def: $sgpr8_sgpr9
                                        ; implicit-def: $vgpr54
                                        ; implicit-def: $vgpr55
                                        ; implicit-def: $vgpr56
                                        ; implicit-def: $vgpr57
                                        ; implicit-def: $vgpr58
                                        ; implicit-def: $vgpr59
                                        ; implicit-def: $vgpr60
                                        ; implicit-def: $vgpr61
                                        ; implicit-def: $vgpr62
                                        ; implicit-def: $vgpr63
                                        ; implicit-def: $vgpr64
                                        ; implicit-def: $vgpr65
                                        ; implicit-def: $vgpr66
                                        ; implicit-def: $vgpr67
	s_cbranch_execz .LBB660_55
; %bb.57:
	v_mad_u32_u24 v2, v0, 15, 14
	v_mov_b32_e32 v3, 0
	v_cmp_gt_u64_e32 vcc, s[12:13], v[2:3]
	v_cmp_ne_u32_e64 s[4:5], v9, v1
	s_and_b64 s[4:5], vcc, s[4:5]
	v_mad_u32_u24 v2, v0, 15, 13
	v_cndmask_b32_e64 v54, 0, 1, s[4:5]
	v_cmp_gt_u64_e32 vcc, s[12:13], v[2:3]
	v_cmp_ne_u32_e64 s[4:5], v8, v9
	s_and_b64 s[4:5], vcc, s[4:5]
	v_mad_u32_u24 v2, v0, 15, 12
	v_cndmask_b32_e64 v55, 0, 1, s[4:5]
	;; [unrolled: 5-line block ×13, first 2 shown]
	v_cmp_gt_u64_e32 vcc, s[12:13], v[2:3]
	v_cmp_ne_u32_e64 s[4:5], v20, v21
	s_and_b64 s[4:5], vcc, s[4:5]
	v_lshlrev_b32_e32 v4, 2, v0
	s_mov_b32 s14, 1
	v_cndmask_b32_e64 v67, 0, 1, s[4:5]
	ds_write_b32 v4, v1
	s_waitcnt lgkmcnt(0)
	s_barrier
	s_waitcnt lgkmcnt(0)
                                        ; implicit-def: $sgpr8_sgpr9
	s_and_saveexec_b64 s[4:5], s[2:3]
	s_cbranch_execz .LBB660_156
; %bb.58:
	v_add_u32_e32 v2, -4, v4
	ds_read_b32 v4, v2
	v_mul_u32_u24_e32 v2, 15, v0
	v_cmp_gt_u64_e32 vcc, s[12:13], v[2:3]
	s_or_b64 s[6:7], s[6:7], exec
	s_waitcnt lgkmcnt(0)
	v_cmp_ne_u32_e64 s[2:3], v4, v20
	s_and_b64 s[2:3], vcc, s[2:3]
	s_and_b64 s[8:9], s[2:3], exec
	s_or_b64 exec, exec, s[4:5]
.LBB660_59:
	v_mov_b32_e32 v68, s14
	s_and_saveexec_b64 s[2:3], s[6:7]
.LBB660_60:
	v_cndmask_b32_e64 v68, 0, 1, s[8:9]
.LBB660_61:
	s_or_b64 exec, exec, s[2:3]
	s_cmp_eq_u64 s[38:39], 0
	v_add3_u32 v2, v67, v68, v66
	s_cselect_b64 s[38:39], -1, 0
	s_cmp_lg_u32 s56, 0
	v_cmp_eq_u32_e64 s[26:27], 0, v67
	v_cmp_eq_u32_e64 s[24:25], 0, v66
	;; [unrolled: 1-line block ×3, first 2 shown]
	v_add3_u32 v72, v2, v65, v64
	v_cmp_eq_u32_e64 s[20:21], 0, v64
	v_cmp_eq_u32_e64 s[18:19], 0, v63
	;; [unrolled: 1-line block ×10, first 2 shown]
	v_cmp_eq_u32_e32 vcc, 0, v54
	v_mbcnt_lo_u32_b32 v71, -1, 0
	v_lshrrev_b32_e32 v69, 6, v0
	v_or_b32_e32 v70, 63, v0
	s_cbranch_scc0 .LBB660_92
; %bb.62:
	v_cndmask_b32_e64 v2, 0, v52, s[26:27]
	v_add_u32_e32 v2, v2, v52
	v_cndmask_b32_e64 v2, 0, v2, s[24:25]
	v_add_u32_e32 v2, v2, v52
	;; [unrolled: 2-line block ×11, first 2 shown]
	v_cndmask_b32_e64 v2, 0, v2, s[4:5]
	v_add3_u32 v3, v72, v63, v62
	v_add_u32_e32 v2, v2, v52
	v_add3_u32 v3, v3, v61, v60
	v_cndmask_b32_e64 v2, 0, v2, s[2:3]
	v_add3_u32 v3, v3, v59, v58
	v_add_u32_e32 v2, v2, v52
	v_add3_u32 v3, v3, v57, v56
	v_cndmask_b32_e32 v2, 0, v2, vcc
	v_add3_u32 v3, v3, v55, v54
	v_add_u32_e32 v2, v2, v53
	v_mbcnt_hi_u32_b32 v25, -1, v71
	v_and_b32_e32 v4, 15, v25
	v_mov_b32_dpp v6, v2 row_shr:1 row_mask:0xf bank_mask:0xf
	v_cmp_eq_u32_e32 vcc, 0, v3
	v_mov_b32_dpp v5, v3 row_shr:1 row_mask:0xf bank_mask:0xf
	v_cndmask_b32_e32 v6, 0, v6, vcc
	v_cmp_eq_u32_e32 vcc, 0, v4
	v_cndmask_b32_e64 v5, v5, 0, vcc
	v_add_u32_e32 v3, v5, v3
	v_cndmask_b32_e64 v5, v6, 0, vcc
	v_add_u32_e32 v2, v5, v2
	v_cmp_eq_u32_e32 vcc, 0, v3
	v_mov_b32_dpp v5, v3 row_shr:2 row_mask:0xf bank_mask:0xf
	v_cmp_lt_u32_e64 s[28:29], 1, v4
	v_mov_b32_dpp v6, v2 row_shr:2 row_mask:0xf bank_mask:0xf
	v_cndmask_b32_e64 v5, 0, v5, s[28:29]
	s_and_b64 vcc, s[28:29], vcc
	v_cndmask_b32_e32 v6, 0, v6, vcc
	v_add_u32_e32 v3, v3, v5
	v_add_u32_e32 v2, v6, v2
	v_cmp_eq_u32_e32 vcc, 0, v3
	v_mov_b32_dpp v5, v3 row_shr:4 row_mask:0xf bank_mask:0xf
	v_cmp_lt_u32_e64 s[28:29], 3, v4
	v_mov_b32_dpp v6, v2 row_shr:4 row_mask:0xf bank_mask:0xf
	v_cndmask_b32_e64 v5, 0, v5, s[28:29]
	s_and_b64 vcc, s[28:29], vcc
	v_cndmask_b32_e32 v6, 0, v6, vcc
	v_add_u32_e32 v3, v5, v3
	v_add_u32_e32 v2, v2, v6
	v_cmp_eq_u32_e32 vcc, 0, v3
	v_cmp_lt_u32_e64 s[28:29], 7, v4
	v_mov_b32_dpp v5, v3 row_shr:8 row_mask:0xf bank_mask:0xf
	v_mov_b32_dpp v6, v2 row_shr:8 row_mask:0xf bank_mask:0xf
	s_and_b64 vcc, s[28:29], vcc
	v_cndmask_b32_e64 v4, 0, v5, s[28:29]
	v_cndmask_b32_e32 v5, 0, v6, vcc
	v_add_u32_e32 v2, v5, v2
	v_add_u32_e32 v3, v4, v3
	v_bfe_i32 v6, v25, 4, 1
	v_mov_b32_dpp v5, v2 row_bcast:15 row_mask:0xf bank_mask:0xf
	v_mov_b32_dpp v4, v3 row_bcast:15 row_mask:0xf bank_mask:0xf
	v_cmp_eq_u32_e32 vcc, 0, v3
	v_cndmask_b32_e32 v5, 0, v5, vcc
	v_and_b32_e32 v4, v6, v4
	v_add_u32_e32 v3, v4, v3
	v_and_b32_e32 v4, v6, v5
	v_add_u32_e32 v4, v4, v2
	v_mov_b32_dpp v2, v3 row_bcast:31 row_mask:0xf bank_mask:0xf
	v_cmp_eq_u32_e32 vcc, 0, v3
	v_cmp_lt_u32_e64 s[28:29], 31, v25
	v_mov_b32_dpp v5, v4 row_bcast:31 row_mask:0xf bank_mask:0xf
	v_cndmask_b32_e64 v2, 0, v2, s[28:29]
	s_and_b64 vcc, s[28:29], vcc
	v_add_u32_e32 v2, v2, v3
	v_cndmask_b32_e32 v3, 0, v5, vcc
	v_add_u32_e32 v3, v3, v4
	v_cmp_eq_u32_e32 vcc, v70, v0
	v_lshlrev_b32_e32 v4, 3, v69
	s_and_saveexec_b64 s[28:29], vcc
	s_cbranch_execz .LBB660_64
; %bb.63:
	ds_write_b64 v4, v[2:3] offset:2064
.LBB660_64:
	s_or_b64 exec, exec, s[28:29]
	v_cmp_gt_u32_e32 vcc, 4, v0
	s_waitcnt lgkmcnt(0)
	s_barrier
	s_and_saveexec_b64 s[30:31], vcc
	s_cbranch_execz .LBB660_66
; %bb.65:
	v_lshlrev_b32_e32 v5, 3, v0
	ds_read_b64 v[6:7], v5 offset:2064
	v_and_b32_e32 v22, 3, v25
	v_cmp_lt_u32_e64 s[28:29], 1, v22
	s_waitcnt lgkmcnt(0)
	v_mov_b32_dpp v24, v7 row_shr:1 row_mask:0xf bank_mask:0xf
	v_cmp_eq_u32_e32 vcc, 0, v6
	v_mov_b32_dpp v23, v6 row_shr:1 row_mask:0xf bank_mask:0xf
	v_cndmask_b32_e32 v24, 0, v24, vcc
	v_cmp_eq_u32_e32 vcc, 0, v22
	v_cndmask_b32_e64 v23, v23, 0, vcc
	v_add_u32_e32 v6, v23, v6
	v_cndmask_b32_e64 v23, v24, 0, vcc
	v_add_u32_e32 v7, v23, v7
	v_cmp_eq_u32_e32 vcc, 0, v6
	v_mov_b32_dpp v23, v6 row_shr:2 row_mask:0xf bank_mask:0xf
	v_mov_b32_dpp v24, v7 row_shr:2 row_mask:0xf bank_mask:0xf
	v_cndmask_b32_e64 v22, 0, v23, s[28:29]
	s_and_b64 vcc, s[28:29], vcc
	v_add_u32_e32 v6, v22, v6
	v_cndmask_b32_e32 v22, 0, v24, vcc
	v_add_u32_e32 v7, v22, v7
	ds_write_b64 v5, v[6:7] offset:2064
.LBB660_66:
	s_or_b64 exec, exec, s[30:31]
	v_cmp_gt_u32_e32 vcc, 64, v0
	v_cmp_lt_u32_e64 s[28:29], 63, v0
	v_mov_b32_e32 v22, 0
	v_mov_b32_e32 v23, 0
	s_waitcnt lgkmcnt(0)
	s_barrier
	s_and_saveexec_b64 s[30:31], s[28:29]
	s_cbranch_execz .LBB660_68
; %bb.67:
	ds_read_b64 v[22:23], v4 offset:2056
	v_cmp_eq_u32_e64 s[28:29], 0, v2
	s_waitcnt lgkmcnt(0)
	v_add_u32_e32 v4, v22, v2
	v_cndmask_b32_e64 v2, 0, v23, s[28:29]
	v_add_u32_e32 v3, v2, v3
	v_mov_b32_e32 v2, v4
.LBB660_68:
	s_or_b64 exec, exec, s[30:31]
	v_add_u32_e32 v4, -1, v25
	v_and_b32_e32 v5, 64, v25
	v_cmp_lt_i32_e64 s[28:29], v4, v5
	v_cndmask_b32_e64 v4, v4, v25, s[28:29]
	v_lshlrev_b32_e32 v4, 2, v4
	ds_bpermute_b32 v30, v4, v2
	ds_bpermute_b32 v31, v4, v3
	v_cmp_eq_u32_e64 s[28:29], 0, v25
	s_and_saveexec_b64 s[48:49], vcc
	s_cbranch_execz .LBB660_91
; %bb.69:
	v_mov_b32_e32 v7, 0
	ds_read_b64 v[2:3], v7 offset:2088
	s_waitcnt lgkmcnt(0)
	v_readfirstlane_b32 s57, v2
	v_readfirstlane_b32 s58, v3
	s_and_saveexec_b64 s[30:31], s[28:29]
	s_cbranch_execz .LBB660_71
; %bb.70:
	s_add_i32 s54, s56, 64
	s_mov_b32 s55, 0
	s_lshl_b64 s[60:61], s[54:55], 4
	s_add_u32 s60, s36, s60
	s_addc_u32 s61, s37, s61
	s_and_b32 s63, s58, 0xff000000
	s_mov_b32 s62, s55
	s_and_b32 s65, s58, 0xff0000
	s_mov_b32 s64, s55
	s_or_b64 s[62:63], s[64:65], s[62:63]
	s_and_b32 s65, s58, 0xff00
	s_or_b64 s[62:63], s[62:63], s[64:65]
	s_and_b32 s65, s58, 0xff
	s_or_b64 s[54:55], s[62:63], s[64:65]
	v_mov_b32_e32 v4, s57
	v_mov_b32_e32 v5, s55
	v_mov_b32_e32 v6, 1
	v_pk_mov_b32 v[2:3], s[60:61], s[60:61] op_sel:[0,1]
	;;#ASMSTART
	global_store_dwordx4 v[2:3], v[4:7] off	
s_waitcnt vmcnt(0)
	;;#ASMEND
.LBB660_71:
	s_or_b64 exec, exec, s[30:31]
	v_xad_u32 v24, v25, -1, s56
	v_add_u32_e32 v6, 64, v24
	v_lshlrev_b64 v[2:3], 4, v[6:7]
	v_mov_b32_e32 v4, s37
	v_add_co_u32_e32 v26, vcc, s36, v2
	v_addc_co_u32_e32 v27, vcc, v4, v3, vcc
	;;#ASMSTART
	global_load_dwordx4 v[2:5], v[26:27] off glc	
s_waitcnt vmcnt(0)
	;;#ASMEND
	v_and_b32_e32 v5, 0xff, v3
	v_and_b32_e32 v6, 0xff00, v3
	v_or3_b32 v5, 0, v5, v6
	v_or3_b32 v2, v2, 0, 0
	v_and_b32_e32 v6, 0xff000000, v3
	v_and_b32_e32 v3, 0xff0000, v3
	v_or3_b32 v3, v5, v3, v6
	v_or3_b32 v2, v2, 0, 0
	v_cmp_eq_u16_sdwa s[54:55], v4, v7 src0_sel:BYTE_0 src1_sel:DWORD
	s_and_saveexec_b64 s[30:31], s[54:55]
	s_cbranch_execz .LBB660_77
; %bb.72:
	s_mov_b32 s59, 1
	s_mov_b64 s[54:55], 0
	v_mov_b32_e32 v6, 0
.LBB660_73:                             ; =>This Loop Header: Depth=1
                                        ;     Child Loop BB660_74 Depth 2
	s_max_u32 s60, s59, 1
.LBB660_74:                             ;   Parent Loop BB660_73 Depth=1
                                        ; =>  This Inner Loop Header: Depth=2
	s_add_i32 s60, s60, -1
	s_cmp_eq_u32 s60, 0
	s_sleep 1
	s_cbranch_scc0 .LBB660_74
; %bb.75:                               ;   in Loop: Header=BB660_73 Depth=1
	s_cmp_lt_u32 s59, 32
	s_cselect_b64 s[60:61], -1, 0
	s_cmp_lg_u64 s[60:61], 0
	s_addc_u32 s59, s59, 0
	;;#ASMSTART
	global_load_dwordx4 v[2:5], v[26:27] off glc	
s_waitcnt vmcnt(0)
	;;#ASMEND
	v_cmp_ne_u16_sdwa s[60:61], v4, v6 src0_sel:BYTE_0 src1_sel:DWORD
	s_or_b64 s[54:55], s[60:61], s[54:55]
	s_andn2_b64 exec, exec, s[54:55]
	s_cbranch_execnz .LBB660_73
; %bb.76:
	s_or_b64 exec, exec, s[54:55]
.LBB660_77:
	s_or_b64 exec, exec, s[30:31]
	v_mov_b32_e32 v32, 2
	v_cmp_eq_u16_sdwa s[30:31], v4, v32 src0_sel:BYTE_0 src1_sel:DWORD
	v_lshlrev_b64 v[26:27], v25, -1
	v_and_b32_e32 v5, s31, v27
	v_and_b32_e32 v33, 63, v25
	v_or_b32_e32 v5, 0x80000000, v5
	v_cmp_ne_u32_e32 vcc, 63, v33
	v_and_b32_e32 v6, s30, v26
	v_ffbl_b32_e32 v5, v5
	v_addc_co_u32_e32 v7, vcc, 0, v25, vcc
	v_add_u32_e32 v5, 32, v5
	v_ffbl_b32_e32 v6, v6
	v_lshlrev_b32_e32 v34, 2, v7
	v_min_u32_e32 v5, v6, v5
	ds_bpermute_b32 v6, v34, v3
	v_cmp_eq_u32_e32 vcc, 0, v2
	v_cmp_lt_u32_e64 s[30:31], v33, v5
	ds_bpermute_b32 v7, v34, v2
	s_and_b64 vcc, s[30:31], vcc
	s_waitcnt lgkmcnt(1)
	v_cndmask_b32_e32 v6, 0, v6, vcc
	v_cmp_gt_u32_e32 vcc, 62, v33
	v_add_u32_e32 v3, v6, v3
	v_cndmask_b32_e64 v6, 0, 1, vcc
	v_lshlrev_b32_e32 v6, 1, v6
	v_add_lshl_u32 v35, v6, v25, 2
	s_waitcnt lgkmcnt(0)
	v_cndmask_b32_e64 v7, 0, v7, s[30:31]
	ds_bpermute_b32 v6, v35, v3
	v_add_u32_e32 v2, v7, v2
	ds_bpermute_b32 v7, v35, v2
	v_add_u32_e32 v36, 2, v33
	v_cmp_eq_u32_e32 vcc, 0, v2
	s_waitcnt lgkmcnt(1)
	v_cndmask_b32_e32 v6, 0, v6, vcc
	v_cmp_gt_u32_e32 vcc, v36, v5
	v_cndmask_b32_e64 v6, v6, 0, vcc
	v_add_u32_e32 v3, v6, v3
	s_waitcnt lgkmcnt(0)
	v_cndmask_b32_e64 v6, v7, 0, vcc
	v_cmp_gt_u32_e32 vcc, 60, v33
	v_cndmask_b32_e64 v7, 0, 1, vcc
	v_lshlrev_b32_e32 v7, 2, v7
	v_add_lshl_u32 v37, v7, v25, 2
	ds_bpermute_b32 v7, v37, v3
	v_add_u32_e32 v2, v2, v6
	ds_bpermute_b32 v6, v37, v2
	v_add_u32_e32 v38, 4, v33
	v_cmp_eq_u32_e32 vcc, 0, v2
	s_waitcnt lgkmcnt(1)
	v_cndmask_b32_e32 v7, 0, v7, vcc
	v_cmp_gt_u32_e32 vcc, v38, v5
	v_cndmask_b32_e64 v7, v7, 0, vcc
	s_waitcnt lgkmcnt(0)
	v_cndmask_b32_e64 v6, v6, 0, vcc
	v_cmp_gt_u32_e32 vcc, 56, v33
	v_add_u32_e32 v3, v3, v7
	v_cndmask_b32_e64 v7, 0, 1, vcc
	v_lshlrev_b32_e32 v7, 3, v7
	v_add_lshl_u32 v39, v7, v25, 2
	ds_bpermute_b32 v7, v39, v3
	v_add_u32_e32 v2, v2, v6
	ds_bpermute_b32 v6, v39, v2
	v_add_u32_e32 v40, 8, v33
	v_cmp_eq_u32_e32 vcc, 0, v2
	s_waitcnt lgkmcnt(1)
	v_cndmask_b32_e32 v7, 0, v7, vcc
	v_cmp_gt_u32_e32 vcc, v40, v5
	v_cndmask_b32_e64 v7, v7, 0, vcc
	s_waitcnt lgkmcnt(0)
	v_cndmask_b32_e64 v6, v6, 0, vcc
	v_cmp_gt_u32_e32 vcc, 48, v33
	v_add_u32_e32 v3, v3, v7
	;; [unrolled: 16-line block ×3, first 2 shown]
	v_cndmask_b32_e64 v7, 0, 1, vcc
	v_lshlrev_b32_e32 v7, 5, v7
	v_add_lshl_u32 v43, v7, v25, 2
	ds_bpermute_b32 v7, v43, v3
	v_add_u32_e32 v2, v2, v6
	ds_bpermute_b32 v6, v43, v2
	v_add_u32_e32 v44, 32, v33
	v_cmp_eq_u32_e32 vcc, 0, v2
	s_waitcnt lgkmcnt(1)
	v_cndmask_b32_e32 v7, 0, v7, vcc
	v_cmp_gt_u32_e32 vcc, v44, v5
	v_cndmask_b32_e64 v5, v7, 0, vcc
	v_add_u32_e32 v3, v5, v3
	s_waitcnt lgkmcnt(0)
	v_cndmask_b32_e64 v5, v6, 0, vcc
	v_add_u32_e32 v2, v5, v2
	v_mov_b32_e32 v25, 0
	s_branch .LBB660_79
.LBB660_78:                             ;   in Loop: Header=BB660_79 Depth=1
	s_or_b64 exec, exec, s[30:31]
	v_cmp_eq_u16_sdwa s[30:31], v4, v32 src0_sel:BYTE_0 src1_sel:DWORD
	v_and_b32_e32 v5, s31, v27
	v_or_b32_e32 v5, 0x80000000, v5
	v_and_b32_e32 v28, s30, v26
	v_ffbl_b32_e32 v5, v5
	v_add_u32_e32 v5, 32, v5
	v_ffbl_b32_e32 v28, v28
	v_min_u32_e32 v5, v28, v5
	ds_bpermute_b32 v28, v34, v3
	v_cmp_eq_u32_e32 vcc, 0, v2
	v_cmp_lt_u32_e64 s[30:31], v33, v5
	ds_bpermute_b32 v29, v34, v2
	s_and_b64 vcc, s[30:31], vcc
	s_waitcnt lgkmcnt(1)
	v_cndmask_b32_e32 v28, 0, v28, vcc
	v_add_u32_e32 v3, v28, v3
	ds_bpermute_b32 v28, v35, v3
	s_waitcnt lgkmcnt(1)
	v_cndmask_b32_e64 v29, 0, v29, s[30:31]
	v_add_u32_e32 v2, v29, v2
	v_cmp_eq_u32_e32 vcc, 0, v2
	ds_bpermute_b32 v29, v35, v2
	s_waitcnt lgkmcnt(1)
	v_cndmask_b32_e32 v28, 0, v28, vcc
	v_cmp_gt_u32_e32 vcc, v36, v5
	v_cndmask_b32_e64 v28, v28, 0, vcc
	v_add_u32_e32 v3, v28, v3
	ds_bpermute_b32 v28, v37, v3
	s_waitcnt lgkmcnt(1)
	v_cndmask_b32_e64 v29, v29, 0, vcc
	v_add_u32_e32 v2, v2, v29
	v_cmp_eq_u32_e32 vcc, 0, v2
	ds_bpermute_b32 v29, v37, v2
	s_waitcnt lgkmcnt(1)
	v_cndmask_b32_e32 v28, 0, v28, vcc
	v_cmp_gt_u32_e32 vcc, v38, v5
	v_cndmask_b32_e64 v28, v28, 0, vcc
	v_add_u32_e32 v3, v3, v28
	ds_bpermute_b32 v28, v39, v3
	s_waitcnt lgkmcnt(1)
	v_cndmask_b32_e64 v29, v29, 0, vcc
	v_add_u32_e32 v2, v2, v29
	ds_bpermute_b32 v29, v39, v2
	v_cmp_eq_u32_e32 vcc, 0, v2
	s_waitcnt lgkmcnt(1)
	v_cndmask_b32_e32 v28, 0, v28, vcc
	v_cmp_gt_u32_e32 vcc, v40, v5
	v_cndmask_b32_e64 v28, v28, 0, vcc
	v_add_u32_e32 v3, v3, v28
	ds_bpermute_b32 v28, v41, v3
	s_waitcnt lgkmcnt(1)
	v_cndmask_b32_e64 v29, v29, 0, vcc
	v_add_u32_e32 v2, v2, v29
	ds_bpermute_b32 v29, v41, v2
	v_cmp_eq_u32_e32 vcc, 0, v2
	;; [unrolled: 11-line block ×3, first 2 shown]
	s_waitcnt lgkmcnt(1)
	v_cndmask_b32_e32 v28, 0, v28, vcc
	v_cmp_gt_u32_e32 vcc, v44, v5
	v_cndmask_b32_e64 v5, v28, 0, vcc
	v_add_u32_e32 v3, v5, v3
	s_waitcnt lgkmcnt(0)
	v_cndmask_b32_e64 v5, v29, 0, vcc
	v_cmp_eq_u32_e32 vcc, 0, v6
	v_cndmask_b32_e32 v3, 0, v3, vcc
	v_subrev_u32_e32 v24, 64, v24
	v_add3_u32 v2, v2, v6, v5
	v_add_u32_e32 v3, v3, v7
.LBB660_79:                             ; =>This Loop Header: Depth=1
                                        ;     Child Loop BB660_82 Depth 2
                                        ;       Child Loop BB660_83 Depth 3
	v_cmp_ne_u16_sdwa s[30:31], v4, v32 src0_sel:BYTE_0 src1_sel:DWORD
	v_mov_b32_e32 v7, v3
	v_cndmask_b32_e64 v3, 0, 1, s[30:31]
	;;#ASMSTART
	;;#ASMEND
	v_cmp_ne_u32_e32 vcc, 0, v3
	s_cmp_lg_u64 vcc, exec
	v_mov_b32_e32 v6, v2
	s_cbranch_scc1 .LBB660_86
; %bb.80:                               ;   in Loop: Header=BB660_79 Depth=1
	v_lshlrev_b64 v[2:3], 4, v[24:25]
	v_mov_b32_e32 v4, s37
	v_add_co_u32_e32 v28, vcc, s36, v2
	v_addc_co_u32_e32 v29, vcc, v4, v3, vcc
	;;#ASMSTART
	global_load_dwordx4 v[2:5], v[28:29] off glc	
s_waitcnt vmcnt(0)
	;;#ASMEND
	v_and_b32_e32 v5, 0xff, v3
	v_and_b32_e32 v45, 0xff00, v3
	v_or3_b32 v5, 0, v5, v45
	v_or3_b32 v2, v2, 0, 0
	v_and_b32_e32 v45, 0xff000000, v3
	v_and_b32_e32 v3, 0xff0000, v3
	v_or3_b32 v3, v5, v3, v45
	v_or3_b32 v2, v2, 0, 0
	v_cmp_eq_u16_sdwa s[54:55], v4, v25 src0_sel:BYTE_0 src1_sel:DWORD
	s_and_saveexec_b64 s[30:31], s[54:55]
	s_cbranch_execz .LBB660_78
; %bb.81:                               ;   in Loop: Header=BB660_79 Depth=1
	s_mov_b32 s59, 1
	s_mov_b64 s[54:55], 0
.LBB660_82:                             ;   Parent Loop BB660_79 Depth=1
                                        ; =>  This Loop Header: Depth=2
                                        ;       Child Loop BB660_83 Depth 3
	s_max_u32 s60, s59, 1
.LBB660_83:                             ;   Parent Loop BB660_79 Depth=1
                                        ;     Parent Loop BB660_82 Depth=2
                                        ; =>    This Inner Loop Header: Depth=3
	s_add_i32 s60, s60, -1
	s_cmp_eq_u32 s60, 0
	s_sleep 1
	s_cbranch_scc0 .LBB660_83
; %bb.84:                               ;   in Loop: Header=BB660_82 Depth=2
	s_cmp_lt_u32 s59, 32
	s_cselect_b64 s[60:61], -1, 0
	s_cmp_lg_u64 s[60:61], 0
	s_addc_u32 s59, s59, 0
	;;#ASMSTART
	global_load_dwordx4 v[2:5], v[28:29] off glc	
s_waitcnt vmcnt(0)
	;;#ASMEND
	v_cmp_ne_u16_sdwa s[60:61], v4, v25 src0_sel:BYTE_0 src1_sel:DWORD
	s_or_b64 s[54:55], s[60:61], s[54:55]
	s_andn2_b64 exec, exec, s[54:55]
	s_cbranch_execnz .LBB660_82
; %bb.85:                               ;   in Loop: Header=BB660_79 Depth=1
	s_or_b64 exec, exec, s[54:55]
	s_branch .LBB660_78
.LBB660_86:                             ;   in Loop: Header=BB660_79 Depth=1
                                        ; implicit-def: $vgpr3
                                        ; implicit-def: $vgpr2
                                        ; implicit-def: $vgpr4
	s_cbranch_execz .LBB660_79
; %bb.87:
	s_and_saveexec_b64 s[30:31], s[28:29]
	s_cbranch_execz .LBB660_89
; %bb.88:
	s_cmp_eq_u32 s57, 0
	s_cselect_b64 vcc, -1, 0
	s_mov_b32 s55, 0
	v_cndmask_b32_e32 v2, 0, v7, vcc
	s_add_i32 s54, s56, 64
	v_add_u32_e32 v2, s58, v2
	s_lshl_b64 s[54:55], s[54:55], 4
	s_add_u32 s54, s36, s54
	v_and_b32_e32 v3, 0xff000000, v2
	v_and_b32_e32 v4, 0xff0000, v2
	s_addc_u32 s55, s37, s55
	v_or_b32_e32 v3, v4, v3
	v_and_b32_e32 v4, 0xff00, v2
	v_and_b32_e32 v2, 0xff, v2
	v_add_u32_e32 v24, s57, v6
	v_mov_b32_e32 v27, 0
	v_or3_b32 v25, v3, v4, v2
	v_mov_b32_e32 v26, 2
	v_pk_mov_b32 v[2:3], s[54:55], s[54:55] op_sel:[0,1]
	;;#ASMSTART
	global_store_dwordx4 v[2:3], v[24:27] off	
s_waitcnt vmcnt(0)
	;;#ASMEND
	v_mov_b32_e32 v4, s57
	v_mov_b32_e32 v5, s58
	ds_write_b128 v27, v[4:7] offset:2048
.LBB660_89:
	s_or_b64 exec, exec, s[30:31]
	s_and_b64 exec, exec, s[0:1]
	s_cbranch_execz .LBB660_91
; %bb.90:
	v_mov_b32_e32 v2, 0
	ds_write_b64 v2, v[6:7] offset:2088
.LBB660_91:
	s_or_b64 exec, exec, s[48:49]
	v_mov_b32_e32 v4, 0
	s_waitcnt lgkmcnt(0)
	s_barrier
	ds_read_b64 v[2:3], v4 offset:2088
	v_cndmask_b32_e64 v6, v30, v22, s[28:29]
	v_cmp_eq_u32_e32 vcc, 0, v6
	v_cndmask_b32_e64 v5, v31, v23, s[28:29]
	s_waitcnt lgkmcnt(0)
	v_cndmask_b32_e32 v7, 0, v3, vcc
	v_add_u32_e32 v5, v7, v5
	v_cndmask_b32_e64 v51, v5, v3, s[0:1]
	v_cndmask_b32_e64 v3, v6, 0, s[0:1]
	v_cmp_eq_u32_e32 vcc, 0, v68
	v_add_u32_e32 v50, v2, v3
	v_cndmask_b32_e32 v2, 0, v51, vcc
	v_add_u32_e32 v49, v2, v52
	v_cndmask_b32_e64 v2, 0, v49, s[26:27]
	v_add_u32_e32 v47, v2, v52
	v_cndmask_b32_e64 v2, 0, v47, s[24:25]
	;; [unrolled: 2-line block ×8, first 2 shown]
	v_add_u32_e32 v48, v50, v68
	v_add_u32_e32 v33, v2, v52
	v_add_u32_e32 v46, v48, v67
	v_cndmask_b32_e64 v2, 0, v33, s[10:11]
	v_add_u32_e32 v44, v46, v66
	v_add_u32_e32 v31, v2, v52
	v_add_u32_e32 v42, v44, v65
	v_cndmask_b32_e64 v2, 0, v31, s[8:9]
	;; [unrolled: 4-line block ×3, first 2 shown]
	v_add_u32_e32 v36, v38, v62
	v_add_u32_e32 v27, v2, v52
	s_barrier
	ds_read_b128 v[2:5], v4 offset:2048
	v_add_u32_e32 v34, v36, v61
	v_add_u32_e32 v32, v34, v60
	;; [unrolled: 1-line block ×4, first 2 shown]
	v_cndmask_b32_e64 v6, 0, v27, s[4:5]
	v_add_u32_e32 v26, v28, v57
	v_add_u32_e32 v23, v6, v52
	s_waitcnt lgkmcnt(0)
	v_cmp_eq_u32_e32 vcc, 0, v2
	v_add_u32_e32 v22, v26, v56
	v_cndmask_b32_e64 v6, 0, v23, s[2:3]
	v_cndmask_b32_e32 v5, 0, v5, vcc
	v_add_u32_e32 v24, v22, v55
	v_add_u32_e32 v25, v6, v52
	;; [unrolled: 1-line block ×3, first 2 shown]
	s_branch .LBB660_104
.LBB660_92:
                                        ; implicit-def: $vgpr2
                                        ; implicit-def: $vgpr6
                                        ; implicit-def: $vgpr24_vgpr25
                                        ; implicit-def: $vgpr22_vgpr23
                                        ; implicit-def: $vgpr26_vgpr27
                                        ; implicit-def: $vgpr28_vgpr29
                                        ; implicit-def: $vgpr50_vgpr51
                                        ; implicit-def: $vgpr48_vgpr49
                                        ; implicit-def: $vgpr46_vgpr47
                                        ; implicit-def: $vgpr44_vgpr45
                                        ; implicit-def: $vgpr42_vgpr43
                                        ; implicit-def: $vgpr40_vgpr41
                                        ; implicit-def: $vgpr38_vgpr39
                                        ; implicit-def: $vgpr36_vgpr37
                                        ; implicit-def: $vgpr34_vgpr35
                                        ; implicit-def: $vgpr32_vgpr33
                                        ; implicit-def: $vgpr30_vgpr31
	s_cbranch_execz .LBB660_104
; %bb.93:
	s_and_b64 s[2:3], s[38:39], exec
	s_cselect_b32 s3, 0, s35
	s_cselect_b32 s2, 0, s34
	s_cmp_eq_u64 s[2:3], 0
	v_mov_b32_e32 v6, v52
	s_cbranch_scc1 .LBB660_95
; %bb.94:
	v_mov_b32_e32 v2, 0
	global_load_dword v6, v2, s[2:3]
.LBB660_95:
	v_cmp_eq_u32_e64 s[2:3], 0, v67
	v_cndmask_b32_e64 v2, 0, v52, s[2:3]
	v_add_u32_e32 v2, v2, v52
	v_cmp_eq_u32_e64 s[4:5], 0, v66
	v_cndmask_b32_e64 v2, 0, v2, s[4:5]
	v_add_u32_e32 v2, v2, v52
	;; [unrolled: 3-line block ×11, first 2 shown]
	v_cmp_eq_u32_e64 s[24:25], 0, v56
	v_cndmask_b32_e64 v2, 0, v2, s[24:25]
	v_add3_u32 v3, v72, v63, v62
	v_add_u32_e32 v2, v2, v52
	v_cmp_eq_u32_e32 vcc, 0, v55
	v_add3_u32 v3, v3, v61, v60
	v_cndmask_b32_e32 v2, 0, v2, vcc
	v_add3_u32 v3, v3, v59, v58
	v_add_u32_e32 v2, v2, v52
	v_cmp_eq_u32_e64 s[26:27], 0, v54
	v_add3_u32 v3, v3, v57, v56
	v_cndmask_b32_e64 v2, 0, v2, s[26:27]
	v_add3_u32 v3, v3, v55, v54
	v_add_u32_e32 v2, v2, v53
	v_mbcnt_hi_u32_b32 v7, -1, v71
	v_and_b32_e32 v4, 15, v7
	v_mov_b32_dpp v22, v2 row_shr:1 row_mask:0xf bank_mask:0xf
	v_cmp_eq_u32_e64 s[26:27], 0, v3
	v_mov_b32_dpp v5, v3 row_shr:1 row_mask:0xf bank_mask:0xf
	v_cndmask_b32_e64 v22, 0, v22, s[26:27]
	v_cmp_eq_u32_e64 s[26:27], 0, v4
	v_cndmask_b32_e64 v5, v5, 0, s[26:27]
	v_add_u32_e32 v3, v5, v3
	v_cndmask_b32_e64 v5, v22, 0, s[26:27]
	v_add_u32_e32 v2, v5, v2
	v_cmp_eq_u32_e64 s[26:27], 0, v3
	v_mov_b32_dpp v5, v3 row_shr:2 row_mask:0xf bank_mask:0xf
	v_cmp_lt_u32_e64 s[28:29], 1, v4
	v_mov_b32_dpp v22, v2 row_shr:2 row_mask:0xf bank_mask:0xf
	v_cndmask_b32_e64 v5, 0, v5, s[28:29]
	s_and_b64 s[26:27], s[28:29], s[26:27]
	v_cndmask_b32_e64 v22, 0, v22, s[26:27]
	v_add_u32_e32 v3, v3, v5
	v_add_u32_e32 v2, v22, v2
	v_cmp_eq_u32_e64 s[26:27], 0, v3
	v_mov_b32_dpp v5, v3 row_shr:4 row_mask:0xf bank_mask:0xf
	v_cmp_lt_u32_e64 s[28:29], 3, v4
	v_mov_b32_dpp v22, v2 row_shr:4 row_mask:0xf bank_mask:0xf
	v_cndmask_b32_e64 v5, 0, v5, s[28:29]
	s_and_b64 s[26:27], s[28:29], s[26:27]
	v_cndmask_b32_e64 v22, 0, v22, s[26:27]
	v_add_u32_e32 v3, v5, v3
	v_add_u32_e32 v2, v2, v22
	v_cmp_eq_u32_e64 s[26:27], 0, v3
	v_cmp_lt_u32_e64 s[28:29], 7, v4
	v_mov_b32_dpp v5, v3 row_shr:8 row_mask:0xf bank_mask:0xf
	v_mov_b32_dpp v22, v2 row_shr:8 row_mask:0xf bank_mask:0xf
	s_and_b64 s[26:27], s[28:29], s[26:27]
	v_cndmask_b32_e64 v4, 0, v5, s[28:29]
	v_cndmask_b32_e64 v5, 0, v22, s[26:27]
	v_add_u32_e32 v2, v5, v2
	v_add_u32_e32 v3, v4, v3
	v_bfe_i32 v22, v7, 4, 1
	v_mov_b32_dpp v5, v2 row_bcast:15 row_mask:0xf bank_mask:0xf
	v_mov_b32_dpp v4, v3 row_bcast:15 row_mask:0xf bank_mask:0xf
	v_cmp_eq_u32_e64 s[26:27], 0, v3
	v_cndmask_b32_e64 v5, 0, v5, s[26:27]
	v_and_b32_e32 v4, v22, v4
	v_add_u32_e32 v3, v4, v3
	v_and_b32_e32 v4, v22, v5
	v_add_u32_e32 v4, v4, v2
	v_mov_b32_dpp v2, v3 row_bcast:31 row_mask:0xf bank_mask:0xf
	v_cmp_eq_u32_e64 s[26:27], 0, v3
	v_cmp_lt_u32_e64 s[28:29], 31, v7
	v_mov_b32_dpp v5, v4 row_bcast:31 row_mask:0xf bank_mask:0xf
	v_cndmask_b32_e64 v2, 0, v2, s[28:29]
	s_and_b64 s[26:27], s[28:29], s[26:27]
	v_add_u32_e32 v2, v2, v3
	v_cndmask_b32_e64 v3, 0, v5, s[26:27]
	v_add_u32_e32 v3, v3, v4
	v_cmp_eq_u32_e64 s[26:27], v70, v0
	s_and_saveexec_b64 s[28:29], s[26:27]
	s_cbranch_execz .LBB660_97
; %bb.96:
	v_lshlrev_b32_e32 v4, 3, v69
	ds_write_b64 v4, v[2:3] offset:2064
.LBB660_97:
	s_or_b64 exec, exec, s[28:29]
	v_cmp_gt_u32_e64 s[26:27], 4, v0
	s_waitcnt lgkmcnt(0)
	s_barrier
	s_and_saveexec_b64 s[30:31], s[26:27]
	s_cbranch_execz .LBB660_99
; %bb.98:
	v_lshlrev_b32_e32 v22, 3, v0
	ds_read_b64 v[4:5], v22 offset:2064
	v_and_b32_e32 v23, 3, v7
	v_cmp_lt_u32_e64 s[28:29], 1, v23
	s_waitcnt lgkmcnt(0)
	v_mov_b32_dpp v25, v5 row_shr:1 row_mask:0xf bank_mask:0xf
	v_cmp_eq_u32_e64 s[26:27], 0, v4
	v_mov_b32_dpp v24, v4 row_shr:1 row_mask:0xf bank_mask:0xf
	v_cndmask_b32_e64 v25, 0, v25, s[26:27]
	v_cmp_eq_u32_e64 s[26:27], 0, v23
	v_cndmask_b32_e64 v24, v24, 0, s[26:27]
	v_add_u32_e32 v4, v24, v4
	v_cndmask_b32_e64 v24, v25, 0, s[26:27]
	v_add_u32_e32 v5, v24, v5
	v_cmp_eq_u32_e64 s[26:27], 0, v4
	v_mov_b32_dpp v24, v4 row_shr:2 row_mask:0xf bank_mask:0xf
	v_mov_b32_dpp v25, v5 row_shr:2 row_mask:0xf bank_mask:0xf
	v_cndmask_b32_e64 v23, 0, v24, s[28:29]
	s_and_b64 s[26:27], s[28:29], s[26:27]
	v_add_u32_e32 v4, v23, v4
	v_cndmask_b32_e64 v23, 0, v25, s[26:27]
	v_add_u32_e32 v5, v23, v5
	ds_write_b64 v22, v[4:5] offset:2064
.LBB660_99:
	s_or_b64 exec, exec, s[30:31]
	v_cmp_lt_u32_e64 s[26:27], 63, v0
	v_mov_b32_e32 v23, 0
	v_mov_b32_e32 v4, 0
	s_waitcnt vmcnt(0)
	v_mov_b32_e32 v5, v6
	s_waitcnt lgkmcnt(0)
	s_barrier
	s_and_saveexec_b64 s[28:29], s[26:27]
	s_cbranch_execz .LBB660_101
; %bb.100:
	v_lshlrev_b32_e32 v4, 3, v69
	ds_read_b64 v[4:5], v4 offset:2056
	s_waitcnt lgkmcnt(0)
	v_cmp_eq_u32_e64 s[26:27], 0, v4
	v_cndmask_b32_e64 v22, 0, v6, s[26:27]
	v_add_u32_e32 v5, v22, v5
.LBB660_101:
	s_or_b64 exec, exec, s[28:29]
	v_cmp_eq_u32_e64 s[26:27], 0, v2
	v_add_u32_e32 v22, v4, v2
	v_cndmask_b32_e64 v2, 0, v5, s[26:27]
	v_add_u32_e32 v2, v2, v3
	v_add_u32_e32 v3, -1, v7
	v_and_b32_e32 v24, 64, v7
	v_cmp_lt_i32_e64 s[26:27], v3, v24
	v_cndmask_b32_e64 v3, v3, v7, s[26:27]
	v_lshlrev_b32_e32 v3, 2, v3
	ds_bpermute_b32 v2, v3, v2
	ds_bpermute_b32 v22, v3, v22
	v_cmp_eq_u32_e64 s[26:27], 0, v7
	s_waitcnt lgkmcnt(1)
	v_cndmask_b32_e64 v2, v2, v5, s[26:27]
	s_waitcnt lgkmcnt(0)
	v_cndmask_b32_e64 v3, v22, v4, s[26:27]
	v_cndmask_b32_e64 v51, v2, v6, s[0:1]
	v_cmp_eq_u32_e64 s[26:27], 0, v68
	v_cndmask_b32_e64 v2, 0, v51, s[26:27]
	v_add_u32_e32 v49, v2, v52
	v_cndmask_b32_e64 v2, 0, v49, s[2:3]
	v_add_u32_e32 v47, v2, v52
	v_cndmask_b32_e64 v2, 0, v47, s[4:5]
	v_add_u32_e32 v45, v2, v52
	v_cndmask_b32_e64 v2, 0, v45, s[6:7]
	v_add_u32_e32 v43, v2, v52
	v_cndmask_b32_e64 v2, 0, v43, s[8:9]
	v_add_u32_e32 v41, v2, v52
	v_cndmask_b32_e64 v2, 0, v41, s[10:11]
	v_add_u32_e32 v39, v2, v52
	v_cndmask_b32_e64 v2, 0, v39, s[12:13]
	v_add_u32_e32 v37, v2, v52
	v_cndmask_b32_e64 v2, 0, v37, s[14:15]
	v_add_u32_e32 v35, v2, v52
	v_cndmask_b32_e64 v50, v3, 0, s[0:1]
	v_cndmask_b32_e64 v2, 0, v35, s[16:17]
	v_add_u32_e32 v48, v50, v68
	v_add_u32_e32 v33, v2, v52
	v_add_u32_e32 v46, v48, v67
	v_cndmask_b32_e64 v2, 0, v33, s[18:19]
	v_add_u32_e32 v44, v46, v66
	v_add_u32_e32 v31, v2, v52
	v_add_u32_e32 v42, v44, v65
	;; [unrolled: 4-line block ×3, first 2 shown]
	v_cndmask_b32_e64 v2, 0, v29, s[22:23]
	v_add_u32_e32 v36, v38, v62
	v_add_u32_e32 v27, v2, v52
	ds_read_b64 v[2:3], v23 offset:2088
	v_add_u32_e32 v34, v36, v61
	v_add_u32_e32 v32, v34, v60
	;; [unrolled: 1-line block ×3, first 2 shown]
	v_cndmask_b32_e64 v4, 0, v27, s[24:25]
	v_add_u32_e32 v28, v30, v58
	v_add_u32_e32 v23, v4, v52
	v_add_u32_e32 v26, v28, v57
	v_cndmask_b32_e32 v4, 0, v23, vcc
	s_waitcnt lgkmcnt(0)
	v_cmp_eq_u32_e32 vcc, 0, v2
	v_add_u32_e32 v22, v26, v56
	v_add_u32_e32 v25, v4, v52
	v_cndmask_b32_e32 v4, 0, v6, vcc
	v_add_u32_e32 v24, v22, v55
	v_add_u32_e32 v6, v4, v3
	s_and_saveexec_b64 s[2:3], s[0:1]
	s_cbranch_execz .LBB660_103
; %bb.102:
	s_add_u32 s4, s36, 0x400
	v_and_b32_e32 v3, 0xff000000, v6
	v_and_b32_e32 v4, 0xff0000, v6
	s_addc_u32 s5, s37, 0
	v_or_b32_e32 v3, v4, v3
	v_and_b32_e32 v4, 0xff00, v6
	v_and_b32_e32 v7, 0xff, v6
	v_mov_b32_e32 v5, 0
	v_or3_b32 v3, v3, v4, v7
	v_mov_b32_e32 v4, 2
	v_pk_mov_b32 v[52:53], s[4:5], s[4:5] op_sel:[0,1]
	;;#ASMSTART
	global_store_dwordx4 v[52:53], v[2:5] off	
s_waitcnt vmcnt(0)
	;;#ASMEND
.LBB660_103:
	s_or_b64 exec, exec, s[2:3]
	v_mov_b32_e32 v4, 0
.LBB660_104:
	s_and_b64 s[2:3], s[38:39], exec
	s_cselect_b32 s3, 0, s51
	s_cselect_b32 s2, 0, s50
	s_cmp_eq_u64 s[2:3], 0
	v_pk_mov_b32 v[52:53], 0, 0
	s_barrier
	s_cbranch_scc1 .LBB660_106
; %bb.105:
	v_mov_b32_e32 v3, 0
	global_load_dwordx2 v[52:53], v3, s[2:3]
.LBB660_106:
	s_waitcnt vmcnt(0)
	v_lshlrev_b64 v[70:71], 2, v[52:53]
	v_mov_b32_e32 v3, s45
	v_add_co_u32_e32 v7, vcc, s44, v70
	v_mov_b32_e32 v5, 0
	v_addc_co_u32_e32 v69, vcc, v3, v71, vcc
	v_lshlrev_b64 v[70:71], 2, v[4:5]
	v_add_co_u32_e32 v3, vcc, v7, v70
	v_addc_co_u32_e32 v7, vcc, v69, v71, vcc
	v_cmp_eq_u32_e32 vcc, 0, v68
	v_cndmask_b32_e64 v69, 1, 2, vcc
	v_cmp_eq_u32_e32 vcc, 0, v67
	v_cndmask_b32_e64 v70, 1, 2, vcc
	v_cmp_eq_u32_e32 vcc, 0, v66
	v_and_b32_e32 v69, v70, v69
	v_cndmask_b32_e64 v70, 1, 2, vcc
	v_cmp_eq_u32_e32 vcc, 0, v65
	v_and_b32_e32 v69, v69, v70
	v_cndmask_b32_e64 v70, 1, 2, vcc
	v_cmp_eq_u32_e32 vcc, 0, v64
	v_and_b32_e32 v69, v69, v70
	v_cndmask_b32_e64 v70, 1, 2, vcc
	v_cmp_eq_u32_e32 vcc, 0, v63
	v_and_b32_e32 v69, v69, v70
	v_cndmask_b32_e64 v70, 1, 2, vcc
	v_cmp_eq_u32_e32 vcc, 0, v62
	v_and_b32_e32 v69, v69, v70
	v_cndmask_b32_e64 v70, 1, 2, vcc
	v_cmp_eq_u32_e32 vcc, 0, v61
	v_and_b32_e32 v69, v69, v70
	v_cndmask_b32_e64 v70, 1, 2, vcc
	v_cmp_eq_u32_e32 vcc, 0, v60
	v_and_b32_e32 v69, v69, v70
	v_cndmask_b32_e64 v70, 1, 2, vcc
	v_cmp_eq_u32_e32 vcc, 0, v59
	v_and_b32_e32 v69, v69, v70
	v_cndmask_b32_e64 v70, 1, 2, vcc
	v_cmp_eq_u32_e32 vcc, 0, v58
	v_and_b32_e32 v69, v69, v70
	v_cndmask_b32_e64 v70, 1, 2, vcc
	v_cmp_eq_u32_e32 vcc, 0, v57
	v_and_b32_e32 v69, v69, v70
	v_cndmask_b32_e64 v70, 1, 2, vcc
	v_cmp_eq_u32_e32 vcc, 0, v56
	v_and_b32_e32 v69, v69, v70
	v_cndmask_b32_e64 v70, 1, 2, vcc
	v_cmp_eq_u32_e32 vcc, 0, v55
	v_and_b32_e32 v69, v69, v70
	v_cndmask_b32_e64 v70, 1, 2, vcc
	v_cmp_eq_u32_e32 vcc, 0, v54
	v_and_b32_e32 v69, v69, v70
	v_cndmask_b32_e64 v70, 1, 2, vcc
	s_movk_i32 s34, 0x100
	v_and_b32_e32 v69, v69, v70
	v_cmp_gt_u32_e32 vcc, s34, v2
	v_cmp_ne_u32_e64 s[30:31], 0, v68
	v_cmp_ne_u32_e64 s[28:29], 0, v67
	v_cmp_ne_u32_e64 s[26:27], 0, v66
	v_cmp_ne_u32_e64 s[24:25], 0, v65
	v_cmp_ne_u32_e64 s[22:23], 0, v64
	v_cmp_ne_u32_e64 s[20:21], 0, v63
	v_cmp_ne_u32_e64 s[18:19], 0, v62
	v_cmp_ne_u32_e64 s[16:17], 0, v61
	v_cmp_ne_u32_e64 s[14:15], 0, v60
	v_cmp_ne_u32_e64 s[12:13], 0, v59
	v_cmp_ne_u32_e64 s[10:11], 0, v58
	v_cmp_ne_u32_e64 s[8:9], 0, v57
	v_cmp_ne_u32_e64 s[6:7], 0, v56
	v_cmp_ne_u32_e64 s[4:5], 0, v55
	v_cmp_ne_u32_e64 s[2:3], 0, v54
	s_mov_b64 s[36:37], -1
	v_cmp_gt_i16_e64 s[34:35], 2, v69
	s_cbranch_vccz .LBB660_113
; %bb.107:
	s_and_saveexec_b64 s[36:37], s[34:35]
	s_cbranch_execz .LBB660_112
; %bb.108:
	v_cmp_ne_u16_e32 vcc, 1, v69
	s_mov_b64 s[38:39], 0
	s_and_saveexec_b64 s[34:35], vcc
	s_xor_b64 s[34:35], exec, s[34:35]
	s_cbranch_execnz .LBB660_157
; %bb.109:
	s_andn2_saveexec_b64 s[34:35], s[34:35]
	s_cbranch_execnz .LBB660_173
.LBB660_110:
	s_or_b64 exec, exec, s[34:35]
	s_and_b64 exec, exec, s[38:39]
	s_cbranch_execz .LBB660_112
.LBB660_111:
	v_sub_u32_e32 v70, v24, v4
	v_mov_b32_e32 v71, 0
	v_lshlrev_b64 v[70:71], 2, v[70:71]
	v_add_co_u32_e32 v70, vcc, v3, v70
	v_addc_co_u32_e32 v71, vcc, v7, v71, vcc
	global_store_dword v[70:71], v1, off
.LBB660_112:
	s_or_b64 exec, exec, s[36:37]
	s_mov_b64 s[36:37], 0
.LBB660_113:
	s_and_b64 vcc, exec, s[36:37]
	s_cbranch_vccz .LBB660_135
; %bb.114:
	v_cmp_gt_i16_e32 vcc, 2, v69
	s_and_saveexec_b64 s[34:35], vcc
	s_cbranch_execz .LBB660_119
; %bb.115:
	v_cmp_ne_u16_e32 vcc, 1, v69
	s_mov_b64 s[38:39], 0
	s_and_saveexec_b64 s[36:37], vcc
	s_xor_b64 s[36:37], exec, s[36:37]
	s_cbranch_execnz .LBB660_174
; %bb.116:
	s_andn2_saveexec_b64 s[2:3], s[36:37]
	s_cbranch_execnz .LBB660_190
.LBB660_117:
	s_or_b64 exec, exec, s[2:3]
	s_and_b64 exec, exec, s[38:39]
	s_cbranch_execz .LBB660_119
.LBB660_118:
	v_sub_u32_e32 v8, v24, v4
	v_lshlrev_b32_e32 v8, 2, v8
	ds_write_b32 v8, v1
.LBB660_119:
	s_or_b64 exec, exec, s[34:35]
	v_cmp_lt_u32_e32 vcc, v0, v2
	s_waitcnt lgkmcnt(0)
	s_barrier
	s_and_saveexec_b64 s[4:5], vcc
	s_cbranch_execz .LBB660_134
; %bb.120:
	v_xad_u32 v1, v0, -1, v2
	s_movk_i32 s2, 0x1700
	v_cmp_gt_u32_e64 s[6:7], s2, v1
	s_movk_i32 s2, 0x16ff
	v_cmp_lt_u32_e32 vcc, s2, v1
	v_mov_b32_e32 v8, v0
	s_and_saveexec_b64 s[8:9], vcc
	s_cbranch_execz .LBB660_131
; %bb.121:
	v_sub_u32_e32 v8, v0, v2
	v_or_b32_e32 v8, 0xff, v8
	v_cmp_ge_u32_e32 vcc, v8, v0
	s_mov_b64 s[2:3], -1
	v_mov_b32_e32 v8, v0
	s_and_saveexec_b64 s[10:11], vcc
	s_cbranch_execz .LBB660_130
; %bb.122:
	v_lshrrev_b32_e32 v12, 8, v1
	v_add_u32_e32 v8, -1, v12
	v_or_b32_e32 v1, 0x100, v0
	v_lshrrev_b32_e32 v9, 1, v8
	v_add_u32_e32 v13, 1, v9
	v_cmp_lt_u32_e32 vcc, 13, v8
	v_mov_b32_e32 v16, 0
	v_pk_mov_b32 v[8:9], v[0:1], v[0:1] op_sel:[0,1]
	s_and_saveexec_b64 s[12:13], vcc
	s_cbranch_execz .LBB660_126
; %bb.123:
	v_and_b32_e32 v14, -8, v13
	v_lshlrev_b32_e32 v15, 2, v0
	s_mov_b32 s16, 0
	s_mov_b64 s[14:15], 0
	v_mov_b32_e32 v11, 0
	v_pk_mov_b32 v[8:9], v[0:1], v[0:1] op_sel:[0,1]
.LBB660_124:                            ; =>This Inner Loop Header: Depth=1
	v_mov_b32_e32 v10, v8
	v_add_u32_e32 v14, -8, v14
	v_lshlrev_b64 v[94:95], 2, v[10:11]
	v_mov_b32_e32 v10, v9
	ds_read2st64_b32 v[18:19], v15 offset1:4
	s_add_i32 s16, s16, 16
	v_cmp_eq_u32_e32 vcc, 0, v14
	v_lshlrev_b64 v[98:99], 2, v[10:11]
	v_add_u32_e32 v10, 0x200, v8
	s_or_b64 s[14:15], vcc, s[14:15]
	v_add_co_u32_e32 v98, vcc, v3, v98
	v_add_u32_e32 v16, 0x200, v9
	ds_read2st64_b32 v[20:21], v15 offset0:8 offset1:12
	v_mov_b32_e32 v17, v11
	ds_read2st64_b32 v[72:73], v15 offset0:16 offset1:20
	v_add_co_u32_e64 v94, s[2:3], v3, v94
	v_addc_co_u32_e32 v99, vcc, v7, v99, vcc
	v_lshlrev_b64 v[100:101], 2, v[10:11]
	v_lshlrev_b64 v[96:97], 2, v[16:17]
	v_addc_co_u32_e64 v95, s[2:3], v7, v95, s[2:3]
	v_add_u32_e32 v10, 0x400, v8
	v_add_co_u32_e32 v100, vcc, v3, v100
	v_add_u32_e32 v70, 0x400, v9
	v_mov_b32_e32 v71, v11
	ds_read2st64_b32 v[76:77], v15 offset0:24 offset1:28
	v_add_co_u32_e64 v96, s[2:3], v3, v96
	v_addc_co_u32_e32 v101, vcc, v7, v101, vcc
	v_lshlrev_b64 v[102:103], 2, v[10:11]
	ds_read2st64_b32 v[80:81], v15 offset0:32 offset1:36
	ds_read2st64_b32 v[84:85], v15 offset0:40 offset1:44
	;; [unrolled: 1-line block ×4, first 2 shown]
	v_lshlrev_b64 v[70:71], 2, v[70:71]
	v_addc_co_u32_e64 v97, s[2:3], v7, v97, s[2:3]
	v_add_u32_e32 v10, 0x600, v8
	s_waitcnt lgkmcnt(7)
	global_store_dword v[94:95], v18, off
	global_store_dword v[98:99], v19, off
	s_waitcnt lgkmcnt(6)
	global_store_dword v[100:101], v20, off
	global_store_dword v[96:97], v21, off
	v_add_co_u32_e32 v18, vcc, v3, v102
	v_add_u32_e32 v74, 0x600, v9
	v_mov_b32_e32 v75, v11
	v_add_co_u32_e64 v70, s[2:3], v3, v70
	v_addc_co_u32_e32 v19, vcc, v7, v103, vcc
	v_lshlrev_b64 v[20:21], 2, v[10:11]
	v_lshlrev_b64 v[74:75], 2, v[74:75]
	v_addc_co_u32_e64 v71, s[2:3], v7, v71, s[2:3]
	v_add_u32_e32 v10, 0x800, v8
	s_waitcnt lgkmcnt(5)
	global_store_dword v[18:19], v72, off
	global_store_dword v[70:71], v73, off
	v_add_co_u32_e32 v18, vcc, v3, v20
	v_add_u32_e32 v78, 0x800, v9
	v_mov_b32_e32 v79, v11
	v_add_co_u32_e64 v74, s[2:3], v3, v74
	v_addc_co_u32_e32 v19, vcc, v7, v21, vcc
	v_lshlrev_b64 v[20:21], 2, v[10:11]
	v_lshlrev_b64 v[78:79], 2, v[78:79]
	v_addc_co_u32_e64 v75, s[2:3], v7, v75, s[2:3]
	v_add_u32_e32 v10, 0xa00, v8
	;; [unrolled: 12-line block ×4, first 2 shown]
	s_waitcnt lgkmcnt(2)
	global_store_dword v[18:19], v84, off
	global_store_dword v[82:83], v85, off
	v_add_co_u32_e32 v18, vcc, v3, v20
	v_add_u32_e32 v90, 0xe00, v9
	v_mov_b32_e32 v91, v11
	v_add_co_u32_e64 v86, s[2:3], v3, v86
	v_addc_co_u32_e32 v19, vcc, v7, v21, vcc
	v_lshlrev_b64 v[20:21], 2, v[10:11]
	v_lshlrev_b64 v[90:91], 2, v[90:91]
	v_addc_co_u32_e64 v87, s[2:3], v7, v87, s[2:3]
	s_waitcnt lgkmcnt(1)
	global_store_dword v[18:19], v88, off
	global_store_dword v[86:87], v89, off
	v_add_co_u32_e32 v18, vcc, v3, v20
	v_add_u32_e32 v15, 0x4000, v15
	v_add_u32_e32 v9, 0x1000, v9
	v_mov_b32_e32 v16, s16
	v_add_co_u32_e64 v90, s[2:3], v3, v90
	v_add_u32_e32 v8, 0x1000, v8
	v_addc_co_u32_e32 v19, vcc, v7, v21, vcc
	v_addc_co_u32_e64 v91, s[2:3], v7, v91, s[2:3]
	s_waitcnt lgkmcnt(0)
	global_store_dword v[18:19], v92, off
	global_store_dword v[90:91], v93, off
	s_andn2_b64 exec, exec, s[14:15]
	s_cbranch_execnz .LBB660_124
; %bb.125:
	s_or_b64 exec, exec, s[14:15]
.LBB660_126:
	s_or_b64 exec, exec, s[12:13]
	v_and_b32_e32 v1, 7, v13
	v_cmp_ne_u32_e32 vcc, 0, v1
	s_and_saveexec_b64 s[12:13], vcc
	s_cbranch_execz .LBB660_129
; %bb.127:
	v_lshlrev_b32_e32 v10, 2, v0
	v_lshl_or_b32 v13, v16, 10, v10
	s_mov_b64 s[14:15], 0
	v_mov_b32_e32 v11, 0
.LBB660_128:                            ; =>This Inner Loop Header: Depth=1
	ds_read2st64_b32 v[14:15], v13 offset1:4
	v_mov_b32_e32 v10, v8
	v_add_u32_e32 v1, -1, v1
	v_lshlrev_b64 v[16:17], 2, v[10:11]
	v_mov_b32_e32 v10, v9
	v_cmp_eq_u32_e32 vcc, 0, v1
	v_add_co_u32_e64 v16, s[2:3], v3, v16
	v_lshlrev_b64 v[18:19], 2, v[10:11]
	v_add_u32_e32 v8, 0x200, v8
	v_add_u32_e32 v13, 0x800, v13
	v_add_u32_e32 v9, 0x200, v9
	v_addc_co_u32_e64 v17, s[2:3], v7, v17, s[2:3]
	s_or_b64 s[14:15], vcc, s[14:15]
	v_add_co_u32_e32 v18, vcc, v3, v18
	v_addc_co_u32_e32 v19, vcc, v7, v19, vcc
	s_waitcnt lgkmcnt(0)
	global_store_dword v[16:17], v14, off
	global_store_dword v[18:19], v15, off
	s_andn2_b64 exec, exec, s[14:15]
	s_cbranch_execnz .LBB660_128
.LBB660_129:
	s_or_b64 exec, exec, s[12:13]
	v_add_u32_e32 v1, 1, v12
	v_and_b32_e32 v9, 0x1fffffe, v1
	v_cmp_ne_u32_e32 vcc, v1, v9
	v_lshl_or_b32 v8, v9, 8, v0
	s_orn2_b64 s[2:3], vcc, exec
.LBB660_130:
	s_or_b64 exec, exec, s[10:11]
	s_andn2_b64 s[6:7], s[6:7], exec
	s_and_b64 s[2:3], s[2:3], exec
	s_or_b64 s[6:7], s[6:7], s[2:3]
.LBB660_131:
	s_or_b64 exec, exec, s[8:9]
	s_and_b64 exec, exec, s[6:7]
	s_cbranch_execz .LBB660_134
; %bb.132:
	v_lshlrev_b32_e32 v1, 2, v8
	s_mov_b64 s[2:3], 0
	v_mov_b32_e32 v9, 0
.LBB660_133:                            ; =>This Inner Loop Header: Depth=1
	ds_read_b32 v12, v1
	v_lshlrev_b64 v[10:11], 2, v[8:9]
	v_add_co_u32_e32 v10, vcc, v3, v10
	v_add_u32_e32 v8, 0x100, v8
	v_addc_co_u32_e32 v11, vcc, v7, v11, vcc
	v_cmp_ge_u32_e32 vcc, v8, v2
	v_add_u32_e32 v1, 0x400, v1
	s_or_b64 s[2:3], vcc, s[2:3]
	s_waitcnt lgkmcnt(0)
	global_store_dword v[10:11], v12, off
	s_andn2_b64 exec, exec, s[2:3]
	s_cbranch_execnz .LBB660_133
.LBB660_134:
	s_or_b64 exec, exec, s[4:5]
.LBB660_135:
	s_cmpk_lg_i32 s33, 0xf00
	s_cselect_b64 s[2:3], -1, 0
	v_cndmask_b32_e64 v11, 0, 1, s[42:43]
	s_and_b64 s[2:3], s[2:3], s[40:41]
	v_sub_u32_e32 v1, v2, v11
	v_cndmask_b32_e64 v3, 0, 1, s[2:3]
	s_and_b64 s[0:1], s[0:1], s[42:43]
	v_add_u32_e32 v1, v1, v3
	v_cndmask_b32_e64 v3, v68, 0, s[0:1]
	s_mul_hi_u32 s0, s33, 0x88888889
	s_lshr_b32 s0, s0, 3
	v_mad_i32_i24 v7, v0, -15, s33
	v_cmp_eq_u32_e32 vcc, s0, v0
	v_cmp_ne_u32_e64 s[0:1], 0, v7
	v_cndmask_b32_e64 v8, 1, v3, s[0:1]
	v_cmp_ne_u32_e64 s[0:1], 1, v7
	v_cndmask_b32_e64 v9, 1, v67, s[0:1]
	;; [unrolled: 2-line block ×14, first 2 shown]
	v_cmp_ne_u32_e64 s[0:1], 14, v7
	s_and_b64 vcc, vcc, s[40:41]
	v_cndmask_b32_e64 v7, 1, v54, s[0:1]
	v_cndmask_b32_e32 v20, v57, v20, vcc
	v_cndmask_b32_e32 v19, v58, v19, vcc
	;; [unrolled: 1-line block ×4, first 2 shown]
	v_lshlrev_b64 v[8:9], 3, v[52:53]
	v_cndmask_b32_e32 v54, v54, v7, vcc
	v_cndmask_b32_e32 v55, v55, v68, vcc
	;; [unrolled: 1-line block ×11, first 2 shown]
	v_mov_b32_e32 v3, s47
	v_add_co_u32_e32 v7, vcc, s46, v8
	v_addc_co_u32_e32 v3, vcc, v3, v9, vcc
	v_lshlrev_b64 v[8:9], 3, v[4:5]
	v_add_co_u32_e32 v5, vcc, v7, v8
	v_addc_co_u32_e32 v10, vcc, v3, v9, vcc
	v_lshlrev_b32_e32 v3, 3, v11
	v_add_co_u32_e32 v3, vcc, v3, v5
	v_addc_co_u32_e32 v7, vcc, 0, v10, vcc
	v_add_co_u32_e32 v3, vcc, -8, v3
	v_addc_co_u32_e32 v7, vcc, -1, v7, vcc
	v_cmp_eq_u32_e32 vcc, 0, v58
	v_cndmask_b32_e64 v9, 1, 2, vcc
	v_cmp_eq_u32_e32 vcc, 0, v57
	v_add_u32_e32 v8, v4, v11
	v_cndmask_b32_e64 v11, 1, 2, vcc
	v_cmp_eq_u32_e32 vcc, 0, v56
	v_and_b32_e32 v9, v11, v9
	v_cndmask_b32_e64 v11, 1, 2, vcc
	v_cmp_eq_u32_e32 vcc, 0, v12
	v_and_b32_e32 v9, v9, v11
	;; [unrolled: 3-line block ×13, first 2 shown]
	v_cndmask_b32_e64 v11, 1, 2, vcc
	s_movk_i32 s30, 0x100
	v_and_b32_e32 v9, v9, v11
	v_cmp_gt_u32_e32 vcc, s30, v1
	v_cmp_ne_u32_e64 s[28:29], 0, v58
	v_cmp_ne_u32_e64 s[26:27], 0, v57
	;; [unrolled: 1-line block ×15, first 2 shown]
	s_mov_b64 s[34:35], -1
	v_cmp_gt_i16_e64 s[30:31], 2, v9
	s_barrier
	s_cbranch_vccz .LBB660_142
; %bb.136:
	s_and_saveexec_b64 s[34:35], s[30:31]
	s_cbranch_execz .LBB660_141
; %bb.137:
	v_cmp_ne_u16_e32 vcc, 1, v9
	s_mov_b64 s[36:37], 0
	s_and_saveexec_b64 s[30:31], vcc
	s_xor_b64 s[30:31], exec, s[30:31]
	s_cbranch_execnz .LBB660_191
; %bb.138:
	s_andn2_saveexec_b64 s[30:31], s[30:31]
	s_cbranch_execnz .LBB660_207
.LBB660_139:
	s_or_b64 exec, exec, s[30:31]
	s_and_b64 exec, exec, s[36:37]
	s_cbranch_execz .LBB660_141
.LBB660_140:
	v_mov_b32_e32 v13, 0
	v_sub_u32_e32 v14, v24, v8
	v_mov_b32_e32 v15, v13
	v_lshlrev_b64 v[14:15], 3, v[14:15]
	v_add_co_u32_e32 v14, vcc, v3, v14
	v_mov_b32_e32 v12, v25
	v_addc_co_u32_e32 v15, vcc, v7, v15, vcc
	global_store_dwordx2 v[14:15], v[12:13], off
.LBB660_141:
	s_or_b64 exec, exec, s[34:35]
	s_mov_b64 s[34:35], 0
.LBB660_142:
	s_and_b64 vcc, exec, s[34:35]
	s_cbranch_vccz .LBB660_152
; %bb.143:
	v_cmp_gt_i16_e32 vcc, 2, v9
	s_and_saveexec_b64 s[30:31], vcc
	s_cbranch_execz .LBB660_148
; %bb.144:
	v_cmp_ne_u16_e32 vcc, 1, v9
	s_mov_b64 s[36:37], 0
	s_and_saveexec_b64 s[34:35], vcc
	s_xor_b64 s[34:35], exec, s[34:35]
	s_cbranch_execnz .LBB660_208
; %bb.145:
	s_andn2_saveexec_b64 s[0:1], s[34:35]
	s_cbranch_execnz .LBB660_224
.LBB660_146:
	s_or_b64 exec, exec, s[0:1]
	s_and_b64 exec, exec, s[36:37]
	s_cbranch_execz .LBB660_148
.LBB660_147:
	v_sub_u32_e32 v8, v24, v8
	v_lshlrev_b32_e32 v8, 2, v8
	ds_write_b32 v8, v25
.LBB660_148:
	s_or_b64 exec, exec, s[30:31]
	v_cmp_lt_u32_e32 vcc, v0, v1
	s_waitcnt lgkmcnt(0)
	s_barrier
	s_and_saveexec_b64 s[0:1], vcc
	s_cbranch_execz .LBB660_151
; %bb.149:
	v_lshlrev_b32_e32 v11, 2, v0
	s_mov_b64 s[2:3], 0
	v_mov_b32_e32 v9, 0
	v_mov_b32_e32 v8, v0
.LBB660_150:                            ; =>This Inner Loop Header: Depth=1
	ds_read_b32 v12, v11
	v_lshlrev_b64 v[14:15], 3, v[8:9]
	v_add_co_u32_e32 v14, vcc, v3, v14
	v_add_u32_e32 v8, 0x100, v8
	v_addc_co_u32_e32 v15, vcc, v7, v15, vcc
	v_cmp_ge_u32_e32 vcc, v8, v1
	v_mov_b32_e32 v13, v9
	v_add_u32_e32 v11, 0x400, v11
	s_or_b64 s[2:3], vcc, s[2:3]
	s_waitcnt lgkmcnt(0)
	global_store_dwordx2 v[14:15], v[12:13], off
	s_andn2_b64 exec, exec, s[2:3]
	s_cbranch_execnz .LBB660_150
.LBB660_151:
	s_or_b64 exec, exec, s[0:1]
.LBB660_152:
	s_movk_i32 s0, 0xff
	v_cmp_eq_u32_e32 vcc, s0, v0
	s_and_b64 s[0:1], vcc, s[40:41]
	s_and_saveexec_b64 s[2:3], s[0:1]
	s_cbranch_execz .LBB660_155
; %bb.153:
	v_add_co_u32_e32 v0, vcc, v2, v4
	v_addc_co_u32_e64 v1, s[0:1], 0, 0, vcc
	v_add_co_u32_e32 v0, vcc, v0, v52
	v_mov_b32_e32 v3, 0
	v_addc_co_u32_e32 v1, vcc, v1, v53, vcc
	s_cmpk_lg_i32 s33, 0xf00
	global_store_dwordx2 v3, v[0:1], s[52:53]
	s_cbranch_scc1 .LBB660_155
; %bb.154:
	v_lshlrev_b64 v[0:1], 3, v[2:3]
	v_add_co_u32_e32 v0, vcc, v5, v0
	v_mov_b32_e32 v7, v3
	v_addc_co_u32_e32 v1, vcc, v10, v1, vcc
	global_store_dwordx2 v[0:1], v[6:7], off offset:-8
.LBB660_155:
	s_endpgm
.LBB660_156:
	s_or_b64 exec, exec, s[4:5]
	v_mov_b32_e32 v68, s14
	s_and_saveexec_b64 s[2:3], s[6:7]
	s_cbranch_execnz .LBB660_60
	s_branch .LBB660_61
.LBB660_157:
	s_and_saveexec_b64 s[38:39], s[30:31]
	s_cbranch_execnz .LBB660_225
; %bb.158:
	s_or_b64 exec, exec, s[38:39]
	s_and_saveexec_b64 s[38:39], s[28:29]
	s_cbranch_execnz .LBB660_226
.LBB660_159:
	s_or_b64 exec, exec, s[38:39]
	s_and_saveexec_b64 s[38:39], s[26:27]
	s_cbranch_execnz .LBB660_227
.LBB660_160:
	s_or_b64 exec, exec, s[38:39]
	s_and_saveexec_b64 s[38:39], s[24:25]
	s_cbranch_execnz .LBB660_228
.LBB660_161:
	s_or_b64 exec, exec, s[38:39]
	s_and_saveexec_b64 s[38:39], s[22:23]
	s_cbranch_execnz .LBB660_229
.LBB660_162:
	s_or_b64 exec, exec, s[38:39]
	s_and_saveexec_b64 s[38:39], s[20:21]
	s_cbranch_execnz .LBB660_230
.LBB660_163:
	s_or_b64 exec, exec, s[38:39]
	s_and_saveexec_b64 s[38:39], s[18:19]
	s_cbranch_execnz .LBB660_231
.LBB660_164:
	s_or_b64 exec, exec, s[38:39]
	s_and_saveexec_b64 s[38:39], s[16:17]
	s_cbranch_execnz .LBB660_232
.LBB660_165:
	s_or_b64 exec, exec, s[38:39]
	s_and_saveexec_b64 s[38:39], s[14:15]
	s_cbranch_execnz .LBB660_233
.LBB660_166:
	s_or_b64 exec, exec, s[38:39]
	s_and_saveexec_b64 s[38:39], s[12:13]
	s_cbranch_execnz .LBB660_234
.LBB660_167:
	s_or_b64 exec, exec, s[38:39]
	s_and_saveexec_b64 s[38:39], s[10:11]
	s_cbranch_execnz .LBB660_235
.LBB660_168:
	s_or_b64 exec, exec, s[38:39]
	s_and_saveexec_b64 s[38:39], s[8:9]
	s_cbranch_execnz .LBB660_236
.LBB660_169:
	s_or_b64 exec, exec, s[38:39]
	s_and_saveexec_b64 s[38:39], s[6:7]
	s_cbranch_execnz .LBB660_237
.LBB660_170:
	s_or_b64 exec, exec, s[38:39]
	s_and_saveexec_b64 s[38:39], s[4:5]
	s_cbranch_execz .LBB660_172
.LBB660_171:
	v_sub_u32_e32 v70, v22, v4
	v_mov_b32_e32 v71, 0
	v_lshlrev_b64 v[70:71], 2, v[70:71]
	v_add_co_u32_e32 v70, vcc, v3, v70
	v_addc_co_u32_e32 v71, vcc, v7, v71, vcc
	global_store_dword v[70:71], v9, off
.LBB660_172:
	s_or_b64 exec, exec, s[38:39]
	s_and_b64 s[38:39], s[2:3], exec
	s_andn2_saveexec_b64 s[34:35], s[34:35]
	s_cbranch_execz .LBB660_110
.LBB660_173:
	v_sub_u32_e32 v70, v50, v4
	v_mov_b32_e32 v71, 0
	v_lshlrev_b64 v[72:73], 2, v[70:71]
	v_add_co_u32_e32 v72, vcc, v3, v72
	v_addc_co_u32_e32 v73, vcc, v7, v73, vcc
	v_sub_u32_e32 v70, v48, v4
	global_store_dword v[72:73], v20, off
	v_lshlrev_b64 v[72:73], 2, v[70:71]
	v_add_co_u32_e32 v72, vcc, v3, v72
	v_addc_co_u32_e32 v73, vcc, v7, v73, vcc
	v_sub_u32_e32 v70, v46, v4
	global_store_dword v[72:73], v21, off
	v_lshlrev_b64 v[72:73], 2, v[70:71]
	v_add_co_u32_e32 v72, vcc, v3, v72
	v_addc_co_u32_e32 v73, vcc, v7, v73, vcc
	v_sub_u32_e32 v70, v44, v4
	global_store_dword v[72:73], v18, off
	v_lshlrev_b64 v[72:73], 2, v[70:71]
	v_add_co_u32_e32 v72, vcc, v3, v72
	v_addc_co_u32_e32 v73, vcc, v7, v73, vcc
	v_sub_u32_e32 v70, v42, v4
	global_store_dword v[72:73], v19, off
	v_lshlrev_b64 v[72:73], 2, v[70:71]
	v_add_co_u32_e32 v72, vcc, v3, v72
	v_addc_co_u32_e32 v73, vcc, v7, v73, vcc
	v_sub_u32_e32 v70, v40, v4
	global_store_dword v[72:73], v16, off
	v_lshlrev_b64 v[72:73], 2, v[70:71]
	v_add_co_u32_e32 v72, vcc, v3, v72
	v_addc_co_u32_e32 v73, vcc, v7, v73, vcc
	v_sub_u32_e32 v70, v38, v4
	global_store_dword v[72:73], v17, off
	v_lshlrev_b64 v[72:73], 2, v[70:71]
	v_add_co_u32_e32 v72, vcc, v3, v72
	v_addc_co_u32_e32 v73, vcc, v7, v73, vcc
	v_sub_u32_e32 v70, v36, v4
	global_store_dword v[72:73], v14, off
	v_lshlrev_b64 v[72:73], 2, v[70:71]
	v_add_co_u32_e32 v72, vcc, v3, v72
	v_addc_co_u32_e32 v73, vcc, v7, v73, vcc
	v_sub_u32_e32 v70, v34, v4
	global_store_dword v[72:73], v15, off
	v_lshlrev_b64 v[72:73], 2, v[70:71]
	v_add_co_u32_e32 v72, vcc, v3, v72
	v_addc_co_u32_e32 v73, vcc, v7, v73, vcc
	v_sub_u32_e32 v70, v32, v4
	global_store_dword v[72:73], v12, off
	v_lshlrev_b64 v[72:73], 2, v[70:71]
	v_add_co_u32_e32 v72, vcc, v3, v72
	v_addc_co_u32_e32 v73, vcc, v7, v73, vcc
	v_sub_u32_e32 v70, v30, v4
	global_store_dword v[72:73], v13, off
	v_lshlrev_b64 v[72:73], 2, v[70:71]
	v_add_co_u32_e32 v72, vcc, v3, v72
	v_addc_co_u32_e32 v73, vcc, v7, v73, vcc
	v_sub_u32_e32 v70, v28, v4
	global_store_dword v[72:73], v10, off
	v_lshlrev_b64 v[72:73], 2, v[70:71]
	v_add_co_u32_e32 v72, vcc, v3, v72
	v_addc_co_u32_e32 v73, vcc, v7, v73, vcc
	v_sub_u32_e32 v70, v26, v4
	global_store_dword v[72:73], v11, off
	v_lshlrev_b64 v[72:73], 2, v[70:71]
	v_add_co_u32_e32 v72, vcc, v3, v72
	v_sub_u32_e32 v70, v22, v4
	v_addc_co_u32_e32 v73, vcc, v7, v73, vcc
	v_lshlrev_b64 v[70:71], 2, v[70:71]
	v_add_co_u32_e32 v70, vcc, v3, v70
	v_addc_co_u32_e32 v71, vcc, v7, v71, vcc
	s_or_b64 s[38:39], s[38:39], exec
	global_store_dword v[72:73], v8, off
	global_store_dword v[70:71], v9, off
	s_or_b64 exec, exec, s[34:35]
	s_and_b64 exec, exec, s[38:39]
	s_cbranch_execnz .LBB660_111
	s_branch .LBB660_112
.LBB660_174:
	s_and_saveexec_b64 s[38:39], s[30:31]
	s_cbranch_execnz .LBB660_238
; %bb.175:
	s_or_b64 exec, exec, s[38:39]
	s_and_saveexec_b64 s[30:31], s[28:29]
	s_cbranch_execnz .LBB660_239
.LBB660_176:
	s_or_b64 exec, exec, s[30:31]
	s_and_saveexec_b64 s[28:29], s[26:27]
	s_cbranch_execnz .LBB660_240
.LBB660_177:
	s_or_b64 exec, exec, s[28:29]
	s_and_saveexec_b64 s[26:27], s[24:25]
	s_cbranch_execnz .LBB660_241
.LBB660_178:
	s_or_b64 exec, exec, s[26:27]
	s_and_saveexec_b64 s[24:25], s[22:23]
	s_cbranch_execnz .LBB660_242
.LBB660_179:
	s_or_b64 exec, exec, s[24:25]
	s_and_saveexec_b64 s[22:23], s[20:21]
	s_cbranch_execnz .LBB660_243
.LBB660_180:
	s_or_b64 exec, exec, s[22:23]
	s_and_saveexec_b64 s[20:21], s[18:19]
	s_cbranch_execnz .LBB660_244
.LBB660_181:
	s_or_b64 exec, exec, s[20:21]
	s_and_saveexec_b64 s[18:19], s[16:17]
	s_cbranch_execnz .LBB660_245
.LBB660_182:
	s_or_b64 exec, exec, s[18:19]
	s_and_saveexec_b64 s[16:17], s[14:15]
	s_cbranch_execnz .LBB660_246
.LBB660_183:
	s_or_b64 exec, exec, s[16:17]
	s_and_saveexec_b64 s[14:15], s[12:13]
	s_cbranch_execnz .LBB660_247
.LBB660_184:
	s_or_b64 exec, exec, s[14:15]
	s_and_saveexec_b64 s[12:13], s[10:11]
	s_cbranch_execnz .LBB660_248
.LBB660_185:
	s_or_b64 exec, exec, s[12:13]
	s_and_saveexec_b64 s[10:11], s[8:9]
	s_cbranch_execnz .LBB660_249
.LBB660_186:
	s_or_b64 exec, exec, s[10:11]
	s_and_saveexec_b64 s[8:9], s[6:7]
	s_cbranch_execnz .LBB660_250
.LBB660_187:
	s_or_b64 exec, exec, s[8:9]
	s_and_saveexec_b64 s[6:7], s[4:5]
	s_cbranch_execz .LBB660_189
.LBB660_188:
	v_sub_u32_e32 v8, v22, v4
	v_lshlrev_b32_e32 v8, 2, v8
	ds_write_b32 v8, v9
.LBB660_189:
	s_or_b64 exec, exec, s[6:7]
	s_and_b64 s[38:39], s[2:3], exec
                                        ; implicit-def: $vgpr9
                                        ; implicit-def: $vgpr11
                                        ; implicit-def: $vgpr13
                                        ; implicit-def: $vgpr15
                                        ; implicit-def: $vgpr17
                                        ; implicit-def: $vgpr19
                                        ; implicit-def: $vgpr21
	s_andn2_saveexec_b64 s[2:3], s[36:37]
	s_cbranch_execz .LBB660_117
.LBB660_190:
	v_sub_u32_e32 v69, v50, v4
	v_lshlrev_b32_e32 v69, 2, v69
	ds_write_b32 v69, v20
	v_sub_u32_e32 v20, v48, v4
	v_lshlrev_b32_e32 v20, 2, v20
	ds_write_b32 v20, v21
	;; [unrolled: 3-line block ×13, first 2 shown]
	v_sub_u32_e32 v8, v22, v4
	v_lshlrev_b32_e32 v8, 2, v8
	s_or_b64 s[38:39], s[38:39], exec
	ds_write_b32 v8, v9
	s_or_b64 exec, exec, s[2:3]
	s_and_b64 exec, exec, s[38:39]
	s_cbranch_execnz .LBB660_118
	s_branch .LBB660_119
.LBB660_191:
	s_and_saveexec_b64 s[36:37], s[28:29]
	s_cbranch_execnz .LBB660_251
; %bb.192:
	s_or_b64 exec, exec, s[36:37]
	s_and_saveexec_b64 s[36:37], s[26:27]
	s_cbranch_execnz .LBB660_252
.LBB660_193:
	s_or_b64 exec, exec, s[36:37]
	s_and_saveexec_b64 s[36:37], s[24:25]
	s_cbranch_execnz .LBB660_253
.LBB660_194:
	s_or_b64 exec, exec, s[36:37]
	s_and_saveexec_b64 s[36:37], s[22:23]
	s_cbranch_execnz .LBB660_254
.LBB660_195:
	s_or_b64 exec, exec, s[36:37]
	s_and_saveexec_b64 s[36:37], s[20:21]
	s_cbranch_execnz .LBB660_255
.LBB660_196:
	s_or_b64 exec, exec, s[36:37]
	s_and_saveexec_b64 s[36:37], s[18:19]
	s_cbranch_execnz .LBB660_256
.LBB660_197:
	s_or_b64 exec, exec, s[36:37]
	s_and_saveexec_b64 s[36:37], s[16:17]
	s_cbranch_execnz .LBB660_257
.LBB660_198:
	s_or_b64 exec, exec, s[36:37]
	s_and_saveexec_b64 s[36:37], s[14:15]
	s_cbranch_execnz .LBB660_258
.LBB660_199:
	s_or_b64 exec, exec, s[36:37]
	s_and_saveexec_b64 s[36:37], s[12:13]
	s_cbranch_execnz .LBB660_259
.LBB660_200:
	s_or_b64 exec, exec, s[36:37]
	s_and_saveexec_b64 s[36:37], s[10:11]
	s_cbranch_execnz .LBB660_260
.LBB660_201:
	s_or_b64 exec, exec, s[36:37]
	s_and_saveexec_b64 s[36:37], s[8:9]
	s_cbranch_execnz .LBB660_261
.LBB660_202:
	s_or_b64 exec, exec, s[36:37]
	s_and_saveexec_b64 s[36:37], s[6:7]
	s_cbranch_execnz .LBB660_262
.LBB660_203:
	s_or_b64 exec, exec, s[36:37]
	s_and_saveexec_b64 s[36:37], s[4:5]
	s_cbranch_execnz .LBB660_263
.LBB660_204:
	s_or_b64 exec, exec, s[36:37]
	s_and_saveexec_b64 s[36:37], s[2:3]
	s_cbranch_execz .LBB660_206
.LBB660_205:
	v_sub_u32_e32 v12, v22, v8
	v_mov_b32_e32 v13, 0
	v_lshlrev_b64 v[14:15], 3, v[12:13]
	v_add_co_u32_e32 v14, vcc, v3, v14
	v_addc_co_u32_e32 v15, vcc, v7, v15, vcc
	v_mov_b32_e32 v12, v23
	global_store_dwordx2 v[14:15], v[12:13], off
.LBB660_206:
	s_or_b64 exec, exec, s[36:37]
	s_and_b64 s[36:37], s[0:1], exec
	s_andn2_saveexec_b64 s[30:31], s[30:31]
	s_cbranch_execz .LBB660_139
.LBB660_207:
	v_mov_b32_e32 v13, 0
	v_sub_u32_e32 v14, v50, v8
	v_mov_b32_e32 v15, v13
	v_lshlrev_b64 v[14:15], 3, v[14:15]
	v_add_co_u32_e32 v14, vcc, v3, v14
	v_mov_b32_e32 v12, v51
	v_addc_co_u32_e32 v15, vcc, v7, v15, vcc
	global_store_dwordx2 v[14:15], v[12:13], off
	v_sub_u32_e32 v14, v48, v8
	v_mov_b32_e32 v15, v13
	v_lshlrev_b64 v[14:15], 3, v[14:15]
	v_add_co_u32_e32 v14, vcc, v3, v14
	v_mov_b32_e32 v12, v49
	v_addc_co_u32_e32 v15, vcc, v7, v15, vcc
	global_store_dwordx2 v[14:15], v[12:13], off
	;; [unrolled: 7-line block ×13, first 2 shown]
	v_sub_u32_e32 v14, v22, v8
	v_mov_b32_e32 v15, v13
	v_lshlrev_b64 v[14:15], 3, v[14:15]
	v_add_co_u32_e32 v14, vcc, v3, v14
	v_mov_b32_e32 v12, v23
	v_addc_co_u32_e32 v15, vcc, v7, v15, vcc
	s_or_b64 s[36:37], s[36:37], exec
	global_store_dwordx2 v[14:15], v[12:13], off
	s_or_b64 exec, exec, s[30:31]
	s_and_b64 exec, exec, s[36:37]
	s_cbranch_execnz .LBB660_140
	s_branch .LBB660_141
.LBB660_208:
	s_and_saveexec_b64 s[36:37], s[28:29]
	s_cbranch_execnz .LBB660_264
; %bb.209:
	s_or_b64 exec, exec, s[36:37]
	s_and_saveexec_b64 s[28:29], s[26:27]
	s_cbranch_execnz .LBB660_265
.LBB660_210:
	s_or_b64 exec, exec, s[28:29]
	s_and_saveexec_b64 s[26:27], s[24:25]
	s_cbranch_execnz .LBB660_266
.LBB660_211:
	s_or_b64 exec, exec, s[26:27]
	s_and_saveexec_b64 s[24:25], s[22:23]
	s_cbranch_execnz .LBB660_267
.LBB660_212:
	s_or_b64 exec, exec, s[24:25]
	s_and_saveexec_b64 s[22:23], s[20:21]
	s_cbranch_execnz .LBB660_268
.LBB660_213:
	s_or_b64 exec, exec, s[22:23]
	s_and_saveexec_b64 s[20:21], s[18:19]
	s_cbranch_execnz .LBB660_269
.LBB660_214:
	s_or_b64 exec, exec, s[20:21]
	s_and_saveexec_b64 s[18:19], s[16:17]
	s_cbranch_execnz .LBB660_270
.LBB660_215:
	s_or_b64 exec, exec, s[18:19]
	s_and_saveexec_b64 s[16:17], s[14:15]
	s_cbranch_execnz .LBB660_271
.LBB660_216:
	s_or_b64 exec, exec, s[16:17]
	s_and_saveexec_b64 s[14:15], s[12:13]
	s_cbranch_execnz .LBB660_272
.LBB660_217:
	s_or_b64 exec, exec, s[14:15]
	s_and_saveexec_b64 s[12:13], s[10:11]
	s_cbranch_execnz .LBB660_273
.LBB660_218:
	s_or_b64 exec, exec, s[12:13]
	s_and_saveexec_b64 s[10:11], s[8:9]
	s_cbranch_execnz .LBB660_274
.LBB660_219:
	s_or_b64 exec, exec, s[10:11]
	s_and_saveexec_b64 s[8:9], s[6:7]
	s_cbranch_execnz .LBB660_275
.LBB660_220:
	s_or_b64 exec, exec, s[8:9]
	s_and_saveexec_b64 s[6:7], s[4:5]
	s_cbranch_execnz .LBB660_276
.LBB660_221:
	s_or_b64 exec, exec, s[6:7]
	s_and_saveexec_b64 s[4:5], s[2:3]
	s_cbranch_execz .LBB660_223
.LBB660_222:
	v_sub_u32_e32 v9, v22, v8
	v_lshlrev_b32_e32 v9, 2, v9
	ds_write_b32 v9, v23
.LBB660_223:
	s_or_b64 exec, exec, s[4:5]
	s_and_b64 s[36:37], s[0:1], exec
                                        ; implicit-def: $vgpr22_vgpr23
                                        ; implicit-def: $vgpr26_vgpr27
                                        ; implicit-def: $vgpr28_vgpr29
                                        ; implicit-def: $vgpr50_vgpr51
                                        ; implicit-def: $vgpr48_vgpr49
                                        ; implicit-def: $vgpr46_vgpr47
                                        ; implicit-def: $vgpr44_vgpr45
                                        ; implicit-def: $vgpr42_vgpr43
                                        ; implicit-def: $vgpr40_vgpr41
                                        ; implicit-def: $vgpr38_vgpr39
                                        ; implicit-def: $vgpr36_vgpr37
                                        ; implicit-def: $vgpr34_vgpr35
                                        ; implicit-def: $vgpr32_vgpr33
                                        ; implicit-def: $vgpr30_vgpr31
	s_andn2_saveexec_b64 s[0:1], s[34:35]
	s_cbranch_execz .LBB660_146
.LBB660_224:
	v_sub_u32_e32 v9, v50, v8
	v_lshlrev_b32_e32 v9, 2, v9
	ds_write_b32 v9, v51
	v_sub_u32_e32 v9, v48, v8
	v_lshlrev_b32_e32 v9, 2, v9
	ds_write_b32 v9, v49
	;; [unrolled: 3-line block ×13, first 2 shown]
	v_sub_u32_e32 v9, v22, v8
	v_lshlrev_b32_e32 v9, 2, v9
	s_or_b64 s[36:37], s[36:37], exec
	ds_write_b32 v9, v23
	s_or_b64 exec, exec, s[0:1]
	s_and_b64 exec, exec, s[36:37]
	s_cbranch_execnz .LBB660_147
	s_branch .LBB660_148
.LBB660_225:
	v_sub_u32_e32 v70, v50, v4
	v_mov_b32_e32 v71, 0
	v_lshlrev_b64 v[70:71], 2, v[70:71]
	v_add_co_u32_e32 v70, vcc, v3, v70
	v_addc_co_u32_e32 v71, vcc, v7, v71, vcc
	global_store_dword v[70:71], v20, off
	s_or_b64 exec, exec, s[38:39]
	s_and_saveexec_b64 s[38:39], s[28:29]
	s_cbranch_execz .LBB660_159
.LBB660_226:
	v_sub_u32_e32 v70, v48, v4
	v_mov_b32_e32 v71, 0
	v_lshlrev_b64 v[70:71], 2, v[70:71]
	v_add_co_u32_e32 v70, vcc, v3, v70
	v_addc_co_u32_e32 v71, vcc, v7, v71, vcc
	global_store_dword v[70:71], v21, off
	s_or_b64 exec, exec, s[38:39]
	s_and_saveexec_b64 s[38:39], s[26:27]
	s_cbranch_execz .LBB660_160
.LBB660_227:
	v_sub_u32_e32 v70, v46, v4
	v_mov_b32_e32 v71, 0
	v_lshlrev_b64 v[70:71], 2, v[70:71]
	v_add_co_u32_e32 v70, vcc, v3, v70
	v_addc_co_u32_e32 v71, vcc, v7, v71, vcc
	global_store_dword v[70:71], v18, off
	s_or_b64 exec, exec, s[38:39]
	s_and_saveexec_b64 s[38:39], s[24:25]
	s_cbranch_execz .LBB660_161
.LBB660_228:
	v_sub_u32_e32 v70, v44, v4
	v_mov_b32_e32 v71, 0
	v_lshlrev_b64 v[70:71], 2, v[70:71]
	v_add_co_u32_e32 v70, vcc, v3, v70
	v_addc_co_u32_e32 v71, vcc, v7, v71, vcc
	global_store_dword v[70:71], v19, off
	s_or_b64 exec, exec, s[38:39]
	s_and_saveexec_b64 s[38:39], s[22:23]
	s_cbranch_execz .LBB660_162
.LBB660_229:
	v_sub_u32_e32 v70, v42, v4
	v_mov_b32_e32 v71, 0
	v_lshlrev_b64 v[70:71], 2, v[70:71]
	v_add_co_u32_e32 v70, vcc, v3, v70
	v_addc_co_u32_e32 v71, vcc, v7, v71, vcc
	global_store_dword v[70:71], v16, off
	s_or_b64 exec, exec, s[38:39]
	s_and_saveexec_b64 s[38:39], s[20:21]
	s_cbranch_execz .LBB660_163
.LBB660_230:
	v_sub_u32_e32 v70, v40, v4
	v_mov_b32_e32 v71, 0
	v_lshlrev_b64 v[70:71], 2, v[70:71]
	v_add_co_u32_e32 v70, vcc, v3, v70
	v_addc_co_u32_e32 v71, vcc, v7, v71, vcc
	global_store_dword v[70:71], v17, off
	s_or_b64 exec, exec, s[38:39]
	s_and_saveexec_b64 s[38:39], s[18:19]
	s_cbranch_execz .LBB660_164
.LBB660_231:
	v_sub_u32_e32 v70, v38, v4
	v_mov_b32_e32 v71, 0
	v_lshlrev_b64 v[70:71], 2, v[70:71]
	v_add_co_u32_e32 v70, vcc, v3, v70
	v_addc_co_u32_e32 v71, vcc, v7, v71, vcc
	global_store_dword v[70:71], v14, off
	s_or_b64 exec, exec, s[38:39]
	s_and_saveexec_b64 s[38:39], s[16:17]
	s_cbranch_execz .LBB660_165
.LBB660_232:
	v_sub_u32_e32 v70, v36, v4
	v_mov_b32_e32 v71, 0
	v_lshlrev_b64 v[70:71], 2, v[70:71]
	v_add_co_u32_e32 v70, vcc, v3, v70
	v_addc_co_u32_e32 v71, vcc, v7, v71, vcc
	global_store_dword v[70:71], v15, off
	s_or_b64 exec, exec, s[38:39]
	s_and_saveexec_b64 s[38:39], s[14:15]
	s_cbranch_execz .LBB660_166
.LBB660_233:
	v_sub_u32_e32 v70, v34, v4
	v_mov_b32_e32 v71, 0
	v_lshlrev_b64 v[70:71], 2, v[70:71]
	v_add_co_u32_e32 v70, vcc, v3, v70
	v_addc_co_u32_e32 v71, vcc, v7, v71, vcc
	global_store_dword v[70:71], v12, off
	s_or_b64 exec, exec, s[38:39]
	s_and_saveexec_b64 s[38:39], s[12:13]
	s_cbranch_execz .LBB660_167
.LBB660_234:
	v_sub_u32_e32 v70, v32, v4
	v_mov_b32_e32 v71, 0
	v_lshlrev_b64 v[70:71], 2, v[70:71]
	v_add_co_u32_e32 v70, vcc, v3, v70
	v_addc_co_u32_e32 v71, vcc, v7, v71, vcc
	global_store_dword v[70:71], v13, off
	s_or_b64 exec, exec, s[38:39]
	s_and_saveexec_b64 s[38:39], s[10:11]
	s_cbranch_execz .LBB660_168
.LBB660_235:
	v_sub_u32_e32 v70, v30, v4
	v_mov_b32_e32 v71, 0
	v_lshlrev_b64 v[70:71], 2, v[70:71]
	v_add_co_u32_e32 v70, vcc, v3, v70
	v_addc_co_u32_e32 v71, vcc, v7, v71, vcc
	global_store_dword v[70:71], v10, off
	s_or_b64 exec, exec, s[38:39]
	s_and_saveexec_b64 s[38:39], s[8:9]
	s_cbranch_execz .LBB660_169
.LBB660_236:
	v_sub_u32_e32 v70, v28, v4
	v_mov_b32_e32 v71, 0
	v_lshlrev_b64 v[70:71], 2, v[70:71]
	v_add_co_u32_e32 v70, vcc, v3, v70
	v_addc_co_u32_e32 v71, vcc, v7, v71, vcc
	global_store_dword v[70:71], v11, off
	s_or_b64 exec, exec, s[38:39]
	s_and_saveexec_b64 s[38:39], s[6:7]
	s_cbranch_execz .LBB660_170
.LBB660_237:
	v_sub_u32_e32 v70, v26, v4
	v_mov_b32_e32 v71, 0
	v_lshlrev_b64 v[70:71], 2, v[70:71]
	v_add_co_u32_e32 v70, vcc, v3, v70
	v_addc_co_u32_e32 v71, vcc, v7, v71, vcc
	global_store_dword v[70:71], v8, off
	s_or_b64 exec, exec, s[38:39]
	s_and_saveexec_b64 s[38:39], s[4:5]
	s_cbranch_execnz .LBB660_171
	s_branch .LBB660_172
.LBB660_238:
	v_sub_u32_e32 v69, v50, v4
	v_lshlrev_b32_e32 v69, 2, v69
	ds_write_b32 v69, v20
	s_or_b64 exec, exec, s[38:39]
	s_and_saveexec_b64 s[30:31], s[28:29]
	s_cbranch_execz .LBB660_176
.LBB660_239:
	v_sub_u32_e32 v20, v48, v4
	v_lshlrev_b32_e32 v20, 2, v20
	ds_write_b32 v20, v21
	s_or_b64 exec, exec, s[30:31]
	s_and_saveexec_b64 s[28:29], s[26:27]
	s_cbranch_execz .LBB660_177
.LBB660_240:
	v_sub_u32_e32 v20, v46, v4
	v_lshlrev_b32_e32 v20, 2, v20
	ds_write_b32 v20, v18
	s_or_b64 exec, exec, s[28:29]
	s_and_saveexec_b64 s[26:27], s[24:25]
	s_cbranch_execz .LBB660_178
.LBB660_241:
	v_sub_u32_e32 v18, v44, v4
	v_lshlrev_b32_e32 v18, 2, v18
	ds_write_b32 v18, v19
	s_or_b64 exec, exec, s[26:27]
	s_and_saveexec_b64 s[24:25], s[22:23]
	s_cbranch_execz .LBB660_179
.LBB660_242:
	v_sub_u32_e32 v18, v42, v4
	v_lshlrev_b32_e32 v18, 2, v18
	ds_write_b32 v18, v16
	s_or_b64 exec, exec, s[24:25]
	s_and_saveexec_b64 s[22:23], s[20:21]
	s_cbranch_execz .LBB660_180
.LBB660_243:
	v_sub_u32_e32 v16, v40, v4
	v_lshlrev_b32_e32 v16, 2, v16
	ds_write_b32 v16, v17
	s_or_b64 exec, exec, s[22:23]
	s_and_saveexec_b64 s[20:21], s[18:19]
	s_cbranch_execz .LBB660_181
.LBB660_244:
	v_sub_u32_e32 v16, v38, v4
	v_lshlrev_b32_e32 v16, 2, v16
	ds_write_b32 v16, v14
	s_or_b64 exec, exec, s[20:21]
	s_and_saveexec_b64 s[18:19], s[16:17]
	s_cbranch_execz .LBB660_182
.LBB660_245:
	v_sub_u32_e32 v14, v36, v4
	v_lshlrev_b32_e32 v14, 2, v14
	ds_write_b32 v14, v15
	s_or_b64 exec, exec, s[18:19]
	s_and_saveexec_b64 s[16:17], s[14:15]
	s_cbranch_execz .LBB660_183
.LBB660_246:
	v_sub_u32_e32 v14, v34, v4
	v_lshlrev_b32_e32 v14, 2, v14
	ds_write_b32 v14, v12
	s_or_b64 exec, exec, s[16:17]
	s_and_saveexec_b64 s[14:15], s[12:13]
	s_cbranch_execz .LBB660_184
.LBB660_247:
	v_sub_u32_e32 v12, v32, v4
	v_lshlrev_b32_e32 v12, 2, v12
	ds_write_b32 v12, v13
	s_or_b64 exec, exec, s[14:15]
	s_and_saveexec_b64 s[12:13], s[10:11]
	s_cbranch_execz .LBB660_185
.LBB660_248:
	v_sub_u32_e32 v12, v30, v4
	v_lshlrev_b32_e32 v12, 2, v12
	ds_write_b32 v12, v10
	s_or_b64 exec, exec, s[12:13]
	s_and_saveexec_b64 s[10:11], s[8:9]
	s_cbranch_execz .LBB660_186
.LBB660_249:
	v_sub_u32_e32 v10, v28, v4
	v_lshlrev_b32_e32 v10, 2, v10
	ds_write_b32 v10, v11
	s_or_b64 exec, exec, s[10:11]
	s_and_saveexec_b64 s[8:9], s[6:7]
	s_cbranch_execz .LBB660_187
.LBB660_250:
	v_sub_u32_e32 v10, v26, v4
	v_lshlrev_b32_e32 v10, 2, v10
	ds_write_b32 v10, v8
	s_or_b64 exec, exec, s[8:9]
	s_and_saveexec_b64 s[6:7], s[4:5]
	s_cbranch_execnz .LBB660_188
	s_branch .LBB660_189
.LBB660_251:
	v_sub_u32_e32 v12, v50, v8
	v_mov_b32_e32 v13, 0
	v_lshlrev_b64 v[14:15], 3, v[12:13]
	v_add_co_u32_e32 v14, vcc, v3, v14
	v_addc_co_u32_e32 v15, vcc, v7, v15, vcc
	v_mov_b32_e32 v12, v51
	global_store_dwordx2 v[14:15], v[12:13], off
	s_or_b64 exec, exec, s[36:37]
	s_and_saveexec_b64 s[36:37], s[26:27]
	s_cbranch_execz .LBB660_193
.LBB660_252:
	v_sub_u32_e32 v12, v48, v8
	v_mov_b32_e32 v13, 0
	v_lshlrev_b64 v[14:15], 3, v[12:13]
	v_add_co_u32_e32 v14, vcc, v3, v14
	v_addc_co_u32_e32 v15, vcc, v7, v15, vcc
	v_mov_b32_e32 v12, v49
	global_store_dwordx2 v[14:15], v[12:13], off
	s_or_b64 exec, exec, s[36:37]
	s_and_saveexec_b64 s[36:37], s[24:25]
	s_cbranch_execz .LBB660_194
.LBB660_253:
	v_sub_u32_e32 v12, v46, v8
	v_mov_b32_e32 v13, 0
	v_lshlrev_b64 v[14:15], 3, v[12:13]
	v_add_co_u32_e32 v14, vcc, v3, v14
	v_addc_co_u32_e32 v15, vcc, v7, v15, vcc
	v_mov_b32_e32 v12, v47
	global_store_dwordx2 v[14:15], v[12:13], off
	s_or_b64 exec, exec, s[36:37]
	s_and_saveexec_b64 s[36:37], s[22:23]
	s_cbranch_execz .LBB660_195
.LBB660_254:
	v_sub_u32_e32 v12, v44, v8
	v_mov_b32_e32 v13, 0
	v_lshlrev_b64 v[14:15], 3, v[12:13]
	v_add_co_u32_e32 v14, vcc, v3, v14
	v_addc_co_u32_e32 v15, vcc, v7, v15, vcc
	v_mov_b32_e32 v12, v45
	global_store_dwordx2 v[14:15], v[12:13], off
	s_or_b64 exec, exec, s[36:37]
	s_and_saveexec_b64 s[36:37], s[20:21]
	s_cbranch_execz .LBB660_196
.LBB660_255:
	v_sub_u32_e32 v12, v42, v8
	v_mov_b32_e32 v13, 0
	v_lshlrev_b64 v[14:15], 3, v[12:13]
	v_add_co_u32_e32 v14, vcc, v3, v14
	v_addc_co_u32_e32 v15, vcc, v7, v15, vcc
	v_mov_b32_e32 v12, v43
	global_store_dwordx2 v[14:15], v[12:13], off
	s_or_b64 exec, exec, s[36:37]
	s_and_saveexec_b64 s[36:37], s[18:19]
	s_cbranch_execz .LBB660_197
.LBB660_256:
	v_sub_u32_e32 v12, v40, v8
	v_mov_b32_e32 v13, 0
	v_lshlrev_b64 v[14:15], 3, v[12:13]
	v_add_co_u32_e32 v14, vcc, v3, v14
	v_addc_co_u32_e32 v15, vcc, v7, v15, vcc
	v_mov_b32_e32 v12, v41
	global_store_dwordx2 v[14:15], v[12:13], off
	s_or_b64 exec, exec, s[36:37]
	s_and_saveexec_b64 s[36:37], s[16:17]
	s_cbranch_execz .LBB660_198
.LBB660_257:
	v_sub_u32_e32 v12, v38, v8
	v_mov_b32_e32 v13, 0
	v_lshlrev_b64 v[14:15], 3, v[12:13]
	v_add_co_u32_e32 v14, vcc, v3, v14
	v_addc_co_u32_e32 v15, vcc, v7, v15, vcc
	v_mov_b32_e32 v12, v39
	global_store_dwordx2 v[14:15], v[12:13], off
	s_or_b64 exec, exec, s[36:37]
	s_and_saveexec_b64 s[36:37], s[14:15]
	s_cbranch_execz .LBB660_199
.LBB660_258:
	v_sub_u32_e32 v12, v36, v8
	v_mov_b32_e32 v13, 0
	v_lshlrev_b64 v[14:15], 3, v[12:13]
	v_add_co_u32_e32 v14, vcc, v3, v14
	v_addc_co_u32_e32 v15, vcc, v7, v15, vcc
	v_mov_b32_e32 v12, v37
	global_store_dwordx2 v[14:15], v[12:13], off
	s_or_b64 exec, exec, s[36:37]
	s_and_saveexec_b64 s[36:37], s[12:13]
	s_cbranch_execz .LBB660_200
.LBB660_259:
	v_sub_u32_e32 v12, v34, v8
	v_mov_b32_e32 v13, 0
	v_lshlrev_b64 v[14:15], 3, v[12:13]
	v_add_co_u32_e32 v14, vcc, v3, v14
	v_addc_co_u32_e32 v15, vcc, v7, v15, vcc
	v_mov_b32_e32 v12, v35
	global_store_dwordx2 v[14:15], v[12:13], off
	s_or_b64 exec, exec, s[36:37]
	s_and_saveexec_b64 s[36:37], s[10:11]
	s_cbranch_execz .LBB660_201
.LBB660_260:
	v_sub_u32_e32 v12, v32, v8
	v_mov_b32_e32 v13, 0
	v_lshlrev_b64 v[14:15], 3, v[12:13]
	v_add_co_u32_e32 v14, vcc, v3, v14
	v_addc_co_u32_e32 v15, vcc, v7, v15, vcc
	v_mov_b32_e32 v12, v33
	global_store_dwordx2 v[14:15], v[12:13], off
	s_or_b64 exec, exec, s[36:37]
	s_and_saveexec_b64 s[36:37], s[8:9]
	s_cbranch_execz .LBB660_202
.LBB660_261:
	v_sub_u32_e32 v12, v30, v8
	v_mov_b32_e32 v13, 0
	v_lshlrev_b64 v[14:15], 3, v[12:13]
	v_add_co_u32_e32 v14, vcc, v3, v14
	v_addc_co_u32_e32 v15, vcc, v7, v15, vcc
	v_mov_b32_e32 v12, v31
	global_store_dwordx2 v[14:15], v[12:13], off
	s_or_b64 exec, exec, s[36:37]
	s_and_saveexec_b64 s[36:37], s[6:7]
	s_cbranch_execz .LBB660_203
.LBB660_262:
	v_sub_u32_e32 v12, v28, v8
	v_mov_b32_e32 v13, 0
	v_lshlrev_b64 v[14:15], 3, v[12:13]
	v_add_co_u32_e32 v14, vcc, v3, v14
	v_addc_co_u32_e32 v15, vcc, v7, v15, vcc
	v_mov_b32_e32 v12, v29
	global_store_dwordx2 v[14:15], v[12:13], off
	s_or_b64 exec, exec, s[36:37]
	s_and_saveexec_b64 s[36:37], s[4:5]
	s_cbranch_execz .LBB660_204
.LBB660_263:
	v_sub_u32_e32 v12, v26, v8
	v_mov_b32_e32 v13, 0
	v_lshlrev_b64 v[14:15], 3, v[12:13]
	v_add_co_u32_e32 v14, vcc, v3, v14
	v_addc_co_u32_e32 v15, vcc, v7, v15, vcc
	v_mov_b32_e32 v12, v27
	global_store_dwordx2 v[14:15], v[12:13], off
	s_or_b64 exec, exec, s[36:37]
	s_and_saveexec_b64 s[36:37], s[2:3]
	s_cbranch_execnz .LBB660_205
	s_branch .LBB660_206
.LBB660_264:
	v_sub_u32_e32 v9, v50, v8
	v_lshlrev_b32_e32 v9, 2, v9
	ds_write_b32 v9, v51
	s_or_b64 exec, exec, s[36:37]
	s_and_saveexec_b64 s[28:29], s[26:27]
	s_cbranch_execz .LBB660_210
.LBB660_265:
	v_sub_u32_e32 v9, v48, v8
	v_lshlrev_b32_e32 v9, 2, v9
	ds_write_b32 v9, v49
	s_or_b64 exec, exec, s[28:29]
	s_and_saveexec_b64 s[26:27], s[24:25]
	s_cbranch_execz .LBB660_211
.LBB660_266:
	v_sub_u32_e32 v9, v46, v8
	v_lshlrev_b32_e32 v9, 2, v9
	ds_write_b32 v9, v47
	s_or_b64 exec, exec, s[26:27]
	s_and_saveexec_b64 s[24:25], s[22:23]
	s_cbranch_execz .LBB660_212
.LBB660_267:
	v_sub_u32_e32 v9, v44, v8
	v_lshlrev_b32_e32 v9, 2, v9
	ds_write_b32 v9, v45
	s_or_b64 exec, exec, s[24:25]
	s_and_saveexec_b64 s[22:23], s[20:21]
	s_cbranch_execz .LBB660_213
.LBB660_268:
	v_sub_u32_e32 v9, v42, v8
	v_lshlrev_b32_e32 v9, 2, v9
	ds_write_b32 v9, v43
	s_or_b64 exec, exec, s[22:23]
	s_and_saveexec_b64 s[20:21], s[18:19]
	s_cbranch_execz .LBB660_214
.LBB660_269:
	v_sub_u32_e32 v9, v40, v8
	v_lshlrev_b32_e32 v9, 2, v9
	ds_write_b32 v9, v41
	s_or_b64 exec, exec, s[20:21]
	s_and_saveexec_b64 s[18:19], s[16:17]
	s_cbranch_execz .LBB660_215
.LBB660_270:
	v_sub_u32_e32 v9, v38, v8
	v_lshlrev_b32_e32 v9, 2, v9
	ds_write_b32 v9, v39
	s_or_b64 exec, exec, s[18:19]
	s_and_saveexec_b64 s[16:17], s[14:15]
	s_cbranch_execz .LBB660_216
.LBB660_271:
	v_sub_u32_e32 v9, v36, v8
	v_lshlrev_b32_e32 v9, 2, v9
	ds_write_b32 v9, v37
	s_or_b64 exec, exec, s[16:17]
	s_and_saveexec_b64 s[14:15], s[12:13]
	s_cbranch_execz .LBB660_217
.LBB660_272:
	v_sub_u32_e32 v9, v34, v8
	v_lshlrev_b32_e32 v9, 2, v9
	ds_write_b32 v9, v35
	s_or_b64 exec, exec, s[14:15]
	s_and_saveexec_b64 s[12:13], s[10:11]
	s_cbranch_execz .LBB660_218
.LBB660_273:
	v_sub_u32_e32 v9, v32, v8
	v_lshlrev_b32_e32 v9, 2, v9
	ds_write_b32 v9, v33
	s_or_b64 exec, exec, s[12:13]
	s_and_saveexec_b64 s[10:11], s[8:9]
	s_cbranch_execz .LBB660_219
.LBB660_274:
	v_sub_u32_e32 v9, v30, v8
	v_lshlrev_b32_e32 v9, 2, v9
	ds_write_b32 v9, v31
	s_or_b64 exec, exec, s[10:11]
	s_and_saveexec_b64 s[8:9], s[6:7]
	s_cbranch_execz .LBB660_220
.LBB660_275:
	v_sub_u32_e32 v9, v28, v8
	v_lshlrev_b32_e32 v9, 2, v9
	ds_write_b32 v9, v29
	s_or_b64 exec, exec, s[8:9]
	s_and_saveexec_b64 s[6:7], s[4:5]
	s_cbranch_execz .LBB660_221
.LBB660_276:
	v_sub_u32_e32 v9, v26, v8
	v_lshlrev_b32_e32 v9, 2, v9
	ds_write_b32 v9, v27
	s_or_b64 exec, exec, s[6:7]
	s_and_saveexec_b64 s[4:5], s[2:3]
	s_cbranch_execnz .LBB660_222
	s_branch .LBB660_223
	.section	.rodata,"a",@progbits
	.p2align	6, 0x0
	.amdhsa_kernel _ZN7rocprim17ROCPRIM_400000_NS6detail17trampoline_kernelINS0_14default_configENS1_33run_length_encode_config_selectorIjjNS0_4plusIjEEEEZZNS1_33reduce_by_key_impl_wrapped_configILNS1_25lookback_scan_determinismE0ES3_S7_PKjNS0_17constant_iteratorIjlEEPjPlSF_S6_NS0_8equal_toIjEEEE10hipError_tPvRmT2_T3_mT4_T5_T6_T7_T8_P12ihipStream_tbENKUlT_T0_E_clISt17integral_constantIbLb1EESZ_EEDaSU_SV_EUlSU_E_NS1_11comp_targetILNS1_3genE4ELNS1_11target_archE910ELNS1_3gpuE8ELNS1_3repE0EEENS1_30default_config_static_selectorELNS0_4arch9wavefront6targetE1EEEvT1_
		.amdhsa_group_segment_fixed_size 15360
		.amdhsa_private_segment_fixed_size 0
		.amdhsa_kernarg_size 128
		.amdhsa_user_sgpr_count 6
		.amdhsa_user_sgpr_private_segment_buffer 1
		.amdhsa_user_sgpr_dispatch_ptr 0
		.amdhsa_user_sgpr_queue_ptr 0
		.amdhsa_user_sgpr_kernarg_segment_ptr 1
		.amdhsa_user_sgpr_dispatch_id 0
		.amdhsa_user_sgpr_flat_scratch_init 0
		.amdhsa_user_sgpr_kernarg_preload_length 0
		.amdhsa_user_sgpr_kernarg_preload_offset 0
		.amdhsa_user_sgpr_private_segment_size 0
		.amdhsa_uses_dynamic_stack 0
		.amdhsa_system_sgpr_private_segment_wavefront_offset 0
		.amdhsa_system_sgpr_workgroup_id_x 1
		.amdhsa_system_sgpr_workgroup_id_y 0
		.amdhsa_system_sgpr_workgroup_id_z 0
		.amdhsa_system_sgpr_workgroup_info 0
		.amdhsa_system_vgpr_workitem_id 0
		.amdhsa_next_free_vgpr 104
		.amdhsa_next_free_sgpr 66
		.amdhsa_accum_offset 104
		.amdhsa_reserve_vcc 1
		.amdhsa_reserve_flat_scratch 0
		.amdhsa_float_round_mode_32 0
		.amdhsa_float_round_mode_16_64 0
		.amdhsa_float_denorm_mode_32 3
		.amdhsa_float_denorm_mode_16_64 3
		.amdhsa_dx10_clamp 1
		.amdhsa_ieee_mode 1
		.amdhsa_fp16_overflow 0
		.amdhsa_tg_split 0
		.amdhsa_exception_fp_ieee_invalid_op 0
		.amdhsa_exception_fp_denorm_src 0
		.amdhsa_exception_fp_ieee_div_zero 0
		.amdhsa_exception_fp_ieee_overflow 0
		.amdhsa_exception_fp_ieee_underflow 0
		.amdhsa_exception_fp_ieee_inexact 0
		.amdhsa_exception_int_div_zero 0
	.end_amdhsa_kernel
	.section	.text._ZN7rocprim17ROCPRIM_400000_NS6detail17trampoline_kernelINS0_14default_configENS1_33run_length_encode_config_selectorIjjNS0_4plusIjEEEEZZNS1_33reduce_by_key_impl_wrapped_configILNS1_25lookback_scan_determinismE0ES3_S7_PKjNS0_17constant_iteratorIjlEEPjPlSF_S6_NS0_8equal_toIjEEEE10hipError_tPvRmT2_T3_mT4_T5_T6_T7_T8_P12ihipStream_tbENKUlT_T0_E_clISt17integral_constantIbLb1EESZ_EEDaSU_SV_EUlSU_E_NS1_11comp_targetILNS1_3genE4ELNS1_11target_archE910ELNS1_3gpuE8ELNS1_3repE0EEENS1_30default_config_static_selectorELNS0_4arch9wavefront6targetE1EEEvT1_,"axG",@progbits,_ZN7rocprim17ROCPRIM_400000_NS6detail17trampoline_kernelINS0_14default_configENS1_33run_length_encode_config_selectorIjjNS0_4plusIjEEEEZZNS1_33reduce_by_key_impl_wrapped_configILNS1_25lookback_scan_determinismE0ES3_S7_PKjNS0_17constant_iteratorIjlEEPjPlSF_S6_NS0_8equal_toIjEEEE10hipError_tPvRmT2_T3_mT4_T5_T6_T7_T8_P12ihipStream_tbENKUlT_T0_E_clISt17integral_constantIbLb1EESZ_EEDaSU_SV_EUlSU_E_NS1_11comp_targetILNS1_3genE4ELNS1_11target_archE910ELNS1_3gpuE8ELNS1_3repE0EEENS1_30default_config_static_selectorELNS0_4arch9wavefront6targetE1EEEvT1_,comdat
.Lfunc_end660:
	.size	_ZN7rocprim17ROCPRIM_400000_NS6detail17trampoline_kernelINS0_14default_configENS1_33run_length_encode_config_selectorIjjNS0_4plusIjEEEEZZNS1_33reduce_by_key_impl_wrapped_configILNS1_25lookback_scan_determinismE0ES3_S7_PKjNS0_17constant_iteratorIjlEEPjPlSF_S6_NS0_8equal_toIjEEEE10hipError_tPvRmT2_T3_mT4_T5_T6_T7_T8_P12ihipStream_tbENKUlT_T0_E_clISt17integral_constantIbLb1EESZ_EEDaSU_SV_EUlSU_E_NS1_11comp_targetILNS1_3genE4ELNS1_11target_archE910ELNS1_3gpuE8ELNS1_3repE0EEENS1_30default_config_static_selectorELNS0_4arch9wavefront6targetE1EEEvT1_, .Lfunc_end660-_ZN7rocprim17ROCPRIM_400000_NS6detail17trampoline_kernelINS0_14default_configENS1_33run_length_encode_config_selectorIjjNS0_4plusIjEEEEZZNS1_33reduce_by_key_impl_wrapped_configILNS1_25lookback_scan_determinismE0ES3_S7_PKjNS0_17constant_iteratorIjlEEPjPlSF_S6_NS0_8equal_toIjEEEE10hipError_tPvRmT2_T3_mT4_T5_T6_T7_T8_P12ihipStream_tbENKUlT_T0_E_clISt17integral_constantIbLb1EESZ_EEDaSU_SV_EUlSU_E_NS1_11comp_targetILNS1_3genE4ELNS1_11target_archE910ELNS1_3gpuE8ELNS1_3repE0EEENS1_30default_config_static_selectorELNS0_4arch9wavefront6targetE1EEEvT1_
                                        ; -- End function
	.section	.AMDGPU.csdata,"",@progbits
; Kernel info:
; codeLenInByte = 15292
; NumSgprs: 70
; NumVgprs: 104
; NumAgprs: 0
; TotalNumVgprs: 104
; ScratchSize: 0
; MemoryBound: 0
; FloatMode: 240
; IeeeMode: 1
; LDSByteSize: 15360 bytes/workgroup (compile time only)
; SGPRBlocks: 8
; VGPRBlocks: 12
; NumSGPRsForWavesPerEU: 70
; NumVGPRsForWavesPerEU: 104
; AccumOffset: 104
; Occupancy: 4
; WaveLimiterHint : 1
; COMPUTE_PGM_RSRC2:SCRATCH_EN: 0
; COMPUTE_PGM_RSRC2:USER_SGPR: 6
; COMPUTE_PGM_RSRC2:TRAP_HANDLER: 0
; COMPUTE_PGM_RSRC2:TGID_X_EN: 1
; COMPUTE_PGM_RSRC2:TGID_Y_EN: 0
; COMPUTE_PGM_RSRC2:TGID_Z_EN: 0
; COMPUTE_PGM_RSRC2:TIDIG_COMP_CNT: 0
; COMPUTE_PGM_RSRC3_GFX90A:ACCUM_OFFSET: 25
; COMPUTE_PGM_RSRC3_GFX90A:TG_SPLIT: 0
	.section	.text._ZN7rocprim17ROCPRIM_400000_NS6detail17trampoline_kernelINS0_14default_configENS1_33run_length_encode_config_selectorIjjNS0_4plusIjEEEEZZNS1_33reduce_by_key_impl_wrapped_configILNS1_25lookback_scan_determinismE0ES3_S7_PKjNS0_17constant_iteratorIjlEEPjPlSF_S6_NS0_8equal_toIjEEEE10hipError_tPvRmT2_T3_mT4_T5_T6_T7_T8_P12ihipStream_tbENKUlT_T0_E_clISt17integral_constantIbLb1EESZ_EEDaSU_SV_EUlSU_E_NS1_11comp_targetILNS1_3genE3ELNS1_11target_archE908ELNS1_3gpuE7ELNS1_3repE0EEENS1_30default_config_static_selectorELNS0_4arch9wavefront6targetE1EEEvT1_,"axG",@progbits,_ZN7rocprim17ROCPRIM_400000_NS6detail17trampoline_kernelINS0_14default_configENS1_33run_length_encode_config_selectorIjjNS0_4plusIjEEEEZZNS1_33reduce_by_key_impl_wrapped_configILNS1_25lookback_scan_determinismE0ES3_S7_PKjNS0_17constant_iteratorIjlEEPjPlSF_S6_NS0_8equal_toIjEEEE10hipError_tPvRmT2_T3_mT4_T5_T6_T7_T8_P12ihipStream_tbENKUlT_T0_E_clISt17integral_constantIbLb1EESZ_EEDaSU_SV_EUlSU_E_NS1_11comp_targetILNS1_3genE3ELNS1_11target_archE908ELNS1_3gpuE7ELNS1_3repE0EEENS1_30default_config_static_selectorELNS0_4arch9wavefront6targetE1EEEvT1_,comdat
	.protected	_ZN7rocprim17ROCPRIM_400000_NS6detail17trampoline_kernelINS0_14default_configENS1_33run_length_encode_config_selectorIjjNS0_4plusIjEEEEZZNS1_33reduce_by_key_impl_wrapped_configILNS1_25lookback_scan_determinismE0ES3_S7_PKjNS0_17constant_iteratorIjlEEPjPlSF_S6_NS0_8equal_toIjEEEE10hipError_tPvRmT2_T3_mT4_T5_T6_T7_T8_P12ihipStream_tbENKUlT_T0_E_clISt17integral_constantIbLb1EESZ_EEDaSU_SV_EUlSU_E_NS1_11comp_targetILNS1_3genE3ELNS1_11target_archE908ELNS1_3gpuE7ELNS1_3repE0EEENS1_30default_config_static_selectorELNS0_4arch9wavefront6targetE1EEEvT1_ ; -- Begin function _ZN7rocprim17ROCPRIM_400000_NS6detail17trampoline_kernelINS0_14default_configENS1_33run_length_encode_config_selectorIjjNS0_4plusIjEEEEZZNS1_33reduce_by_key_impl_wrapped_configILNS1_25lookback_scan_determinismE0ES3_S7_PKjNS0_17constant_iteratorIjlEEPjPlSF_S6_NS0_8equal_toIjEEEE10hipError_tPvRmT2_T3_mT4_T5_T6_T7_T8_P12ihipStream_tbENKUlT_T0_E_clISt17integral_constantIbLb1EESZ_EEDaSU_SV_EUlSU_E_NS1_11comp_targetILNS1_3genE3ELNS1_11target_archE908ELNS1_3gpuE7ELNS1_3repE0EEENS1_30default_config_static_selectorELNS0_4arch9wavefront6targetE1EEEvT1_
	.globl	_ZN7rocprim17ROCPRIM_400000_NS6detail17trampoline_kernelINS0_14default_configENS1_33run_length_encode_config_selectorIjjNS0_4plusIjEEEEZZNS1_33reduce_by_key_impl_wrapped_configILNS1_25lookback_scan_determinismE0ES3_S7_PKjNS0_17constant_iteratorIjlEEPjPlSF_S6_NS0_8equal_toIjEEEE10hipError_tPvRmT2_T3_mT4_T5_T6_T7_T8_P12ihipStream_tbENKUlT_T0_E_clISt17integral_constantIbLb1EESZ_EEDaSU_SV_EUlSU_E_NS1_11comp_targetILNS1_3genE3ELNS1_11target_archE908ELNS1_3gpuE7ELNS1_3repE0EEENS1_30default_config_static_selectorELNS0_4arch9wavefront6targetE1EEEvT1_
	.p2align	8
	.type	_ZN7rocprim17ROCPRIM_400000_NS6detail17trampoline_kernelINS0_14default_configENS1_33run_length_encode_config_selectorIjjNS0_4plusIjEEEEZZNS1_33reduce_by_key_impl_wrapped_configILNS1_25lookback_scan_determinismE0ES3_S7_PKjNS0_17constant_iteratorIjlEEPjPlSF_S6_NS0_8equal_toIjEEEE10hipError_tPvRmT2_T3_mT4_T5_T6_T7_T8_P12ihipStream_tbENKUlT_T0_E_clISt17integral_constantIbLb1EESZ_EEDaSU_SV_EUlSU_E_NS1_11comp_targetILNS1_3genE3ELNS1_11target_archE908ELNS1_3gpuE7ELNS1_3repE0EEENS1_30default_config_static_selectorELNS0_4arch9wavefront6targetE1EEEvT1_,@function
_ZN7rocprim17ROCPRIM_400000_NS6detail17trampoline_kernelINS0_14default_configENS1_33run_length_encode_config_selectorIjjNS0_4plusIjEEEEZZNS1_33reduce_by_key_impl_wrapped_configILNS1_25lookback_scan_determinismE0ES3_S7_PKjNS0_17constant_iteratorIjlEEPjPlSF_S6_NS0_8equal_toIjEEEE10hipError_tPvRmT2_T3_mT4_T5_T6_T7_T8_P12ihipStream_tbENKUlT_T0_E_clISt17integral_constantIbLb1EESZ_EEDaSU_SV_EUlSU_E_NS1_11comp_targetILNS1_3genE3ELNS1_11target_archE908ELNS1_3gpuE7ELNS1_3repE0EEENS1_30default_config_static_selectorELNS0_4arch9wavefront6targetE1EEEvT1_: ; @_ZN7rocprim17ROCPRIM_400000_NS6detail17trampoline_kernelINS0_14default_configENS1_33run_length_encode_config_selectorIjjNS0_4plusIjEEEEZZNS1_33reduce_by_key_impl_wrapped_configILNS1_25lookback_scan_determinismE0ES3_S7_PKjNS0_17constant_iteratorIjlEEPjPlSF_S6_NS0_8equal_toIjEEEE10hipError_tPvRmT2_T3_mT4_T5_T6_T7_T8_P12ihipStream_tbENKUlT_T0_E_clISt17integral_constantIbLb1EESZ_EEDaSU_SV_EUlSU_E_NS1_11comp_targetILNS1_3genE3ELNS1_11target_archE908ELNS1_3gpuE7ELNS1_3repE0EEENS1_30default_config_static_selectorELNS0_4arch9wavefront6targetE1EEEvT1_
; %bb.0:
	.section	.rodata,"a",@progbits
	.p2align	6, 0x0
	.amdhsa_kernel _ZN7rocprim17ROCPRIM_400000_NS6detail17trampoline_kernelINS0_14default_configENS1_33run_length_encode_config_selectorIjjNS0_4plusIjEEEEZZNS1_33reduce_by_key_impl_wrapped_configILNS1_25lookback_scan_determinismE0ES3_S7_PKjNS0_17constant_iteratorIjlEEPjPlSF_S6_NS0_8equal_toIjEEEE10hipError_tPvRmT2_T3_mT4_T5_T6_T7_T8_P12ihipStream_tbENKUlT_T0_E_clISt17integral_constantIbLb1EESZ_EEDaSU_SV_EUlSU_E_NS1_11comp_targetILNS1_3genE3ELNS1_11target_archE908ELNS1_3gpuE7ELNS1_3repE0EEENS1_30default_config_static_selectorELNS0_4arch9wavefront6targetE1EEEvT1_
		.amdhsa_group_segment_fixed_size 0
		.amdhsa_private_segment_fixed_size 0
		.amdhsa_kernarg_size 128
		.amdhsa_user_sgpr_count 6
		.amdhsa_user_sgpr_private_segment_buffer 1
		.amdhsa_user_sgpr_dispatch_ptr 0
		.amdhsa_user_sgpr_queue_ptr 0
		.amdhsa_user_sgpr_kernarg_segment_ptr 1
		.amdhsa_user_sgpr_dispatch_id 0
		.amdhsa_user_sgpr_flat_scratch_init 0
		.amdhsa_user_sgpr_kernarg_preload_length 0
		.amdhsa_user_sgpr_kernarg_preload_offset 0
		.amdhsa_user_sgpr_private_segment_size 0
		.amdhsa_uses_dynamic_stack 0
		.amdhsa_system_sgpr_private_segment_wavefront_offset 0
		.amdhsa_system_sgpr_workgroup_id_x 1
		.amdhsa_system_sgpr_workgroup_id_y 0
		.amdhsa_system_sgpr_workgroup_id_z 0
		.amdhsa_system_sgpr_workgroup_info 0
		.amdhsa_system_vgpr_workitem_id 0
		.amdhsa_next_free_vgpr 1
		.amdhsa_next_free_sgpr 0
		.amdhsa_accum_offset 4
		.amdhsa_reserve_vcc 0
		.amdhsa_reserve_flat_scratch 0
		.amdhsa_float_round_mode_32 0
		.amdhsa_float_round_mode_16_64 0
		.amdhsa_float_denorm_mode_32 3
		.amdhsa_float_denorm_mode_16_64 3
		.amdhsa_dx10_clamp 1
		.amdhsa_ieee_mode 1
		.amdhsa_fp16_overflow 0
		.amdhsa_tg_split 0
		.amdhsa_exception_fp_ieee_invalid_op 0
		.amdhsa_exception_fp_denorm_src 0
		.amdhsa_exception_fp_ieee_div_zero 0
		.amdhsa_exception_fp_ieee_overflow 0
		.amdhsa_exception_fp_ieee_underflow 0
		.amdhsa_exception_fp_ieee_inexact 0
		.amdhsa_exception_int_div_zero 0
	.end_amdhsa_kernel
	.section	.text._ZN7rocprim17ROCPRIM_400000_NS6detail17trampoline_kernelINS0_14default_configENS1_33run_length_encode_config_selectorIjjNS0_4plusIjEEEEZZNS1_33reduce_by_key_impl_wrapped_configILNS1_25lookback_scan_determinismE0ES3_S7_PKjNS0_17constant_iteratorIjlEEPjPlSF_S6_NS0_8equal_toIjEEEE10hipError_tPvRmT2_T3_mT4_T5_T6_T7_T8_P12ihipStream_tbENKUlT_T0_E_clISt17integral_constantIbLb1EESZ_EEDaSU_SV_EUlSU_E_NS1_11comp_targetILNS1_3genE3ELNS1_11target_archE908ELNS1_3gpuE7ELNS1_3repE0EEENS1_30default_config_static_selectorELNS0_4arch9wavefront6targetE1EEEvT1_,"axG",@progbits,_ZN7rocprim17ROCPRIM_400000_NS6detail17trampoline_kernelINS0_14default_configENS1_33run_length_encode_config_selectorIjjNS0_4plusIjEEEEZZNS1_33reduce_by_key_impl_wrapped_configILNS1_25lookback_scan_determinismE0ES3_S7_PKjNS0_17constant_iteratorIjlEEPjPlSF_S6_NS0_8equal_toIjEEEE10hipError_tPvRmT2_T3_mT4_T5_T6_T7_T8_P12ihipStream_tbENKUlT_T0_E_clISt17integral_constantIbLb1EESZ_EEDaSU_SV_EUlSU_E_NS1_11comp_targetILNS1_3genE3ELNS1_11target_archE908ELNS1_3gpuE7ELNS1_3repE0EEENS1_30default_config_static_selectorELNS0_4arch9wavefront6targetE1EEEvT1_,comdat
.Lfunc_end661:
	.size	_ZN7rocprim17ROCPRIM_400000_NS6detail17trampoline_kernelINS0_14default_configENS1_33run_length_encode_config_selectorIjjNS0_4plusIjEEEEZZNS1_33reduce_by_key_impl_wrapped_configILNS1_25lookback_scan_determinismE0ES3_S7_PKjNS0_17constant_iteratorIjlEEPjPlSF_S6_NS0_8equal_toIjEEEE10hipError_tPvRmT2_T3_mT4_T5_T6_T7_T8_P12ihipStream_tbENKUlT_T0_E_clISt17integral_constantIbLb1EESZ_EEDaSU_SV_EUlSU_E_NS1_11comp_targetILNS1_3genE3ELNS1_11target_archE908ELNS1_3gpuE7ELNS1_3repE0EEENS1_30default_config_static_selectorELNS0_4arch9wavefront6targetE1EEEvT1_, .Lfunc_end661-_ZN7rocprim17ROCPRIM_400000_NS6detail17trampoline_kernelINS0_14default_configENS1_33run_length_encode_config_selectorIjjNS0_4plusIjEEEEZZNS1_33reduce_by_key_impl_wrapped_configILNS1_25lookback_scan_determinismE0ES3_S7_PKjNS0_17constant_iteratorIjlEEPjPlSF_S6_NS0_8equal_toIjEEEE10hipError_tPvRmT2_T3_mT4_T5_T6_T7_T8_P12ihipStream_tbENKUlT_T0_E_clISt17integral_constantIbLb1EESZ_EEDaSU_SV_EUlSU_E_NS1_11comp_targetILNS1_3genE3ELNS1_11target_archE908ELNS1_3gpuE7ELNS1_3repE0EEENS1_30default_config_static_selectorELNS0_4arch9wavefront6targetE1EEEvT1_
                                        ; -- End function
	.section	.AMDGPU.csdata,"",@progbits
; Kernel info:
; codeLenInByte = 0
; NumSgprs: 4
; NumVgprs: 0
; NumAgprs: 0
; TotalNumVgprs: 0
; ScratchSize: 0
; MemoryBound: 0
; FloatMode: 240
; IeeeMode: 1
; LDSByteSize: 0 bytes/workgroup (compile time only)
; SGPRBlocks: 0
; VGPRBlocks: 0
; NumSGPRsForWavesPerEU: 4
; NumVGPRsForWavesPerEU: 1
; AccumOffset: 4
; Occupancy: 8
; WaveLimiterHint : 0
; COMPUTE_PGM_RSRC2:SCRATCH_EN: 0
; COMPUTE_PGM_RSRC2:USER_SGPR: 6
; COMPUTE_PGM_RSRC2:TRAP_HANDLER: 0
; COMPUTE_PGM_RSRC2:TGID_X_EN: 1
; COMPUTE_PGM_RSRC2:TGID_Y_EN: 0
; COMPUTE_PGM_RSRC2:TGID_Z_EN: 0
; COMPUTE_PGM_RSRC2:TIDIG_COMP_CNT: 0
; COMPUTE_PGM_RSRC3_GFX90A:ACCUM_OFFSET: 0
; COMPUTE_PGM_RSRC3_GFX90A:TG_SPLIT: 0
	.section	.text._ZN7rocprim17ROCPRIM_400000_NS6detail17trampoline_kernelINS0_14default_configENS1_33run_length_encode_config_selectorIjjNS0_4plusIjEEEEZZNS1_33reduce_by_key_impl_wrapped_configILNS1_25lookback_scan_determinismE0ES3_S7_PKjNS0_17constant_iteratorIjlEEPjPlSF_S6_NS0_8equal_toIjEEEE10hipError_tPvRmT2_T3_mT4_T5_T6_T7_T8_P12ihipStream_tbENKUlT_T0_E_clISt17integral_constantIbLb1EESZ_EEDaSU_SV_EUlSU_E_NS1_11comp_targetILNS1_3genE2ELNS1_11target_archE906ELNS1_3gpuE6ELNS1_3repE0EEENS1_30default_config_static_selectorELNS0_4arch9wavefront6targetE1EEEvT1_,"axG",@progbits,_ZN7rocprim17ROCPRIM_400000_NS6detail17trampoline_kernelINS0_14default_configENS1_33run_length_encode_config_selectorIjjNS0_4plusIjEEEEZZNS1_33reduce_by_key_impl_wrapped_configILNS1_25lookback_scan_determinismE0ES3_S7_PKjNS0_17constant_iteratorIjlEEPjPlSF_S6_NS0_8equal_toIjEEEE10hipError_tPvRmT2_T3_mT4_T5_T6_T7_T8_P12ihipStream_tbENKUlT_T0_E_clISt17integral_constantIbLb1EESZ_EEDaSU_SV_EUlSU_E_NS1_11comp_targetILNS1_3genE2ELNS1_11target_archE906ELNS1_3gpuE6ELNS1_3repE0EEENS1_30default_config_static_selectorELNS0_4arch9wavefront6targetE1EEEvT1_,comdat
	.protected	_ZN7rocprim17ROCPRIM_400000_NS6detail17trampoline_kernelINS0_14default_configENS1_33run_length_encode_config_selectorIjjNS0_4plusIjEEEEZZNS1_33reduce_by_key_impl_wrapped_configILNS1_25lookback_scan_determinismE0ES3_S7_PKjNS0_17constant_iteratorIjlEEPjPlSF_S6_NS0_8equal_toIjEEEE10hipError_tPvRmT2_T3_mT4_T5_T6_T7_T8_P12ihipStream_tbENKUlT_T0_E_clISt17integral_constantIbLb1EESZ_EEDaSU_SV_EUlSU_E_NS1_11comp_targetILNS1_3genE2ELNS1_11target_archE906ELNS1_3gpuE6ELNS1_3repE0EEENS1_30default_config_static_selectorELNS0_4arch9wavefront6targetE1EEEvT1_ ; -- Begin function _ZN7rocprim17ROCPRIM_400000_NS6detail17trampoline_kernelINS0_14default_configENS1_33run_length_encode_config_selectorIjjNS0_4plusIjEEEEZZNS1_33reduce_by_key_impl_wrapped_configILNS1_25lookback_scan_determinismE0ES3_S7_PKjNS0_17constant_iteratorIjlEEPjPlSF_S6_NS0_8equal_toIjEEEE10hipError_tPvRmT2_T3_mT4_T5_T6_T7_T8_P12ihipStream_tbENKUlT_T0_E_clISt17integral_constantIbLb1EESZ_EEDaSU_SV_EUlSU_E_NS1_11comp_targetILNS1_3genE2ELNS1_11target_archE906ELNS1_3gpuE6ELNS1_3repE0EEENS1_30default_config_static_selectorELNS0_4arch9wavefront6targetE1EEEvT1_
	.globl	_ZN7rocprim17ROCPRIM_400000_NS6detail17trampoline_kernelINS0_14default_configENS1_33run_length_encode_config_selectorIjjNS0_4plusIjEEEEZZNS1_33reduce_by_key_impl_wrapped_configILNS1_25lookback_scan_determinismE0ES3_S7_PKjNS0_17constant_iteratorIjlEEPjPlSF_S6_NS0_8equal_toIjEEEE10hipError_tPvRmT2_T3_mT4_T5_T6_T7_T8_P12ihipStream_tbENKUlT_T0_E_clISt17integral_constantIbLb1EESZ_EEDaSU_SV_EUlSU_E_NS1_11comp_targetILNS1_3genE2ELNS1_11target_archE906ELNS1_3gpuE6ELNS1_3repE0EEENS1_30default_config_static_selectorELNS0_4arch9wavefront6targetE1EEEvT1_
	.p2align	8
	.type	_ZN7rocprim17ROCPRIM_400000_NS6detail17trampoline_kernelINS0_14default_configENS1_33run_length_encode_config_selectorIjjNS0_4plusIjEEEEZZNS1_33reduce_by_key_impl_wrapped_configILNS1_25lookback_scan_determinismE0ES3_S7_PKjNS0_17constant_iteratorIjlEEPjPlSF_S6_NS0_8equal_toIjEEEE10hipError_tPvRmT2_T3_mT4_T5_T6_T7_T8_P12ihipStream_tbENKUlT_T0_E_clISt17integral_constantIbLb1EESZ_EEDaSU_SV_EUlSU_E_NS1_11comp_targetILNS1_3genE2ELNS1_11target_archE906ELNS1_3gpuE6ELNS1_3repE0EEENS1_30default_config_static_selectorELNS0_4arch9wavefront6targetE1EEEvT1_,@function
_ZN7rocprim17ROCPRIM_400000_NS6detail17trampoline_kernelINS0_14default_configENS1_33run_length_encode_config_selectorIjjNS0_4plusIjEEEEZZNS1_33reduce_by_key_impl_wrapped_configILNS1_25lookback_scan_determinismE0ES3_S7_PKjNS0_17constant_iteratorIjlEEPjPlSF_S6_NS0_8equal_toIjEEEE10hipError_tPvRmT2_T3_mT4_T5_T6_T7_T8_P12ihipStream_tbENKUlT_T0_E_clISt17integral_constantIbLb1EESZ_EEDaSU_SV_EUlSU_E_NS1_11comp_targetILNS1_3genE2ELNS1_11target_archE906ELNS1_3gpuE6ELNS1_3repE0EEENS1_30default_config_static_selectorELNS0_4arch9wavefront6targetE1EEEvT1_: ; @_ZN7rocprim17ROCPRIM_400000_NS6detail17trampoline_kernelINS0_14default_configENS1_33run_length_encode_config_selectorIjjNS0_4plusIjEEEEZZNS1_33reduce_by_key_impl_wrapped_configILNS1_25lookback_scan_determinismE0ES3_S7_PKjNS0_17constant_iteratorIjlEEPjPlSF_S6_NS0_8equal_toIjEEEE10hipError_tPvRmT2_T3_mT4_T5_T6_T7_T8_P12ihipStream_tbENKUlT_T0_E_clISt17integral_constantIbLb1EESZ_EEDaSU_SV_EUlSU_E_NS1_11comp_targetILNS1_3genE2ELNS1_11target_archE906ELNS1_3gpuE6ELNS1_3repE0EEENS1_30default_config_static_selectorELNS0_4arch9wavefront6targetE1EEEvT1_
; %bb.0:
	.section	.rodata,"a",@progbits
	.p2align	6, 0x0
	.amdhsa_kernel _ZN7rocprim17ROCPRIM_400000_NS6detail17trampoline_kernelINS0_14default_configENS1_33run_length_encode_config_selectorIjjNS0_4plusIjEEEEZZNS1_33reduce_by_key_impl_wrapped_configILNS1_25lookback_scan_determinismE0ES3_S7_PKjNS0_17constant_iteratorIjlEEPjPlSF_S6_NS0_8equal_toIjEEEE10hipError_tPvRmT2_T3_mT4_T5_T6_T7_T8_P12ihipStream_tbENKUlT_T0_E_clISt17integral_constantIbLb1EESZ_EEDaSU_SV_EUlSU_E_NS1_11comp_targetILNS1_3genE2ELNS1_11target_archE906ELNS1_3gpuE6ELNS1_3repE0EEENS1_30default_config_static_selectorELNS0_4arch9wavefront6targetE1EEEvT1_
		.amdhsa_group_segment_fixed_size 0
		.amdhsa_private_segment_fixed_size 0
		.amdhsa_kernarg_size 128
		.amdhsa_user_sgpr_count 6
		.amdhsa_user_sgpr_private_segment_buffer 1
		.amdhsa_user_sgpr_dispatch_ptr 0
		.amdhsa_user_sgpr_queue_ptr 0
		.amdhsa_user_sgpr_kernarg_segment_ptr 1
		.amdhsa_user_sgpr_dispatch_id 0
		.amdhsa_user_sgpr_flat_scratch_init 0
		.amdhsa_user_sgpr_kernarg_preload_length 0
		.amdhsa_user_sgpr_kernarg_preload_offset 0
		.amdhsa_user_sgpr_private_segment_size 0
		.amdhsa_uses_dynamic_stack 0
		.amdhsa_system_sgpr_private_segment_wavefront_offset 0
		.amdhsa_system_sgpr_workgroup_id_x 1
		.amdhsa_system_sgpr_workgroup_id_y 0
		.amdhsa_system_sgpr_workgroup_id_z 0
		.amdhsa_system_sgpr_workgroup_info 0
		.amdhsa_system_vgpr_workitem_id 0
		.amdhsa_next_free_vgpr 1
		.amdhsa_next_free_sgpr 0
		.amdhsa_accum_offset 4
		.amdhsa_reserve_vcc 0
		.amdhsa_reserve_flat_scratch 0
		.amdhsa_float_round_mode_32 0
		.amdhsa_float_round_mode_16_64 0
		.amdhsa_float_denorm_mode_32 3
		.amdhsa_float_denorm_mode_16_64 3
		.amdhsa_dx10_clamp 1
		.amdhsa_ieee_mode 1
		.amdhsa_fp16_overflow 0
		.amdhsa_tg_split 0
		.amdhsa_exception_fp_ieee_invalid_op 0
		.amdhsa_exception_fp_denorm_src 0
		.amdhsa_exception_fp_ieee_div_zero 0
		.amdhsa_exception_fp_ieee_overflow 0
		.amdhsa_exception_fp_ieee_underflow 0
		.amdhsa_exception_fp_ieee_inexact 0
		.amdhsa_exception_int_div_zero 0
	.end_amdhsa_kernel
	.section	.text._ZN7rocprim17ROCPRIM_400000_NS6detail17trampoline_kernelINS0_14default_configENS1_33run_length_encode_config_selectorIjjNS0_4plusIjEEEEZZNS1_33reduce_by_key_impl_wrapped_configILNS1_25lookback_scan_determinismE0ES3_S7_PKjNS0_17constant_iteratorIjlEEPjPlSF_S6_NS0_8equal_toIjEEEE10hipError_tPvRmT2_T3_mT4_T5_T6_T7_T8_P12ihipStream_tbENKUlT_T0_E_clISt17integral_constantIbLb1EESZ_EEDaSU_SV_EUlSU_E_NS1_11comp_targetILNS1_3genE2ELNS1_11target_archE906ELNS1_3gpuE6ELNS1_3repE0EEENS1_30default_config_static_selectorELNS0_4arch9wavefront6targetE1EEEvT1_,"axG",@progbits,_ZN7rocprim17ROCPRIM_400000_NS6detail17trampoline_kernelINS0_14default_configENS1_33run_length_encode_config_selectorIjjNS0_4plusIjEEEEZZNS1_33reduce_by_key_impl_wrapped_configILNS1_25lookback_scan_determinismE0ES3_S7_PKjNS0_17constant_iteratorIjlEEPjPlSF_S6_NS0_8equal_toIjEEEE10hipError_tPvRmT2_T3_mT4_T5_T6_T7_T8_P12ihipStream_tbENKUlT_T0_E_clISt17integral_constantIbLb1EESZ_EEDaSU_SV_EUlSU_E_NS1_11comp_targetILNS1_3genE2ELNS1_11target_archE906ELNS1_3gpuE6ELNS1_3repE0EEENS1_30default_config_static_selectorELNS0_4arch9wavefront6targetE1EEEvT1_,comdat
.Lfunc_end662:
	.size	_ZN7rocprim17ROCPRIM_400000_NS6detail17trampoline_kernelINS0_14default_configENS1_33run_length_encode_config_selectorIjjNS0_4plusIjEEEEZZNS1_33reduce_by_key_impl_wrapped_configILNS1_25lookback_scan_determinismE0ES3_S7_PKjNS0_17constant_iteratorIjlEEPjPlSF_S6_NS0_8equal_toIjEEEE10hipError_tPvRmT2_T3_mT4_T5_T6_T7_T8_P12ihipStream_tbENKUlT_T0_E_clISt17integral_constantIbLb1EESZ_EEDaSU_SV_EUlSU_E_NS1_11comp_targetILNS1_3genE2ELNS1_11target_archE906ELNS1_3gpuE6ELNS1_3repE0EEENS1_30default_config_static_selectorELNS0_4arch9wavefront6targetE1EEEvT1_, .Lfunc_end662-_ZN7rocprim17ROCPRIM_400000_NS6detail17trampoline_kernelINS0_14default_configENS1_33run_length_encode_config_selectorIjjNS0_4plusIjEEEEZZNS1_33reduce_by_key_impl_wrapped_configILNS1_25lookback_scan_determinismE0ES3_S7_PKjNS0_17constant_iteratorIjlEEPjPlSF_S6_NS0_8equal_toIjEEEE10hipError_tPvRmT2_T3_mT4_T5_T6_T7_T8_P12ihipStream_tbENKUlT_T0_E_clISt17integral_constantIbLb1EESZ_EEDaSU_SV_EUlSU_E_NS1_11comp_targetILNS1_3genE2ELNS1_11target_archE906ELNS1_3gpuE6ELNS1_3repE0EEENS1_30default_config_static_selectorELNS0_4arch9wavefront6targetE1EEEvT1_
                                        ; -- End function
	.section	.AMDGPU.csdata,"",@progbits
; Kernel info:
; codeLenInByte = 0
; NumSgprs: 4
; NumVgprs: 0
; NumAgprs: 0
; TotalNumVgprs: 0
; ScratchSize: 0
; MemoryBound: 0
; FloatMode: 240
; IeeeMode: 1
; LDSByteSize: 0 bytes/workgroup (compile time only)
; SGPRBlocks: 0
; VGPRBlocks: 0
; NumSGPRsForWavesPerEU: 4
; NumVGPRsForWavesPerEU: 1
; AccumOffset: 4
; Occupancy: 8
; WaveLimiterHint : 0
; COMPUTE_PGM_RSRC2:SCRATCH_EN: 0
; COMPUTE_PGM_RSRC2:USER_SGPR: 6
; COMPUTE_PGM_RSRC2:TRAP_HANDLER: 0
; COMPUTE_PGM_RSRC2:TGID_X_EN: 1
; COMPUTE_PGM_RSRC2:TGID_Y_EN: 0
; COMPUTE_PGM_RSRC2:TGID_Z_EN: 0
; COMPUTE_PGM_RSRC2:TIDIG_COMP_CNT: 0
; COMPUTE_PGM_RSRC3_GFX90A:ACCUM_OFFSET: 0
; COMPUTE_PGM_RSRC3_GFX90A:TG_SPLIT: 0
	.section	.text._ZN7rocprim17ROCPRIM_400000_NS6detail17trampoline_kernelINS0_14default_configENS1_33run_length_encode_config_selectorIjjNS0_4plusIjEEEEZZNS1_33reduce_by_key_impl_wrapped_configILNS1_25lookback_scan_determinismE0ES3_S7_PKjNS0_17constant_iteratorIjlEEPjPlSF_S6_NS0_8equal_toIjEEEE10hipError_tPvRmT2_T3_mT4_T5_T6_T7_T8_P12ihipStream_tbENKUlT_T0_E_clISt17integral_constantIbLb1EESZ_EEDaSU_SV_EUlSU_E_NS1_11comp_targetILNS1_3genE10ELNS1_11target_archE1201ELNS1_3gpuE5ELNS1_3repE0EEENS1_30default_config_static_selectorELNS0_4arch9wavefront6targetE1EEEvT1_,"axG",@progbits,_ZN7rocprim17ROCPRIM_400000_NS6detail17trampoline_kernelINS0_14default_configENS1_33run_length_encode_config_selectorIjjNS0_4plusIjEEEEZZNS1_33reduce_by_key_impl_wrapped_configILNS1_25lookback_scan_determinismE0ES3_S7_PKjNS0_17constant_iteratorIjlEEPjPlSF_S6_NS0_8equal_toIjEEEE10hipError_tPvRmT2_T3_mT4_T5_T6_T7_T8_P12ihipStream_tbENKUlT_T0_E_clISt17integral_constantIbLb1EESZ_EEDaSU_SV_EUlSU_E_NS1_11comp_targetILNS1_3genE10ELNS1_11target_archE1201ELNS1_3gpuE5ELNS1_3repE0EEENS1_30default_config_static_selectorELNS0_4arch9wavefront6targetE1EEEvT1_,comdat
	.protected	_ZN7rocprim17ROCPRIM_400000_NS6detail17trampoline_kernelINS0_14default_configENS1_33run_length_encode_config_selectorIjjNS0_4plusIjEEEEZZNS1_33reduce_by_key_impl_wrapped_configILNS1_25lookback_scan_determinismE0ES3_S7_PKjNS0_17constant_iteratorIjlEEPjPlSF_S6_NS0_8equal_toIjEEEE10hipError_tPvRmT2_T3_mT4_T5_T6_T7_T8_P12ihipStream_tbENKUlT_T0_E_clISt17integral_constantIbLb1EESZ_EEDaSU_SV_EUlSU_E_NS1_11comp_targetILNS1_3genE10ELNS1_11target_archE1201ELNS1_3gpuE5ELNS1_3repE0EEENS1_30default_config_static_selectorELNS0_4arch9wavefront6targetE1EEEvT1_ ; -- Begin function _ZN7rocprim17ROCPRIM_400000_NS6detail17trampoline_kernelINS0_14default_configENS1_33run_length_encode_config_selectorIjjNS0_4plusIjEEEEZZNS1_33reduce_by_key_impl_wrapped_configILNS1_25lookback_scan_determinismE0ES3_S7_PKjNS0_17constant_iteratorIjlEEPjPlSF_S6_NS0_8equal_toIjEEEE10hipError_tPvRmT2_T3_mT4_T5_T6_T7_T8_P12ihipStream_tbENKUlT_T0_E_clISt17integral_constantIbLb1EESZ_EEDaSU_SV_EUlSU_E_NS1_11comp_targetILNS1_3genE10ELNS1_11target_archE1201ELNS1_3gpuE5ELNS1_3repE0EEENS1_30default_config_static_selectorELNS0_4arch9wavefront6targetE1EEEvT1_
	.globl	_ZN7rocprim17ROCPRIM_400000_NS6detail17trampoline_kernelINS0_14default_configENS1_33run_length_encode_config_selectorIjjNS0_4plusIjEEEEZZNS1_33reduce_by_key_impl_wrapped_configILNS1_25lookback_scan_determinismE0ES3_S7_PKjNS0_17constant_iteratorIjlEEPjPlSF_S6_NS0_8equal_toIjEEEE10hipError_tPvRmT2_T3_mT4_T5_T6_T7_T8_P12ihipStream_tbENKUlT_T0_E_clISt17integral_constantIbLb1EESZ_EEDaSU_SV_EUlSU_E_NS1_11comp_targetILNS1_3genE10ELNS1_11target_archE1201ELNS1_3gpuE5ELNS1_3repE0EEENS1_30default_config_static_selectorELNS0_4arch9wavefront6targetE1EEEvT1_
	.p2align	8
	.type	_ZN7rocprim17ROCPRIM_400000_NS6detail17trampoline_kernelINS0_14default_configENS1_33run_length_encode_config_selectorIjjNS0_4plusIjEEEEZZNS1_33reduce_by_key_impl_wrapped_configILNS1_25lookback_scan_determinismE0ES3_S7_PKjNS0_17constant_iteratorIjlEEPjPlSF_S6_NS0_8equal_toIjEEEE10hipError_tPvRmT2_T3_mT4_T5_T6_T7_T8_P12ihipStream_tbENKUlT_T0_E_clISt17integral_constantIbLb1EESZ_EEDaSU_SV_EUlSU_E_NS1_11comp_targetILNS1_3genE10ELNS1_11target_archE1201ELNS1_3gpuE5ELNS1_3repE0EEENS1_30default_config_static_selectorELNS0_4arch9wavefront6targetE1EEEvT1_,@function
_ZN7rocprim17ROCPRIM_400000_NS6detail17trampoline_kernelINS0_14default_configENS1_33run_length_encode_config_selectorIjjNS0_4plusIjEEEEZZNS1_33reduce_by_key_impl_wrapped_configILNS1_25lookback_scan_determinismE0ES3_S7_PKjNS0_17constant_iteratorIjlEEPjPlSF_S6_NS0_8equal_toIjEEEE10hipError_tPvRmT2_T3_mT4_T5_T6_T7_T8_P12ihipStream_tbENKUlT_T0_E_clISt17integral_constantIbLb1EESZ_EEDaSU_SV_EUlSU_E_NS1_11comp_targetILNS1_3genE10ELNS1_11target_archE1201ELNS1_3gpuE5ELNS1_3repE0EEENS1_30default_config_static_selectorELNS0_4arch9wavefront6targetE1EEEvT1_: ; @_ZN7rocprim17ROCPRIM_400000_NS6detail17trampoline_kernelINS0_14default_configENS1_33run_length_encode_config_selectorIjjNS0_4plusIjEEEEZZNS1_33reduce_by_key_impl_wrapped_configILNS1_25lookback_scan_determinismE0ES3_S7_PKjNS0_17constant_iteratorIjlEEPjPlSF_S6_NS0_8equal_toIjEEEE10hipError_tPvRmT2_T3_mT4_T5_T6_T7_T8_P12ihipStream_tbENKUlT_T0_E_clISt17integral_constantIbLb1EESZ_EEDaSU_SV_EUlSU_E_NS1_11comp_targetILNS1_3genE10ELNS1_11target_archE1201ELNS1_3gpuE5ELNS1_3repE0EEENS1_30default_config_static_selectorELNS0_4arch9wavefront6targetE1EEEvT1_
; %bb.0:
	.section	.rodata,"a",@progbits
	.p2align	6, 0x0
	.amdhsa_kernel _ZN7rocprim17ROCPRIM_400000_NS6detail17trampoline_kernelINS0_14default_configENS1_33run_length_encode_config_selectorIjjNS0_4plusIjEEEEZZNS1_33reduce_by_key_impl_wrapped_configILNS1_25lookback_scan_determinismE0ES3_S7_PKjNS0_17constant_iteratorIjlEEPjPlSF_S6_NS0_8equal_toIjEEEE10hipError_tPvRmT2_T3_mT4_T5_T6_T7_T8_P12ihipStream_tbENKUlT_T0_E_clISt17integral_constantIbLb1EESZ_EEDaSU_SV_EUlSU_E_NS1_11comp_targetILNS1_3genE10ELNS1_11target_archE1201ELNS1_3gpuE5ELNS1_3repE0EEENS1_30default_config_static_selectorELNS0_4arch9wavefront6targetE1EEEvT1_
		.amdhsa_group_segment_fixed_size 0
		.amdhsa_private_segment_fixed_size 0
		.amdhsa_kernarg_size 128
		.amdhsa_user_sgpr_count 6
		.amdhsa_user_sgpr_private_segment_buffer 1
		.amdhsa_user_sgpr_dispatch_ptr 0
		.amdhsa_user_sgpr_queue_ptr 0
		.amdhsa_user_sgpr_kernarg_segment_ptr 1
		.amdhsa_user_sgpr_dispatch_id 0
		.amdhsa_user_sgpr_flat_scratch_init 0
		.amdhsa_user_sgpr_kernarg_preload_length 0
		.amdhsa_user_sgpr_kernarg_preload_offset 0
		.amdhsa_user_sgpr_private_segment_size 0
		.amdhsa_uses_dynamic_stack 0
		.amdhsa_system_sgpr_private_segment_wavefront_offset 0
		.amdhsa_system_sgpr_workgroup_id_x 1
		.amdhsa_system_sgpr_workgroup_id_y 0
		.amdhsa_system_sgpr_workgroup_id_z 0
		.amdhsa_system_sgpr_workgroup_info 0
		.amdhsa_system_vgpr_workitem_id 0
		.amdhsa_next_free_vgpr 1
		.amdhsa_next_free_sgpr 0
		.amdhsa_accum_offset 4
		.amdhsa_reserve_vcc 0
		.amdhsa_reserve_flat_scratch 0
		.amdhsa_float_round_mode_32 0
		.amdhsa_float_round_mode_16_64 0
		.amdhsa_float_denorm_mode_32 3
		.amdhsa_float_denorm_mode_16_64 3
		.amdhsa_dx10_clamp 1
		.amdhsa_ieee_mode 1
		.amdhsa_fp16_overflow 0
		.amdhsa_tg_split 0
		.amdhsa_exception_fp_ieee_invalid_op 0
		.amdhsa_exception_fp_denorm_src 0
		.amdhsa_exception_fp_ieee_div_zero 0
		.amdhsa_exception_fp_ieee_overflow 0
		.amdhsa_exception_fp_ieee_underflow 0
		.amdhsa_exception_fp_ieee_inexact 0
		.amdhsa_exception_int_div_zero 0
	.end_amdhsa_kernel
	.section	.text._ZN7rocprim17ROCPRIM_400000_NS6detail17trampoline_kernelINS0_14default_configENS1_33run_length_encode_config_selectorIjjNS0_4plusIjEEEEZZNS1_33reduce_by_key_impl_wrapped_configILNS1_25lookback_scan_determinismE0ES3_S7_PKjNS0_17constant_iteratorIjlEEPjPlSF_S6_NS0_8equal_toIjEEEE10hipError_tPvRmT2_T3_mT4_T5_T6_T7_T8_P12ihipStream_tbENKUlT_T0_E_clISt17integral_constantIbLb1EESZ_EEDaSU_SV_EUlSU_E_NS1_11comp_targetILNS1_3genE10ELNS1_11target_archE1201ELNS1_3gpuE5ELNS1_3repE0EEENS1_30default_config_static_selectorELNS0_4arch9wavefront6targetE1EEEvT1_,"axG",@progbits,_ZN7rocprim17ROCPRIM_400000_NS6detail17trampoline_kernelINS0_14default_configENS1_33run_length_encode_config_selectorIjjNS0_4plusIjEEEEZZNS1_33reduce_by_key_impl_wrapped_configILNS1_25lookback_scan_determinismE0ES3_S7_PKjNS0_17constant_iteratorIjlEEPjPlSF_S6_NS0_8equal_toIjEEEE10hipError_tPvRmT2_T3_mT4_T5_T6_T7_T8_P12ihipStream_tbENKUlT_T0_E_clISt17integral_constantIbLb1EESZ_EEDaSU_SV_EUlSU_E_NS1_11comp_targetILNS1_3genE10ELNS1_11target_archE1201ELNS1_3gpuE5ELNS1_3repE0EEENS1_30default_config_static_selectorELNS0_4arch9wavefront6targetE1EEEvT1_,comdat
.Lfunc_end663:
	.size	_ZN7rocprim17ROCPRIM_400000_NS6detail17trampoline_kernelINS0_14default_configENS1_33run_length_encode_config_selectorIjjNS0_4plusIjEEEEZZNS1_33reduce_by_key_impl_wrapped_configILNS1_25lookback_scan_determinismE0ES3_S7_PKjNS0_17constant_iteratorIjlEEPjPlSF_S6_NS0_8equal_toIjEEEE10hipError_tPvRmT2_T3_mT4_T5_T6_T7_T8_P12ihipStream_tbENKUlT_T0_E_clISt17integral_constantIbLb1EESZ_EEDaSU_SV_EUlSU_E_NS1_11comp_targetILNS1_3genE10ELNS1_11target_archE1201ELNS1_3gpuE5ELNS1_3repE0EEENS1_30default_config_static_selectorELNS0_4arch9wavefront6targetE1EEEvT1_, .Lfunc_end663-_ZN7rocprim17ROCPRIM_400000_NS6detail17trampoline_kernelINS0_14default_configENS1_33run_length_encode_config_selectorIjjNS0_4plusIjEEEEZZNS1_33reduce_by_key_impl_wrapped_configILNS1_25lookback_scan_determinismE0ES3_S7_PKjNS0_17constant_iteratorIjlEEPjPlSF_S6_NS0_8equal_toIjEEEE10hipError_tPvRmT2_T3_mT4_T5_T6_T7_T8_P12ihipStream_tbENKUlT_T0_E_clISt17integral_constantIbLb1EESZ_EEDaSU_SV_EUlSU_E_NS1_11comp_targetILNS1_3genE10ELNS1_11target_archE1201ELNS1_3gpuE5ELNS1_3repE0EEENS1_30default_config_static_selectorELNS0_4arch9wavefront6targetE1EEEvT1_
                                        ; -- End function
	.section	.AMDGPU.csdata,"",@progbits
; Kernel info:
; codeLenInByte = 0
; NumSgprs: 4
; NumVgprs: 0
; NumAgprs: 0
; TotalNumVgprs: 0
; ScratchSize: 0
; MemoryBound: 0
; FloatMode: 240
; IeeeMode: 1
; LDSByteSize: 0 bytes/workgroup (compile time only)
; SGPRBlocks: 0
; VGPRBlocks: 0
; NumSGPRsForWavesPerEU: 4
; NumVGPRsForWavesPerEU: 1
; AccumOffset: 4
; Occupancy: 8
; WaveLimiterHint : 0
; COMPUTE_PGM_RSRC2:SCRATCH_EN: 0
; COMPUTE_PGM_RSRC2:USER_SGPR: 6
; COMPUTE_PGM_RSRC2:TRAP_HANDLER: 0
; COMPUTE_PGM_RSRC2:TGID_X_EN: 1
; COMPUTE_PGM_RSRC2:TGID_Y_EN: 0
; COMPUTE_PGM_RSRC2:TGID_Z_EN: 0
; COMPUTE_PGM_RSRC2:TIDIG_COMP_CNT: 0
; COMPUTE_PGM_RSRC3_GFX90A:ACCUM_OFFSET: 0
; COMPUTE_PGM_RSRC3_GFX90A:TG_SPLIT: 0
	.section	.text._ZN7rocprim17ROCPRIM_400000_NS6detail17trampoline_kernelINS0_14default_configENS1_33run_length_encode_config_selectorIjjNS0_4plusIjEEEEZZNS1_33reduce_by_key_impl_wrapped_configILNS1_25lookback_scan_determinismE0ES3_S7_PKjNS0_17constant_iteratorIjlEEPjPlSF_S6_NS0_8equal_toIjEEEE10hipError_tPvRmT2_T3_mT4_T5_T6_T7_T8_P12ihipStream_tbENKUlT_T0_E_clISt17integral_constantIbLb1EESZ_EEDaSU_SV_EUlSU_E_NS1_11comp_targetILNS1_3genE10ELNS1_11target_archE1200ELNS1_3gpuE4ELNS1_3repE0EEENS1_30default_config_static_selectorELNS0_4arch9wavefront6targetE1EEEvT1_,"axG",@progbits,_ZN7rocprim17ROCPRIM_400000_NS6detail17trampoline_kernelINS0_14default_configENS1_33run_length_encode_config_selectorIjjNS0_4plusIjEEEEZZNS1_33reduce_by_key_impl_wrapped_configILNS1_25lookback_scan_determinismE0ES3_S7_PKjNS0_17constant_iteratorIjlEEPjPlSF_S6_NS0_8equal_toIjEEEE10hipError_tPvRmT2_T3_mT4_T5_T6_T7_T8_P12ihipStream_tbENKUlT_T0_E_clISt17integral_constantIbLb1EESZ_EEDaSU_SV_EUlSU_E_NS1_11comp_targetILNS1_3genE10ELNS1_11target_archE1200ELNS1_3gpuE4ELNS1_3repE0EEENS1_30default_config_static_selectorELNS0_4arch9wavefront6targetE1EEEvT1_,comdat
	.protected	_ZN7rocprim17ROCPRIM_400000_NS6detail17trampoline_kernelINS0_14default_configENS1_33run_length_encode_config_selectorIjjNS0_4plusIjEEEEZZNS1_33reduce_by_key_impl_wrapped_configILNS1_25lookback_scan_determinismE0ES3_S7_PKjNS0_17constant_iteratorIjlEEPjPlSF_S6_NS0_8equal_toIjEEEE10hipError_tPvRmT2_T3_mT4_T5_T6_T7_T8_P12ihipStream_tbENKUlT_T0_E_clISt17integral_constantIbLb1EESZ_EEDaSU_SV_EUlSU_E_NS1_11comp_targetILNS1_3genE10ELNS1_11target_archE1200ELNS1_3gpuE4ELNS1_3repE0EEENS1_30default_config_static_selectorELNS0_4arch9wavefront6targetE1EEEvT1_ ; -- Begin function _ZN7rocprim17ROCPRIM_400000_NS6detail17trampoline_kernelINS0_14default_configENS1_33run_length_encode_config_selectorIjjNS0_4plusIjEEEEZZNS1_33reduce_by_key_impl_wrapped_configILNS1_25lookback_scan_determinismE0ES3_S7_PKjNS0_17constant_iteratorIjlEEPjPlSF_S6_NS0_8equal_toIjEEEE10hipError_tPvRmT2_T3_mT4_T5_T6_T7_T8_P12ihipStream_tbENKUlT_T0_E_clISt17integral_constantIbLb1EESZ_EEDaSU_SV_EUlSU_E_NS1_11comp_targetILNS1_3genE10ELNS1_11target_archE1200ELNS1_3gpuE4ELNS1_3repE0EEENS1_30default_config_static_selectorELNS0_4arch9wavefront6targetE1EEEvT1_
	.globl	_ZN7rocprim17ROCPRIM_400000_NS6detail17trampoline_kernelINS0_14default_configENS1_33run_length_encode_config_selectorIjjNS0_4plusIjEEEEZZNS1_33reduce_by_key_impl_wrapped_configILNS1_25lookback_scan_determinismE0ES3_S7_PKjNS0_17constant_iteratorIjlEEPjPlSF_S6_NS0_8equal_toIjEEEE10hipError_tPvRmT2_T3_mT4_T5_T6_T7_T8_P12ihipStream_tbENKUlT_T0_E_clISt17integral_constantIbLb1EESZ_EEDaSU_SV_EUlSU_E_NS1_11comp_targetILNS1_3genE10ELNS1_11target_archE1200ELNS1_3gpuE4ELNS1_3repE0EEENS1_30default_config_static_selectorELNS0_4arch9wavefront6targetE1EEEvT1_
	.p2align	8
	.type	_ZN7rocprim17ROCPRIM_400000_NS6detail17trampoline_kernelINS0_14default_configENS1_33run_length_encode_config_selectorIjjNS0_4plusIjEEEEZZNS1_33reduce_by_key_impl_wrapped_configILNS1_25lookback_scan_determinismE0ES3_S7_PKjNS0_17constant_iteratorIjlEEPjPlSF_S6_NS0_8equal_toIjEEEE10hipError_tPvRmT2_T3_mT4_T5_T6_T7_T8_P12ihipStream_tbENKUlT_T0_E_clISt17integral_constantIbLb1EESZ_EEDaSU_SV_EUlSU_E_NS1_11comp_targetILNS1_3genE10ELNS1_11target_archE1200ELNS1_3gpuE4ELNS1_3repE0EEENS1_30default_config_static_selectorELNS0_4arch9wavefront6targetE1EEEvT1_,@function
_ZN7rocprim17ROCPRIM_400000_NS6detail17trampoline_kernelINS0_14default_configENS1_33run_length_encode_config_selectorIjjNS0_4plusIjEEEEZZNS1_33reduce_by_key_impl_wrapped_configILNS1_25lookback_scan_determinismE0ES3_S7_PKjNS0_17constant_iteratorIjlEEPjPlSF_S6_NS0_8equal_toIjEEEE10hipError_tPvRmT2_T3_mT4_T5_T6_T7_T8_P12ihipStream_tbENKUlT_T0_E_clISt17integral_constantIbLb1EESZ_EEDaSU_SV_EUlSU_E_NS1_11comp_targetILNS1_3genE10ELNS1_11target_archE1200ELNS1_3gpuE4ELNS1_3repE0EEENS1_30default_config_static_selectorELNS0_4arch9wavefront6targetE1EEEvT1_: ; @_ZN7rocprim17ROCPRIM_400000_NS6detail17trampoline_kernelINS0_14default_configENS1_33run_length_encode_config_selectorIjjNS0_4plusIjEEEEZZNS1_33reduce_by_key_impl_wrapped_configILNS1_25lookback_scan_determinismE0ES3_S7_PKjNS0_17constant_iteratorIjlEEPjPlSF_S6_NS0_8equal_toIjEEEE10hipError_tPvRmT2_T3_mT4_T5_T6_T7_T8_P12ihipStream_tbENKUlT_T0_E_clISt17integral_constantIbLb1EESZ_EEDaSU_SV_EUlSU_E_NS1_11comp_targetILNS1_3genE10ELNS1_11target_archE1200ELNS1_3gpuE4ELNS1_3repE0EEENS1_30default_config_static_selectorELNS0_4arch9wavefront6targetE1EEEvT1_
; %bb.0:
	.section	.rodata,"a",@progbits
	.p2align	6, 0x0
	.amdhsa_kernel _ZN7rocprim17ROCPRIM_400000_NS6detail17trampoline_kernelINS0_14default_configENS1_33run_length_encode_config_selectorIjjNS0_4plusIjEEEEZZNS1_33reduce_by_key_impl_wrapped_configILNS1_25lookback_scan_determinismE0ES3_S7_PKjNS0_17constant_iteratorIjlEEPjPlSF_S6_NS0_8equal_toIjEEEE10hipError_tPvRmT2_T3_mT4_T5_T6_T7_T8_P12ihipStream_tbENKUlT_T0_E_clISt17integral_constantIbLb1EESZ_EEDaSU_SV_EUlSU_E_NS1_11comp_targetILNS1_3genE10ELNS1_11target_archE1200ELNS1_3gpuE4ELNS1_3repE0EEENS1_30default_config_static_selectorELNS0_4arch9wavefront6targetE1EEEvT1_
		.amdhsa_group_segment_fixed_size 0
		.amdhsa_private_segment_fixed_size 0
		.amdhsa_kernarg_size 128
		.amdhsa_user_sgpr_count 6
		.amdhsa_user_sgpr_private_segment_buffer 1
		.amdhsa_user_sgpr_dispatch_ptr 0
		.amdhsa_user_sgpr_queue_ptr 0
		.amdhsa_user_sgpr_kernarg_segment_ptr 1
		.amdhsa_user_sgpr_dispatch_id 0
		.amdhsa_user_sgpr_flat_scratch_init 0
		.amdhsa_user_sgpr_kernarg_preload_length 0
		.amdhsa_user_sgpr_kernarg_preload_offset 0
		.amdhsa_user_sgpr_private_segment_size 0
		.amdhsa_uses_dynamic_stack 0
		.amdhsa_system_sgpr_private_segment_wavefront_offset 0
		.amdhsa_system_sgpr_workgroup_id_x 1
		.amdhsa_system_sgpr_workgroup_id_y 0
		.amdhsa_system_sgpr_workgroup_id_z 0
		.amdhsa_system_sgpr_workgroup_info 0
		.amdhsa_system_vgpr_workitem_id 0
		.amdhsa_next_free_vgpr 1
		.amdhsa_next_free_sgpr 0
		.amdhsa_accum_offset 4
		.amdhsa_reserve_vcc 0
		.amdhsa_reserve_flat_scratch 0
		.amdhsa_float_round_mode_32 0
		.amdhsa_float_round_mode_16_64 0
		.amdhsa_float_denorm_mode_32 3
		.amdhsa_float_denorm_mode_16_64 3
		.amdhsa_dx10_clamp 1
		.amdhsa_ieee_mode 1
		.amdhsa_fp16_overflow 0
		.amdhsa_tg_split 0
		.amdhsa_exception_fp_ieee_invalid_op 0
		.amdhsa_exception_fp_denorm_src 0
		.amdhsa_exception_fp_ieee_div_zero 0
		.amdhsa_exception_fp_ieee_overflow 0
		.amdhsa_exception_fp_ieee_underflow 0
		.amdhsa_exception_fp_ieee_inexact 0
		.amdhsa_exception_int_div_zero 0
	.end_amdhsa_kernel
	.section	.text._ZN7rocprim17ROCPRIM_400000_NS6detail17trampoline_kernelINS0_14default_configENS1_33run_length_encode_config_selectorIjjNS0_4plusIjEEEEZZNS1_33reduce_by_key_impl_wrapped_configILNS1_25lookback_scan_determinismE0ES3_S7_PKjNS0_17constant_iteratorIjlEEPjPlSF_S6_NS0_8equal_toIjEEEE10hipError_tPvRmT2_T3_mT4_T5_T6_T7_T8_P12ihipStream_tbENKUlT_T0_E_clISt17integral_constantIbLb1EESZ_EEDaSU_SV_EUlSU_E_NS1_11comp_targetILNS1_3genE10ELNS1_11target_archE1200ELNS1_3gpuE4ELNS1_3repE0EEENS1_30default_config_static_selectorELNS0_4arch9wavefront6targetE1EEEvT1_,"axG",@progbits,_ZN7rocprim17ROCPRIM_400000_NS6detail17trampoline_kernelINS0_14default_configENS1_33run_length_encode_config_selectorIjjNS0_4plusIjEEEEZZNS1_33reduce_by_key_impl_wrapped_configILNS1_25lookback_scan_determinismE0ES3_S7_PKjNS0_17constant_iteratorIjlEEPjPlSF_S6_NS0_8equal_toIjEEEE10hipError_tPvRmT2_T3_mT4_T5_T6_T7_T8_P12ihipStream_tbENKUlT_T0_E_clISt17integral_constantIbLb1EESZ_EEDaSU_SV_EUlSU_E_NS1_11comp_targetILNS1_3genE10ELNS1_11target_archE1200ELNS1_3gpuE4ELNS1_3repE0EEENS1_30default_config_static_selectorELNS0_4arch9wavefront6targetE1EEEvT1_,comdat
.Lfunc_end664:
	.size	_ZN7rocprim17ROCPRIM_400000_NS6detail17trampoline_kernelINS0_14default_configENS1_33run_length_encode_config_selectorIjjNS0_4plusIjEEEEZZNS1_33reduce_by_key_impl_wrapped_configILNS1_25lookback_scan_determinismE0ES3_S7_PKjNS0_17constant_iteratorIjlEEPjPlSF_S6_NS0_8equal_toIjEEEE10hipError_tPvRmT2_T3_mT4_T5_T6_T7_T8_P12ihipStream_tbENKUlT_T0_E_clISt17integral_constantIbLb1EESZ_EEDaSU_SV_EUlSU_E_NS1_11comp_targetILNS1_3genE10ELNS1_11target_archE1200ELNS1_3gpuE4ELNS1_3repE0EEENS1_30default_config_static_selectorELNS0_4arch9wavefront6targetE1EEEvT1_, .Lfunc_end664-_ZN7rocprim17ROCPRIM_400000_NS6detail17trampoline_kernelINS0_14default_configENS1_33run_length_encode_config_selectorIjjNS0_4plusIjEEEEZZNS1_33reduce_by_key_impl_wrapped_configILNS1_25lookback_scan_determinismE0ES3_S7_PKjNS0_17constant_iteratorIjlEEPjPlSF_S6_NS0_8equal_toIjEEEE10hipError_tPvRmT2_T3_mT4_T5_T6_T7_T8_P12ihipStream_tbENKUlT_T0_E_clISt17integral_constantIbLb1EESZ_EEDaSU_SV_EUlSU_E_NS1_11comp_targetILNS1_3genE10ELNS1_11target_archE1200ELNS1_3gpuE4ELNS1_3repE0EEENS1_30default_config_static_selectorELNS0_4arch9wavefront6targetE1EEEvT1_
                                        ; -- End function
	.section	.AMDGPU.csdata,"",@progbits
; Kernel info:
; codeLenInByte = 0
; NumSgprs: 4
; NumVgprs: 0
; NumAgprs: 0
; TotalNumVgprs: 0
; ScratchSize: 0
; MemoryBound: 0
; FloatMode: 240
; IeeeMode: 1
; LDSByteSize: 0 bytes/workgroup (compile time only)
; SGPRBlocks: 0
; VGPRBlocks: 0
; NumSGPRsForWavesPerEU: 4
; NumVGPRsForWavesPerEU: 1
; AccumOffset: 4
; Occupancy: 8
; WaveLimiterHint : 0
; COMPUTE_PGM_RSRC2:SCRATCH_EN: 0
; COMPUTE_PGM_RSRC2:USER_SGPR: 6
; COMPUTE_PGM_RSRC2:TRAP_HANDLER: 0
; COMPUTE_PGM_RSRC2:TGID_X_EN: 1
; COMPUTE_PGM_RSRC2:TGID_Y_EN: 0
; COMPUTE_PGM_RSRC2:TGID_Z_EN: 0
; COMPUTE_PGM_RSRC2:TIDIG_COMP_CNT: 0
; COMPUTE_PGM_RSRC3_GFX90A:ACCUM_OFFSET: 0
; COMPUTE_PGM_RSRC3_GFX90A:TG_SPLIT: 0
	.section	.text._ZN7rocprim17ROCPRIM_400000_NS6detail17trampoline_kernelINS0_14default_configENS1_33run_length_encode_config_selectorIjjNS0_4plusIjEEEEZZNS1_33reduce_by_key_impl_wrapped_configILNS1_25lookback_scan_determinismE0ES3_S7_PKjNS0_17constant_iteratorIjlEEPjPlSF_S6_NS0_8equal_toIjEEEE10hipError_tPvRmT2_T3_mT4_T5_T6_T7_T8_P12ihipStream_tbENKUlT_T0_E_clISt17integral_constantIbLb1EESZ_EEDaSU_SV_EUlSU_E_NS1_11comp_targetILNS1_3genE9ELNS1_11target_archE1100ELNS1_3gpuE3ELNS1_3repE0EEENS1_30default_config_static_selectorELNS0_4arch9wavefront6targetE1EEEvT1_,"axG",@progbits,_ZN7rocprim17ROCPRIM_400000_NS6detail17trampoline_kernelINS0_14default_configENS1_33run_length_encode_config_selectorIjjNS0_4plusIjEEEEZZNS1_33reduce_by_key_impl_wrapped_configILNS1_25lookback_scan_determinismE0ES3_S7_PKjNS0_17constant_iteratorIjlEEPjPlSF_S6_NS0_8equal_toIjEEEE10hipError_tPvRmT2_T3_mT4_T5_T6_T7_T8_P12ihipStream_tbENKUlT_T0_E_clISt17integral_constantIbLb1EESZ_EEDaSU_SV_EUlSU_E_NS1_11comp_targetILNS1_3genE9ELNS1_11target_archE1100ELNS1_3gpuE3ELNS1_3repE0EEENS1_30default_config_static_selectorELNS0_4arch9wavefront6targetE1EEEvT1_,comdat
	.protected	_ZN7rocprim17ROCPRIM_400000_NS6detail17trampoline_kernelINS0_14default_configENS1_33run_length_encode_config_selectorIjjNS0_4plusIjEEEEZZNS1_33reduce_by_key_impl_wrapped_configILNS1_25lookback_scan_determinismE0ES3_S7_PKjNS0_17constant_iteratorIjlEEPjPlSF_S6_NS0_8equal_toIjEEEE10hipError_tPvRmT2_T3_mT4_T5_T6_T7_T8_P12ihipStream_tbENKUlT_T0_E_clISt17integral_constantIbLb1EESZ_EEDaSU_SV_EUlSU_E_NS1_11comp_targetILNS1_3genE9ELNS1_11target_archE1100ELNS1_3gpuE3ELNS1_3repE0EEENS1_30default_config_static_selectorELNS0_4arch9wavefront6targetE1EEEvT1_ ; -- Begin function _ZN7rocprim17ROCPRIM_400000_NS6detail17trampoline_kernelINS0_14default_configENS1_33run_length_encode_config_selectorIjjNS0_4plusIjEEEEZZNS1_33reduce_by_key_impl_wrapped_configILNS1_25lookback_scan_determinismE0ES3_S7_PKjNS0_17constant_iteratorIjlEEPjPlSF_S6_NS0_8equal_toIjEEEE10hipError_tPvRmT2_T3_mT4_T5_T6_T7_T8_P12ihipStream_tbENKUlT_T0_E_clISt17integral_constantIbLb1EESZ_EEDaSU_SV_EUlSU_E_NS1_11comp_targetILNS1_3genE9ELNS1_11target_archE1100ELNS1_3gpuE3ELNS1_3repE0EEENS1_30default_config_static_selectorELNS0_4arch9wavefront6targetE1EEEvT1_
	.globl	_ZN7rocprim17ROCPRIM_400000_NS6detail17trampoline_kernelINS0_14default_configENS1_33run_length_encode_config_selectorIjjNS0_4plusIjEEEEZZNS1_33reduce_by_key_impl_wrapped_configILNS1_25lookback_scan_determinismE0ES3_S7_PKjNS0_17constant_iteratorIjlEEPjPlSF_S6_NS0_8equal_toIjEEEE10hipError_tPvRmT2_T3_mT4_T5_T6_T7_T8_P12ihipStream_tbENKUlT_T0_E_clISt17integral_constantIbLb1EESZ_EEDaSU_SV_EUlSU_E_NS1_11comp_targetILNS1_3genE9ELNS1_11target_archE1100ELNS1_3gpuE3ELNS1_3repE0EEENS1_30default_config_static_selectorELNS0_4arch9wavefront6targetE1EEEvT1_
	.p2align	8
	.type	_ZN7rocprim17ROCPRIM_400000_NS6detail17trampoline_kernelINS0_14default_configENS1_33run_length_encode_config_selectorIjjNS0_4plusIjEEEEZZNS1_33reduce_by_key_impl_wrapped_configILNS1_25lookback_scan_determinismE0ES3_S7_PKjNS0_17constant_iteratorIjlEEPjPlSF_S6_NS0_8equal_toIjEEEE10hipError_tPvRmT2_T3_mT4_T5_T6_T7_T8_P12ihipStream_tbENKUlT_T0_E_clISt17integral_constantIbLb1EESZ_EEDaSU_SV_EUlSU_E_NS1_11comp_targetILNS1_3genE9ELNS1_11target_archE1100ELNS1_3gpuE3ELNS1_3repE0EEENS1_30default_config_static_selectorELNS0_4arch9wavefront6targetE1EEEvT1_,@function
_ZN7rocprim17ROCPRIM_400000_NS6detail17trampoline_kernelINS0_14default_configENS1_33run_length_encode_config_selectorIjjNS0_4plusIjEEEEZZNS1_33reduce_by_key_impl_wrapped_configILNS1_25lookback_scan_determinismE0ES3_S7_PKjNS0_17constant_iteratorIjlEEPjPlSF_S6_NS0_8equal_toIjEEEE10hipError_tPvRmT2_T3_mT4_T5_T6_T7_T8_P12ihipStream_tbENKUlT_T0_E_clISt17integral_constantIbLb1EESZ_EEDaSU_SV_EUlSU_E_NS1_11comp_targetILNS1_3genE9ELNS1_11target_archE1100ELNS1_3gpuE3ELNS1_3repE0EEENS1_30default_config_static_selectorELNS0_4arch9wavefront6targetE1EEEvT1_: ; @_ZN7rocprim17ROCPRIM_400000_NS6detail17trampoline_kernelINS0_14default_configENS1_33run_length_encode_config_selectorIjjNS0_4plusIjEEEEZZNS1_33reduce_by_key_impl_wrapped_configILNS1_25lookback_scan_determinismE0ES3_S7_PKjNS0_17constant_iteratorIjlEEPjPlSF_S6_NS0_8equal_toIjEEEE10hipError_tPvRmT2_T3_mT4_T5_T6_T7_T8_P12ihipStream_tbENKUlT_T0_E_clISt17integral_constantIbLb1EESZ_EEDaSU_SV_EUlSU_E_NS1_11comp_targetILNS1_3genE9ELNS1_11target_archE1100ELNS1_3gpuE3ELNS1_3repE0EEENS1_30default_config_static_selectorELNS0_4arch9wavefront6targetE1EEEvT1_
; %bb.0:
	.section	.rodata,"a",@progbits
	.p2align	6, 0x0
	.amdhsa_kernel _ZN7rocprim17ROCPRIM_400000_NS6detail17trampoline_kernelINS0_14default_configENS1_33run_length_encode_config_selectorIjjNS0_4plusIjEEEEZZNS1_33reduce_by_key_impl_wrapped_configILNS1_25lookback_scan_determinismE0ES3_S7_PKjNS0_17constant_iteratorIjlEEPjPlSF_S6_NS0_8equal_toIjEEEE10hipError_tPvRmT2_T3_mT4_T5_T6_T7_T8_P12ihipStream_tbENKUlT_T0_E_clISt17integral_constantIbLb1EESZ_EEDaSU_SV_EUlSU_E_NS1_11comp_targetILNS1_3genE9ELNS1_11target_archE1100ELNS1_3gpuE3ELNS1_3repE0EEENS1_30default_config_static_selectorELNS0_4arch9wavefront6targetE1EEEvT1_
		.amdhsa_group_segment_fixed_size 0
		.amdhsa_private_segment_fixed_size 0
		.amdhsa_kernarg_size 128
		.amdhsa_user_sgpr_count 6
		.amdhsa_user_sgpr_private_segment_buffer 1
		.amdhsa_user_sgpr_dispatch_ptr 0
		.amdhsa_user_sgpr_queue_ptr 0
		.amdhsa_user_sgpr_kernarg_segment_ptr 1
		.amdhsa_user_sgpr_dispatch_id 0
		.amdhsa_user_sgpr_flat_scratch_init 0
		.amdhsa_user_sgpr_kernarg_preload_length 0
		.amdhsa_user_sgpr_kernarg_preload_offset 0
		.amdhsa_user_sgpr_private_segment_size 0
		.amdhsa_uses_dynamic_stack 0
		.amdhsa_system_sgpr_private_segment_wavefront_offset 0
		.amdhsa_system_sgpr_workgroup_id_x 1
		.amdhsa_system_sgpr_workgroup_id_y 0
		.amdhsa_system_sgpr_workgroup_id_z 0
		.amdhsa_system_sgpr_workgroup_info 0
		.amdhsa_system_vgpr_workitem_id 0
		.amdhsa_next_free_vgpr 1
		.amdhsa_next_free_sgpr 0
		.amdhsa_accum_offset 4
		.amdhsa_reserve_vcc 0
		.amdhsa_reserve_flat_scratch 0
		.amdhsa_float_round_mode_32 0
		.amdhsa_float_round_mode_16_64 0
		.amdhsa_float_denorm_mode_32 3
		.amdhsa_float_denorm_mode_16_64 3
		.amdhsa_dx10_clamp 1
		.amdhsa_ieee_mode 1
		.amdhsa_fp16_overflow 0
		.amdhsa_tg_split 0
		.amdhsa_exception_fp_ieee_invalid_op 0
		.amdhsa_exception_fp_denorm_src 0
		.amdhsa_exception_fp_ieee_div_zero 0
		.amdhsa_exception_fp_ieee_overflow 0
		.amdhsa_exception_fp_ieee_underflow 0
		.amdhsa_exception_fp_ieee_inexact 0
		.amdhsa_exception_int_div_zero 0
	.end_amdhsa_kernel
	.section	.text._ZN7rocprim17ROCPRIM_400000_NS6detail17trampoline_kernelINS0_14default_configENS1_33run_length_encode_config_selectorIjjNS0_4plusIjEEEEZZNS1_33reduce_by_key_impl_wrapped_configILNS1_25lookback_scan_determinismE0ES3_S7_PKjNS0_17constant_iteratorIjlEEPjPlSF_S6_NS0_8equal_toIjEEEE10hipError_tPvRmT2_T3_mT4_T5_T6_T7_T8_P12ihipStream_tbENKUlT_T0_E_clISt17integral_constantIbLb1EESZ_EEDaSU_SV_EUlSU_E_NS1_11comp_targetILNS1_3genE9ELNS1_11target_archE1100ELNS1_3gpuE3ELNS1_3repE0EEENS1_30default_config_static_selectorELNS0_4arch9wavefront6targetE1EEEvT1_,"axG",@progbits,_ZN7rocprim17ROCPRIM_400000_NS6detail17trampoline_kernelINS0_14default_configENS1_33run_length_encode_config_selectorIjjNS0_4plusIjEEEEZZNS1_33reduce_by_key_impl_wrapped_configILNS1_25lookback_scan_determinismE0ES3_S7_PKjNS0_17constant_iteratorIjlEEPjPlSF_S6_NS0_8equal_toIjEEEE10hipError_tPvRmT2_T3_mT4_T5_T6_T7_T8_P12ihipStream_tbENKUlT_T0_E_clISt17integral_constantIbLb1EESZ_EEDaSU_SV_EUlSU_E_NS1_11comp_targetILNS1_3genE9ELNS1_11target_archE1100ELNS1_3gpuE3ELNS1_3repE0EEENS1_30default_config_static_selectorELNS0_4arch9wavefront6targetE1EEEvT1_,comdat
.Lfunc_end665:
	.size	_ZN7rocprim17ROCPRIM_400000_NS6detail17trampoline_kernelINS0_14default_configENS1_33run_length_encode_config_selectorIjjNS0_4plusIjEEEEZZNS1_33reduce_by_key_impl_wrapped_configILNS1_25lookback_scan_determinismE0ES3_S7_PKjNS0_17constant_iteratorIjlEEPjPlSF_S6_NS0_8equal_toIjEEEE10hipError_tPvRmT2_T3_mT4_T5_T6_T7_T8_P12ihipStream_tbENKUlT_T0_E_clISt17integral_constantIbLb1EESZ_EEDaSU_SV_EUlSU_E_NS1_11comp_targetILNS1_3genE9ELNS1_11target_archE1100ELNS1_3gpuE3ELNS1_3repE0EEENS1_30default_config_static_selectorELNS0_4arch9wavefront6targetE1EEEvT1_, .Lfunc_end665-_ZN7rocprim17ROCPRIM_400000_NS6detail17trampoline_kernelINS0_14default_configENS1_33run_length_encode_config_selectorIjjNS0_4plusIjEEEEZZNS1_33reduce_by_key_impl_wrapped_configILNS1_25lookback_scan_determinismE0ES3_S7_PKjNS0_17constant_iteratorIjlEEPjPlSF_S6_NS0_8equal_toIjEEEE10hipError_tPvRmT2_T3_mT4_T5_T6_T7_T8_P12ihipStream_tbENKUlT_T0_E_clISt17integral_constantIbLb1EESZ_EEDaSU_SV_EUlSU_E_NS1_11comp_targetILNS1_3genE9ELNS1_11target_archE1100ELNS1_3gpuE3ELNS1_3repE0EEENS1_30default_config_static_selectorELNS0_4arch9wavefront6targetE1EEEvT1_
                                        ; -- End function
	.section	.AMDGPU.csdata,"",@progbits
; Kernel info:
; codeLenInByte = 0
; NumSgprs: 4
; NumVgprs: 0
; NumAgprs: 0
; TotalNumVgprs: 0
; ScratchSize: 0
; MemoryBound: 0
; FloatMode: 240
; IeeeMode: 1
; LDSByteSize: 0 bytes/workgroup (compile time only)
; SGPRBlocks: 0
; VGPRBlocks: 0
; NumSGPRsForWavesPerEU: 4
; NumVGPRsForWavesPerEU: 1
; AccumOffset: 4
; Occupancy: 8
; WaveLimiterHint : 0
; COMPUTE_PGM_RSRC2:SCRATCH_EN: 0
; COMPUTE_PGM_RSRC2:USER_SGPR: 6
; COMPUTE_PGM_RSRC2:TRAP_HANDLER: 0
; COMPUTE_PGM_RSRC2:TGID_X_EN: 1
; COMPUTE_PGM_RSRC2:TGID_Y_EN: 0
; COMPUTE_PGM_RSRC2:TGID_Z_EN: 0
; COMPUTE_PGM_RSRC2:TIDIG_COMP_CNT: 0
; COMPUTE_PGM_RSRC3_GFX90A:ACCUM_OFFSET: 0
; COMPUTE_PGM_RSRC3_GFX90A:TG_SPLIT: 0
	.section	.text._ZN7rocprim17ROCPRIM_400000_NS6detail17trampoline_kernelINS0_14default_configENS1_33run_length_encode_config_selectorIjjNS0_4plusIjEEEEZZNS1_33reduce_by_key_impl_wrapped_configILNS1_25lookback_scan_determinismE0ES3_S7_PKjNS0_17constant_iteratorIjlEEPjPlSF_S6_NS0_8equal_toIjEEEE10hipError_tPvRmT2_T3_mT4_T5_T6_T7_T8_P12ihipStream_tbENKUlT_T0_E_clISt17integral_constantIbLb1EESZ_EEDaSU_SV_EUlSU_E_NS1_11comp_targetILNS1_3genE8ELNS1_11target_archE1030ELNS1_3gpuE2ELNS1_3repE0EEENS1_30default_config_static_selectorELNS0_4arch9wavefront6targetE1EEEvT1_,"axG",@progbits,_ZN7rocprim17ROCPRIM_400000_NS6detail17trampoline_kernelINS0_14default_configENS1_33run_length_encode_config_selectorIjjNS0_4plusIjEEEEZZNS1_33reduce_by_key_impl_wrapped_configILNS1_25lookback_scan_determinismE0ES3_S7_PKjNS0_17constant_iteratorIjlEEPjPlSF_S6_NS0_8equal_toIjEEEE10hipError_tPvRmT2_T3_mT4_T5_T6_T7_T8_P12ihipStream_tbENKUlT_T0_E_clISt17integral_constantIbLb1EESZ_EEDaSU_SV_EUlSU_E_NS1_11comp_targetILNS1_3genE8ELNS1_11target_archE1030ELNS1_3gpuE2ELNS1_3repE0EEENS1_30default_config_static_selectorELNS0_4arch9wavefront6targetE1EEEvT1_,comdat
	.protected	_ZN7rocprim17ROCPRIM_400000_NS6detail17trampoline_kernelINS0_14default_configENS1_33run_length_encode_config_selectorIjjNS0_4plusIjEEEEZZNS1_33reduce_by_key_impl_wrapped_configILNS1_25lookback_scan_determinismE0ES3_S7_PKjNS0_17constant_iteratorIjlEEPjPlSF_S6_NS0_8equal_toIjEEEE10hipError_tPvRmT2_T3_mT4_T5_T6_T7_T8_P12ihipStream_tbENKUlT_T0_E_clISt17integral_constantIbLb1EESZ_EEDaSU_SV_EUlSU_E_NS1_11comp_targetILNS1_3genE8ELNS1_11target_archE1030ELNS1_3gpuE2ELNS1_3repE0EEENS1_30default_config_static_selectorELNS0_4arch9wavefront6targetE1EEEvT1_ ; -- Begin function _ZN7rocprim17ROCPRIM_400000_NS6detail17trampoline_kernelINS0_14default_configENS1_33run_length_encode_config_selectorIjjNS0_4plusIjEEEEZZNS1_33reduce_by_key_impl_wrapped_configILNS1_25lookback_scan_determinismE0ES3_S7_PKjNS0_17constant_iteratorIjlEEPjPlSF_S6_NS0_8equal_toIjEEEE10hipError_tPvRmT2_T3_mT4_T5_T6_T7_T8_P12ihipStream_tbENKUlT_T0_E_clISt17integral_constantIbLb1EESZ_EEDaSU_SV_EUlSU_E_NS1_11comp_targetILNS1_3genE8ELNS1_11target_archE1030ELNS1_3gpuE2ELNS1_3repE0EEENS1_30default_config_static_selectorELNS0_4arch9wavefront6targetE1EEEvT1_
	.globl	_ZN7rocprim17ROCPRIM_400000_NS6detail17trampoline_kernelINS0_14default_configENS1_33run_length_encode_config_selectorIjjNS0_4plusIjEEEEZZNS1_33reduce_by_key_impl_wrapped_configILNS1_25lookback_scan_determinismE0ES3_S7_PKjNS0_17constant_iteratorIjlEEPjPlSF_S6_NS0_8equal_toIjEEEE10hipError_tPvRmT2_T3_mT4_T5_T6_T7_T8_P12ihipStream_tbENKUlT_T0_E_clISt17integral_constantIbLb1EESZ_EEDaSU_SV_EUlSU_E_NS1_11comp_targetILNS1_3genE8ELNS1_11target_archE1030ELNS1_3gpuE2ELNS1_3repE0EEENS1_30default_config_static_selectorELNS0_4arch9wavefront6targetE1EEEvT1_
	.p2align	8
	.type	_ZN7rocprim17ROCPRIM_400000_NS6detail17trampoline_kernelINS0_14default_configENS1_33run_length_encode_config_selectorIjjNS0_4plusIjEEEEZZNS1_33reduce_by_key_impl_wrapped_configILNS1_25lookback_scan_determinismE0ES3_S7_PKjNS0_17constant_iteratorIjlEEPjPlSF_S6_NS0_8equal_toIjEEEE10hipError_tPvRmT2_T3_mT4_T5_T6_T7_T8_P12ihipStream_tbENKUlT_T0_E_clISt17integral_constantIbLb1EESZ_EEDaSU_SV_EUlSU_E_NS1_11comp_targetILNS1_3genE8ELNS1_11target_archE1030ELNS1_3gpuE2ELNS1_3repE0EEENS1_30default_config_static_selectorELNS0_4arch9wavefront6targetE1EEEvT1_,@function
_ZN7rocprim17ROCPRIM_400000_NS6detail17trampoline_kernelINS0_14default_configENS1_33run_length_encode_config_selectorIjjNS0_4plusIjEEEEZZNS1_33reduce_by_key_impl_wrapped_configILNS1_25lookback_scan_determinismE0ES3_S7_PKjNS0_17constant_iteratorIjlEEPjPlSF_S6_NS0_8equal_toIjEEEE10hipError_tPvRmT2_T3_mT4_T5_T6_T7_T8_P12ihipStream_tbENKUlT_T0_E_clISt17integral_constantIbLb1EESZ_EEDaSU_SV_EUlSU_E_NS1_11comp_targetILNS1_3genE8ELNS1_11target_archE1030ELNS1_3gpuE2ELNS1_3repE0EEENS1_30default_config_static_selectorELNS0_4arch9wavefront6targetE1EEEvT1_: ; @_ZN7rocprim17ROCPRIM_400000_NS6detail17trampoline_kernelINS0_14default_configENS1_33run_length_encode_config_selectorIjjNS0_4plusIjEEEEZZNS1_33reduce_by_key_impl_wrapped_configILNS1_25lookback_scan_determinismE0ES3_S7_PKjNS0_17constant_iteratorIjlEEPjPlSF_S6_NS0_8equal_toIjEEEE10hipError_tPvRmT2_T3_mT4_T5_T6_T7_T8_P12ihipStream_tbENKUlT_T0_E_clISt17integral_constantIbLb1EESZ_EEDaSU_SV_EUlSU_E_NS1_11comp_targetILNS1_3genE8ELNS1_11target_archE1030ELNS1_3gpuE2ELNS1_3repE0EEENS1_30default_config_static_selectorELNS0_4arch9wavefront6targetE1EEEvT1_
; %bb.0:
	.section	.rodata,"a",@progbits
	.p2align	6, 0x0
	.amdhsa_kernel _ZN7rocprim17ROCPRIM_400000_NS6detail17trampoline_kernelINS0_14default_configENS1_33run_length_encode_config_selectorIjjNS0_4plusIjEEEEZZNS1_33reduce_by_key_impl_wrapped_configILNS1_25lookback_scan_determinismE0ES3_S7_PKjNS0_17constant_iteratorIjlEEPjPlSF_S6_NS0_8equal_toIjEEEE10hipError_tPvRmT2_T3_mT4_T5_T6_T7_T8_P12ihipStream_tbENKUlT_T0_E_clISt17integral_constantIbLb1EESZ_EEDaSU_SV_EUlSU_E_NS1_11comp_targetILNS1_3genE8ELNS1_11target_archE1030ELNS1_3gpuE2ELNS1_3repE0EEENS1_30default_config_static_selectorELNS0_4arch9wavefront6targetE1EEEvT1_
		.amdhsa_group_segment_fixed_size 0
		.amdhsa_private_segment_fixed_size 0
		.amdhsa_kernarg_size 128
		.amdhsa_user_sgpr_count 6
		.amdhsa_user_sgpr_private_segment_buffer 1
		.amdhsa_user_sgpr_dispatch_ptr 0
		.amdhsa_user_sgpr_queue_ptr 0
		.amdhsa_user_sgpr_kernarg_segment_ptr 1
		.amdhsa_user_sgpr_dispatch_id 0
		.amdhsa_user_sgpr_flat_scratch_init 0
		.amdhsa_user_sgpr_kernarg_preload_length 0
		.amdhsa_user_sgpr_kernarg_preload_offset 0
		.amdhsa_user_sgpr_private_segment_size 0
		.amdhsa_uses_dynamic_stack 0
		.amdhsa_system_sgpr_private_segment_wavefront_offset 0
		.amdhsa_system_sgpr_workgroup_id_x 1
		.amdhsa_system_sgpr_workgroup_id_y 0
		.amdhsa_system_sgpr_workgroup_id_z 0
		.amdhsa_system_sgpr_workgroup_info 0
		.amdhsa_system_vgpr_workitem_id 0
		.amdhsa_next_free_vgpr 1
		.amdhsa_next_free_sgpr 0
		.amdhsa_accum_offset 4
		.amdhsa_reserve_vcc 0
		.amdhsa_reserve_flat_scratch 0
		.amdhsa_float_round_mode_32 0
		.amdhsa_float_round_mode_16_64 0
		.amdhsa_float_denorm_mode_32 3
		.amdhsa_float_denorm_mode_16_64 3
		.amdhsa_dx10_clamp 1
		.amdhsa_ieee_mode 1
		.amdhsa_fp16_overflow 0
		.amdhsa_tg_split 0
		.amdhsa_exception_fp_ieee_invalid_op 0
		.amdhsa_exception_fp_denorm_src 0
		.amdhsa_exception_fp_ieee_div_zero 0
		.amdhsa_exception_fp_ieee_overflow 0
		.amdhsa_exception_fp_ieee_underflow 0
		.amdhsa_exception_fp_ieee_inexact 0
		.amdhsa_exception_int_div_zero 0
	.end_amdhsa_kernel
	.section	.text._ZN7rocprim17ROCPRIM_400000_NS6detail17trampoline_kernelINS0_14default_configENS1_33run_length_encode_config_selectorIjjNS0_4plusIjEEEEZZNS1_33reduce_by_key_impl_wrapped_configILNS1_25lookback_scan_determinismE0ES3_S7_PKjNS0_17constant_iteratorIjlEEPjPlSF_S6_NS0_8equal_toIjEEEE10hipError_tPvRmT2_T3_mT4_T5_T6_T7_T8_P12ihipStream_tbENKUlT_T0_E_clISt17integral_constantIbLb1EESZ_EEDaSU_SV_EUlSU_E_NS1_11comp_targetILNS1_3genE8ELNS1_11target_archE1030ELNS1_3gpuE2ELNS1_3repE0EEENS1_30default_config_static_selectorELNS0_4arch9wavefront6targetE1EEEvT1_,"axG",@progbits,_ZN7rocprim17ROCPRIM_400000_NS6detail17trampoline_kernelINS0_14default_configENS1_33run_length_encode_config_selectorIjjNS0_4plusIjEEEEZZNS1_33reduce_by_key_impl_wrapped_configILNS1_25lookback_scan_determinismE0ES3_S7_PKjNS0_17constant_iteratorIjlEEPjPlSF_S6_NS0_8equal_toIjEEEE10hipError_tPvRmT2_T3_mT4_T5_T6_T7_T8_P12ihipStream_tbENKUlT_T0_E_clISt17integral_constantIbLb1EESZ_EEDaSU_SV_EUlSU_E_NS1_11comp_targetILNS1_3genE8ELNS1_11target_archE1030ELNS1_3gpuE2ELNS1_3repE0EEENS1_30default_config_static_selectorELNS0_4arch9wavefront6targetE1EEEvT1_,comdat
.Lfunc_end666:
	.size	_ZN7rocprim17ROCPRIM_400000_NS6detail17trampoline_kernelINS0_14default_configENS1_33run_length_encode_config_selectorIjjNS0_4plusIjEEEEZZNS1_33reduce_by_key_impl_wrapped_configILNS1_25lookback_scan_determinismE0ES3_S7_PKjNS0_17constant_iteratorIjlEEPjPlSF_S6_NS0_8equal_toIjEEEE10hipError_tPvRmT2_T3_mT4_T5_T6_T7_T8_P12ihipStream_tbENKUlT_T0_E_clISt17integral_constantIbLb1EESZ_EEDaSU_SV_EUlSU_E_NS1_11comp_targetILNS1_3genE8ELNS1_11target_archE1030ELNS1_3gpuE2ELNS1_3repE0EEENS1_30default_config_static_selectorELNS0_4arch9wavefront6targetE1EEEvT1_, .Lfunc_end666-_ZN7rocprim17ROCPRIM_400000_NS6detail17trampoline_kernelINS0_14default_configENS1_33run_length_encode_config_selectorIjjNS0_4plusIjEEEEZZNS1_33reduce_by_key_impl_wrapped_configILNS1_25lookback_scan_determinismE0ES3_S7_PKjNS0_17constant_iteratorIjlEEPjPlSF_S6_NS0_8equal_toIjEEEE10hipError_tPvRmT2_T3_mT4_T5_T6_T7_T8_P12ihipStream_tbENKUlT_T0_E_clISt17integral_constantIbLb1EESZ_EEDaSU_SV_EUlSU_E_NS1_11comp_targetILNS1_3genE8ELNS1_11target_archE1030ELNS1_3gpuE2ELNS1_3repE0EEENS1_30default_config_static_selectorELNS0_4arch9wavefront6targetE1EEEvT1_
                                        ; -- End function
	.section	.AMDGPU.csdata,"",@progbits
; Kernel info:
; codeLenInByte = 0
; NumSgprs: 4
; NumVgprs: 0
; NumAgprs: 0
; TotalNumVgprs: 0
; ScratchSize: 0
; MemoryBound: 0
; FloatMode: 240
; IeeeMode: 1
; LDSByteSize: 0 bytes/workgroup (compile time only)
; SGPRBlocks: 0
; VGPRBlocks: 0
; NumSGPRsForWavesPerEU: 4
; NumVGPRsForWavesPerEU: 1
; AccumOffset: 4
; Occupancy: 8
; WaveLimiterHint : 0
; COMPUTE_PGM_RSRC2:SCRATCH_EN: 0
; COMPUTE_PGM_RSRC2:USER_SGPR: 6
; COMPUTE_PGM_RSRC2:TRAP_HANDLER: 0
; COMPUTE_PGM_RSRC2:TGID_X_EN: 1
; COMPUTE_PGM_RSRC2:TGID_Y_EN: 0
; COMPUTE_PGM_RSRC2:TGID_Z_EN: 0
; COMPUTE_PGM_RSRC2:TIDIG_COMP_CNT: 0
; COMPUTE_PGM_RSRC3_GFX90A:ACCUM_OFFSET: 0
; COMPUTE_PGM_RSRC3_GFX90A:TG_SPLIT: 0
	.section	.text._ZN7rocprim17ROCPRIM_400000_NS6detail17trampoline_kernelINS0_14default_configENS1_33run_length_encode_config_selectorIjjNS0_4plusIjEEEEZZNS1_33reduce_by_key_impl_wrapped_configILNS1_25lookback_scan_determinismE0ES3_S7_PKjNS0_17constant_iteratorIjlEEPjPlSF_S6_NS0_8equal_toIjEEEE10hipError_tPvRmT2_T3_mT4_T5_T6_T7_T8_P12ihipStream_tbENKUlT_T0_E_clISt17integral_constantIbLb1EESY_IbLb0EEEEDaSU_SV_EUlSU_E_NS1_11comp_targetILNS1_3genE0ELNS1_11target_archE4294967295ELNS1_3gpuE0ELNS1_3repE0EEENS1_30default_config_static_selectorELNS0_4arch9wavefront6targetE1EEEvT1_,"axG",@progbits,_ZN7rocprim17ROCPRIM_400000_NS6detail17trampoline_kernelINS0_14default_configENS1_33run_length_encode_config_selectorIjjNS0_4plusIjEEEEZZNS1_33reduce_by_key_impl_wrapped_configILNS1_25lookback_scan_determinismE0ES3_S7_PKjNS0_17constant_iteratorIjlEEPjPlSF_S6_NS0_8equal_toIjEEEE10hipError_tPvRmT2_T3_mT4_T5_T6_T7_T8_P12ihipStream_tbENKUlT_T0_E_clISt17integral_constantIbLb1EESY_IbLb0EEEEDaSU_SV_EUlSU_E_NS1_11comp_targetILNS1_3genE0ELNS1_11target_archE4294967295ELNS1_3gpuE0ELNS1_3repE0EEENS1_30default_config_static_selectorELNS0_4arch9wavefront6targetE1EEEvT1_,comdat
	.protected	_ZN7rocprim17ROCPRIM_400000_NS6detail17trampoline_kernelINS0_14default_configENS1_33run_length_encode_config_selectorIjjNS0_4plusIjEEEEZZNS1_33reduce_by_key_impl_wrapped_configILNS1_25lookback_scan_determinismE0ES3_S7_PKjNS0_17constant_iteratorIjlEEPjPlSF_S6_NS0_8equal_toIjEEEE10hipError_tPvRmT2_T3_mT4_T5_T6_T7_T8_P12ihipStream_tbENKUlT_T0_E_clISt17integral_constantIbLb1EESY_IbLb0EEEEDaSU_SV_EUlSU_E_NS1_11comp_targetILNS1_3genE0ELNS1_11target_archE4294967295ELNS1_3gpuE0ELNS1_3repE0EEENS1_30default_config_static_selectorELNS0_4arch9wavefront6targetE1EEEvT1_ ; -- Begin function _ZN7rocprim17ROCPRIM_400000_NS6detail17trampoline_kernelINS0_14default_configENS1_33run_length_encode_config_selectorIjjNS0_4plusIjEEEEZZNS1_33reduce_by_key_impl_wrapped_configILNS1_25lookback_scan_determinismE0ES3_S7_PKjNS0_17constant_iteratorIjlEEPjPlSF_S6_NS0_8equal_toIjEEEE10hipError_tPvRmT2_T3_mT4_T5_T6_T7_T8_P12ihipStream_tbENKUlT_T0_E_clISt17integral_constantIbLb1EESY_IbLb0EEEEDaSU_SV_EUlSU_E_NS1_11comp_targetILNS1_3genE0ELNS1_11target_archE4294967295ELNS1_3gpuE0ELNS1_3repE0EEENS1_30default_config_static_selectorELNS0_4arch9wavefront6targetE1EEEvT1_
	.globl	_ZN7rocprim17ROCPRIM_400000_NS6detail17trampoline_kernelINS0_14default_configENS1_33run_length_encode_config_selectorIjjNS0_4plusIjEEEEZZNS1_33reduce_by_key_impl_wrapped_configILNS1_25lookback_scan_determinismE0ES3_S7_PKjNS0_17constant_iteratorIjlEEPjPlSF_S6_NS0_8equal_toIjEEEE10hipError_tPvRmT2_T3_mT4_T5_T6_T7_T8_P12ihipStream_tbENKUlT_T0_E_clISt17integral_constantIbLb1EESY_IbLb0EEEEDaSU_SV_EUlSU_E_NS1_11comp_targetILNS1_3genE0ELNS1_11target_archE4294967295ELNS1_3gpuE0ELNS1_3repE0EEENS1_30default_config_static_selectorELNS0_4arch9wavefront6targetE1EEEvT1_
	.p2align	8
	.type	_ZN7rocprim17ROCPRIM_400000_NS6detail17trampoline_kernelINS0_14default_configENS1_33run_length_encode_config_selectorIjjNS0_4plusIjEEEEZZNS1_33reduce_by_key_impl_wrapped_configILNS1_25lookback_scan_determinismE0ES3_S7_PKjNS0_17constant_iteratorIjlEEPjPlSF_S6_NS0_8equal_toIjEEEE10hipError_tPvRmT2_T3_mT4_T5_T6_T7_T8_P12ihipStream_tbENKUlT_T0_E_clISt17integral_constantIbLb1EESY_IbLb0EEEEDaSU_SV_EUlSU_E_NS1_11comp_targetILNS1_3genE0ELNS1_11target_archE4294967295ELNS1_3gpuE0ELNS1_3repE0EEENS1_30default_config_static_selectorELNS0_4arch9wavefront6targetE1EEEvT1_,@function
_ZN7rocprim17ROCPRIM_400000_NS6detail17trampoline_kernelINS0_14default_configENS1_33run_length_encode_config_selectorIjjNS0_4plusIjEEEEZZNS1_33reduce_by_key_impl_wrapped_configILNS1_25lookback_scan_determinismE0ES3_S7_PKjNS0_17constant_iteratorIjlEEPjPlSF_S6_NS0_8equal_toIjEEEE10hipError_tPvRmT2_T3_mT4_T5_T6_T7_T8_P12ihipStream_tbENKUlT_T0_E_clISt17integral_constantIbLb1EESY_IbLb0EEEEDaSU_SV_EUlSU_E_NS1_11comp_targetILNS1_3genE0ELNS1_11target_archE4294967295ELNS1_3gpuE0ELNS1_3repE0EEENS1_30default_config_static_selectorELNS0_4arch9wavefront6targetE1EEEvT1_: ; @_ZN7rocprim17ROCPRIM_400000_NS6detail17trampoline_kernelINS0_14default_configENS1_33run_length_encode_config_selectorIjjNS0_4plusIjEEEEZZNS1_33reduce_by_key_impl_wrapped_configILNS1_25lookback_scan_determinismE0ES3_S7_PKjNS0_17constant_iteratorIjlEEPjPlSF_S6_NS0_8equal_toIjEEEE10hipError_tPvRmT2_T3_mT4_T5_T6_T7_T8_P12ihipStream_tbENKUlT_T0_E_clISt17integral_constantIbLb1EESY_IbLb0EEEEDaSU_SV_EUlSU_E_NS1_11comp_targetILNS1_3genE0ELNS1_11target_archE4294967295ELNS1_3gpuE0ELNS1_3repE0EEENS1_30default_config_static_selectorELNS0_4arch9wavefront6targetE1EEEvT1_
; %bb.0:
	.section	.rodata,"a",@progbits
	.p2align	6, 0x0
	.amdhsa_kernel _ZN7rocprim17ROCPRIM_400000_NS6detail17trampoline_kernelINS0_14default_configENS1_33run_length_encode_config_selectorIjjNS0_4plusIjEEEEZZNS1_33reduce_by_key_impl_wrapped_configILNS1_25lookback_scan_determinismE0ES3_S7_PKjNS0_17constant_iteratorIjlEEPjPlSF_S6_NS0_8equal_toIjEEEE10hipError_tPvRmT2_T3_mT4_T5_T6_T7_T8_P12ihipStream_tbENKUlT_T0_E_clISt17integral_constantIbLb1EESY_IbLb0EEEEDaSU_SV_EUlSU_E_NS1_11comp_targetILNS1_3genE0ELNS1_11target_archE4294967295ELNS1_3gpuE0ELNS1_3repE0EEENS1_30default_config_static_selectorELNS0_4arch9wavefront6targetE1EEEvT1_
		.amdhsa_group_segment_fixed_size 0
		.amdhsa_private_segment_fixed_size 0
		.amdhsa_kernarg_size 128
		.amdhsa_user_sgpr_count 6
		.amdhsa_user_sgpr_private_segment_buffer 1
		.amdhsa_user_sgpr_dispatch_ptr 0
		.amdhsa_user_sgpr_queue_ptr 0
		.amdhsa_user_sgpr_kernarg_segment_ptr 1
		.amdhsa_user_sgpr_dispatch_id 0
		.amdhsa_user_sgpr_flat_scratch_init 0
		.amdhsa_user_sgpr_kernarg_preload_length 0
		.amdhsa_user_sgpr_kernarg_preload_offset 0
		.amdhsa_user_sgpr_private_segment_size 0
		.amdhsa_uses_dynamic_stack 0
		.amdhsa_system_sgpr_private_segment_wavefront_offset 0
		.amdhsa_system_sgpr_workgroup_id_x 1
		.amdhsa_system_sgpr_workgroup_id_y 0
		.amdhsa_system_sgpr_workgroup_id_z 0
		.amdhsa_system_sgpr_workgroup_info 0
		.amdhsa_system_vgpr_workitem_id 0
		.amdhsa_next_free_vgpr 1
		.amdhsa_next_free_sgpr 0
		.amdhsa_accum_offset 4
		.amdhsa_reserve_vcc 0
		.amdhsa_reserve_flat_scratch 0
		.amdhsa_float_round_mode_32 0
		.amdhsa_float_round_mode_16_64 0
		.amdhsa_float_denorm_mode_32 3
		.amdhsa_float_denorm_mode_16_64 3
		.amdhsa_dx10_clamp 1
		.amdhsa_ieee_mode 1
		.amdhsa_fp16_overflow 0
		.amdhsa_tg_split 0
		.amdhsa_exception_fp_ieee_invalid_op 0
		.amdhsa_exception_fp_denorm_src 0
		.amdhsa_exception_fp_ieee_div_zero 0
		.amdhsa_exception_fp_ieee_overflow 0
		.amdhsa_exception_fp_ieee_underflow 0
		.amdhsa_exception_fp_ieee_inexact 0
		.amdhsa_exception_int_div_zero 0
	.end_amdhsa_kernel
	.section	.text._ZN7rocprim17ROCPRIM_400000_NS6detail17trampoline_kernelINS0_14default_configENS1_33run_length_encode_config_selectorIjjNS0_4plusIjEEEEZZNS1_33reduce_by_key_impl_wrapped_configILNS1_25lookback_scan_determinismE0ES3_S7_PKjNS0_17constant_iteratorIjlEEPjPlSF_S6_NS0_8equal_toIjEEEE10hipError_tPvRmT2_T3_mT4_T5_T6_T7_T8_P12ihipStream_tbENKUlT_T0_E_clISt17integral_constantIbLb1EESY_IbLb0EEEEDaSU_SV_EUlSU_E_NS1_11comp_targetILNS1_3genE0ELNS1_11target_archE4294967295ELNS1_3gpuE0ELNS1_3repE0EEENS1_30default_config_static_selectorELNS0_4arch9wavefront6targetE1EEEvT1_,"axG",@progbits,_ZN7rocprim17ROCPRIM_400000_NS6detail17trampoline_kernelINS0_14default_configENS1_33run_length_encode_config_selectorIjjNS0_4plusIjEEEEZZNS1_33reduce_by_key_impl_wrapped_configILNS1_25lookback_scan_determinismE0ES3_S7_PKjNS0_17constant_iteratorIjlEEPjPlSF_S6_NS0_8equal_toIjEEEE10hipError_tPvRmT2_T3_mT4_T5_T6_T7_T8_P12ihipStream_tbENKUlT_T0_E_clISt17integral_constantIbLb1EESY_IbLb0EEEEDaSU_SV_EUlSU_E_NS1_11comp_targetILNS1_3genE0ELNS1_11target_archE4294967295ELNS1_3gpuE0ELNS1_3repE0EEENS1_30default_config_static_selectorELNS0_4arch9wavefront6targetE1EEEvT1_,comdat
.Lfunc_end667:
	.size	_ZN7rocprim17ROCPRIM_400000_NS6detail17trampoline_kernelINS0_14default_configENS1_33run_length_encode_config_selectorIjjNS0_4plusIjEEEEZZNS1_33reduce_by_key_impl_wrapped_configILNS1_25lookback_scan_determinismE0ES3_S7_PKjNS0_17constant_iteratorIjlEEPjPlSF_S6_NS0_8equal_toIjEEEE10hipError_tPvRmT2_T3_mT4_T5_T6_T7_T8_P12ihipStream_tbENKUlT_T0_E_clISt17integral_constantIbLb1EESY_IbLb0EEEEDaSU_SV_EUlSU_E_NS1_11comp_targetILNS1_3genE0ELNS1_11target_archE4294967295ELNS1_3gpuE0ELNS1_3repE0EEENS1_30default_config_static_selectorELNS0_4arch9wavefront6targetE1EEEvT1_, .Lfunc_end667-_ZN7rocprim17ROCPRIM_400000_NS6detail17trampoline_kernelINS0_14default_configENS1_33run_length_encode_config_selectorIjjNS0_4plusIjEEEEZZNS1_33reduce_by_key_impl_wrapped_configILNS1_25lookback_scan_determinismE0ES3_S7_PKjNS0_17constant_iteratorIjlEEPjPlSF_S6_NS0_8equal_toIjEEEE10hipError_tPvRmT2_T3_mT4_T5_T6_T7_T8_P12ihipStream_tbENKUlT_T0_E_clISt17integral_constantIbLb1EESY_IbLb0EEEEDaSU_SV_EUlSU_E_NS1_11comp_targetILNS1_3genE0ELNS1_11target_archE4294967295ELNS1_3gpuE0ELNS1_3repE0EEENS1_30default_config_static_selectorELNS0_4arch9wavefront6targetE1EEEvT1_
                                        ; -- End function
	.section	.AMDGPU.csdata,"",@progbits
; Kernel info:
; codeLenInByte = 0
; NumSgprs: 4
; NumVgprs: 0
; NumAgprs: 0
; TotalNumVgprs: 0
; ScratchSize: 0
; MemoryBound: 0
; FloatMode: 240
; IeeeMode: 1
; LDSByteSize: 0 bytes/workgroup (compile time only)
; SGPRBlocks: 0
; VGPRBlocks: 0
; NumSGPRsForWavesPerEU: 4
; NumVGPRsForWavesPerEU: 1
; AccumOffset: 4
; Occupancy: 8
; WaveLimiterHint : 0
; COMPUTE_PGM_RSRC2:SCRATCH_EN: 0
; COMPUTE_PGM_RSRC2:USER_SGPR: 6
; COMPUTE_PGM_RSRC2:TRAP_HANDLER: 0
; COMPUTE_PGM_RSRC2:TGID_X_EN: 1
; COMPUTE_PGM_RSRC2:TGID_Y_EN: 0
; COMPUTE_PGM_RSRC2:TGID_Z_EN: 0
; COMPUTE_PGM_RSRC2:TIDIG_COMP_CNT: 0
; COMPUTE_PGM_RSRC3_GFX90A:ACCUM_OFFSET: 0
; COMPUTE_PGM_RSRC3_GFX90A:TG_SPLIT: 0
	.section	.text._ZN7rocprim17ROCPRIM_400000_NS6detail17trampoline_kernelINS0_14default_configENS1_33run_length_encode_config_selectorIjjNS0_4plusIjEEEEZZNS1_33reduce_by_key_impl_wrapped_configILNS1_25lookback_scan_determinismE0ES3_S7_PKjNS0_17constant_iteratorIjlEEPjPlSF_S6_NS0_8equal_toIjEEEE10hipError_tPvRmT2_T3_mT4_T5_T6_T7_T8_P12ihipStream_tbENKUlT_T0_E_clISt17integral_constantIbLb1EESY_IbLb0EEEEDaSU_SV_EUlSU_E_NS1_11comp_targetILNS1_3genE5ELNS1_11target_archE942ELNS1_3gpuE9ELNS1_3repE0EEENS1_30default_config_static_selectorELNS0_4arch9wavefront6targetE1EEEvT1_,"axG",@progbits,_ZN7rocprim17ROCPRIM_400000_NS6detail17trampoline_kernelINS0_14default_configENS1_33run_length_encode_config_selectorIjjNS0_4plusIjEEEEZZNS1_33reduce_by_key_impl_wrapped_configILNS1_25lookback_scan_determinismE0ES3_S7_PKjNS0_17constant_iteratorIjlEEPjPlSF_S6_NS0_8equal_toIjEEEE10hipError_tPvRmT2_T3_mT4_T5_T6_T7_T8_P12ihipStream_tbENKUlT_T0_E_clISt17integral_constantIbLb1EESY_IbLb0EEEEDaSU_SV_EUlSU_E_NS1_11comp_targetILNS1_3genE5ELNS1_11target_archE942ELNS1_3gpuE9ELNS1_3repE0EEENS1_30default_config_static_selectorELNS0_4arch9wavefront6targetE1EEEvT1_,comdat
	.protected	_ZN7rocprim17ROCPRIM_400000_NS6detail17trampoline_kernelINS0_14default_configENS1_33run_length_encode_config_selectorIjjNS0_4plusIjEEEEZZNS1_33reduce_by_key_impl_wrapped_configILNS1_25lookback_scan_determinismE0ES3_S7_PKjNS0_17constant_iteratorIjlEEPjPlSF_S6_NS0_8equal_toIjEEEE10hipError_tPvRmT2_T3_mT4_T5_T6_T7_T8_P12ihipStream_tbENKUlT_T0_E_clISt17integral_constantIbLb1EESY_IbLb0EEEEDaSU_SV_EUlSU_E_NS1_11comp_targetILNS1_3genE5ELNS1_11target_archE942ELNS1_3gpuE9ELNS1_3repE0EEENS1_30default_config_static_selectorELNS0_4arch9wavefront6targetE1EEEvT1_ ; -- Begin function _ZN7rocprim17ROCPRIM_400000_NS6detail17trampoline_kernelINS0_14default_configENS1_33run_length_encode_config_selectorIjjNS0_4plusIjEEEEZZNS1_33reduce_by_key_impl_wrapped_configILNS1_25lookback_scan_determinismE0ES3_S7_PKjNS0_17constant_iteratorIjlEEPjPlSF_S6_NS0_8equal_toIjEEEE10hipError_tPvRmT2_T3_mT4_T5_T6_T7_T8_P12ihipStream_tbENKUlT_T0_E_clISt17integral_constantIbLb1EESY_IbLb0EEEEDaSU_SV_EUlSU_E_NS1_11comp_targetILNS1_3genE5ELNS1_11target_archE942ELNS1_3gpuE9ELNS1_3repE0EEENS1_30default_config_static_selectorELNS0_4arch9wavefront6targetE1EEEvT1_
	.globl	_ZN7rocprim17ROCPRIM_400000_NS6detail17trampoline_kernelINS0_14default_configENS1_33run_length_encode_config_selectorIjjNS0_4plusIjEEEEZZNS1_33reduce_by_key_impl_wrapped_configILNS1_25lookback_scan_determinismE0ES3_S7_PKjNS0_17constant_iteratorIjlEEPjPlSF_S6_NS0_8equal_toIjEEEE10hipError_tPvRmT2_T3_mT4_T5_T6_T7_T8_P12ihipStream_tbENKUlT_T0_E_clISt17integral_constantIbLb1EESY_IbLb0EEEEDaSU_SV_EUlSU_E_NS1_11comp_targetILNS1_3genE5ELNS1_11target_archE942ELNS1_3gpuE9ELNS1_3repE0EEENS1_30default_config_static_selectorELNS0_4arch9wavefront6targetE1EEEvT1_
	.p2align	8
	.type	_ZN7rocprim17ROCPRIM_400000_NS6detail17trampoline_kernelINS0_14default_configENS1_33run_length_encode_config_selectorIjjNS0_4plusIjEEEEZZNS1_33reduce_by_key_impl_wrapped_configILNS1_25lookback_scan_determinismE0ES3_S7_PKjNS0_17constant_iteratorIjlEEPjPlSF_S6_NS0_8equal_toIjEEEE10hipError_tPvRmT2_T3_mT4_T5_T6_T7_T8_P12ihipStream_tbENKUlT_T0_E_clISt17integral_constantIbLb1EESY_IbLb0EEEEDaSU_SV_EUlSU_E_NS1_11comp_targetILNS1_3genE5ELNS1_11target_archE942ELNS1_3gpuE9ELNS1_3repE0EEENS1_30default_config_static_selectorELNS0_4arch9wavefront6targetE1EEEvT1_,@function
_ZN7rocprim17ROCPRIM_400000_NS6detail17trampoline_kernelINS0_14default_configENS1_33run_length_encode_config_selectorIjjNS0_4plusIjEEEEZZNS1_33reduce_by_key_impl_wrapped_configILNS1_25lookback_scan_determinismE0ES3_S7_PKjNS0_17constant_iteratorIjlEEPjPlSF_S6_NS0_8equal_toIjEEEE10hipError_tPvRmT2_T3_mT4_T5_T6_T7_T8_P12ihipStream_tbENKUlT_T0_E_clISt17integral_constantIbLb1EESY_IbLb0EEEEDaSU_SV_EUlSU_E_NS1_11comp_targetILNS1_3genE5ELNS1_11target_archE942ELNS1_3gpuE9ELNS1_3repE0EEENS1_30default_config_static_selectorELNS0_4arch9wavefront6targetE1EEEvT1_: ; @_ZN7rocprim17ROCPRIM_400000_NS6detail17trampoline_kernelINS0_14default_configENS1_33run_length_encode_config_selectorIjjNS0_4plusIjEEEEZZNS1_33reduce_by_key_impl_wrapped_configILNS1_25lookback_scan_determinismE0ES3_S7_PKjNS0_17constant_iteratorIjlEEPjPlSF_S6_NS0_8equal_toIjEEEE10hipError_tPvRmT2_T3_mT4_T5_T6_T7_T8_P12ihipStream_tbENKUlT_T0_E_clISt17integral_constantIbLb1EESY_IbLb0EEEEDaSU_SV_EUlSU_E_NS1_11comp_targetILNS1_3genE5ELNS1_11target_archE942ELNS1_3gpuE9ELNS1_3repE0EEENS1_30default_config_static_selectorELNS0_4arch9wavefront6targetE1EEEvT1_
; %bb.0:
	.section	.rodata,"a",@progbits
	.p2align	6, 0x0
	.amdhsa_kernel _ZN7rocprim17ROCPRIM_400000_NS6detail17trampoline_kernelINS0_14default_configENS1_33run_length_encode_config_selectorIjjNS0_4plusIjEEEEZZNS1_33reduce_by_key_impl_wrapped_configILNS1_25lookback_scan_determinismE0ES3_S7_PKjNS0_17constant_iteratorIjlEEPjPlSF_S6_NS0_8equal_toIjEEEE10hipError_tPvRmT2_T3_mT4_T5_T6_T7_T8_P12ihipStream_tbENKUlT_T0_E_clISt17integral_constantIbLb1EESY_IbLb0EEEEDaSU_SV_EUlSU_E_NS1_11comp_targetILNS1_3genE5ELNS1_11target_archE942ELNS1_3gpuE9ELNS1_3repE0EEENS1_30default_config_static_selectorELNS0_4arch9wavefront6targetE1EEEvT1_
		.amdhsa_group_segment_fixed_size 0
		.amdhsa_private_segment_fixed_size 0
		.amdhsa_kernarg_size 128
		.amdhsa_user_sgpr_count 6
		.amdhsa_user_sgpr_private_segment_buffer 1
		.amdhsa_user_sgpr_dispatch_ptr 0
		.amdhsa_user_sgpr_queue_ptr 0
		.amdhsa_user_sgpr_kernarg_segment_ptr 1
		.amdhsa_user_sgpr_dispatch_id 0
		.amdhsa_user_sgpr_flat_scratch_init 0
		.amdhsa_user_sgpr_kernarg_preload_length 0
		.amdhsa_user_sgpr_kernarg_preload_offset 0
		.amdhsa_user_sgpr_private_segment_size 0
		.amdhsa_uses_dynamic_stack 0
		.amdhsa_system_sgpr_private_segment_wavefront_offset 0
		.amdhsa_system_sgpr_workgroup_id_x 1
		.amdhsa_system_sgpr_workgroup_id_y 0
		.amdhsa_system_sgpr_workgroup_id_z 0
		.amdhsa_system_sgpr_workgroup_info 0
		.amdhsa_system_vgpr_workitem_id 0
		.amdhsa_next_free_vgpr 1
		.amdhsa_next_free_sgpr 0
		.amdhsa_accum_offset 4
		.amdhsa_reserve_vcc 0
		.amdhsa_reserve_flat_scratch 0
		.amdhsa_float_round_mode_32 0
		.amdhsa_float_round_mode_16_64 0
		.amdhsa_float_denorm_mode_32 3
		.amdhsa_float_denorm_mode_16_64 3
		.amdhsa_dx10_clamp 1
		.amdhsa_ieee_mode 1
		.amdhsa_fp16_overflow 0
		.amdhsa_tg_split 0
		.amdhsa_exception_fp_ieee_invalid_op 0
		.amdhsa_exception_fp_denorm_src 0
		.amdhsa_exception_fp_ieee_div_zero 0
		.amdhsa_exception_fp_ieee_overflow 0
		.amdhsa_exception_fp_ieee_underflow 0
		.amdhsa_exception_fp_ieee_inexact 0
		.amdhsa_exception_int_div_zero 0
	.end_amdhsa_kernel
	.section	.text._ZN7rocprim17ROCPRIM_400000_NS6detail17trampoline_kernelINS0_14default_configENS1_33run_length_encode_config_selectorIjjNS0_4plusIjEEEEZZNS1_33reduce_by_key_impl_wrapped_configILNS1_25lookback_scan_determinismE0ES3_S7_PKjNS0_17constant_iteratorIjlEEPjPlSF_S6_NS0_8equal_toIjEEEE10hipError_tPvRmT2_T3_mT4_T5_T6_T7_T8_P12ihipStream_tbENKUlT_T0_E_clISt17integral_constantIbLb1EESY_IbLb0EEEEDaSU_SV_EUlSU_E_NS1_11comp_targetILNS1_3genE5ELNS1_11target_archE942ELNS1_3gpuE9ELNS1_3repE0EEENS1_30default_config_static_selectorELNS0_4arch9wavefront6targetE1EEEvT1_,"axG",@progbits,_ZN7rocprim17ROCPRIM_400000_NS6detail17trampoline_kernelINS0_14default_configENS1_33run_length_encode_config_selectorIjjNS0_4plusIjEEEEZZNS1_33reduce_by_key_impl_wrapped_configILNS1_25lookback_scan_determinismE0ES3_S7_PKjNS0_17constant_iteratorIjlEEPjPlSF_S6_NS0_8equal_toIjEEEE10hipError_tPvRmT2_T3_mT4_T5_T6_T7_T8_P12ihipStream_tbENKUlT_T0_E_clISt17integral_constantIbLb1EESY_IbLb0EEEEDaSU_SV_EUlSU_E_NS1_11comp_targetILNS1_3genE5ELNS1_11target_archE942ELNS1_3gpuE9ELNS1_3repE0EEENS1_30default_config_static_selectorELNS0_4arch9wavefront6targetE1EEEvT1_,comdat
.Lfunc_end668:
	.size	_ZN7rocprim17ROCPRIM_400000_NS6detail17trampoline_kernelINS0_14default_configENS1_33run_length_encode_config_selectorIjjNS0_4plusIjEEEEZZNS1_33reduce_by_key_impl_wrapped_configILNS1_25lookback_scan_determinismE0ES3_S7_PKjNS0_17constant_iteratorIjlEEPjPlSF_S6_NS0_8equal_toIjEEEE10hipError_tPvRmT2_T3_mT4_T5_T6_T7_T8_P12ihipStream_tbENKUlT_T0_E_clISt17integral_constantIbLb1EESY_IbLb0EEEEDaSU_SV_EUlSU_E_NS1_11comp_targetILNS1_3genE5ELNS1_11target_archE942ELNS1_3gpuE9ELNS1_3repE0EEENS1_30default_config_static_selectorELNS0_4arch9wavefront6targetE1EEEvT1_, .Lfunc_end668-_ZN7rocprim17ROCPRIM_400000_NS6detail17trampoline_kernelINS0_14default_configENS1_33run_length_encode_config_selectorIjjNS0_4plusIjEEEEZZNS1_33reduce_by_key_impl_wrapped_configILNS1_25lookback_scan_determinismE0ES3_S7_PKjNS0_17constant_iteratorIjlEEPjPlSF_S6_NS0_8equal_toIjEEEE10hipError_tPvRmT2_T3_mT4_T5_T6_T7_T8_P12ihipStream_tbENKUlT_T0_E_clISt17integral_constantIbLb1EESY_IbLb0EEEEDaSU_SV_EUlSU_E_NS1_11comp_targetILNS1_3genE5ELNS1_11target_archE942ELNS1_3gpuE9ELNS1_3repE0EEENS1_30default_config_static_selectorELNS0_4arch9wavefront6targetE1EEEvT1_
                                        ; -- End function
	.section	.AMDGPU.csdata,"",@progbits
; Kernel info:
; codeLenInByte = 0
; NumSgprs: 4
; NumVgprs: 0
; NumAgprs: 0
; TotalNumVgprs: 0
; ScratchSize: 0
; MemoryBound: 0
; FloatMode: 240
; IeeeMode: 1
; LDSByteSize: 0 bytes/workgroup (compile time only)
; SGPRBlocks: 0
; VGPRBlocks: 0
; NumSGPRsForWavesPerEU: 4
; NumVGPRsForWavesPerEU: 1
; AccumOffset: 4
; Occupancy: 8
; WaveLimiterHint : 0
; COMPUTE_PGM_RSRC2:SCRATCH_EN: 0
; COMPUTE_PGM_RSRC2:USER_SGPR: 6
; COMPUTE_PGM_RSRC2:TRAP_HANDLER: 0
; COMPUTE_PGM_RSRC2:TGID_X_EN: 1
; COMPUTE_PGM_RSRC2:TGID_Y_EN: 0
; COMPUTE_PGM_RSRC2:TGID_Z_EN: 0
; COMPUTE_PGM_RSRC2:TIDIG_COMP_CNT: 0
; COMPUTE_PGM_RSRC3_GFX90A:ACCUM_OFFSET: 0
; COMPUTE_PGM_RSRC3_GFX90A:TG_SPLIT: 0
	.section	.text._ZN7rocprim17ROCPRIM_400000_NS6detail17trampoline_kernelINS0_14default_configENS1_33run_length_encode_config_selectorIjjNS0_4plusIjEEEEZZNS1_33reduce_by_key_impl_wrapped_configILNS1_25lookback_scan_determinismE0ES3_S7_PKjNS0_17constant_iteratorIjlEEPjPlSF_S6_NS0_8equal_toIjEEEE10hipError_tPvRmT2_T3_mT4_T5_T6_T7_T8_P12ihipStream_tbENKUlT_T0_E_clISt17integral_constantIbLb1EESY_IbLb0EEEEDaSU_SV_EUlSU_E_NS1_11comp_targetILNS1_3genE4ELNS1_11target_archE910ELNS1_3gpuE8ELNS1_3repE0EEENS1_30default_config_static_selectorELNS0_4arch9wavefront6targetE1EEEvT1_,"axG",@progbits,_ZN7rocprim17ROCPRIM_400000_NS6detail17trampoline_kernelINS0_14default_configENS1_33run_length_encode_config_selectorIjjNS0_4plusIjEEEEZZNS1_33reduce_by_key_impl_wrapped_configILNS1_25lookback_scan_determinismE0ES3_S7_PKjNS0_17constant_iteratorIjlEEPjPlSF_S6_NS0_8equal_toIjEEEE10hipError_tPvRmT2_T3_mT4_T5_T6_T7_T8_P12ihipStream_tbENKUlT_T0_E_clISt17integral_constantIbLb1EESY_IbLb0EEEEDaSU_SV_EUlSU_E_NS1_11comp_targetILNS1_3genE4ELNS1_11target_archE910ELNS1_3gpuE8ELNS1_3repE0EEENS1_30default_config_static_selectorELNS0_4arch9wavefront6targetE1EEEvT1_,comdat
	.protected	_ZN7rocprim17ROCPRIM_400000_NS6detail17trampoline_kernelINS0_14default_configENS1_33run_length_encode_config_selectorIjjNS0_4plusIjEEEEZZNS1_33reduce_by_key_impl_wrapped_configILNS1_25lookback_scan_determinismE0ES3_S7_PKjNS0_17constant_iteratorIjlEEPjPlSF_S6_NS0_8equal_toIjEEEE10hipError_tPvRmT2_T3_mT4_T5_T6_T7_T8_P12ihipStream_tbENKUlT_T0_E_clISt17integral_constantIbLb1EESY_IbLb0EEEEDaSU_SV_EUlSU_E_NS1_11comp_targetILNS1_3genE4ELNS1_11target_archE910ELNS1_3gpuE8ELNS1_3repE0EEENS1_30default_config_static_selectorELNS0_4arch9wavefront6targetE1EEEvT1_ ; -- Begin function _ZN7rocprim17ROCPRIM_400000_NS6detail17trampoline_kernelINS0_14default_configENS1_33run_length_encode_config_selectorIjjNS0_4plusIjEEEEZZNS1_33reduce_by_key_impl_wrapped_configILNS1_25lookback_scan_determinismE0ES3_S7_PKjNS0_17constant_iteratorIjlEEPjPlSF_S6_NS0_8equal_toIjEEEE10hipError_tPvRmT2_T3_mT4_T5_T6_T7_T8_P12ihipStream_tbENKUlT_T0_E_clISt17integral_constantIbLb1EESY_IbLb0EEEEDaSU_SV_EUlSU_E_NS1_11comp_targetILNS1_3genE4ELNS1_11target_archE910ELNS1_3gpuE8ELNS1_3repE0EEENS1_30default_config_static_selectorELNS0_4arch9wavefront6targetE1EEEvT1_
	.globl	_ZN7rocprim17ROCPRIM_400000_NS6detail17trampoline_kernelINS0_14default_configENS1_33run_length_encode_config_selectorIjjNS0_4plusIjEEEEZZNS1_33reduce_by_key_impl_wrapped_configILNS1_25lookback_scan_determinismE0ES3_S7_PKjNS0_17constant_iteratorIjlEEPjPlSF_S6_NS0_8equal_toIjEEEE10hipError_tPvRmT2_T3_mT4_T5_T6_T7_T8_P12ihipStream_tbENKUlT_T0_E_clISt17integral_constantIbLb1EESY_IbLb0EEEEDaSU_SV_EUlSU_E_NS1_11comp_targetILNS1_3genE4ELNS1_11target_archE910ELNS1_3gpuE8ELNS1_3repE0EEENS1_30default_config_static_selectorELNS0_4arch9wavefront6targetE1EEEvT1_
	.p2align	8
	.type	_ZN7rocprim17ROCPRIM_400000_NS6detail17trampoline_kernelINS0_14default_configENS1_33run_length_encode_config_selectorIjjNS0_4plusIjEEEEZZNS1_33reduce_by_key_impl_wrapped_configILNS1_25lookback_scan_determinismE0ES3_S7_PKjNS0_17constant_iteratorIjlEEPjPlSF_S6_NS0_8equal_toIjEEEE10hipError_tPvRmT2_T3_mT4_T5_T6_T7_T8_P12ihipStream_tbENKUlT_T0_E_clISt17integral_constantIbLb1EESY_IbLb0EEEEDaSU_SV_EUlSU_E_NS1_11comp_targetILNS1_3genE4ELNS1_11target_archE910ELNS1_3gpuE8ELNS1_3repE0EEENS1_30default_config_static_selectorELNS0_4arch9wavefront6targetE1EEEvT1_,@function
_ZN7rocprim17ROCPRIM_400000_NS6detail17trampoline_kernelINS0_14default_configENS1_33run_length_encode_config_selectorIjjNS0_4plusIjEEEEZZNS1_33reduce_by_key_impl_wrapped_configILNS1_25lookback_scan_determinismE0ES3_S7_PKjNS0_17constant_iteratorIjlEEPjPlSF_S6_NS0_8equal_toIjEEEE10hipError_tPvRmT2_T3_mT4_T5_T6_T7_T8_P12ihipStream_tbENKUlT_T0_E_clISt17integral_constantIbLb1EESY_IbLb0EEEEDaSU_SV_EUlSU_E_NS1_11comp_targetILNS1_3genE4ELNS1_11target_archE910ELNS1_3gpuE8ELNS1_3repE0EEENS1_30default_config_static_selectorELNS0_4arch9wavefront6targetE1EEEvT1_: ; @_ZN7rocprim17ROCPRIM_400000_NS6detail17trampoline_kernelINS0_14default_configENS1_33run_length_encode_config_selectorIjjNS0_4plusIjEEEEZZNS1_33reduce_by_key_impl_wrapped_configILNS1_25lookback_scan_determinismE0ES3_S7_PKjNS0_17constant_iteratorIjlEEPjPlSF_S6_NS0_8equal_toIjEEEE10hipError_tPvRmT2_T3_mT4_T5_T6_T7_T8_P12ihipStream_tbENKUlT_T0_E_clISt17integral_constantIbLb1EESY_IbLb0EEEEDaSU_SV_EUlSU_E_NS1_11comp_targetILNS1_3genE4ELNS1_11target_archE910ELNS1_3gpuE8ELNS1_3repE0EEENS1_30default_config_static_selectorELNS0_4arch9wavefront6targetE1EEEvT1_
; %bb.0:
	s_load_dwordx8 s[36:43], s[4:5], 0x40
	s_load_dwordx4 s[0:3], s[4:5], 0x0
	s_load_dword s7, s[4:5], 0x10
	s_load_dwordx4 s[44:47], s[4:5], 0x60
	s_mov_b64 s[12:13], -1
	s_waitcnt lgkmcnt(0)
	s_mul_i32 s8, s40, s39
	s_mul_hi_u32 s9, s40, s38
	s_add_i32 s8, s9, s8
	s_mul_i32 s9, s41, s38
	s_add_i32 s8, s8, s9
	s_lshl_b64 s[2:3], s[2:3], 2
	s_add_u32 s2, s0, s2
	s_addc_u32 s3, s1, s3
	s_mul_i32 s0, s6, 0xf00
	s_mov_b32 s1, 0
	s_lshl_b64 s[0:1], s[0:1], 2
	s_add_u32 s0, s2, s0
	s_mul_i32 s9, s40, s38
	s_addc_u32 s1, s3, s1
	s_add_u32 s2, s9, s6
	s_addc_u32 s3, s8, 0
	s_add_u32 s8, s42, -1
	s_addc_u32 s9, s43, -1
	s_cmp_eq_u64 s[2:3], s[8:9]
	s_cselect_b64 s[34:35], -1, 0
	s_cmp_lg_u64 s[2:3], s[8:9]
	s_cselect_b64 s[10:11], -1, 0
	s_mul_i32 s33, s8, 0xfffff100
	s_and_b64 vcc, exec, s[34:35]
	s_cbranch_vccnz .LBB669_2
; %bb.1:
	v_lshlrev_b32_e32 v1, 2, v0
	v_mov_b32_e32 v2, s1
	v_add_co_u32_e32 v4, vcc, s0, v1
	v_addc_co_u32_e32 v5, vcc, 0, v2, vcc
	v_add_co_u32_e32 v2, vcc, 0x1000, v4
	v_addc_co_u32_e32 v3, vcc, 0, v5, vcc
	global_load_dword v6, v1, s[0:1]
	global_load_dword v7, v1, s[0:1] offset:1024
	global_load_dword v8, v1, s[0:1] offset:2048
	;; [unrolled: 1-line block ×3, first 2 shown]
	global_load_dword v10, v[2:3], off
	global_load_dword v11, v[2:3], off offset:1024
	global_load_dword v12, v[2:3], off offset:2048
	;; [unrolled: 1-line block ×3, first 2 shown]
	v_add_co_u32_e32 v2, vcc, 0x2000, v4
	v_addc_co_u32_e32 v3, vcc, 0, v5, vcc
	v_add_co_u32_e32 v4, vcc, 0x3000, v4
	v_addc_co_u32_e32 v5, vcc, 0, v5, vcc
	global_load_dword v14, v[2:3], off
	global_load_dword v15, v[2:3], off offset:1024
	global_load_dword v16, v[2:3], off offset:2048
	global_load_dword v17, v[2:3], off offset:3072
	global_load_dword v18, v[4:5], off
	global_load_dword v19, v[4:5], off offset:1024
	global_load_dword v20, v[4:5], off offset:2048
	v_mad_u32_u24 v2, v0, 56, v1
	s_mov_b64 s[8:9], -1
	s_waitcnt vmcnt(13)
	ds_write2st64_b32 v1, v6, v7 offset1:4
	s_waitcnt vmcnt(11)
	ds_write2st64_b32 v1, v8, v9 offset0:8 offset1:12
	s_waitcnt vmcnt(9)
	ds_write2st64_b32 v1, v10, v11 offset0:16 offset1:20
	;; [unrolled: 2-line block ×6, first 2 shown]
	s_waitcnt vmcnt(0)
	ds_write_b32 v1, v20 offset:14336
	s_waitcnt lgkmcnt(0)
	s_barrier
	ds_read2_b32 v[20:21], v2 offset1:1
	ds_read2_b32 v[18:19], v2 offset0:2 offset1:3
	ds_read2_b32 v[16:17], v2 offset0:4 offset1:5
	;; [unrolled: 1-line block ×6, first 2 shown]
	ds_read_b32 v1, v2 offset:56
	s_waitcnt lgkmcnt(7)
	v_mov_b32_e32 v22, v20
	s_waitcnt lgkmcnt(6)
	v_mov_b32_e32 v23, v18
	;; [unrolled: 2-line block ×7, first 2 shown]
	s_add_i32 s33, s33, s44
	s_cbranch_execz .LBB669_3
	s_branch .LBB669_34
.LBB669_2:
	s_mov_b64 s[8:9], 0
                                        ; implicit-def: $vgpr1
                                        ; implicit-def: $vgpr8
                                        ; implicit-def: $vgpr10
                                        ; implicit-def: $vgpr12
                                        ; implicit-def: $vgpr14
                                        ; implicit-def: $vgpr16
                                        ; implicit-def: $vgpr18
                                        ; implicit-def: $vgpr20
                                        ; implicit-def: $vgpr2_vgpr3
                                        ; implicit-def: $vgpr4_vgpr5
                                        ; implicit-def: $vgpr22_vgpr23
                                        ; implicit-def: $vgpr6_vgpr7
	s_add_i32 s33, s33, s44
	s_andn2_b64 vcc, exec, s[12:13]
	s_cbranch_vccnz .LBB669_34
.LBB669_3:
	v_cmp_gt_u32_e32 vcc, s33, v0
                                        ; implicit-def: $vgpr1
	s_and_saveexec_b64 s[8:9], vcc
	s_cbranch_execz .LBB669_5
; %bb.4:
	s_waitcnt lgkmcnt(0)
	v_lshlrev_b32_e32 v1, 2, v0
	global_load_dword v1, v1, s[0:1]
.LBB669_5:
	s_or_b64 exec, exec, s[8:9]
	v_or_b32_e32 v2, 0x100, v0
	v_cmp_gt_u32_e32 vcc, s33, v2
                                        ; implicit-def: $vgpr2
	s_and_saveexec_b64 s[8:9], vcc
	s_cbranch_execz .LBB669_7
; %bb.6:
	v_lshlrev_b32_e32 v2, 2, v0
	global_load_dword v2, v2, s[0:1] offset:1024
.LBB669_7:
	s_or_b64 exec, exec, s[8:9]
	v_or_b32_e32 v3, 0x200, v0
	v_cmp_gt_u32_e32 vcc, s33, v3
                                        ; implicit-def: $vgpr3
	s_and_saveexec_b64 s[8:9], vcc
	s_cbranch_execz .LBB669_9
; %bb.8:
	v_lshlrev_b32_e32 v3, 2, v0
	global_load_dword v3, v3, s[0:1] offset:2048
.LBB669_9:
	s_or_b64 exec, exec, s[8:9]
	v_or_b32_e32 v4, 0x300, v0
	v_cmp_gt_u32_e32 vcc, s33, v4
                                        ; implicit-def: $vgpr4
	s_and_saveexec_b64 s[8:9], vcc
	s_cbranch_execz .LBB669_11
; %bb.10:
	v_lshlrev_b32_e32 v4, 2, v0
	global_load_dword v4, v4, s[0:1] offset:3072
.LBB669_11:
	s_or_b64 exec, exec, s[8:9]
	v_or_b32_e32 v6, 0x400, v0
	v_cmp_gt_u32_e32 vcc, s33, v6
                                        ; implicit-def: $vgpr5
	s_and_saveexec_b64 s[8:9], vcc
	s_cbranch_execz .LBB669_13
; %bb.12:
	v_lshlrev_b32_e32 v5, 2, v6
	global_load_dword v5, v5, s[0:1]
.LBB669_13:
	s_or_b64 exec, exec, s[8:9]
	v_or_b32_e32 v7, 0x500, v0
	v_cmp_gt_u32_e32 vcc, s33, v7
                                        ; implicit-def: $vgpr6
	s_and_saveexec_b64 s[8:9], vcc
	s_cbranch_execz .LBB669_15
; %bb.14:
	v_lshlrev_b32_e32 v6, 2, v7
	global_load_dword v6, v6, s[0:1]
.LBB669_15:
	s_or_b64 exec, exec, s[8:9]
	v_or_b32_e32 v8, 0x600, v0
	v_cmp_gt_u32_e32 vcc, s33, v8
                                        ; implicit-def: $vgpr7
	s_and_saveexec_b64 s[8:9], vcc
	s_cbranch_execz .LBB669_17
; %bb.16:
	v_lshlrev_b32_e32 v7, 2, v8
	global_load_dword v7, v7, s[0:1]
.LBB669_17:
	s_or_b64 exec, exec, s[8:9]
	v_or_b32_e32 v9, 0x700, v0
	v_cmp_gt_u32_e32 vcc, s33, v9
                                        ; implicit-def: $vgpr8
	s_and_saveexec_b64 s[8:9], vcc
	s_cbranch_execz .LBB669_19
; %bb.18:
	v_lshlrev_b32_e32 v8, 2, v9
	global_load_dword v8, v8, s[0:1]
.LBB669_19:
	s_or_b64 exec, exec, s[8:9]
	v_or_b32_e32 v10, 0x800, v0
	v_cmp_gt_u32_e32 vcc, s33, v10
                                        ; implicit-def: $vgpr9
	s_and_saveexec_b64 s[8:9], vcc
	s_cbranch_execz .LBB669_21
; %bb.20:
	v_lshlrev_b32_e32 v9, 2, v10
	global_load_dword v9, v9, s[0:1]
.LBB669_21:
	s_or_b64 exec, exec, s[8:9]
	v_or_b32_e32 v11, 0x900, v0
	v_cmp_gt_u32_e32 vcc, s33, v11
                                        ; implicit-def: $vgpr10
	s_and_saveexec_b64 s[8:9], vcc
	s_cbranch_execz .LBB669_23
; %bb.22:
	v_lshlrev_b32_e32 v10, 2, v11
	global_load_dword v10, v10, s[0:1]
.LBB669_23:
	s_or_b64 exec, exec, s[8:9]
	v_or_b32_e32 v12, 0xa00, v0
	v_cmp_gt_u32_e32 vcc, s33, v12
                                        ; implicit-def: $vgpr11
	s_and_saveexec_b64 s[8:9], vcc
	s_cbranch_execz .LBB669_25
; %bb.24:
	v_lshlrev_b32_e32 v11, 2, v12
	global_load_dword v11, v11, s[0:1]
.LBB669_25:
	s_or_b64 exec, exec, s[8:9]
	v_or_b32_e32 v13, 0xb00, v0
	v_cmp_gt_u32_e32 vcc, s33, v13
                                        ; implicit-def: $vgpr12
	s_and_saveexec_b64 s[8:9], vcc
	s_cbranch_execz .LBB669_27
; %bb.26:
	v_lshlrev_b32_e32 v12, 2, v13
	global_load_dword v12, v12, s[0:1]
.LBB669_27:
	s_or_b64 exec, exec, s[8:9]
	v_or_b32_e32 v14, 0xc00, v0
	v_cmp_gt_u32_e32 vcc, s33, v14
                                        ; implicit-def: $vgpr13
	s_and_saveexec_b64 s[8:9], vcc
	s_cbranch_execz .LBB669_29
; %bb.28:
	v_lshlrev_b32_e32 v13, 2, v14
	global_load_dword v13, v13, s[0:1]
.LBB669_29:
	s_or_b64 exec, exec, s[8:9]
	v_or_b32_e32 v15, 0xd00, v0
	v_cmp_gt_u32_e32 vcc, s33, v15
                                        ; implicit-def: $vgpr14
	s_and_saveexec_b64 s[8:9], vcc
	s_cbranch_execz .LBB669_31
; %bb.30:
	v_lshlrev_b32_e32 v14, 2, v15
	global_load_dword v14, v14, s[0:1]
.LBB669_31:
	s_or_b64 exec, exec, s[8:9]
	v_or_b32_e32 v16, 0xe00, v0
	v_cmp_gt_u32_e32 vcc, s33, v16
                                        ; implicit-def: $vgpr15
	s_and_saveexec_b64 s[8:9], vcc
	s_cbranch_execz .LBB669_33
; %bb.32:
	v_lshlrev_b32_e32 v15, 2, v16
	global_load_dword v15, v15, s[0:1]
.LBB669_33:
	s_or_b64 exec, exec, s[8:9]
	v_lshlrev_b32_e32 v16, 2, v0
	s_waitcnt vmcnt(0) lgkmcnt(0)
	ds_write2st64_b32 v16, v1, v2 offset1:4
	ds_write2st64_b32 v16, v3, v4 offset0:8 offset1:12
	ds_write2st64_b32 v16, v5, v6 offset0:16 offset1:20
	;; [unrolled: 1-line block ×6, first 2 shown]
	ds_write_b32 v16, v15 offset:14336
	v_mad_u32_u24 v1, v0, 56, v16
	s_waitcnt lgkmcnt(0)
	s_barrier
	ds_read2_b32 v[20:21], v1 offset1:1
	ds_read2_b32 v[18:19], v1 offset0:2 offset1:3
	ds_read2_b32 v[16:17], v1 offset0:4 offset1:5
	;; [unrolled: 1-line block ×6, first 2 shown]
	ds_read_b32 v1, v1 offset:56
	v_mad_u32_u24 v2, v0, 15, 14
	v_cmp_gt_u32_e64 s[8:9], s33, v2
	s_waitcnt lgkmcnt(7)
	v_mov_b32_e32 v22, v20
	s_waitcnt lgkmcnt(6)
	v_mov_b32_e32 v23, v18
	;; [unrolled: 2-line block ×7, first 2 shown]
.LBB669_34:
	v_mov_b32_e32 v52, s7
                                        ; implicit-def: $vgpr53
	s_and_saveexec_b64 s[12:13], s[8:9]
; %bb.35:
	v_mov_b32_e32 v53, s7
; %bb.36:
	s_or_b64 exec, exec, s[12:13]
	s_load_dwordx2 s[50:51], s[4:5], 0x70
	s_cmp_eq_u64 s[2:3], 0
	s_cselect_b64 s[48:49], -1, 0
	s_cmp_lg_u64 s[2:3], 0
	s_mov_b64 s[8:9], 0
	s_cselect_b64 s[12:13], -1, 0
	s_and_b64 vcc, exec, s[10:11]
	s_waitcnt lgkmcnt(0)
	s_barrier
	s_cbranch_vccz .LBB669_42
; %bb.37:
	s_and_b64 vcc, exec, s[12:13]
	s_cbranch_vccz .LBB669_43
; %bb.38:
	s_add_u32 s8, s0, -4
	s_addc_u32 s9, s1, -1
	s_load_dword s7, s[8:9], 0x0
	v_lshlrev_b32_e32 v24, 2, v0
	v_cmp_ne_u32_e32 vcc, 0, v0
	ds_write_b32 v24, v1
	s_waitcnt lgkmcnt(0)
	v_mov_b32_e32 v7, s7
	s_barrier
	s_and_saveexec_b64 s[8:9], vcc
	s_cbranch_execz .LBB669_40
; %bb.39:
	v_add_u32_e32 v7, -4, v24
	ds_read_b32 v7, v7
.LBB669_40:
	s_or_b64 exec, exec, s[8:9]
	v_cmp_ne_u32_e32 vcc, v22, v21
	v_cndmask_b32_e64 v67, 0, 1, vcc
	v_cmp_ne_u32_e32 vcc, v23, v21
	v_cndmask_b32_e64 v66, 0, 1, vcc
	;; [unrolled: 2-line block ×14, first 2 shown]
	s_waitcnt lgkmcnt(0)
	v_cmp_ne_u32_e64 s[10:11], v7, v20
	s_mov_b64 s[8:9], -1
.LBB669_41:
                                        ; implicit-def: $sgpr7
	s_branch .LBB669_55
.LBB669_42:
                                        ; implicit-def: $sgpr10_sgpr11
                                        ; implicit-def: $vgpr54
                                        ; implicit-def: $vgpr55
                                        ; implicit-def: $vgpr56
                                        ; implicit-def: $vgpr57
                                        ; implicit-def: $vgpr58
                                        ; implicit-def: $vgpr59
                                        ; implicit-def: $vgpr60
                                        ; implicit-def: $vgpr61
                                        ; implicit-def: $vgpr62
                                        ; implicit-def: $vgpr63
                                        ; implicit-def: $vgpr64
                                        ; implicit-def: $vgpr65
                                        ; implicit-def: $vgpr66
                                        ; implicit-def: $vgpr67
                                        ; implicit-def: $sgpr7
	s_cbranch_execnz .LBB669_47
	s_branch .LBB669_55
.LBB669_43:
                                        ; implicit-def: $sgpr10_sgpr11
                                        ; implicit-def: $vgpr54
                                        ; implicit-def: $vgpr55
                                        ; implicit-def: $vgpr56
                                        ; implicit-def: $vgpr57
                                        ; implicit-def: $vgpr58
                                        ; implicit-def: $vgpr59
                                        ; implicit-def: $vgpr60
                                        ; implicit-def: $vgpr61
                                        ; implicit-def: $vgpr62
                                        ; implicit-def: $vgpr63
                                        ; implicit-def: $vgpr64
                                        ; implicit-def: $vgpr65
                                        ; implicit-def: $vgpr66
                                        ; implicit-def: $vgpr67
	s_cbranch_execz .LBB669_41
; %bb.44:
	v_cmp_ne_u32_e32 vcc, v21, v22
	v_cndmask_b32_e64 v67, 0, 1, vcc
	v_cmp_ne_u32_e32 vcc, v21, v23
	v_cndmask_b32_e64 v66, 0, 1, vcc
	;; [unrolled: 2-line block ×13, first 2 shown]
	v_cmp_ne_u32_e32 vcc, v9, v1
	v_lshlrev_b32_e32 v7, 2, v0
	v_cndmask_b32_e64 v54, 0, 1, vcc
	v_cmp_ne_u32_e32 vcc, 0, v0
	ds_write_b32 v7, v1
	s_waitcnt lgkmcnt(0)
	s_barrier
	s_waitcnt lgkmcnt(0)
                                        ; implicit-def: $sgpr10_sgpr11
	s_and_saveexec_b64 s[14:15], vcc
	s_xor_b64 s[14:15], exec, s[14:15]
	s_cbranch_execz .LBB669_46
; %bb.45:
	v_add_u32_e32 v2, -4, v7
	ds_read_b32 v2, v2
	s_or_b64 s[8:9], s[8:9], exec
	s_waitcnt lgkmcnt(0)
	v_cmp_ne_u32_e32 vcc, v2, v20
	s_and_b64 s[10:11], vcc, exec
.LBB669_46:
	s_or_b64 exec, exec, s[14:15]
	s_mov_b32 s7, 1
	s_branch .LBB669_55
.LBB669_47:
	s_mul_hi_u32 s7, s2, 0xfffff100
	s_mulk_i32 s3, 0xf100
	s_sub_i32 s7, s7, s2
	s_add_i32 s7, s7, s3
	s_mulk_i32 s2, 0xf100
	s_add_u32 s2, s2, s44
	s_addc_u32 s3, s7, s45
	s_and_b64 vcc, exec, s[12:13]
	s_cbranch_vccz .LBB669_52
; %bb.48:
	s_add_u32 s0, s0, -4
	s_addc_u32 s1, s1, -1
	v_mad_u32_u24 v4, v0, 15, 14
	v_mov_b32_e32 v5, 0
	s_load_dword s7, s[0:1], 0x0
	v_cmp_gt_u64_e32 vcc, s[2:3], v[4:5]
	v_cmp_ne_u32_e64 s[0:1], v9, v1
	v_mad_u32_u24 v4, v0, 15, 13
	s_and_b64 s[8:9], vcc, s[0:1]
	v_cmp_gt_u64_e32 vcc, s[2:3], v[4:5]
	v_cmp_ne_u32_e64 s[0:1], v8, v9
	v_mad_u32_u24 v4, v0, 15, 12
	s_and_b64 s[10:11], vcc, s[0:1]
	v_cmp_gt_u64_e32 vcc, s[2:3], v[4:5]
	v_cmp_ne_u32_e64 s[0:1], v11, v8
	v_mad_u32_u24 v4, v0, 15, 11
	s_and_b64 s[12:13], vcc, s[0:1]
	v_cmp_gt_u64_e32 vcc, s[2:3], v[4:5]
	v_cmp_ne_u32_e64 s[0:1], v10, v11
	v_mad_u32_u24 v4, v0, 15, 10
	s_and_b64 s[14:15], vcc, s[0:1]
	v_cmp_gt_u64_e32 vcc, s[2:3], v[4:5]
	v_cmp_ne_u32_e64 s[0:1], v13, v10
	v_mad_u32_u24 v4, v0, 15, 9
	s_and_b64 s[16:17], vcc, s[0:1]
	v_cmp_gt_u64_e32 vcc, s[2:3], v[4:5]
	v_cmp_ne_u32_e64 s[0:1], v12, v13
	v_mad_u32_u24 v4, v0, 15, 8
	s_and_b64 s[18:19], vcc, s[0:1]
	v_cmp_gt_u64_e32 vcc, s[2:3], v[4:5]
	v_cmp_ne_u32_e64 s[0:1], v15, v12
	v_mad_u32_u24 v4, v0, 15, 7
	s_and_b64 s[20:21], vcc, s[0:1]
	v_cmp_gt_u64_e32 vcc, s[2:3], v[4:5]
	v_cmp_ne_u32_e64 s[0:1], v14, v15
	v_mad_u32_u24 v4, v0, 15, 6
	s_and_b64 s[22:23], vcc, s[0:1]
	v_cmp_gt_u64_e32 vcc, s[2:3], v[4:5]
	v_cmp_ne_u32_e64 s[0:1], v17, v14
	v_mad_u32_u24 v4, v0, 15, 5
	s_and_b64 s[24:25], vcc, s[0:1]
	v_cmp_gt_u64_e32 vcc, s[2:3], v[4:5]
	v_cmp_ne_u32_e64 s[0:1], v16, v17
	v_mad_u32_u24 v4, v0, 15, 4
	s_and_b64 s[26:27], vcc, s[0:1]
	v_cmp_gt_u64_e32 vcc, s[2:3], v[4:5]
	v_cmp_ne_u32_e64 s[0:1], v19, v16
	v_mad_u32_u24 v4, v0, 15, 3
	s_and_b64 s[28:29], vcc, s[0:1]
	v_cmp_gt_u64_e32 vcc, s[2:3], v[4:5]
	v_cmp_ne_u32_e64 s[0:1], v18, v19
	v_mad_u32_u24 v4, v0, 15, 2
	s_and_b64 s[30:31], vcc, s[0:1]
	v_cmp_gt_u64_e32 vcc, s[2:3], v[4:5]
	v_cmp_ne_u32_e64 s[0:1], v21, v18
	v_mad_u32_u24 v4, v0, 15, 1
	s_and_b64 s[40:41], vcc, s[0:1]
	v_cmp_gt_u64_e32 vcc, s[2:3], v[4:5]
	v_cmp_ne_u32_e64 s[0:1], v20, v21
	v_lshlrev_b32_e32 v3, 2, v0
	v_mul_u32_u24_e32 v2, 15, v0
	s_and_b64 s[0:1], vcc, s[0:1]
	v_cmp_ne_u32_e32 vcc, 0, v0
	s_waitcnt lgkmcnt(0)
	v_mov_b32_e32 v4, s7
	ds_write_b32 v3, v1
	s_waitcnt lgkmcnt(0)
	s_barrier
	s_and_saveexec_b64 s[42:43], vcc
	s_cbranch_execz .LBB669_50
; %bb.49:
	v_add_u32_e32 v3, -4, v3
	ds_read_b32 v4, v3
.LBB669_50:
	s_or_b64 exec, exec, s[42:43]
	v_mov_b32_e32 v3, v5
	v_cndmask_b32_e64 v67, 0, 1, s[0:1]
	v_cmp_gt_u64_e32 vcc, s[2:3], v[2:3]
	s_waitcnt lgkmcnt(0)
	v_cmp_ne_u32_e64 s[0:1], v4, v20
	v_cndmask_b32_e64 v54, 0, 1, s[8:9]
	v_cndmask_b32_e64 v55, 0, 1, s[10:11]
	;; [unrolled: 1-line block ×13, first 2 shown]
	s_and_b64 s[10:11], vcc, s[0:1]
	s_mov_b64 s[8:9], -1
.LBB669_51:
                                        ; implicit-def: $sgpr7
	v_mov_b32_e32 v68, s7
	s_and_saveexec_b64 s[0:1], s[8:9]
	s_cbranch_execnz .LBB669_56
	s_branch .LBB669_57
.LBB669_52:
                                        ; implicit-def: $sgpr10_sgpr11
                                        ; implicit-def: $vgpr54
                                        ; implicit-def: $vgpr55
                                        ; implicit-def: $vgpr56
                                        ; implicit-def: $vgpr57
                                        ; implicit-def: $vgpr58
                                        ; implicit-def: $vgpr59
                                        ; implicit-def: $vgpr60
                                        ; implicit-def: $vgpr61
                                        ; implicit-def: $vgpr62
                                        ; implicit-def: $vgpr63
                                        ; implicit-def: $vgpr64
                                        ; implicit-def: $vgpr65
                                        ; implicit-def: $vgpr66
                                        ; implicit-def: $vgpr67
	s_cbranch_execz .LBB669_51
; %bb.53:
	v_mad_u32_u24 v2, v0, 15, 14
	v_mov_b32_e32 v3, 0
	v_cmp_gt_u64_e32 vcc, s[2:3], v[2:3]
	v_cmp_ne_u32_e64 s[0:1], v9, v1
	s_and_b64 s[0:1], vcc, s[0:1]
	v_mad_u32_u24 v2, v0, 15, 13
	v_cndmask_b32_e64 v54, 0, 1, s[0:1]
	v_cmp_gt_u64_e32 vcc, s[2:3], v[2:3]
	v_cmp_ne_u32_e64 s[0:1], v8, v9
	s_and_b64 s[0:1], vcc, s[0:1]
	v_mad_u32_u24 v2, v0, 15, 12
	v_cndmask_b32_e64 v55, 0, 1, s[0:1]
	;; [unrolled: 5-line block ×13, first 2 shown]
	v_cmp_gt_u64_e32 vcc, s[2:3], v[2:3]
	v_cmp_ne_u32_e64 s[0:1], v20, v21
	s_and_b64 s[0:1], vcc, s[0:1]
	v_lshlrev_b32_e32 v4, 2, v0
	s_mov_b32 s7, 1
	v_cndmask_b32_e64 v67, 0, 1, s[0:1]
	v_cmp_ne_u32_e32 vcc, 0, v0
	ds_write_b32 v4, v1
	s_waitcnt lgkmcnt(0)
	s_barrier
	s_waitcnt lgkmcnt(0)
                                        ; implicit-def: $sgpr10_sgpr11
	s_and_saveexec_b64 s[12:13], vcc
	s_cbranch_execz .LBB669_152
; %bb.54:
	v_add_u32_e32 v2, -4, v4
	ds_read_b32 v4, v2
	v_mul_u32_u24_e32 v2, 15, v0
	v_cmp_gt_u64_e32 vcc, s[2:3], v[2:3]
	s_or_b64 s[8:9], s[8:9], exec
	s_waitcnt lgkmcnt(0)
	v_cmp_ne_u32_e64 s[0:1], v4, v20
	s_and_b64 s[0:1], vcc, s[0:1]
	s_and_b64 s[10:11], s[0:1], exec
	s_or_b64 exec, exec, s[12:13]
.LBB669_55:
	v_mov_b32_e32 v68, s7
	s_and_saveexec_b64 s[0:1], s[8:9]
.LBB669_56:
	v_cndmask_b32_e64 v68, 0, 1, s[10:11]
.LBB669_57:
	s_or_b64 exec, exec, s[0:1]
	s_load_dwordx4 s[40:43], s[4:5], 0x20
	s_load_dwordx2 s[44:45], s[4:5], 0x30
	s_cmp_eq_u64 s[38:39], 0
	v_add3_u32 v2, v67, v68, v66
	s_cselect_b64 s[38:39], -1, 0
	s_cmp_lg_u32 s6, 0
	v_cmp_eq_u32_e64 s[24:25], 0, v67
	v_cmp_eq_u32_e64 s[22:23], 0, v66
	;; [unrolled: 1-line block ×3, first 2 shown]
	v_add3_u32 v72, v2, v65, v64
	v_cmp_eq_u32_e64 s[18:19], 0, v64
	v_cmp_eq_u32_e64 s[16:17], 0, v63
	;; [unrolled: 1-line block ×10, first 2 shown]
	v_cmp_eq_u32_e32 vcc, 0, v54
	v_mbcnt_lo_u32_b32 v71, -1, 0
	v_lshrrev_b32_e32 v69, 6, v0
	v_or_b32_e32 v70, 63, v0
	s_cbranch_scc0 .LBB669_88
; %bb.58:
	v_cndmask_b32_e64 v2, 0, v52, s[24:25]
	v_add_u32_e32 v2, v2, v52
	v_cndmask_b32_e64 v2, 0, v2, s[22:23]
	v_add_u32_e32 v2, v2, v52
	v_cndmask_b32_e64 v2, 0, v2, s[20:21]
	v_add_u32_e32 v2, v2, v52
	v_cndmask_b32_e64 v2, 0, v2, s[18:19]
	v_add_u32_e32 v2, v2, v52
	v_cndmask_b32_e64 v2, 0, v2, s[16:17]
	v_add_u32_e32 v2, v2, v52
	v_cndmask_b32_e64 v2, 0, v2, s[14:15]
	v_add_u32_e32 v2, v2, v52
	v_cndmask_b32_e64 v2, 0, v2, s[12:13]
	v_add_u32_e32 v2, v2, v52
	v_cndmask_b32_e64 v2, 0, v2, s[10:11]
	v_add_u32_e32 v2, v2, v52
	v_cndmask_b32_e64 v2, 0, v2, s[8:9]
	v_add_u32_e32 v2, v2, v52
	v_cndmask_b32_e64 v2, 0, v2, s[28:29]
	v_add_u32_e32 v2, v2, v52
	v_cndmask_b32_e64 v2, 0, v2, s[4:5]
	v_add_u32_e32 v2, v2, v52
	v_cndmask_b32_e64 v2, 0, v2, s[2:3]
	v_add3_u32 v3, v72, v63, v62
	v_add_u32_e32 v2, v2, v52
	v_add3_u32 v3, v3, v61, v60
	v_cndmask_b32_e64 v2, 0, v2, s[0:1]
	v_add3_u32 v3, v3, v59, v58
	v_add_u32_e32 v2, v2, v52
	v_add3_u32 v3, v3, v57, v56
	v_cndmask_b32_e32 v2, 0, v2, vcc
	v_add3_u32 v3, v3, v55, v54
	v_add_u32_e32 v2, v2, v53
	v_mbcnt_hi_u32_b32 v25, -1, v71
	v_and_b32_e32 v4, 15, v25
	v_mov_b32_dpp v6, v2 row_shr:1 row_mask:0xf bank_mask:0xf
	v_cmp_eq_u32_e32 vcc, 0, v3
	v_mov_b32_dpp v5, v3 row_shr:1 row_mask:0xf bank_mask:0xf
	v_cndmask_b32_e32 v6, 0, v6, vcc
	v_cmp_eq_u32_e32 vcc, 0, v4
	v_cndmask_b32_e64 v5, v5, 0, vcc
	v_add_u32_e32 v3, v5, v3
	v_cndmask_b32_e64 v5, v6, 0, vcc
	v_add_u32_e32 v2, v5, v2
	v_cmp_eq_u32_e32 vcc, 0, v3
	v_mov_b32_dpp v5, v3 row_shr:2 row_mask:0xf bank_mask:0xf
	v_cmp_lt_u32_e64 s[26:27], 1, v4
	v_mov_b32_dpp v6, v2 row_shr:2 row_mask:0xf bank_mask:0xf
	v_cndmask_b32_e64 v5, 0, v5, s[26:27]
	s_and_b64 vcc, s[26:27], vcc
	v_cndmask_b32_e32 v6, 0, v6, vcc
	v_add_u32_e32 v3, v3, v5
	v_add_u32_e32 v2, v6, v2
	v_cmp_eq_u32_e32 vcc, 0, v3
	v_mov_b32_dpp v5, v3 row_shr:4 row_mask:0xf bank_mask:0xf
	v_cmp_lt_u32_e64 s[26:27], 3, v4
	v_mov_b32_dpp v6, v2 row_shr:4 row_mask:0xf bank_mask:0xf
	v_cndmask_b32_e64 v5, 0, v5, s[26:27]
	s_and_b64 vcc, s[26:27], vcc
	v_cndmask_b32_e32 v6, 0, v6, vcc
	v_add_u32_e32 v3, v5, v3
	v_add_u32_e32 v2, v2, v6
	v_cmp_eq_u32_e32 vcc, 0, v3
	v_cmp_lt_u32_e64 s[26:27], 7, v4
	v_mov_b32_dpp v5, v3 row_shr:8 row_mask:0xf bank_mask:0xf
	v_mov_b32_dpp v6, v2 row_shr:8 row_mask:0xf bank_mask:0xf
	s_and_b64 vcc, s[26:27], vcc
	v_cndmask_b32_e64 v4, 0, v5, s[26:27]
	v_cndmask_b32_e32 v5, 0, v6, vcc
	v_add_u32_e32 v2, v5, v2
	v_add_u32_e32 v3, v4, v3
	v_bfe_i32 v6, v25, 4, 1
	v_mov_b32_dpp v5, v2 row_bcast:15 row_mask:0xf bank_mask:0xf
	v_mov_b32_dpp v4, v3 row_bcast:15 row_mask:0xf bank_mask:0xf
	v_cmp_eq_u32_e32 vcc, 0, v3
	v_cndmask_b32_e32 v5, 0, v5, vcc
	v_and_b32_e32 v4, v6, v4
	v_add_u32_e32 v3, v4, v3
	v_and_b32_e32 v4, v6, v5
	v_add_u32_e32 v4, v4, v2
	v_mov_b32_dpp v2, v3 row_bcast:31 row_mask:0xf bank_mask:0xf
	v_cmp_eq_u32_e32 vcc, 0, v3
	v_cmp_lt_u32_e64 s[26:27], 31, v25
	v_mov_b32_dpp v5, v4 row_bcast:31 row_mask:0xf bank_mask:0xf
	v_cndmask_b32_e64 v2, 0, v2, s[26:27]
	s_and_b64 vcc, s[26:27], vcc
	v_add_u32_e32 v2, v2, v3
	v_cndmask_b32_e32 v3, 0, v5, vcc
	v_add_u32_e32 v3, v3, v4
	v_cmp_eq_u32_e32 vcc, v70, v0
	v_lshlrev_b32_e32 v4, 3, v69
	s_and_saveexec_b64 s[26:27], vcc
	s_cbranch_execz .LBB669_60
; %bb.59:
	ds_write_b64 v4, v[2:3] offset:2064
.LBB669_60:
	s_or_b64 exec, exec, s[26:27]
	v_cmp_gt_u32_e32 vcc, 4, v0
	s_waitcnt lgkmcnt(0)
	s_barrier
	s_and_saveexec_b64 s[30:31], vcc
	s_cbranch_execz .LBB669_62
; %bb.61:
	v_lshlrev_b32_e32 v5, 3, v0
	ds_read_b64 v[6:7], v5 offset:2064
	v_and_b32_e32 v22, 3, v25
	v_cmp_lt_u32_e64 s[26:27], 1, v22
	s_waitcnt lgkmcnt(0)
	v_mov_b32_dpp v24, v7 row_shr:1 row_mask:0xf bank_mask:0xf
	v_cmp_eq_u32_e32 vcc, 0, v6
	v_mov_b32_dpp v23, v6 row_shr:1 row_mask:0xf bank_mask:0xf
	v_cndmask_b32_e32 v24, 0, v24, vcc
	v_cmp_eq_u32_e32 vcc, 0, v22
	v_cndmask_b32_e64 v23, v23, 0, vcc
	v_add_u32_e32 v6, v23, v6
	v_cndmask_b32_e64 v23, v24, 0, vcc
	v_add_u32_e32 v7, v23, v7
	v_cmp_eq_u32_e32 vcc, 0, v6
	v_mov_b32_dpp v23, v6 row_shr:2 row_mask:0xf bank_mask:0xf
	v_mov_b32_dpp v24, v7 row_shr:2 row_mask:0xf bank_mask:0xf
	v_cndmask_b32_e64 v22, 0, v23, s[26:27]
	s_and_b64 vcc, s[26:27], vcc
	v_add_u32_e32 v6, v22, v6
	v_cndmask_b32_e32 v22, 0, v24, vcc
	v_add_u32_e32 v7, v22, v7
	ds_write_b64 v5, v[6:7] offset:2064
.LBB669_62:
	s_or_b64 exec, exec, s[30:31]
	v_cmp_gt_u32_e32 vcc, 64, v0
	v_cmp_lt_u32_e64 s[26:27], 63, v0
	v_mov_b32_e32 v22, 0
	v_mov_b32_e32 v23, 0
	s_waitcnt lgkmcnt(0)
	s_barrier
	s_and_saveexec_b64 s[30:31], s[26:27]
	s_cbranch_execz .LBB669_64
; %bb.63:
	ds_read_b64 v[22:23], v4 offset:2056
	v_cmp_eq_u32_e64 s[26:27], 0, v2
	s_waitcnt lgkmcnt(0)
	v_add_u32_e32 v4, v22, v2
	v_cndmask_b32_e64 v2, 0, v23, s[26:27]
	v_add_u32_e32 v3, v2, v3
	v_mov_b32_e32 v2, v4
.LBB669_64:
	s_or_b64 exec, exec, s[30:31]
	v_add_u32_e32 v4, -1, v25
	v_and_b32_e32 v5, 64, v25
	v_cmp_lt_i32_e64 s[26:27], v4, v5
	v_cndmask_b32_e64 v4, v4, v25, s[26:27]
	v_lshlrev_b32_e32 v4, 2, v4
	ds_bpermute_b32 v30, v4, v2
	ds_bpermute_b32 v31, v4, v3
	v_cmp_eq_u32_e64 s[26:27], 0, v25
	s_and_saveexec_b64 s[52:53], vcc
	s_cbranch_execz .LBB669_87
; %bb.65:
	v_mov_b32_e32 v7, 0
	ds_read_b64 v[2:3], v7 offset:2088
	s_waitcnt lgkmcnt(0)
	v_readfirstlane_b32 s7, v2
	v_readfirstlane_b32 s56, v3
	s_and_saveexec_b64 s[30:31], s[26:27]
	s_cbranch_execz .LBB669_67
; %bb.66:
	s_add_i32 s54, s6, 64
	s_mov_b32 s55, 0
	s_lshl_b64 s[58:59], s[54:55], 4
	s_add_u32 s58, s36, s58
	s_addc_u32 s59, s37, s59
	s_and_b32 s61, s56, 0xff000000
	s_mov_b32 s60, s55
	s_and_b32 s63, s56, 0xff0000
	s_mov_b32 s62, s55
	s_or_b64 s[60:61], s[62:63], s[60:61]
	s_and_b32 s63, s56, 0xff00
	s_or_b64 s[60:61], s[60:61], s[62:63]
	s_and_b32 s63, s56, 0xff
	s_or_b64 s[54:55], s[60:61], s[62:63]
	v_mov_b32_e32 v4, s7
	v_mov_b32_e32 v5, s55
	;; [unrolled: 1-line block ×3, first 2 shown]
	v_pk_mov_b32 v[2:3], s[58:59], s[58:59] op_sel:[0,1]
	;;#ASMSTART
	global_store_dwordx4 v[2:3], v[4:7] off	
s_waitcnt vmcnt(0)
	;;#ASMEND
.LBB669_67:
	s_or_b64 exec, exec, s[30:31]
	v_xad_u32 v24, v25, -1, s6
	v_add_u32_e32 v6, 64, v24
	v_lshlrev_b64 v[2:3], 4, v[6:7]
	v_mov_b32_e32 v4, s37
	v_add_co_u32_e32 v26, vcc, s36, v2
	v_addc_co_u32_e32 v27, vcc, v4, v3, vcc
	;;#ASMSTART
	global_load_dwordx4 v[2:5], v[26:27] off glc	
s_waitcnt vmcnt(0)
	;;#ASMEND
	v_and_b32_e32 v5, 0xff, v3
	v_and_b32_e32 v6, 0xff00, v3
	v_or3_b32 v5, 0, v5, v6
	v_or3_b32 v2, v2, 0, 0
	v_and_b32_e32 v6, 0xff000000, v3
	v_and_b32_e32 v3, 0xff0000, v3
	v_or3_b32 v3, v5, v3, v6
	v_or3_b32 v2, v2, 0, 0
	v_cmp_eq_u16_sdwa s[54:55], v4, v7 src0_sel:BYTE_0 src1_sel:DWORD
	s_and_saveexec_b64 s[30:31], s[54:55]
	s_cbranch_execz .LBB669_73
; %bb.68:
	s_mov_b32 s57, 1
	s_mov_b64 s[54:55], 0
	v_mov_b32_e32 v6, 0
.LBB669_69:                             ; =>This Loop Header: Depth=1
                                        ;     Child Loop BB669_70 Depth 2
	s_max_u32 s58, s57, 1
.LBB669_70:                             ;   Parent Loop BB669_69 Depth=1
                                        ; =>  This Inner Loop Header: Depth=2
	s_add_i32 s58, s58, -1
	s_cmp_eq_u32 s58, 0
	s_sleep 1
	s_cbranch_scc0 .LBB669_70
; %bb.71:                               ;   in Loop: Header=BB669_69 Depth=1
	s_cmp_lt_u32 s57, 32
	s_cselect_b64 s[58:59], -1, 0
	s_cmp_lg_u64 s[58:59], 0
	s_addc_u32 s57, s57, 0
	;;#ASMSTART
	global_load_dwordx4 v[2:5], v[26:27] off glc	
s_waitcnt vmcnt(0)
	;;#ASMEND
	v_cmp_ne_u16_sdwa s[58:59], v4, v6 src0_sel:BYTE_0 src1_sel:DWORD
	s_or_b64 s[54:55], s[58:59], s[54:55]
	s_andn2_b64 exec, exec, s[54:55]
	s_cbranch_execnz .LBB669_69
; %bb.72:
	s_or_b64 exec, exec, s[54:55]
.LBB669_73:
	s_or_b64 exec, exec, s[30:31]
	v_mov_b32_e32 v32, 2
	v_cmp_eq_u16_sdwa s[30:31], v4, v32 src0_sel:BYTE_0 src1_sel:DWORD
	v_lshlrev_b64 v[26:27], v25, -1
	v_and_b32_e32 v5, s31, v27
	v_and_b32_e32 v33, 63, v25
	v_or_b32_e32 v5, 0x80000000, v5
	v_cmp_ne_u32_e32 vcc, 63, v33
	v_and_b32_e32 v6, s30, v26
	v_ffbl_b32_e32 v5, v5
	v_addc_co_u32_e32 v7, vcc, 0, v25, vcc
	v_add_u32_e32 v5, 32, v5
	v_ffbl_b32_e32 v6, v6
	v_lshlrev_b32_e32 v34, 2, v7
	v_min_u32_e32 v5, v6, v5
	ds_bpermute_b32 v6, v34, v3
	v_cmp_eq_u32_e32 vcc, 0, v2
	v_cmp_lt_u32_e64 s[30:31], v33, v5
	ds_bpermute_b32 v7, v34, v2
	s_and_b64 vcc, s[30:31], vcc
	s_waitcnt lgkmcnt(1)
	v_cndmask_b32_e32 v6, 0, v6, vcc
	v_cmp_gt_u32_e32 vcc, 62, v33
	v_add_u32_e32 v3, v6, v3
	v_cndmask_b32_e64 v6, 0, 1, vcc
	v_lshlrev_b32_e32 v6, 1, v6
	v_add_lshl_u32 v35, v6, v25, 2
	s_waitcnt lgkmcnt(0)
	v_cndmask_b32_e64 v7, 0, v7, s[30:31]
	ds_bpermute_b32 v6, v35, v3
	v_add_u32_e32 v2, v7, v2
	ds_bpermute_b32 v7, v35, v2
	v_add_u32_e32 v36, 2, v33
	v_cmp_eq_u32_e32 vcc, 0, v2
	s_waitcnt lgkmcnt(1)
	v_cndmask_b32_e32 v6, 0, v6, vcc
	v_cmp_gt_u32_e32 vcc, v36, v5
	v_cndmask_b32_e64 v6, v6, 0, vcc
	v_add_u32_e32 v3, v6, v3
	s_waitcnt lgkmcnt(0)
	v_cndmask_b32_e64 v6, v7, 0, vcc
	v_cmp_gt_u32_e32 vcc, 60, v33
	v_cndmask_b32_e64 v7, 0, 1, vcc
	v_lshlrev_b32_e32 v7, 2, v7
	v_add_lshl_u32 v37, v7, v25, 2
	ds_bpermute_b32 v7, v37, v3
	v_add_u32_e32 v2, v2, v6
	ds_bpermute_b32 v6, v37, v2
	v_add_u32_e32 v38, 4, v33
	v_cmp_eq_u32_e32 vcc, 0, v2
	s_waitcnt lgkmcnt(1)
	v_cndmask_b32_e32 v7, 0, v7, vcc
	v_cmp_gt_u32_e32 vcc, v38, v5
	v_cndmask_b32_e64 v7, v7, 0, vcc
	s_waitcnt lgkmcnt(0)
	v_cndmask_b32_e64 v6, v6, 0, vcc
	v_cmp_gt_u32_e32 vcc, 56, v33
	v_add_u32_e32 v3, v3, v7
	v_cndmask_b32_e64 v7, 0, 1, vcc
	v_lshlrev_b32_e32 v7, 3, v7
	v_add_lshl_u32 v39, v7, v25, 2
	ds_bpermute_b32 v7, v39, v3
	v_add_u32_e32 v2, v2, v6
	ds_bpermute_b32 v6, v39, v2
	v_add_u32_e32 v40, 8, v33
	v_cmp_eq_u32_e32 vcc, 0, v2
	s_waitcnt lgkmcnt(1)
	v_cndmask_b32_e32 v7, 0, v7, vcc
	v_cmp_gt_u32_e32 vcc, v40, v5
	v_cndmask_b32_e64 v7, v7, 0, vcc
	s_waitcnt lgkmcnt(0)
	v_cndmask_b32_e64 v6, v6, 0, vcc
	v_cmp_gt_u32_e32 vcc, 48, v33
	v_add_u32_e32 v3, v3, v7
	v_cndmask_b32_e64 v7, 0, 1, vcc
	v_lshlrev_b32_e32 v7, 4, v7
	v_add_lshl_u32 v41, v7, v25, 2
	ds_bpermute_b32 v7, v41, v3
	v_add_u32_e32 v2, v2, v6
	ds_bpermute_b32 v6, v41, v2
	v_add_u32_e32 v42, 16, v33
	v_cmp_eq_u32_e32 vcc, 0, v2
	s_waitcnt lgkmcnt(1)
	v_cndmask_b32_e32 v7, 0, v7, vcc
	v_cmp_gt_u32_e32 vcc, v42, v5
	v_cndmask_b32_e64 v7, v7, 0, vcc
	s_waitcnt lgkmcnt(0)
	v_cndmask_b32_e64 v6, v6, 0, vcc
	v_cmp_gt_u32_e32 vcc, 32, v33
	v_add_u32_e32 v3, v3, v7
	v_cndmask_b32_e64 v7, 0, 1, vcc
	v_lshlrev_b32_e32 v7, 5, v7
	v_add_lshl_u32 v43, v7, v25, 2
	ds_bpermute_b32 v7, v43, v3
	v_add_u32_e32 v2, v2, v6
	ds_bpermute_b32 v6, v43, v2
	v_add_u32_e32 v44, 32, v33
	v_cmp_eq_u32_e32 vcc, 0, v2
	s_waitcnt lgkmcnt(1)
	v_cndmask_b32_e32 v7, 0, v7, vcc
	v_cmp_gt_u32_e32 vcc, v44, v5
	v_cndmask_b32_e64 v5, v7, 0, vcc
	v_add_u32_e32 v3, v5, v3
	s_waitcnt lgkmcnt(0)
	v_cndmask_b32_e64 v5, v6, 0, vcc
	v_add_u32_e32 v2, v5, v2
	v_mov_b32_e32 v25, 0
	s_branch .LBB669_75
.LBB669_74:                             ;   in Loop: Header=BB669_75 Depth=1
	s_or_b64 exec, exec, s[30:31]
	v_cmp_eq_u16_sdwa s[30:31], v4, v32 src0_sel:BYTE_0 src1_sel:DWORD
	v_and_b32_e32 v5, s31, v27
	v_or_b32_e32 v5, 0x80000000, v5
	v_and_b32_e32 v28, s30, v26
	v_ffbl_b32_e32 v5, v5
	v_add_u32_e32 v5, 32, v5
	v_ffbl_b32_e32 v28, v28
	v_min_u32_e32 v5, v28, v5
	ds_bpermute_b32 v28, v34, v3
	v_cmp_eq_u32_e32 vcc, 0, v2
	v_cmp_lt_u32_e64 s[30:31], v33, v5
	ds_bpermute_b32 v29, v34, v2
	s_and_b64 vcc, s[30:31], vcc
	s_waitcnt lgkmcnt(1)
	v_cndmask_b32_e32 v28, 0, v28, vcc
	v_add_u32_e32 v3, v28, v3
	ds_bpermute_b32 v28, v35, v3
	s_waitcnt lgkmcnt(1)
	v_cndmask_b32_e64 v29, 0, v29, s[30:31]
	v_add_u32_e32 v2, v29, v2
	v_cmp_eq_u32_e32 vcc, 0, v2
	ds_bpermute_b32 v29, v35, v2
	s_waitcnt lgkmcnt(1)
	v_cndmask_b32_e32 v28, 0, v28, vcc
	v_cmp_gt_u32_e32 vcc, v36, v5
	v_cndmask_b32_e64 v28, v28, 0, vcc
	v_add_u32_e32 v3, v28, v3
	ds_bpermute_b32 v28, v37, v3
	s_waitcnt lgkmcnt(1)
	v_cndmask_b32_e64 v29, v29, 0, vcc
	v_add_u32_e32 v2, v2, v29
	v_cmp_eq_u32_e32 vcc, 0, v2
	ds_bpermute_b32 v29, v37, v2
	s_waitcnt lgkmcnt(1)
	v_cndmask_b32_e32 v28, 0, v28, vcc
	v_cmp_gt_u32_e32 vcc, v38, v5
	v_cndmask_b32_e64 v28, v28, 0, vcc
	v_add_u32_e32 v3, v3, v28
	ds_bpermute_b32 v28, v39, v3
	s_waitcnt lgkmcnt(1)
	v_cndmask_b32_e64 v29, v29, 0, vcc
	v_add_u32_e32 v2, v2, v29
	ds_bpermute_b32 v29, v39, v2
	v_cmp_eq_u32_e32 vcc, 0, v2
	s_waitcnt lgkmcnt(1)
	v_cndmask_b32_e32 v28, 0, v28, vcc
	v_cmp_gt_u32_e32 vcc, v40, v5
	v_cndmask_b32_e64 v28, v28, 0, vcc
	v_add_u32_e32 v3, v3, v28
	ds_bpermute_b32 v28, v41, v3
	s_waitcnt lgkmcnt(1)
	v_cndmask_b32_e64 v29, v29, 0, vcc
	v_add_u32_e32 v2, v2, v29
	ds_bpermute_b32 v29, v41, v2
	v_cmp_eq_u32_e32 vcc, 0, v2
	;; [unrolled: 11-line block ×3, first 2 shown]
	s_waitcnt lgkmcnt(1)
	v_cndmask_b32_e32 v28, 0, v28, vcc
	v_cmp_gt_u32_e32 vcc, v44, v5
	v_cndmask_b32_e64 v5, v28, 0, vcc
	v_add_u32_e32 v3, v5, v3
	s_waitcnt lgkmcnt(0)
	v_cndmask_b32_e64 v5, v29, 0, vcc
	v_cmp_eq_u32_e32 vcc, 0, v6
	v_cndmask_b32_e32 v3, 0, v3, vcc
	v_subrev_u32_e32 v24, 64, v24
	v_add3_u32 v2, v2, v6, v5
	v_add_u32_e32 v3, v3, v7
.LBB669_75:                             ; =>This Loop Header: Depth=1
                                        ;     Child Loop BB669_78 Depth 2
                                        ;       Child Loop BB669_79 Depth 3
	v_cmp_ne_u16_sdwa s[30:31], v4, v32 src0_sel:BYTE_0 src1_sel:DWORD
	v_mov_b32_e32 v7, v3
	v_cndmask_b32_e64 v3, 0, 1, s[30:31]
	;;#ASMSTART
	;;#ASMEND
	v_cmp_ne_u32_e32 vcc, 0, v3
	s_cmp_lg_u64 vcc, exec
	v_mov_b32_e32 v6, v2
	s_cbranch_scc1 .LBB669_82
; %bb.76:                               ;   in Loop: Header=BB669_75 Depth=1
	v_lshlrev_b64 v[2:3], 4, v[24:25]
	v_mov_b32_e32 v4, s37
	v_add_co_u32_e32 v28, vcc, s36, v2
	v_addc_co_u32_e32 v29, vcc, v4, v3, vcc
	;;#ASMSTART
	global_load_dwordx4 v[2:5], v[28:29] off glc	
s_waitcnt vmcnt(0)
	;;#ASMEND
	v_and_b32_e32 v5, 0xff, v3
	v_and_b32_e32 v45, 0xff00, v3
	v_or3_b32 v5, 0, v5, v45
	v_or3_b32 v2, v2, 0, 0
	v_and_b32_e32 v45, 0xff000000, v3
	v_and_b32_e32 v3, 0xff0000, v3
	v_or3_b32 v3, v5, v3, v45
	v_or3_b32 v2, v2, 0, 0
	v_cmp_eq_u16_sdwa s[54:55], v4, v25 src0_sel:BYTE_0 src1_sel:DWORD
	s_and_saveexec_b64 s[30:31], s[54:55]
	s_cbranch_execz .LBB669_74
; %bb.77:                               ;   in Loop: Header=BB669_75 Depth=1
	s_mov_b32 s57, 1
	s_mov_b64 s[54:55], 0
.LBB669_78:                             ;   Parent Loop BB669_75 Depth=1
                                        ; =>  This Loop Header: Depth=2
                                        ;       Child Loop BB669_79 Depth 3
	s_max_u32 s58, s57, 1
.LBB669_79:                             ;   Parent Loop BB669_75 Depth=1
                                        ;     Parent Loop BB669_78 Depth=2
                                        ; =>    This Inner Loop Header: Depth=3
	s_add_i32 s58, s58, -1
	s_cmp_eq_u32 s58, 0
	s_sleep 1
	s_cbranch_scc0 .LBB669_79
; %bb.80:                               ;   in Loop: Header=BB669_78 Depth=2
	s_cmp_lt_u32 s57, 32
	s_cselect_b64 s[58:59], -1, 0
	s_cmp_lg_u64 s[58:59], 0
	s_addc_u32 s57, s57, 0
	;;#ASMSTART
	global_load_dwordx4 v[2:5], v[28:29] off glc	
s_waitcnt vmcnt(0)
	;;#ASMEND
	v_cmp_ne_u16_sdwa s[58:59], v4, v25 src0_sel:BYTE_0 src1_sel:DWORD
	s_or_b64 s[54:55], s[58:59], s[54:55]
	s_andn2_b64 exec, exec, s[54:55]
	s_cbranch_execnz .LBB669_78
; %bb.81:                               ;   in Loop: Header=BB669_75 Depth=1
	s_or_b64 exec, exec, s[54:55]
	s_branch .LBB669_74
.LBB669_82:                             ;   in Loop: Header=BB669_75 Depth=1
                                        ; implicit-def: $vgpr3
                                        ; implicit-def: $vgpr2
                                        ; implicit-def: $vgpr4
	s_cbranch_execz .LBB669_75
; %bb.83:
	s_and_saveexec_b64 s[30:31], s[26:27]
	s_cbranch_execz .LBB669_85
; %bb.84:
	s_cmp_eq_u32 s7, 0
	s_cselect_b64 vcc, -1, 0
	s_mov_b32 s55, 0
	v_cndmask_b32_e32 v2, 0, v7, vcc
	s_add_i32 s54, s6, 64
	v_add_u32_e32 v2, s56, v2
	s_lshl_b64 s[54:55], s[54:55], 4
	s_add_u32 s54, s36, s54
	v_and_b32_e32 v3, 0xff000000, v2
	v_and_b32_e32 v4, 0xff0000, v2
	s_addc_u32 s55, s37, s55
	v_or_b32_e32 v3, v4, v3
	v_and_b32_e32 v4, 0xff00, v2
	v_and_b32_e32 v2, 0xff, v2
	v_add_u32_e32 v24, s7, v6
	v_mov_b32_e32 v27, 0
	v_or3_b32 v25, v3, v4, v2
	v_mov_b32_e32 v26, 2
	v_pk_mov_b32 v[2:3], s[54:55], s[54:55] op_sel:[0,1]
	;;#ASMSTART
	global_store_dwordx4 v[2:3], v[24:27] off	
s_waitcnt vmcnt(0)
	;;#ASMEND
	v_mov_b32_e32 v4, s7
	v_mov_b32_e32 v5, s56
	ds_write_b128 v27, v[4:7] offset:2048
.LBB669_85:
	s_or_b64 exec, exec, s[30:31]
	v_cmp_eq_u32_e32 vcc, 0, v0
	s_and_b64 exec, exec, vcc
	s_cbranch_execz .LBB669_87
; %bb.86:
	v_mov_b32_e32 v2, 0
	ds_write_b64 v2, v[6:7] offset:2088
.LBB669_87:
	s_or_b64 exec, exec, s[52:53]
	v_mov_b32_e32 v4, 0
	s_waitcnt lgkmcnt(0)
	s_barrier
	ds_read_b64 v[2:3], v4 offset:2088
	v_cndmask_b32_e64 v6, v30, v22, s[26:27]
	v_cmp_eq_u32_e32 vcc, 0, v6
	v_cndmask_b32_e64 v5, v31, v23, s[26:27]
	s_waitcnt lgkmcnt(0)
	v_cndmask_b32_e32 v7, 0, v3, vcc
	v_add_u32_e32 v5, v7, v5
	v_cmp_eq_u32_e32 vcc, 0, v0
	v_cndmask_b32_e32 v51, v5, v3, vcc
	v_cndmask_b32_e64 v3, v6, 0, vcc
	v_cmp_eq_u32_e32 vcc, 0, v68
	v_add_u32_e32 v50, v2, v3
	v_cndmask_b32_e32 v2, 0, v51, vcc
	v_add_u32_e32 v49, v2, v52
	v_cndmask_b32_e64 v2, 0, v49, s[24:25]
	v_add_u32_e32 v47, v2, v52
	v_cndmask_b32_e64 v2, 0, v47, s[22:23]
	;; [unrolled: 2-line block ×8, first 2 shown]
	v_add_u32_e32 v48, v50, v68
	v_add_u32_e32 v33, v2, v52
	v_add_u32_e32 v46, v48, v67
	v_cndmask_b32_e64 v2, 0, v33, s[8:9]
	v_add_u32_e32 v44, v46, v66
	v_add_u32_e32 v31, v2, v52
	v_add_u32_e32 v42, v44, v65
	v_cndmask_b32_e64 v2, 0, v31, s[28:29]
	;; [unrolled: 4-line block ×3, first 2 shown]
	v_add_u32_e32 v36, v38, v62
	v_add_u32_e32 v27, v2, v52
	s_barrier
	ds_read_b128 v[2:5], v4 offset:2048
	v_add_u32_e32 v34, v36, v61
	v_add_u32_e32 v32, v34, v60
	;; [unrolled: 1-line block ×4, first 2 shown]
	v_cndmask_b32_e64 v6, 0, v27, s[2:3]
	v_add_u32_e32 v26, v28, v57
	v_add_u32_e32 v23, v6, v52
	s_waitcnt lgkmcnt(0)
	v_cmp_eq_u32_e32 vcc, 0, v2
	v_add_u32_e32 v22, v26, v56
	v_cndmask_b32_e64 v6, 0, v23, s[0:1]
	v_cndmask_b32_e32 v5, 0, v5, vcc
	v_add_u32_e32 v24, v22, v55
	v_add_u32_e32 v25, v6, v52
	;; [unrolled: 1-line block ×3, first 2 shown]
	s_branch .LBB669_100
.LBB669_88:
                                        ; implicit-def: $vgpr2
                                        ; implicit-def: $vgpr6
                                        ; implicit-def: $vgpr24_vgpr25
                                        ; implicit-def: $vgpr22_vgpr23
                                        ; implicit-def: $vgpr26_vgpr27
                                        ; implicit-def: $vgpr28_vgpr29
                                        ; implicit-def: $vgpr50_vgpr51
                                        ; implicit-def: $vgpr48_vgpr49
                                        ; implicit-def: $vgpr46_vgpr47
                                        ; implicit-def: $vgpr44_vgpr45
                                        ; implicit-def: $vgpr42_vgpr43
                                        ; implicit-def: $vgpr40_vgpr41
                                        ; implicit-def: $vgpr38_vgpr39
                                        ; implicit-def: $vgpr36_vgpr37
                                        ; implicit-def: $vgpr34_vgpr35
                                        ; implicit-def: $vgpr32_vgpr33
                                        ; implicit-def: $vgpr30_vgpr31
	s_cbranch_execz .LBB669_100
; %bb.89:
	s_and_b64 s[0:1], s[38:39], exec
	s_cselect_b32 s1, 0, s51
	s_cselect_b32 s0, 0, s50
	s_cmp_eq_u64 s[0:1], 0
	v_mov_b32_e32 v6, v52
	s_cbranch_scc1 .LBB669_91
; %bb.90:
	v_mov_b32_e32 v2, 0
	global_load_dword v6, v2, s[0:1]
.LBB669_91:
	v_cmp_eq_u32_e64 s[0:1], 0, v67
	v_cndmask_b32_e64 v2, 0, v52, s[0:1]
	v_add_u32_e32 v2, v2, v52
	v_cmp_eq_u32_e64 s[2:3], 0, v66
	v_cndmask_b32_e64 v2, 0, v2, s[2:3]
	v_add_u32_e32 v2, v2, v52
	v_cmp_eq_u32_e64 s[4:5], 0, v65
	v_cndmask_b32_e64 v2, 0, v2, s[4:5]
	v_add_u32_e32 v2, v2, v52
	v_cmp_eq_u32_e64 s[6:7], 0, v64
	v_cndmask_b32_e64 v2, 0, v2, s[6:7]
	v_add_u32_e32 v2, v2, v52
	v_cmp_eq_u32_e64 s[8:9], 0, v63
	v_cndmask_b32_e64 v2, 0, v2, s[8:9]
	v_add_u32_e32 v2, v2, v52
	v_cmp_eq_u32_e64 s[10:11], 0, v62
	v_cndmask_b32_e64 v2, 0, v2, s[10:11]
	v_add_u32_e32 v2, v2, v52
	v_cmp_eq_u32_e64 s[12:13], 0, v61
	v_cndmask_b32_e64 v2, 0, v2, s[12:13]
	v_add_u32_e32 v2, v2, v52
	v_cmp_eq_u32_e64 s[14:15], 0, v60
	v_cndmask_b32_e64 v2, 0, v2, s[14:15]
	v_add_u32_e32 v2, v2, v52
	v_cmp_eq_u32_e64 s[16:17], 0, v59
	v_cndmask_b32_e64 v2, 0, v2, s[16:17]
	v_add_u32_e32 v2, v2, v52
	v_cmp_eq_u32_e64 s[18:19], 0, v58
	v_cndmask_b32_e64 v2, 0, v2, s[18:19]
	v_add_u32_e32 v2, v2, v52
	v_cmp_eq_u32_e64 s[20:21], 0, v57
	v_cndmask_b32_e64 v2, 0, v2, s[20:21]
	v_add_u32_e32 v2, v2, v52
	v_cmp_eq_u32_e64 s[22:23], 0, v56
	v_cndmask_b32_e64 v2, 0, v2, s[22:23]
	v_add3_u32 v3, v72, v63, v62
	v_add_u32_e32 v2, v2, v52
	v_cmp_eq_u32_e32 vcc, 0, v55
	v_add3_u32 v3, v3, v61, v60
	v_cndmask_b32_e32 v2, 0, v2, vcc
	v_add3_u32 v3, v3, v59, v58
	v_add_u32_e32 v2, v2, v52
	v_cmp_eq_u32_e64 s[24:25], 0, v54
	v_add3_u32 v3, v3, v57, v56
	v_cndmask_b32_e64 v2, 0, v2, s[24:25]
	v_add3_u32 v3, v3, v55, v54
	v_add_u32_e32 v2, v2, v53
	v_mbcnt_hi_u32_b32 v7, -1, v71
	v_and_b32_e32 v4, 15, v7
	v_mov_b32_dpp v22, v2 row_shr:1 row_mask:0xf bank_mask:0xf
	v_cmp_eq_u32_e64 s[24:25], 0, v3
	v_mov_b32_dpp v5, v3 row_shr:1 row_mask:0xf bank_mask:0xf
	v_cndmask_b32_e64 v22, 0, v22, s[24:25]
	v_cmp_eq_u32_e64 s[24:25], 0, v4
	v_cndmask_b32_e64 v5, v5, 0, s[24:25]
	v_add_u32_e32 v3, v5, v3
	v_cndmask_b32_e64 v5, v22, 0, s[24:25]
	v_add_u32_e32 v2, v5, v2
	v_cmp_eq_u32_e64 s[24:25], 0, v3
	v_mov_b32_dpp v5, v3 row_shr:2 row_mask:0xf bank_mask:0xf
	v_cmp_lt_u32_e64 s[26:27], 1, v4
	v_mov_b32_dpp v22, v2 row_shr:2 row_mask:0xf bank_mask:0xf
	v_cndmask_b32_e64 v5, 0, v5, s[26:27]
	s_and_b64 s[24:25], s[26:27], s[24:25]
	v_cndmask_b32_e64 v22, 0, v22, s[24:25]
	v_add_u32_e32 v3, v3, v5
	v_add_u32_e32 v2, v22, v2
	v_cmp_eq_u32_e64 s[24:25], 0, v3
	v_mov_b32_dpp v5, v3 row_shr:4 row_mask:0xf bank_mask:0xf
	v_cmp_lt_u32_e64 s[26:27], 3, v4
	v_mov_b32_dpp v22, v2 row_shr:4 row_mask:0xf bank_mask:0xf
	v_cndmask_b32_e64 v5, 0, v5, s[26:27]
	s_and_b64 s[24:25], s[26:27], s[24:25]
	v_cndmask_b32_e64 v22, 0, v22, s[24:25]
	v_add_u32_e32 v3, v5, v3
	v_add_u32_e32 v2, v2, v22
	v_cmp_eq_u32_e64 s[24:25], 0, v3
	v_cmp_lt_u32_e64 s[26:27], 7, v4
	v_mov_b32_dpp v5, v3 row_shr:8 row_mask:0xf bank_mask:0xf
	v_mov_b32_dpp v22, v2 row_shr:8 row_mask:0xf bank_mask:0xf
	s_and_b64 s[24:25], s[26:27], s[24:25]
	v_cndmask_b32_e64 v4, 0, v5, s[26:27]
	v_cndmask_b32_e64 v5, 0, v22, s[24:25]
	v_add_u32_e32 v2, v5, v2
	v_add_u32_e32 v3, v4, v3
	v_bfe_i32 v22, v7, 4, 1
	v_mov_b32_dpp v5, v2 row_bcast:15 row_mask:0xf bank_mask:0xf
	v_mov_b32_dpp v4, v3 row_bcast:15 row_mask:0xf bank_mask:0xf
	v_cmp_eq_u32_e64 s[24:25], 0, v3
	v_cndmask_b32_e64 v5, 0, v5, s[24:25]
	v_and_b32_e32 v4, v22, v4
	v_add_u32_e32 v3, v4, v3
	v_and_b32_e32 v4, v22, v5
	v_add_u32_e32 v4, v4, v2
	v_mov_b32_dpp v2, v3 row_bcast:31 row_mask:0xf bank_mask:0xf
	v_cmp_eq_u32_e64 s[24:25], 0, v3
	v_cmp_lt_u32_e64 s[26:27], 31, v7
	v_mov_b32_dpp v5, v4 row_bcast:31 row_mask:0xf bank_mask:0xf
	v_cndmask_b32_e64 v2, 0, v2, s[26:27]
	s_and_b64 s[24:25], s[26:27], s[24:25]
	v_add_u32_e32 v2, v2, v3
	v_cndmask_b32_e64 v3, 0, v5, s[24:25]
	v_add_u32_e32 v3, v3, v4
	v_cmp_eq_u32_e64 s[24:25], v70, v0
	s_and_saveexec_b64 s[26:27], s[24:25]
	s_cbranch_execz .LBB669_93
; %bb.92:
	v_lshlrev_b32_e32 v4, 3, v69
	ds_write_b64 v4, v[2:3] offset:2064
.LBB669_93:
	s_or_b64 exec, exec, s[26:27]
	v_cmp_gt_u32_e64 s[24:25], 4, v0
	s_waitcnt lgkmcnt(0)
	s_barrier
	s_and_saveexec_b64 s[28:29], s[24:25]
	s_cbranch_execz .LBB669_95
; %bb.94:
	v_lshlrev_b32_e32 v22, 3, v0
	ds_read_b64 v[4:5], v22 offset:2064
	v_and_b32_e32 v23, 3, v7
	v_cmp_lt_u32_e64 s[26:27], 1, v23
	s_waitcnt lgkmcnt(0)
	v_mov_b32_dpp v25, v5 row_shr:1 row_mask:0xf bank_mask:0xf
	v_cmp_eq_u32_e64 s[24:25], 0, v4
	v_mov_b32_dpp v24, v4 row_shr:1 row_mask:0xf bank_mask:0xf
	v_cndmask_b32_e64 v25, 0, v25, s[24:25]
	v_cmp_eq_u32_e64 s[24:25], 0, v23
	v_cndmask_b32_e64 v24, v24, 0, s[24:25]
	v_add_u32_e32 v4, v24, v4
	v_cndmask_b32_e64 v24, v25, 0, s[24:25]
	v_add_u32_e32 v5, v24, v5
	v_cmp_eq_u32_e64 s[24:25], 0, v4
	v_mov_b32_dpp v24, v4 row_shr:2 row_mask:0xf bank_mask:0xf
	v_mov_b32_dpp v25, v5 row_shr:2 row_mask:0xf bank_mask:0xf
	v_cndmask_b32_e64 v23, 0, v24, s[26:27]
	s_and_b64 s[24:25], s[26:27], s[24:25]
	v_add_u32_e32 v4, v23, v4
	v_cndmask_b32_e64 v23, 0, v25, s[24:25]
	v_add_u32_e32 v5, v23, v5
	ds_write_b64 v22, v[4:5] offset:2064
.LBB669_95:
	s_or_b64 exec, exec, s[28:29]
	v_cmp_lt_u32_e64 s[24:25], 63, v0
	v_mov_b32_e32 v23, 0
	v_mov_b32_e32 v4, 0
	s_waitcnt vmcnt(0)
	v_mov_b32_e32 v5, v6
	s_waitcnt lgkmcnt(0)
	s_barrier
	s_and_saveexec_b64 s[26:27], s[24:25]
	s_cbranch_execz .LBB669_97
; %bb.96:
	v_lshlrev_b32_e32 v4, 3, v69
	ds_read_b64 v[4:5], v4 offset:2056
	s_waitcnt lgkmcnt(0)
	v_cmp_eq_u32_e64 s[24:25], 0, v4
	v_cndmask_b32_e64 v22, 0, v6, s[24:25]
	v_add_u32_e32 v5, v22, v5
.LBB669_97:
	s_or_b64 exec, exec, s[26:27]
	v_cmp_eq_u32_e64 s[24:25], 0, v2
	v_add_u32_e32 v22, v4, v2
	v_cndmask_b32_e64 v2, 0, v5, s[24:25]
	v_add_u32_e32 v2, v2, v3
	v_add_u32_e32 v3, -1, v7
	v_and_b32_e32 v24, 64, v7
	v_cmp_lt_i32_e64 s[24:25], v3, v24
	v_cndmask_b32_e64 v3, v3, v7, s[24:25]
	v_lshlrev_b32_e32 v3, 2, v3
	ds_bpermute_b32 v22, v3, v22
	ds_bpermute_b32 v2, v3, v2
	v_cmp_eq_u32_e64 s[24:25], 0, v7
	v_cmp_eq_u32_e64 s[26:27], 0, v68
	s_waitcnt lgkmcnt(1)
	v_cndmask_b32_e64 v3, v22, v4, s[24:25]
	s_waitcnt lgkmcnt(0)
	v_cndmask_b32_e64 v2, v2, v5, s[24:25]
	v_cmp_eq_u32_e64 s[24:25], 0, v0
	v_cndmask_b32_e64 v51, v2, v6, s[24:25]
	v_cndmask_b32_e64 v2, 0, v51, s[26:27]
	v_add_u32_e32 v49, v2, v52
	v_cndmask_b32_e64 v2, 0, v49, s[0:1]
	v_add_u32_e32 v47, v2, v52
	;; [unrolled: 2-line block ×8, first 2 shown]
	v_cndmask_b32_e64 v50, v3, 0, s[24:25]
	v_cndmask_b32_e64 v2, 0, v35, s[14:15]
	v_add_u32_e32 v48, v50, v68
	v_add_u32_e32 v33, v2, v52
	v_add_u32_e32 v46, v48, v67
	v_cndmask_b32_e64 v2, 0, v33, s[16:17]
	v_add_u32_e32 v44, v46, v66
	v_add_u32_e32 v31, v2, v52
	v_add_u32_e32 v42, v44, v65
	;; [unrolled: 4-line block ×3, first 2 shown]
	v_cndmask_b32_e64 v2, 0, v29, s[20:21]
	v_add_u32_e32 v36, v38, v62
	v_add_u32_e32 v27, v2, v52
	ds_read_b64 v[2:3], v23 offset:2088
	v_add_u32_e32 v34, v36, v61
	v_add_u32_e32 v32, v34, v60
	;; [unrolled: 1-line block ×3, first 2 shown]
	v_cndmask_b32_e64 v4, 0, v27, s[22:23]
	v_add_u32_e32 v28, v30, v58
	v_add_u32_e32 v23, v4, v52
	;; [unrolled: 1-line block ×3, first 2 shown]
	v_cndmask_b32_e32 v4, 0, v23, vcc
	s_waitcnt lgkmcnt(0)
	v_cmp_eq_u32_e32 vcc, 0, v2
	v_add_u32_e32 v22, v26, v56
	v_add_u32_e32 v25, v4, v52
	v_cndmask_b32_e32 v4, 0, v6, vcc
	v_add_u32_e32 v24, v22, v55
	v_add_u32_e32 v6, v4, v3
	s_and_saveexec_b64 s[0:1], s[24:25]
	s_cbranch_execz .LBB669_99
; %bb.98:
	s_add_u32 s2, s36, 0x400
	v_and_b32_e32 v3, 0xff000000, v6
	v_and_b32_e32 v4, 0xff0000, v6
	s_addc_u32 s3, s37, 0
	v_or_b32_e32 v3, v4, v3
	v_and_b32_e32 v4, 0xff00, v6
	v_and_b32_e32 v7, 0xff, v6
	v_mov_b32_e32 v5, 0
	v_or3_b32 v3, v3, v4, v7
	v_mov_b32_e32 v4, 2
	v_pk_mov_b32 v[52:53], s[2:3], s[2:3] op_sel:[0,1]
	;;#ASMSTART
	global_store_dwordx4 v[52:53], v[2:5] off	
s_waitcnt vmcnt(0)
	;;#ASMEND
.LBB669_99:
	s_or_b64 exec, exec, s[0:1]
	v_mov_b32_e32 v4, 0
.LBB669_100:
	s_and_b64 s[0:1], s[38:39], exec
	s_cselect_b32 s1, 0, s47
	s_cselect_b32 s0, 0, s46
	s_cmp_eq_u64 s[0:1], 0
	v_pk_mov_b32 v[52:53], 0, 0
	s_waitcnt lgkmcnt(0)
	s_barrier
	s_cbranch_scc1 .LBB669_102
; %bb.101:
	v_mov_b32_e32 v3, 0
	global_load_dwordx2 v[52:53], v3, s[0:1]
.LBB669_102:
	s_waitcnt vmcnt(0)
	v_lshlrev_b64 v[70:71], 2, v[52:53]
	v_mov_b32_e32 v3, s41
	v_add_co_u32_e32 v7, vcc, s40, v70
	v_mov_b32_e32 v5, 0
	v_addc_co_u32_e32 v69, vcc, v3, v71, vcc
	v_lshlrev_b64 v[70:71], 2, v[4:5]
	v_add_co_u32_e32 v3, vcc, v7, v70
	v_addc_co_u32_e32 v7, vcc, v69, v71, vcc
	v_cmp_eq_u32_e32 vcc, 0, v68
	v_cndmask_b32_e64 v69, 1, 2, vcc
	v_cmp_eq_u32_e32 vcc, 0, v67
	v_cndmask_b32_e64 v70, 1, 2, vcc
	v_cmp_eq_u32_e32 vcc, 0, v66
	v_and_b32_e32 v69, v70, v69
	v_cndmask_b32_e64 v70, 1, 2, vcc
	v_cmp_eq_u32_e32 vcc, 0, v65
	v_and_b32_e32 v69, v69, v70
	;; [unrolled: 3-line block ×13, first 2 shown]
	v_cndmask_b32_e64 v70, 1, 2, vcc
	s_movk_i32 s30, 0x100
	v_and_b32_e32 v69, v69, v70
	v_cmp_gt_u32_e32 vcc, s30, v2
	v_cmp_ne_u32_e64 s[28:29], 0, v68
	v_cmp_ne_u32_e64 s[26:27], 0, v67
	;; [unrolled: 1-line block ×15, first 2 shown]
	s_mov_b64 s[36:37], -1
	v_cmp_gt_i16_e64 s[30:31], 2, v69
	s_cbranch_vccz .LBB669_109
; %bb.103:
	s_and_saveexec_b64 s[36:37], s[30:31]
	s_cbranch_execz .LBB669_108
; %bb.104:
	v_cmp_ne_u16_e32 vcc, 1, v69
	s_mov_b64 s[38:39], 0
	s_and_saveexec_b64 s[30:31], vcc
	s_xor_b64 s[30:31], exec, s[30:31]
	s_cbranch_execnz .LBB669_153
; %bb.105:
	s_andn2_saveexec_b64 s[30:31], s[30:31]
	s_cbranch_execnz .LBB669_169
.LBB669_106:
	s_or_b64 exec, exec, s[30:31]
	s_and_b64 exec, exec, s[38:39]
	s_cbranch_execz .LBB669_108
.LBB669_107:
	v_sub_u32_e32 v70, v24, v4
	v_mov_b32_e32 v71, 0
	v_lshlrev_b64 v[70:71], 2, v[70:71]
	v_add_co_u32_e32 v70, vcc, v3, v70
	v_addc_co_u32_e32 v71, vcc, v7, v71, vcc
	global_store_dword v[70:71], v1, off
.LBB669_108:
	s_or_b64 exec, exec, s[36:37]
	s_mov_b64 s[36:37], 0
.LBB669_109:
	s_and_b64 vcc, exec, s[36:37]
	s_cbranch_vccz .LBB669_131
; %bb.110:
	v_cmp_gt_i16_e32 vcc, 2, v69
	s_and_saveexec_b64 s[30:31], vcc
	s_cbranch_execz .LBB669_115
; %bb.111:
	v_cmp_ne_u16_e32 vcc, 1, v69
	s_mov_b64 s[38:39], 0
	s_and_saveexec_b64 s[36:37], vcc
	s_xor_b64 s[36:37], exec, s[36:37]
	s_cbranch_execnz .LBB669_170
; %bb.112:
	s_andn2_saveexec_b64 s[0:1], s[36:37]
	s_cbranch_execnz .LBB669_186
.LBB669_113:
	s_or_b64 exec, exec, s[0:1]
	s_and_b64 exec, exec, s[38:39]
	s_cbranch_execz .LBB669_115
.LBB669_114:
	v_sub_u32_e32 v8, v24, v4
	v_lshlrev_b32_e32 v8, 2, v8
	ds_write_b32 v8, v1
.LBB669_115:
	s_or_b64 exec, exec, s[30:31]
	v_cmp_lt_u32_e32 vcc, v0, v2
	s_waitcnt lgkmcnt(0)
	s_barrier
	s_and_saveexec_b64 s[2:3], vcc
	s_cbranch_execz .LBB669_130
; %bb.116:
	v_xad_u32 v1, v0, -1, v2
	s_movk_i32 s0, 0x1700
	v_cmp_gt_u32_e64 s[4:5], s0, v1
	s_movk_i32 s0, 0x16ff
	v_cmp_lt_u32_e32 vcc, s0, v1
	v_mov_b32_e32 v8, v0
	s_and_saveexec_b64 s[6:7], vcc
	s_cbranch_execz .LBB669_127
; %bb.117:
	v_sub_u32_e32 v8, v0, v2
	v_or_b32_e32 v8, 0xff, v8
	v_cmp_ge_u32_e32 vcc, v8, v0
	s_mov_b64 s[0:1], -1
	v_mov_b32_e32 v8, v0
	s_and_saveexec_b64 s[8:9], vcc
	s_cbranch_execz .LBB669_126
; %bb.118:
	v_lshrrev_b32_e32 v12, 8, v1
	v_add_u32_e32 v8, -1, v12
	v_or_b32_e32 v1, 0x100, v0
	v_lshrrev_b32_e32 v9, 1, v8
	v_add_u32_e32 v13, 1, v9
	v_cmp_lt_u32_e32 vcc, 13, v8
	v_mov_b32_e32 v16, 0
	v_pk_mov_b32 v[8:9], v[0:1], v[0:1] op_sel:[0,1]
	s_and_saveexec_b64 s[10:11], vcc
	s_cbranch_execz .LBB669_122
; %bb.119:
	v_and_b32_e32 v14, -8, v13
	v_lshlrev_b32_e32 v15, 2, v0
	s_mov_b32 s14, 0
	s_mov_b64 s[12:13], 0
	v_mov_b32_e32 v11, 0
	v_pk_mov_b32 v[8:9], v[0:1], v[0:1] op_sel:[0,1]
.LBB669_120:                            ; =>This Inner Loop Header: Depth=1
	v_mov_b32_e32 v10, v8
	v_add_u32_e32 v14, -8, v14
	v_lshlrev_b64 v[94:95], 2, v[10:11]
	v_mov_b32_e32 v10, v9
	ds_read2st64_b32 v[18:19], v15 offset1:4
	s_add_i32 s14, s14, 16
	v_cmp_eq_u32_e32 vcc, 0, v14
	v_lshlrev_b64 v[98:99], 2, v[10:11]
	v_add_u32_e32 v10, 0x200, v8
	s_or_b64 s[12:13], vcc, s[12:13]
	v_add_co_u32_e32 v98, vcc, v3, v98
	v_add_u32_e32 v16, 0x200, v9
	ds_read2st64_b32 v[20:21], v15 offset0:8 offset1:12
	v_mov_b32_e32 v17, v11
	ds_read2st64_b32 v[72:73], v15 offset0:16 offset1:20
	v_add_co_u32_e64 v94, s[0:1], v3, v94
	v_addc_co_u32_e32 v99, vcc, v7, v99, vcc
	v_lshlrev_b64 v[100:101], 2, v[10:11]
	v_lshlrev_b64 v[96:97], 2, v[16:17]
	v_addc_co_u32_e64 v95, s[0:1], v7, v95, s[0:1]
	v_add_u32_e32 v10, 0x400, v8
	v_add_co_u32_e32 v100, vcc, v3, v100
	v_add_u32_e32 v70, 0x400, v9
	v_mov_b32_e32 v71, v11
	ds_read2st64_b32 v[76:77], v15 offset0:24 offset1:28
	v_add_co_u32_e64 v96, s[0:1], v3, v96
	v_addc_co_u32_e32 v101, vcc, v7, v101, vcc
	v_lshlrev_b64 v[102:103], 2, v[10:11]
	ds_read2st64_b32 v[80:81], v15 offset0:32 offset1:36
	ds_read2st64_b32 v[84:85], v15 offset0:40 offset1:44
	ds_read2st64_b32 v[88:89], v15 offset0:48 offset1:52
	ds_read2st64_b32 v[92:93], v15 offset0:56 offset1:60
	v_lshlrev_b64 v[70:71], 2, v[70:71]
	v_addc_co_u32_e64 v97, s[0:1], v7, v97, s[0:1]
	v_add_u32_e32 v10, 0x600, v8
	s_waitcnt lgkmcnt(7)
	global_store_dword v[94:95], v18, off
	global_store_dword v[98:99], v19, off
	s_waitcnt lgkmcnt(6)
	global_store_dword v[100:101], v20, off
	global_store_dword v[96:97], v21, off
	v_add_co_u32_e32 v18, vcc, v3, v102
	v_add_u32_e32 v74, 0x600, v9
	v_mov_b32_e32 v75, v11
	v_add_co_u32_e64 v70, s[0:1], v3, v70
	v_addc_co_u32_e32 v19, vcc, v7, v103, vcc
	v_lshlrev_b64 v[20:21], 2, v[10:11]
	v_lshlrev_b64 v[74:75], 2, v[74:75]
	v_addc_co_u32_e64 v71, s[0:1], v7, v71, s[0:1]
	v_add_u32_e32 v10, 0x800, v8
	s_waitcnt lgkmcnt(5)
	global_store_dword v[18:19], v72, off
	global_store_dword v[70:71], v73, off
	v_add_co_u32_e32 v18, vcc, v3, v20
	v_add_u32_e32 v78, 0x800, v9
	v_mov_b32_e32 v79, v11
	v_add_co_u32_e64 v74, s[0:1], v3, v74
	v_addc_co_u32_e32 v19, vcc, v7, v21, vcc
	v_lshlrev_b64 v[20:21], 2, v[10:11]
	v_lshlrev_b64 v[78:79], 2, v[78:79]
	v_addc_co_u32_e64 v75, s[0:1], v7, v75, s[0:1]
	v_add_u32_e32 v10, 0xa00, v8
	;; [unrolled: 12-line block ×4, first 2 shown]
	s_waitcnt lgkmcnt(2)
	global_store_dword v[18:19], v84, off
	global_store_dword v[82:83], v85, off
	v_add_co_u32_e32 v18, vcc, v3, v20
	v_add_u32_e32 v90, 0xe00, v9
	v_mov_b32_e32 v91, v11
	v_add_co_u32_e64 v86, s[0:1], v3, v86
	v_addc_co_u32_e32 v19, vcc, v7, v21, vcc
	v_lshlrev_b64 v[20:21], 2, v[10:11]
	v_lshlrev_b64 v[90:91], 2, v[90:91]
	v_addc_co_u32_e64 v87, s[0:1], v7, v87, s[0:1]
	s_waitcnt lgkmcnt(1)
	global_store_dword v[18:19], v88, off
	global_store_dword v[86:87], v89, off
	v_add_co_u32_e32 v18, vcc, v3, v20
	v_add_u32_e32 v15, 0x4000, v15
	v_add_u32_e32 v9, 0x1000, v9
	v_mov_b32_e32 v16, s14
	v_add_co_u32_e64 v90, s[0:1], v3, v90
	v_add_u32_e32 v8, 0x1000, v8
	v_addc_co_u32_e32 v19, vcc, v7, v21, vcc
	v_addc_co_u32_e64 v91, s[0:1], v7, v91, s[0:1]
	s_waitcnt lgkmcnt(0)
	global_store_dword v[18:19], v92, off
	global_store_dword v[90:91], v93, off
	s_andn2_b64 exec, exec, s[12:13]
	s_cbranch_execnz .LBB669_120
; %bb.121:
	s_or_b64 exec, exec, s[12:13]
.LBB669_122:
	s_or_b64 exec, exec, s[10:11]
	v_and_b32_e32 v1, 7, v13
	v_cmp_ne_u32_e32 vcc, 0, v1
	s_and_saveexec_b64 s[10:11], vcc
	s_cbranch_execz .LBB669_125
; %bb.123:
	v_lshlrev_b32_e32 v10, 2, v0
	v_lshl_or_b32 v13, v16, 10, v10
	s_mov_b64 s[12:13], 0
	v_mov_b32_e32 v11, 0
.LBB669_124:                            ; =>This Inner Loop Header: Depth=1
	ds_read2st64_b32 v[14:15], v13 offset1:4
	v_mov_b32_e32 v10, v8
	v_add_u32_e32 v1, -1, v1
	v_lshlrev_b64 v[16:17], 2, v[10:11]
	v_mov_b32_e32 v10, v9
	v_cmp_eq_u32_e32 vcc, 0, v1
	v_add_co_u32_e64 v16, s[0:1], v3, v16
	v_lshlrev_b64 v[18:19], 2, v[10:11]
	v_add_u32_e32 v8, 0x200, v8
	v_add_u32_e32 v13, 0x800, v13
	;; [unrolled: 1-line block ×3, first 2 shown]
	v_addc_co_u32_e64 v17, s[0:1], v7, v17, s[0:1]
	s_or_b64 s[12:13], vcc, s[12:13]
	v_add_co_u32_e32 v18, vcc, v3, v18
	v_addc_co_u32_e32 v19, vcc, v7, v19, vcc
	s_waitcnt lgkmcnt(0)
	global_store_dword v[16:17], v14, off
	global_store_dword v[18:19], v15, off
	s_andn2_b64 exec, exec, s[12:13]
	s_cbranch_execnz .LBB669_124
.LBB669_125:
	s_or_b64 exec, exec, s[10:11]
	v_add_u32_e32 v1, 1, v12
	v_and_b32_e32 v9, 0x1fffffe, v1
	v_cmp_ne_u32_e32 vcc, v1, v9
	v_lshl_or_b32 v8, v9, 8, v0
	s_orn2_b64 s[0:1], vcc, exec
.LBB669_126:
	s_or_b64 exec, exec, s[8:9]
	s_andn2_b64 s[4:5], s[4:5], exec
	s_and_b64 s[0:1], s[0:1], exec
	s_or_b64 s[4:5], s[4:5], s[0:1]
.LBB669_127:
	s_or_b64 exec, exec, s[6:7]
	s_and_b64 exec, exec, s[4:5]
	s_cbranch_execz .LBB669_130
; %bb.128:
	v_lshlrev_b32_e32 v1, 2, v8
	s_mov_b64 s[0:1], 0
	v_mov_b32_e32 v9, 0
.LBB669_129:                            ; =>This Inner Loop Header: Depth=1
	ds_read_b32 v12, v1
	v_lshlrev_b64 v[10:11], 2, v[8:9]
	v_add_co_u32_e32 v10, vcc, v3, v10
	v_add_u32_e32 v8, 0x100, v8
	v_addc_co_u32_e32 v11, vcc, v7, v11, vcc
	v_cmp_ge_u32_e32 vcc, v8, v2
	v_add_u32_e32 v1, 0x400, v1
	s_or_b64 s[0:1], vcc, s[0:1]
	s_waitcnt lgkmcnt(0)
	global_store_dword v[10:11], v12, off
	s_andn2_b64 exec, exec, s[0:1]
	s_cbranch_execnz .LBB669_129
.LBB669_130:
	s_or_b64 exec, exec, s[2:3]
.LBB669_131:
	s_cmpk_lg_i32 s33, 0xf00
	s_cselect_b64 s[0:1], -1, 0
	v_cndmask_b32_e64 v11, 0, 1, s[48:49]
	s_and_b64 s[0:1], s[34:35], s[0:1]
	v_cmp_eq_u32_e32 vcc, 0, v0
	v_sub_u32_e32 v1, v2, v11
	v_cndmask_b32_e64 v3, 0, 1, s[0:1]
	s_and_b64 s[0:1], vcc, s[48:49]
	v_add_u32_e32 v1, v1, v3
	v_cndmask_b32_e64 v3, v68, 0, s[0:1]
	s_mul_hi_u32 s0, s33, 0x88888889
	s_lshr_b32 s0, s0, 3
	v_mad_i32_i24 v7, v0, -15, s33
	v_cmp_eq_u32_e32 vcc, s0, v0
	v_cmp_ne_u32_e64 s[0:1], 0, v7
	v_cndmask_b32_e64 v8, 1, v3, s[0:1]
	v_cmp_ne_u32_e64 s[0:1], 1, v7
	v_cndmask_b32_e64 v9, 1, v67, s[0:1]
	;; [unrolled: 2-line block ×14, first 2 shown]
	v_cmp_ne_u32_e64 s[0:1], 14, v7
	s_and_b64 vcc, s[34:35], vcc
	v_cndmask_b32_e64 v7, 1, v54, s[0:1]
	v_cndmask_b32_e32 v20, v57, v20, vcc
	v_cndmask_b32_e32 v19, v58, v19, vcc
	;; [unrolled: 1-line block ×4, first 2 shown]
	v_lshlrev_b64 v[8:9], 3, v[52:53]
	v_cndmask_b32_e32 v54, v54, v7, vcc
	v_cndmask_b32_e32 v55, v55, v68, vcc
	;; [unrolled: 1-line block ×11, first 2 shown]
	v_mov_b32_e32 v3, s43
	v_add_co_u32_e32 v7, vcc, s42, v8
	v_addc_co_u32_e32 v3, vcc, v3, v9, vcc
	v_lshlrev_b64 v[8:9], 3, v[4:5]
	v_add_co_u32_e32 v5, vcc, v7, v8
	v_addc_co_u32_e32 v10, vcc, v3, v9, vcc
	v_lshlrev_b32_e32 v3, 3, v11
	v_add_co_u32_e32 v3, vcc, v3, v5
	v_addc_co_u32_e32 v7, vcc, 0, v10, vcc
	v_add_co_u32_e32 v3, vcc, -8, v3
	v_addc_co_u32_e32 v7, vcc, -1, v7, vcc
	v_cmp_eq_u32_e32 vcc, 0, v58
	v_cndmask_b32_e64 v9, 1, 2, vcc
	v_cmp_eq_u32_e32 vcc, 0, v57
	v_add_u32_e32 v8, v4, v11
	v_cndmask_b32_e64 v11, 1, 2, vcc
	v_cmp_eq_u32_e32 vcc, 0, v56
	v_and_b32_e32 v9, v11, v9
	v_cndmask_b32_e64 v11, 1, 2, vcc
	v_cmp_eq_u32_e32 vcc, 0, v12
	v_and_b32_e32 v9, v9, v11
	v_cndmask_b32_e64 v11, 1, 2, vcc
	v_cmp_eq_u32_e32 vcc, 0, v13
	v_and_b32_e32 v9, v9, v11
	v_cndmask_b32_e64 v11, 1, 2, vcc
	v_cmp_eq_u32_e32 vcc, 0, v14
	v_and_b32_e32 v9, v9, v11
	v_cndmask_b32_e64 v11, 1, 2, vcc
	v_cmp_eq_u32_e32 vcc, 0, v15
	v_and_b32_e32 v9, v9, v11
	v_cndmask_b32_e64 v11, 1, 2, vcc
	v_cmp_eq_u32_e32 vcc, 0, v16
	v_and_b32_e32 v9, v9, v11
	v_cndmask_b32_e64 v11, 1, 2, vcc
	v_cmp_eq_u32_e32 vcc, 0, v17
	v_and_b32_e32 v9, v9, v11
	v_cndmask_b32_e64 v11, 1, 2, vcc
	v_cmp_eq_u32_e32 vcc, 0, v18
	v_and_b32_e32 v9, v9, v11
	v_cndmask_b32_e64 v11, 1, 2, vcc
	v_cmp_eq_u32_e32 vcc, 0, v19
	v_and_b32_e32 v9, v9, v11
	v_cndmask_b32_e64 v11, 1, 2, vcc
	v_cmp_eq_u32_e32 vcc, 0, v20
	v_and_b32_e32 v9, v9, v11
	v_cndmask_b32_e64 v11, 1, 2, vcc
	v_cmp_eq_u32_e32 vcc, 0, v21
	v_and_b32_e32 v9, v9, v11
	v_cndmask_b32_e64 v11, 1, 2, vcc
	v_cmp_eq_u32_e32 vcc, 0, v55
	v_and_b32_e32 v9, v9, v11
	v_cndmask_b32_e64 v11, 1, 2, vcc
	v_cmp_eq_u32_e32 vcc, 0, v54
	v_and_b32_e32 v9, v9, v11
	v_cndmask_b32_e64 v11, 1, 2, vcc
	s_movk_i32 s30, 0x100
	v_and_b32_e32 v9, v9, v11
	v_cmp_gt_u32_e32 vcc, s30, v1
	v_cmp_ne_u32_e64 s[28:29], 0, v58
	v_cmp_ne_u32_e64 s[26:27], 0, v57
	;; [unrolled: 1-line block ×15, first 2 shown]
	s_mov_b64 s[36:37], -1
	v_cmp_gt_i16_e64 s[30:31], 2, v9
	s_barrier
	s_cbranch_vccz .LBB669_138
; %bb.132:
	s_and_saveexec_b64 s[36:37], s[30:31]
	s_cbranch_execz .LBB669_137
; %bb.133:
	v_cmp_ne_u16_e32 vcc, 1, v9
	s_mov_b64 s[38:39], 0
	s_and_saveexec_b64 s[30:31], vcc
	s_xor_b64 s[30:31], exec, s[30:31]
	s_cbranch_execnz .LBB669_187
; %bb.134:
	s_andn2_saveexec_b64 s[30:31], s[30:31]
	s_cbranch_execnz .LBB669_203
.LBB669_135:
	s_or_b64 exec, exec, s[30:31]
	s_and_b64 exec, exec, s[38:39]
	s_cbranch_execz .LBB669_137
.LBB669_136:
	v_mov_b32_e32 v13, 0
	v_sub_u32_e32 v14, v24, v8
	v_mov_b32_e32 v15, v13
	v_lshlrev_b64 v[14:15], 3, v[14:15]
	v_add_co_u32_e32 v14, vcc, v3, v14
	v_mov_b32_e32 v12, v25
	v_addc_co_u32_e32 v15, vcc, v7, v15, vcc
	global_store_dwordx2 v[14:15], v[12:13], off
.LBB669_137:
	s_or_b64 exec, exec, s[36:37]
	s_mov_b64 s[36:37], 0
.LBB669_138:
	s_and_b64 vcc, exec, s[36:37]
	s_cbranch_vccz .LBB669_148
; %bb.139:
	v_cmp_gt_i16_e32 vcc, 2, v9
	s_and_saveexec_b64 s[30:31], vcc
	s_cbranch_execz .LBB669_144
; %bb.140:
	v_cmp_ne_u16_e32 vcc, 1, v9
	s_mov_b64 s[38:39], 0
	s_and_saveexec_b64 s[36:37], vcc
	s_xor_b64 s[36:37], exec, s[36:37]
	s_cbranch_execnz .LBB669_204
; %bb.141:
	s_andn2_saveexec_b64 s[0:1], s[36:37]
	s_cbranch_execnz .LBB669_220
.LBB669_142:
	s_or_b64 exec, exec, s[0:1]
	s_and_b64 exec, exec, s[38:39]
	s_cbranch_execz .LBB669_144
.LBB669_143:
	v_sub_u32_e32 v8, v24, v8
	v_lshlrev_b32_e32 v8, 2, v8
	ds_write_b32 v8, v25
.LBB669_144:
	s_or_b64 exec, exec, s[30:31]
	v_cmp_lt_u32_e32 vcc, v0, v1
	s_waitcnt lgkmcnt(0)
	s_barrier
	s_and_saveexec_b64 s[0:1], vcc
	s_cbranch_execz .LBB669_147
; %bb.145:
	v_lshlrev_b32_e32 v11, 2, v0
	s_mov_b64 s[2:3], 0
	v_mov_b32_e32 v9, 0
	v_mov_b32_e32 v8, v0
.LBB669_146:                            ; =>This Inner Loop Header: Depth=1
	ds_read_b32 v12, v11
	v_lshlrev_b64 v[14:15], 3, v[8:9]
	v_add_co_u32_e32 v14, vcc, v3, v14
	v_add_u32_e32 v8, 0x100, v8
	v_addc_co_u32_e32 v15, vcc, v7, v15, vcc
	v_cmp_ge_u32_e32 vcc, v8, v1
	v_mov_b32_e32 v13, v9
	v_add_u32_e32 v11, 0x400, v11
	s_or_b64 s[2:3], vcc, s[2:3]
	s_waitcnt lgkmcnt(0)
	global_store_dwordx2 v[14:15], v[12:13], off
	s_andn2_b64 exec, exec, s[2:3]
	s_cbranch_execnz .LBB669_146
.LBB669_147:
	s_or_b64 exec, exec, s[0:1]
.LBB669_148:
	s_movk_i32 s0, 0xff
	v_cmp_eq_u32_e32 vcc, s0, v0
	s_and_b64 s[0:1], vcc, s[34:35]
	s_and_saveexec_b64 s[2:3], s[0:1]
	s_cbranch_execz .LBB669_151
; %bb.149:
	v_add_co_u32_e32 v0, vcc, v2, v4
	v_addc_co_u32_e64 v1, s[0:1], 0, 0, vcc
	v_add_co_u32_e32 v0, vcc, v0, v52
	v_mov_b32_e32 v3, 0
	v_addc_co_u32_e32 v1, vcc, v1, v53, vcc
	s_cmpk_lg_i32 s33, 0xf00
	global_store_dwordx2 v3, v[0:1], s[44:45]
	s_cbranch_scc1 .LBB669_151
; %bb.150:
	v_lshlrev_b64 v[0:1], 3, v[2:3]
	v_add_co_u32_e32 v0, vcc, v5, v0
	v_mov_b32_e32 v7, v3
	v_addc_co_u32_e32 v1, vcc, v10, v1, vcc
	global_store_dwordx2 v[0:1], v[6:7], off offset:-8
.LBB669_151:
	s_endpgm
.LBB669_152:
	s_or_b64 exec, exec, s[12:13]
	v_mov_b32_e32 v68, s7
	s_and_saveexec_b64 s[0:1], s[8:9]
	s_cbranch_execnz .LBB669_56
	s_branch .LBB669_57
.LBB669_153:
	s_and_saveexec_b64 s[38:39], s[28:29]
	s_cbranch_execnz .LBB669_221
; %bb.154:
	s_or_b64 exec, exec, s[38:39]
	s_and_saveexec_b64 s[38:39], s[26:27]
	s_cbranch_execnz .LBB669_222
.LBB669_155:
	s_or_b64 exec, exec, s[38:39]
	s_and_saveexec_b64 s[38:39], s[24:25]
	s_cbranch_execnz .LBB669_223
.LBB669_156:
	s_or_b64 exec, exec, s[38:39]
	s_and_saveexec_b64 s[38:39], s[22:23]
	s_cbranch_execnz .LBB669_224
.LBB669_157:
	s_or_b64 exec, exec, s[38:39]
	s_and_saveexec_b64 s[38:39], s[20:21]
	s_cbranch_execnz .LBB669_225
.LBB669_158:
	s_or_b64 exec, exec, s[38:39]
	s_and_saveexec_b64 s[38:39], s[18:19]
	s_cbranch_execnz .LBB669_226
.LBB669_159:
	s_or_b64 exec, exec, s[38:39]
	s_and_saveexec_b64 s[38:39], s[16:17]
	s_cbranch_execnz .LBB669_227
.LBB669_160:
	s_or_b64 exec, exec, s[38:39]
	s_and_saveexec_b64 s[38:39], s[14:15]
	s_cbranch_execnz .LBB669_228
.LBB669_161:
	s_or_b64 exec, exec, s[38:39]
	s_and_saveexec_b64 s[38:39], s[12:13]
	s_cbranch_execnz .LBB669_229
.LBB669_162:
	s_or_b64 exec, exec, s[38:39]
	s_and_saveexec_b64 s[38:39], s[10:11]
	s_cbranch_execnz .LBB669_230
.LBB669_163:
	s_or_b64 exec, exec, s[38:39]
	s_and_saveexec_b64 s[38:39], s[8:9]
	s_cbranch_execnz .LBB669_231
.LBB669_164:
	s_or_b64 exec, exec, s[38:39]
	s_and_saveexec_b64 s[38:39], s[6:7]
	s_cbranch_execnz .LBB669_232
.LBB669_165:
	s_or_b64 exec, exec, s[38:39]
	s_and_saveexec_b64 s[38:39], s[4:5]
	s_cbranch_execnz .LBB669_233
.LBB669_166:
	s_or_b64 exec, exec, s[38:39]
	s_and_saveexec_b64 s[38:39], s[2:3]
	s_cbranch_execz .LBB669_168
.LBB669_167:
	v_sub_u32_e32 v70, v22, v4
	v_mov_b32_e32 v71, 0
	v_lshlrev_b64 v[70:71], 2, v[70:71]
	v_add_co_u32_e32 v70, vcc, v3, v70
	v_addc_co_u32_e32 v71, vcc, v7, v71, vcc
	global_store_dword v[70:71], v9, off
.LBB669_168:
	s_or_b64 exec, exec, s[38:39]
	s_and_b64 s[38:39], s[0:1], exec
	s_andn2_saveexec_b64 s[30:31], s[30:31]
	s_cbranch_execz .LBB669_106
.LBB669_169:
	v_sub_u32_e32 v70, v50, v4
	v_mov_b32_e32 v71, 0
	v_lshlrev_b64 v[72:73], 2, v[70:71]
	v_add_co_u32_e32 v72, vcc, v3, v72
	v_addc_co_u32_e32 v73, vcc, v7, v73, vcc
	v_sub_u32_e32 v70, v48, v4
	global_store_dword v[72:73], v20, off
	v_lshlrev_b64 v[72:73], 2, v[70:71]
	v_add_co_u32_e32 v72, vcc, v3, v72
	v_addc_co_u32_e32 v73, vcc, v7, v73, vcc
	v_sub_u32_e32 v70, v46, v4
	global_store_dword v[72:73], v21, off
	;; [unrolled: 5-line block ×12, first 2 shown]
	v_lshlrev_b64 v[72:73], 2, v[70:71]
	v_add_co_u32_e32 v72, vcc, v3, v72
	v_sub_u32_e32 v70, v22, v4
	v_addc_co_u32_e32 v73, vcc, v7, v73, vcc
	v_lshlrev_b64 v[70:71], 2, v[70:71]
	v_add_co_u32_e32 v70, vcc, v3, v70
	v_addc_co_u32_e32 v71, vcc, v7, v71, vcc
	s_or_b64 s[38:39], s[38:39], exec
	global_store_dword v[72:73], v8, off
	global_store_dword v[70:71], v9, off
	s_or_b64 exec, exec, s[30:31]
	s_and_b64 exec, exec, s[38:39]
	s_cbranch_execnz .LBB669_107
	s_branch .LBB669_108
.LBB669_170:
	s_and_saveexec_b64 s[38:39], s[28:29]
	s_cbranch_execnz .LBB669_234
; %bb.171:
	s_or_b64 exec, exec, s[38:39]
	s_and_saveexec_b64 s[28:29], s[26:27]
	s_cbranch_execnz .LBB669_235
.LBB669_172:
	s_or_b64 exec, exec, s[28:29]
	s_and_saveexec_b64 s[26:27], s[24:25]
	s_cbranch_execnz .LBB669_236
.LBB669_173:
	s_or_b64 exec, exec, s[26:27]
	s_and_saveexec_b64 s[24:25], s[22:23]
	s_cbranch_execnz .LBB669_237
.LBB669_174:
	s_or_b64 exec, exec, s[24:25]
	s_and_saveexec_b64 s[22:23], s[20:21]
	s_cbranch_execnz .LBB669_238
.LBB669_175:
	s_or_b64 exec, exec, s[22:23]
	s_and_saveexec_b64 s[20:21], s[18:19]
	s_cbranch_execnz .LBB669_239
.LBB669_176:
	s_or_b64 exec, exec, s[20:21]
	s_and_saveexec_b64 s[18:19], s[16:17]
	s_cbranch_execnz .LBB669_240
.LBB669_177:
	s_or_b64 exec, exec, s[18:19]
	s_and_saveexec_b64 s[16:17], s[14:15]
	s_cbranch_execnz .LBB669_241
.LBB669_178:
	s_or_b64 exec, exec, s[16:17]
	s_and_saveexec_b64 s[14:15], s[12:13]
	s_cbranch_execnz .LBB669_242
.LBB669_179:
	s_or_b64 exec, exec, s[14:15]
	s_and_saveexec_b64 s[12:13], s[10:11]
	s_cbranch_execnz .LBB669_243
.LBB669_180:
	s_or_b64 exec, exec, s[12:13]
	s_and_saveexec_b64 s[10:11], s[8:9]
	s_cbranch_execnz .LBB669_244
.LBB669_181:
	s_or_b64 exec, exec, s[10:11]
	s_and_saveexec_b64 s[8:9], s[6:7]
	s_cbranch_execnz .LBB669_245
.LBB669_182:
	s_or_b64 exec, exec, s[8:9]
	s_and_saveexec_b64 s[6:7], s[4:5]
	s_cbranch_execnz .LBB669_246
.LBB669_183:
	s_or_b64 exec, exec, s[6:7]
	s_and_saveexec_b64 s[4:5], s[2:3]
	s_cbranch_execz .LBB669_185
.LBB669_184:
	v_sub_u32_e32 v8, v22, v4
	v_lshlrev_b32_e32 v8, 2, v8
	ds_write_b32 v8, v9
.LBB669_185:
	s_or_b64 exec, exec, s[4:5]
	s_and_b64 s[38:39], s[0:1], exec
                                        ; implicit-def: $vgpr9
                                        ; implicit-def: $vgpr11
                                        ; implicit-def: $vgpr13
                                        ; implicit-def: $vgpr15
                                        ; implicit-def: $vgpr17
                                        ; implicit-def: $vgpr19
                                        ; implicit-def: $vgpr21
	s_andn2_saveexec_b64 s[0:1], s[36:37]
	s_cbranch_execz .LBB669_113
.LBB669_186:
	v_sub_u32_e32 v69, v50, v4
	v_lshlrev_b32_e32 v69, 2, v69
	ds_write_b32 v69, v20
	v_sub_u32_e32 v20, v48, v4
	v_lshlrev_b32_e32 v20, 2, v20
	ds_write_b32 v20, v21
	;; [unrolled: 3-line block ×13, first 2 shown]
	v_sub_u32_e32 v8, v22, v4
	v_lshlrev_b32_e32 v8, 2, v8
	s_or_b64 s[38:39], s[38:39], exec
	ds_write_b32 v8, v9
	s_or_b64 exec, exec, s[0:1]
	s_and_b64 exec, exec, s[38:39]
	s_cbranch_execnz .LBB669_114
	s_branch .LBB669_115
.LBB669_187:
	s_and_saveexec_b64 s[38:39], s[28:29]
	s_cbranch_execnz .LBB669_247
; %bb.188:
	s_or_b64 exec, exec, s[38:39]
	s_and_saveexec_b64 s[38:39], s[26:27]
	s_cbranch_execnz .LBB669_248
.LBB669_189:
	s_or_b64 exec, exec, s[38:39]
	s_and_saveexec_b64 s[38:39], s[24:25]
	s_cbranch_execnz .LBB669_249
.LBB669_190:
	s_or_b64 exec, exec, s[38:39]
	s_and_saveexec_b64 s[38:39], s[22:23]
	s_cbranch_execnz .LBB669_250
.LBB669_191:
	s_or_b64 exec, exec, s[38:39]
	s_and_saveexec_b64 s[38:39], s[20:21]
	s_cbranch_execnz .LBB669_251
.LBB669_192:
	s_or_b64 exec, exec, s[38:39]
	s_and_saveexec_b64 s[38:39], s[18:19]
	s_cbranch_execnz .LBB669_252
.LBB669_193:
	s_or_b64 exec, exec, s[38:39]
	s_and_saveexec_b64 s[38:39], s[16:17]
	s_cbranch_execnz .LBB669_253
.LBB669_194:
	s_or_b64 exec, exec, s[38:39]
	s_and_saveexec_b64 s[38:39], s[14:15]
	s_cbranch_execnz .LBB669_254
.LBB669_195:
	s_or_b64 exec, exec, s[38:39]
	s_and_saveexec_b64 s[38:39], s[12:13]
	s_cbranch_execnz .LBB669_255
.LBB669_196:
	s_or_b64 exec, exec, s[38:39]
	s_and_saveexec_b64 s[38:39], s[10:11]
	s_cbranch_execnz .LBB669_256
.LBB669_197:
	s_or_b64 exec, exec, s[38:39]
	s_and_saveexec_b64 s[38:39], s[8:9]
	s_cbranch_execnz .LBB669_257
.LBB669_198:
	s_or_b64 exec, exec, s[38:39]
	s_and_saveexec_b64 s[38:39], s[6:7]
	s_cbranch_execnz .LBB669_258
.LBB669_199:
	s_or_b64 exec, exec, s[38:39]
	s_and_saveexec_b64 s[38:39], s[4:5]
	s_cbranch_execnz .LBB669_259
.LBB669_200:
	s_or_b64 exec, exec, s[38:39]
	s_and_saveexec_b64 s[38:39], s[2:3]
	s_cbranch_execz .LBB669_202
.LBB669_201:
	v_sub_u32_e32 v12, v22, v8
	v_mov_b32_e32 v13, 0
	v_lshlrev_b64 v[14:15], 3, v[12:13]
	v_add_co_u32_e32 v14, vcc, v3, v14
	v_addc_co_u32_e32 v15, vcc, v7, v15, vcc
	v_mov_b32_e32 v12, v23
	global_store_dwordx2 v[14:15], v[12:13], off
.LBB669_202:
	s_or_b64 exec, exec, s[38:39]
	s_and_b64 s[38:39], s[0:1], exec
	s_andn2_saveexec_b64 s[30:31], s[30:31]
	s_cbranch_execz .LBB669_135
.LBB669_203:
	v_mov_b32_e32 v13, 0
	v_sub_u32_e32 v14, v50, v8
	v_mov_b32_e32 v15, v13
	v_lshlrev_b64 v[14:15], 3, v[14:15]
	v_add_co_u32_e32 v14, vcc, v3, v14
	v_mov_b32_e32 v12, v51
	v_addc_co_u32_e32 v15, vcc, v7, v15, vcc
	global_store_dwordx2 v[14:15], v[12:13], off
	v_sub_u32_e32 v14, v48, v8
	v_mov_b32_e32 v15, v13
	v_lshlrev_b64 v[14:15], 3, v[14:15]
	v_add_co_u32_e32 v14, vcc, v3, v14
	v_mov_b32_e32 v12, v49
	v_addc_co_u32_e32 v15, vcc, v7, v15, vcc
	global_store_dwordx2 v[14:15], v[12:13], off
	;; [unrolled: 7-line block ×13, first 2 shown]
	v_sub_u32_e32 v14, v22, v8
	v_mov_b32_e32 v15, v13
	v_lshlrev_b64 v[14:15], 3, v[14:15]
	v_add_co_u32_e32 v14, vcc, v3, v14
	v_mov_b32_e32 v12, v23
	v_addc_co_u32_e32 v15, vcc, v7, v15, vcc
	s_or_b64 s[38:39], s[38:39], exec
	global_store_dwordx2 v[14:15], v[12:13], off
	s_or_b64 exec, exec, s[30:31]
	s_and_b64 exec, exec, s[38:39]
	s_cbranch_execnz .LBB669_136
	s_branch .LBB669_137
.LBB669_204:
	s_and_saveexec_b64 s[38:39], s[28:29]
	s_cbranch_execnz .LBB669_260
; %bb.205:
	s_or_b64 exec, exec, s[38:39]
	s_and_saveexec_b64 s[28:29], s[26:27]
	s_cbranch_execnz .LBB669_261
.LBB669_206:
	s_or_b64 exec, exec, s[28:29]
	s_and_saveexec_b64 s[26:27], s[24:25]
	s_cbranch_execnz .LBB669_262
.LBB669_207:
	s_or_b64 exec, exec, s[26:27]
	s_and_saveexec_b64 s[24:25], s[22:23]
	s_cbranch_execnz .LBB669_263
.LBB669_208:
	s_or_b64 exec, exec, s[24:25]
	s_and_saveexec_b64 s[22:23], s[20:21]
	s_cbranch_execnz .LBB669_264
.LBB669_209:
	s_or_b64 exec, exec, s[22:23]
	s_and_saveexec_b64 s[20:21], s[18:19]
	s_cbranch_execnz .LBB669_265
.LBB669_210:
	s_or_b64 exec, exec, s[20:21]
	s_and_saveexec_b64 s[18:19], s[16:17]
	s_cbranch_execnz .LBB669_266
.LBB669_211:
	s_or_b64 exec, exec, s[18:19]
	s_and_saveexec_b64 s[16:17], s[14:15]
	s_cbranch_execnz .LBB669_267
.LBB669_212:
	s_or_b64 exec, exec, s[16:17]
	s_and_saveexec_b64 s[14:15], s[12:13]
	s_cbranch_execnz .LBB669_268
.LBB669_213:
	s_or_b64 exec, exec, s[14:15]
	s_and_saveexec_b64 s[12:13], s[10:11]
	s_cbranch_execnz .LBB669_269
.LBB669_214:
	s_or_b64 exec, exec, s[12:13]
	s_and_saveexec_b64 s[10:11], s[8:9]
	s_cbranch_execnz .LBB669_270
.LBB669_215:
	s_or_b64 exec, exec, s[10:11]
	s_and_saveexec_b64 s[8:9], s[6:7]
	s_cbranch_execnz .LBB669_271
.LBB669_216:
	s_or_b64 exec, exec, s[8:9]
	s_and_saveexec_b64 s[6:7], s[4:5]
	s_cbranch_execnz .LBB669_272
.LBB669_217:
	s_or_b64 exec, exec, s[6:7]
	s_and_saveexec_b64 s[4:5], s[2:3]
	s_cbranch_execz .LBB669_219
.LBB669_218:
	v_sub_u32_e32 v9, v22, v8
	v_lshlrev_b32_e32 v9, 2, v9
	ds_write_b32 v9, v23
.LBB669_219:
	s_or_b64 exec, exec, s[4:5]
	s_and_b64 s[38:39], s[0:1], exec
                                        ; implicit-def: $vgpr22_vgpr23
                                        ; implicit-def: $vgpr26_vgpr27
                                        ; implicit-def: $vgpr28_vgpr29
                                        ; implicit-def: $vgpr50_vgpr51
                                        ; implicit-def: $vgpr48_vgpr49
                                        ; implicit-def: $vgpr46_vgpr47
                                        ; implicit-def: $vgpr44_vgpr45
                                        ; implicit-def: $vgpr42_vgpr43
                                        ; implicit-def: $vgpr40_vgpr41
                                        ; implicit-def: $vgpr38_vgpr39
                                        ; implicit-def: $vgpr36_vgpr37
                                        ; implicit-def: $vgpr34_vgpr35
                                        ; implicit-def: $vgpr32_vgpr33
                                        ; implicit-def: $vgpr30_vgpr31
	s_andn2_saveexec_b64 s[0:1], s[36:37]
	s_cbranch_execz .LBB669_142
.LBB669_220:
	v_sub_u32_e32 v9, v50, v8
	v_lshlrev_b32_e32 v9, 2, v9
	ds_write_b32 v9, v51
	v_sub_u32_e32 v9, v48, v8
	v_lshlrev_b32_e32 v9, 2, v9
	ds_write_b32 v9, v49
	;; [unrolled: 3-line block ×13, first 2 shown]
	v_sub_u32_e32 v9, v22, v8
	v_lshlrev_b32_e32 v9, 2, v9
	s_or_b64 s[38:39], s[38:39], exec
	ds_write_b32 v9, v23
	s_or_b64 exec, exec, s[0:1]
	s_and_b64 exec, exec, s[38:39]
	s_cbranch_execnz .LBB669_143
	s_branch .LBB669_144
.LBB669_221:
	v_sub_u32_e32 v70, v50, v4
	v_mov_b32_e32 v71, 0
	v_lshlrev_b64 v[70:71], 2, v[70:71]
	v_add_co_u32_e32 v70, vcc, v3, v70
	v_addc_co_u32_e32 v71, vcc, v7, v71, vcc
	global_store_dword v[70:71], v20, off
	s_or_b64 exec, exec, s[38:39]
	s_and_saveexec_b64 s[38:39], s[26:27]
	s_cbranch_execz .LBB669_155
.LBB669_222:
	v_sub_u32_e32 v70, v48, v4
	v_mov_b32_e32 v71, 0
	v_lshlrev_b64 v[70:71], 2, v[70:71]
	v_add_co_u32_e32 v70, vcc, v3, v70
	v_addc_co_u32_e32 v71, vcc, v7, v71, vcc
	global_store_dword v[70:71], v21, off
	s_or_b64 exec, exec, s[38:39]
	s_and_saveexec_b64 s[38:39], s[24:25]
	s_cbranch_execz .LBB669_156
.LBB669_223:
	v_sub_u32_e32 v70, v46, v4
	v_mov_b32_e32 v71, 0
	v_lshlrev_b64 v[70:71], 2, v[70:71]
	v_add_co_u32_e32 v70, vcc, v3, v70
	v_addc_co_u32_e32 v71, vcc, v7, v71, vcc
	global_store_dword v[70:71], v18, off
	s_or_b64 exec, exec, s[38:39]
	s_and_saveexec_b64 s[38:39], s[22:23]
	s_cbranch_execz .LBB669_157
.LBB669_224:
	v_sub_u32_e32 v70, v44, v4
	v_mov_b32_e32 v71, 0
	v_lshlrev_b64 v[70:71], 2, v[70:71]
	v_add_co_u32_e32 v70, vcc, v3, v70
	v_addc_co_u32_e32 v71, vcc, v7, v71, vcc
	global_store_dword v[70:71], v19, off
	s_or_b64 exec, exec, s[38:39]
	s_and_saveexec_b64 s[38:39], s[20:21]
	s_cbranch_execz .LBB669_158
.LBB669_225:
	v_sub_u32_e32 v70, v42, v4
	v_mov_b32_e32 v71, 0
	v_lshlrev_b64 v[70:71], 2, v[70:71]
	v_add_co_u32_e32 v70, vcc, v3, v70
	v_addc_co_u32_e32 v71, vcc, v7, v71, vcc
	global_store_dword v[70:71], v16, off
	s_or_b64 exec, exec, s[38:39]
	s_and_saveexec_b64 s[38:39], s[18:19]
	s_cbranch_execz .LBB669_159
.LBB669_226:
	v_sub_u32_e32 v70, v40, v4
	v_mov_b32_e32 v71, 0
	v_lshlrev_b64 v[70:71], 2, v[70:71]
	v_add_co_u32_e32 v70, vcc, v3, v70
	v_addc_co_u32_e32 v71, vcc, v7, v71, vcc
	global_store_dword v[70:71], v17, off
	s_or_b64 exec, exec, s[38:39]
	s_and_saveexec_b64 s[38:39], s[16:17]
	s_cbranch_execz .LBB669_160
.LBB669_227:
	v_sub_u32_e32 v70, v38, v4
	v_mov_b32_e32 v71, 0
	v_lshlrev_b64 v[70:71], 2, v[70:71]
	v_add_co_u32_e32 v70, vcc, v3, v70
	v_addc_co_u32_e32 v71, vcc, v7, v71, vcc
	global_store_dword v[70:71], v14, off
	s_or_b64 exec, exec, s[38:39]
	s_and_saveexec_b64 s[38:39], s[14:15]
	s_cbranch_execz .LBB669_161
.LBB669_228:
	v_sub_u32_e32 v70, v36, v4
	v_mov_b32_e32 v71, 0
	v_lshlrev_b64 v[70:71], 2, v[70:71]
	v_add_co_u32_e32 v70, vcc, v3, v70
	v_addc_co_u32_e32 v71, vcc, v7, v71, vcc
	global_store_dword v[70:71], v15, off
	s_or_b64 exec, exec, s[38:39]
	s_and_saveexec_b64 s[38:39], s[12:13]
	s_cbranch_execz .LBB669_162
.LBB669_229:
	v_sub_u32_e32 v70, v34, v4
	v_mov_b32_e32 v71, 0
	v_lshlrev_b64 v[70:71], 2, v[70:71]
	v_add_co_u32_e32 v70, vcc, v3, v70
	v_addc_co_u32_e32 v71, vcc, v7, v71, vcc
	global_store_dword v[70:71], v12, off
	s_or_b64 exec, exec, s[38:39]
	s_and_saveexec_b64 s[38:39], s[10:11]
	s_cbranch_execz .LBB669_163
.LBB669_230:
	v_sub_u32_e32 v70, v32, v4
	v_mov_b32_e32 v71, 0
	v_lshlrev_b64 v[70:71], 2, v[70:71]
	v_add_co_u32_e32 v70, vcc, v3, v70
	v_addc_co_u32_e32 v71, vcc, v7, v71, vcc
	global_store_dword v[70:71], v13, off
	s_or_b64 exec, exec, s[38:39]
	s_and_saveexec_b64 s[38:39], s[8:9]
	s_cbranch_execz .LBB669_164
.LBB669_231:
	v_sub_u32_e32 v70, v30, v4
	v_mov_b32_e32 v71, 0
	v_lshlrev_b64 v[70:71], 2, v[70:71]
	v_add_co_u32_e32 v70, vcc, v3, v70
	v_addc_co_u32_e32 v71, vcc, v7, v71, vcc
	global_store_dword v[70:71], v10, off
	s_or_b64 exec, exec, s[38:39]
	s_and_saveexec_b64 s[38:39], s[6:7]
	s_cbranch_execz .LBB669_165
.LBB669_232:
	v_sub_u32_e32 v70, v28, v4
	v_mov_b32_e32 v71, 0
	v_lshlrev_b64 v[70:71], 2, v[70:71]
	v_add_co_u32_e32 v70, vcc, v3, v70
	v_addc_co_u32_e32 v71, vcc, v7, v71, vcc
	global_store_dword v[70:71], v11, off
	s_or_b64 exec, exec, s[38:39]
	s_and_saveexec_b64 s[38:39], s[4:5]
	s_cbranch_execz .LBB669_166
.LBB669_233:
	v_sub_u32_e32 v70, v26, v4
	v_mov_b32_e32 v71, 0
	v_lshlrev_b64 v[70:71], 2, v[70:71]
	v_add_co_u32_e32 v70, vcc, v3, v70
	v_addc_co_u32_e32 v71, vcc, v7, v71, vcc
	global_store_dword v[70:71], v8, off
	s_or_b64 exec, exec, s[38:39]
	s_and_saveexec_b64 s[38:39], s[2:3]
	s_cbranch_execnz .LBB669_167
	s_branch .LBB669_168
.LBB669_234:
	v_sub_u32_e32 v69, v50, v4
	v_lshlrev_b32_e32 v69, 2, v69
	ds_write_b32 v69, v20
	s_or_b64 exec, exec, s[38:39]
	s_and_saveexec_b64 s[28:29], s[26:27]
	s_cbranch_execz .LBB669_172
.LBB669_235:
	v_sub_u32_e32 v20, v48, v4
	v_lshlrev_b32_e32 v20, 2, v20
	ds_write_b32 v20, v21
	s_or_b64 exec, exec, s[28:29]
	s_and_saveexec_b64 s[26:27], s[24:25]
	s_cbranch_execz .LBB669_173
.LBB669_236:
	v_sub_u32_e32 v20, v46, v4
	v_lshlrev_b32_e32 v20, 2, v20
	ds_write_b32 v20, v18
	s_or_b64 exec, exec, s[26:27]
	s_and_saveexec_b64 s[24:25], s[22:23]
	s_cbranch_execz .LBB669_174
.LBB669_237:
	v_sub_u32_e32 v18, v44, v4
	v_lshlrev_b32_e32 v18, 2, v18
	ds_write_b32 v18, v19
	s_or_b64 exec, exec, s[24:25]
	s_and_saveexec_b64 s[22:23], s[20:21]
	s_cbranch_execz .LBB669_175
.LBB669_238:
	v_sub_u32_e32 v18, v42, v4
	v_lshlrev_b32_e32 v18, 2, v18
	ds_write_b32 v18, v16
	s_or_b64 exec, exec, s[22:23]
	s_and_saveexec_b64 s[20:21], s[18:19]
	s_cbranch_execz .LBB669_176
.LBB669_239:
	v_sub_u32_e32 v16, v40, v4
	v_lshlrev_b32_e32 v16, 2, v16
	ds_write_b32 v16, v17
	s_or_b64 exec, exec, s[20:21]
	s_and_saveexec_b64 s[18:19], s[16:17]
	s_cbranch_execz .LBB669_177
.LBB669_240:
	v_sub_u32_e32 v16, v38, v4
	v_lshlrev_b32_e32 v16, 2, v16
	ds_write_b32 v16, v14
	s_or_b64 exec, exec, s[18:19]
	s_and_saveexec_b64 s[16:17], s[14:15]
	s_cbranch_execz .LBB669_178
.LBB669_241:
	v_sub_u32_e32 v14, v36, v4
	v_lshlrev_b32_e32 v14, 2, v14
	ds_write_b32 v14, v15
	s_or_b64 exec, exec, s[16:17]
	s_and_saveexec_b64 s[14:15], s[12:13]
	s_cbranch_execz .LBB669_179
.LBB669_242:
	v_sub_u32_e32 v14, v34, v4
	v_lshlrev_b32_e32 v14, 2, v14
	ds_write_b32 v14, v12
	s_or_b64 exec, exec, s[14:15]
	s_and_saveexec_b64 s[12:13], s[10:11]
	s_cbranch_execz .LBB669_180
.LBB669_243:
	v_sub_u32_e32 v12, v32, v4
	v_lshlrev_b32_e32 v12, 2, v12
	ds_write_b32 v12, v13
	s_or_b64 exec, exec, s[12:13]
	s_and_saveexec_b64 s[10:11], s[8:9]
	s_cbranch_execz .LBB669_181
.LBB669_244:
	v_sub_u32_e32 v12, v30, v4
	v_lshlrev_b32_e32 v12, 2, v12
	ds_write_b32 v12, v10
	s_or_b64 exec, exec, s[10:11]
	s_and_saveexec_b64 s[8:9], s[6:7]
	s_cbranch_execz .LBB669_182
.LBB669_245:
	v_sub_u32_e32 v10, v28, v4
	v_lshlrev_b32_e32 v10, 2, v10
	ds_write_b32 v10, v11
	s_or_b64 exec, exec, s[8:9]
	s_and_saveexec_b64 s[6:7], s[4:5]
	s_cbranch_execz .LBB669_183
.LBB669_246:
	v_sub_u32_e32 v10, v26, v4
	v_lshlrev_b32_e32 v10, 2, v10
	ds_write_b32 v10, v8
	s_or_b64 exec, exec, s[6:7]
	s_and_saveexec_b64 s[4:5], s[2:3]
	s_cbranch_execnz .LBB669_184
	s_branch .LBB669_185
.LBB669_247:
	v_sub_u32_e32 v12, v50, v8
	v_mov_b32_e32 v13, 0
	v_lshlrev_b64 v[14:15], 3, v[12:13]
	v_add_co_u32_e32 v14, vcc, v3, v14
	v_addc_co_u32_e32 v15, vcc, v7, v15, vcc
	v_mov_b32_e32 v12, v51
	global_store_dwordx2 v[14:15], v[12:13], off
	s_or_b64 exec, exec, s[38:39]
	s_and_saveexec_b64 s[38:39], s[26:27]
	s_cbranch_execz .LBB669_189
.LBB669_248:
	v_sub_u32_e32 v12, v48, v8
	v_mov_b32_e32 v13, 0
	v_lshlrev_b64 v[14:15], 3, v[12:13]
	v_add_co_u32_e32 v14, vcc, v3, v14
	v_addc_co_u32_e32 v15, vcc, v7, v15, vcc
	v_mov_b32_e32 v12, v49
	global_store_dwordx2 v[14:15], v[12:13], off
	s_or_b64 exec, exec, s[38:39]
	s_and_saveexec_b64 s[38:39], s[24:25]
	s_cbranch_execz .LBB669_190
.LBB669_249:
	v_sub_u32_e32 v12, v46, v8
	v_mov_b32_e32 v13, 0
	v_lshlrev_b64 v[14:15], 3, v[12:13]
	v_add_co_u32_e32 v14, vcc, v3, v14
	v_addc_co_u32_e32 v15, vcc, v7, v15, vcc
	v_mov_b32_e32 v12, v47
	global_store_dwordx2 v[14:15], v[12:13], off
	s_or_b64 exec, exec, s[38:39]
	s_and_saveexec_b64 s[38:39], s[22:23]
	s_cbranch_execz .LBB669_191
.LBB669_250:
	v_sub_u32_e32 v12, v44, v8
	v_mov_b32_e32 v13, 0
	v_lshlrev_b64 v[14:15], 3, v[12:13]
	v_add_co_u32_e32 v14, vcc, v3, v14
	v_addc_co_u32_e32 v15, vcc, v7, v15, vcc
	v_mov_b32_e32 v12, v45
	global_store_dwordx2 v[14:15], v[12:13], off
	s_or_b64 exec, exec, s[38:39]
	s_and_saveexec_b64 s[38:39], s[20:21]
	s_cbranch_execz .LBB669_192
.LBB669_251:
	v_sub_u32_e32 v12, v42, v8
	v_mov_b32_e32 v13, 0
	v_lshlrev_b64 v[14:15], 3, v[12:13]
	v_add_co_u32_e32 v14, vcc, v3, v14
	v_addc_co_u32_e32 v15, vcc, v7, v15, vcc
	v_mov_b32_e32 v12, v43
	global_store_dwordx2 v[14:15], v[12:13], off
	s_or_b64 exec, exec, s[38:39]
	s_and_saveexec_b64 s[38:39], s[18:19]
	s_cbranch_execz .LBB669_193
.LBB669_252:
	v_sub_u32_e32 v12, v40, v8
	v_mov_b32_e32 v13, 0
	v_lshlrev_b64 v[14:15], 3, v[12:13]
	v_add_co_u32_e32 v14, vcc, v3, v14
	v_addc_co_u32_e32 v15, vcc, v7, v15, vcc
	v_mov_b32_e32 v12, v41
	global_store_dwordx2 v[14:15], v[12:13], off
	s_or_b64 exec, exec, s[38:39]
	s_and_saveexec_b64 s[38:39], s[16:17]
	s_cbranch_execz .LBB669_194
.LBB669_253:
	v_sub_u32_e32 v12, v38, v8
	v_mov_b32_e32 v13, 0
	v_lshlrev_b64 v[14:15], 3, v[12:13]
	v_add_co_u32_e32 v14, vcc, v3, v14
	v_addc_co_u32_e32 v15, vcc, v7, v15, vcc
	v_mov_b32_e32 v12, v39
	global_store_dwordx2 v[14:15], v[12:13], off
	s_or_b64 exec, exec, s[38:39]
	s_and_saveexec_b64 s[38:39], s[14:15]
	s_cbranch_execz .LBB669_195
.LBB669_254:
	v_sub_u32_e32 v12, v36, v8
	v_mov_b32_e32 v13, 0
	v_lshlrev_b64 v[14:15], 3, v[12:13]
	v_add_co_u32_e32 v14, vcc, v3, v14
	v_addc_co_u32_e32 v15, vcc, v7, v15, vcc
	v_mov_b32_e32 v12, v37
	global_store_dwordx2 v[14:15], v[12:13], off
	s_or_b64 exec, exec, s[38:39]
	s_and_saveexec_b64 s[38:39], s[12:13]
	s_cbranch_execz .LBB669_196
.LBB669_255:
	v_sub_u32_e32 v12, v34, v8
	v_mov_b32_e32 v13, 0
	v_lshlrev_b64 v[14:15], 3, v[12:13]
	v_add_co_u32_e32 v14, vcc, v3, v14
	v_addc_co_u32_e32 v15, vcc, v7, v15, vcc
	v_mov_b32_e32 v12, v35
	global_store_dwordx2 v[14:15], v[12:13], off
	s_or_b64 exec, exec, s[38:39]
	s_and_saveexec_b64 s[38:39], s[10:11]
	s_cbranch_execz .LBB669_197
.LBB669_256:
	v_sub_u32_e32 v12, v32, v8
	v_mov_b32_e32 v13, 0
	v_lshlrev_b64 v[14:15], 3, v[12:13]
	v_add_co_u32_e32 v14, vcc, v3, v14
	v_addc_co_u32_e32 v15, vcc, v7, v15, vcc
	v_mov_b32_e32 v12, v33
	global_store_dwordx2 v[14:15], v[12:13], off
	s_or_b64 exec, exec, s[38:39]
	s_and_saveexec_b64 s[38:39], s[8:9]
	s_cbranch_execz .LBB669_198
.LBB669_257:
	v_sub_u32_e32 v12, v30, v8
	v_mov_b32_e32 v13, 0
	v_lshlrev_b64 v[14:15], 3, v[12:13]
	v_add_co_u32_e32 v14, vcc, v3, v14
	v_addc_co_u32_e32 v15, vcc, v7, v15, vcc
	v_mov_b32_e32 v12, v31
	global_store_dwordx2 v[14:15], v[12:13], off
	s_or_b64 exec, exec, s[38:39]
	s_and_saveexec_b64 s[38:39], s[6:7]
	s_cbranch_execz .LBB669_199
.LBB669_258:
	v_sub_u32_e32 v12, v28, v8
	v_mov_b32_e32 v13, 0
	v_lshlrev_b64 v[14:15], 3, v[12:13]
	v_add_co_u32_e32 v14, vcc, v3, v14
	v_addc_co_u32_e32 v15, vcc, v7, v15, vcc
	v_mov_b32_e32 v12, v29
	global_store_dwordx2 v[14:15], v[12:13], off
	s_or_b64 exec, exec, s[38:39]
	s_and_saveexec_b64 s[38:39], s[4:5]
	s_cbranch_execz .LBB669_200
.LBB669_259:
	v_sub_u32_e32 v12, v26, v8
	v_mov_b32_e32 v13, 0
	v_lshlrev_b64 v[14:15], 3, v[12:13]
	v_add_co_u32_e32 v14, vcc, v3, v14
	v_addc_co_u32_e32 v15, vcc, v7, v15, vcc
	v_mov_b32_e32 v12, v27
	global_store_dwordx2 v[14:15], v[12:13], off
	s_or_b64 exec, exec, s[38:39]
	s_and_saveexec_b64 s[38:39], s[2:3]
	s_cbranch_execnz .LBB669_201
	s_branch .LBB669_202
.LBB669_260:
	v_sub_u32_e32 v9, v50, v8
	v_lshlrev_b32_e32 v9, 2, v9
	ds_write_b32 v9, v51
	s_or_b64 exec, exec, s[38:39]
	s_and_saveexec_b64 s[28:29], s[26:27]
	s_cbranch_execz .LBB669_206
.LBB669_261:
	v_sub_u32_e32 v9, v48, v8
	v_lshlrev_b32_e32 v9, 2, v9
	ds_write_b32 v9, v49
	s_or_b64 exec, exec, s[28:29]
	s_and_saveexec_b64 s[26:27], s[24:25]
	s_cbranch_execz .LBB669_207
.LBB669_262:
	v_sub_u32_e32 v9, v46, v8
	v_lshlrev_b32_e32 v9, 2, v9
	ds_write_b32 v9, v47
	s_or_b64 exec, exec, s[26:27]
	s_and_saveexec_b64 s[24:25], s[22:23]
	s_cbranch_execz .LBB669_208
.LBB669_263:
	v_sub_u32_e32 v9, v44, v8
	v_lshlrev_b32_e32 v9, 2, v9
	ds_write_b32 v9, v45
	s_or_b64 exec, exec, s[24:25]
	s_and_saveexec_b64 s[22:23], s[20:21]
	s_cbranch_execz .LBB669_209
.LBB669_264:
	v_sub_u32_e32 v9, v42, v8
	v_lshlrev_b32_e32 v9, 2, v9
	ds_write_b32 v9, v43
	s_or_b64 exec, exec, s[22:23]
	s_and_saveexec_b64 s[20:21], s[18:19]
	s_cbranch_execz .LBB669_210
.LBB669_265:
	v_sub_u32_e32 v9, v40, v8
	v_lshlrev_b32_e32 v9, 2, v9
	ds_write_b32 v9, v41
	s_or_b64 exec, exec, s[20:21]
	s_and_saveexec_b64 s[18:19], s[16:17]
	s_cbranch_execz .LBB669_211
.LBB669_266:
	v_sub_u32_e32 v9, v38, v8
	v_lshlrev_b32_e32 v9, 2, v9
	ds_write_b32 v9, v39
	s_or_b64 exec, exec, s[18:19]
	s_and_saveexec_b64 s[16:17], s[14:15]
	s_cbranch_execz .LBB669_212
.LBB669_267:
	v_sub_u32_e32 v9, v36, v8
	v_lshlrev_b32_e32 v9, 2, v9
	ds_write_b32 v9, v37
	s_or_b64 exec, exec, s[16:17]
	s_and_saveexec_b64 s[14:15], s[12:13]
	s_cbranch_execz .LBB669_213
.LBB669_268:
	v_sub_u32_e32 v9, v34, v8
	v_lshlrev_b32_e32 v9, 2, v9
	ds_write_b32 v9, v35
	s_or_b64 exec, exec, s[14:15]
	s_and_saveexec_b64 s[12:13], s[10:11]
	s_cbranch_execz .LBB669_214
.LBB669_269:
	v_sub_u32_e32 v9, v32, v8
	v_lshlrev_b32_e32 v9, 2, v9
	ds_write_b32 v9, v33
	s_or_b64 exec, exec, s[12:13]
	s_and_saveexec_b64 s[10:11], s[8:9]
	s_cbranch_execz .LBB669_215
.LBB669_270:
	v_sub_u32_e32 v9, v30, v8
	v_lshlrev_b32_e32 v9, 2, v9
	ds_write_b32 v9, v31
	s_or_b64 exec, exec, s[10:11]
	s_and_saveexec_b64 s[8:9], s[6:7]
	s_cbranch_execz .LBB669_216
.LBB669_271:
	v_sub_u32_e32 v9, v28, v8
	v_lshlrev_b32_e32 v9, 2, v9
	ds_write_b32 v9, v29
	s_or_b64 exec, exec, s[8:9]
	s_and_saveexec_b64 s[6:7], s[4:5]
	s_cbranch_execz .LBB669_217
.LBB669_272:
	v_sub_u32_e32 v9, v26, v8
	v_lshlrev_b32_e32 v9, 2, v9
	ds_write_b32 v9, v27
	s_or_b64 exec, exec, s[6:7]
	s_and_saveexec_b64 s[4:5], s[2:3]
	s_cbranch_execnz .LBB669_218
	s_branch .LBB669_219
	.section	.rodata,"a",@progbits
	.p2align	6, 0x0
	.amdhsa_kernel _ZN7rocprim17ROCPRIM_400000_NS6detail17trampoline_kernelINS0_14default_configENS1_33run_length_encode_config_selectorIjjNS0_4plusIjEEEEZZNS1_33reduce_by_key_impl_wrapped_configILNS1_25lookback_scan_determinismE0ES3_S7_PKjNS0_17constant_iteratorIjlEEPjPlSF_S6_NS0_8equal_toIjEEEE10hipError_tPvRmT2_T3_mT4_T5_T6_T7_T8_P12ihipStream_tbENKUlT_T0_E_clISt17integral_constantIbLb1EESY_IbLb0EEEEDaSU_SV_EUlSU_E_NS1_11comp_targetILNS1_3genE4ELNS1_11target_archE910ELNS1_3gpuE8ELNS1_3repE0EEENS1_30default_config_static_selectorELNS0_4arch9wavefront6targetE1EEEvT1_
		.amdhsa_group_segment_fixed_size 15360
		.amdhsa_private_segment_fixed_size 0
		.amdhsa_kernarg_size 128
		.amdhsa_user_sgpr_count 6
		.amdhsa_user_sgpr_private_segment_buffer 1
		.amdhsa_user_sgpr_dispatch_ptr 0
		.amdhsa_user_sgpr_queue_ptr 0
		.amdhsa_user_sgpr_kernarg_segment_ptr 1
		.amdhsa_user_sgpr_dispatch_id 0
		.amdhsa_user_sgpr_flat_scratch_init 0
		.amdhsa_user_sgpr_kernarg_preload_length 0
		.amdhsa_user_sgpr_kernarg_preload_offset 0
		.amdhsa_user_sgpr_private_segment_size 0
		.amdhsa_uses_dynamic_stack 0
		.amdhsa_system_sgpr_private_segment_wavefront_offset 0
		.amdhsa_system_sgpr_workgroup_id_x 1
		.amdhsa_system_sgpr_workgroup_id_y 0
		.amdhsa_system_sgpr_workgroup_id_z 0
		.amdhsa_system_sgpr_workgroup_info 0
		.amdhsa_system_vgpr_workitem_id 0
		.amdhsa_next_free_vgpr 104
		.amdhsa_next_free_sgpr 64
		.amdhsa_accum_offset 104
		.amdhsa_reserve_vcc 1
		.amdhsa_reserve_flat_scratch 0
		.amdhsa_float_round_mode_32 0
		.amdhsa_float_round_mode_16_64 0
		.amdhsa_float_denorm_mode_32 3
		.amdhsa_float_denorm_mode_16_64 3
		.amdhsa_dx10_clamp 1
		.amdhsa_ieee_mode 1
		.amdhsa_fp16_overflow 0
		.amdhsa_tg_split 0
		.amdhsa_exception_fp_ieee_invalid_op 0
		.amdhsa_exception_fp_denorm_src 0
		.amdhsa_exception_fp_ieee_div_zero 0
		.amdhsa_exception_fp_ieee_overflow 0
		.amdhsa_exception_fp_ieee_underflow 0
		.amdhsa_exception_fp_ieee_inexact 0
		.amdhsa_exception_int_div_zero 0
	.end_amdhsa_kernel
	.section	.text._ZN7rocprim17ROCPRIM_400000_NS6detail17trampoline_kernelINS0_14default_configENS1_33run_length_encode_config_selectorIjjNS0_4plusIjEEEEZZNS1_33reduce_by_key_impl_wrapped_configILNS1_25lookback_scan_determinismE0ES3_S7_PKjNS0_17constant_iteratorIjlEEPjPlSF_S6_NS0_8equal_toIjEEEE10hipError_tPvRmT2_T3_mT4_T5_T6_T7_T8_P12ihipStream_tbENKUlT_T0_E_clISt17integral_constantIbLb1EESY_IbLb0EEEEDaSU_SV_EUlSU_E_NS1_11comp_targetILNS1_3genE4ELNS1_11target_archE910ELNS1_3gpuE8ELNS1_3repE0EEENS1_30default_config_static_selectorELNS0_4arch9wavefront6targetE1EEEvT1_,"axG",@progbits,_ZN7rocprim17ROCPRIM_400000_NS6detail17trampoline_kernelINS0_14default_configENS1_33run_length_encode_config_selectorIjjNS0_4plusIjEEEEZZNS1_33reduce_by_key_impl_wrapped_configILNS1_25lookback_scan_determinismE0ES3_S7_PKjNS0_17constant_iteratorIjlEEPjPlSF_S6_NS0_8equal_toIjEEEE10hipError_tPvRmT2_T3_mT4_T5_T6_T7_T8_P12ihipStream_tbENKUlT_T0_E_clISt17integral_constantIbLb1EESY_IbLb0EEEEDaSU_SV_EUlSU_E_NS1_11comp_targetILNS1_3genE4ELNS1_11target_archE910ELNS1_3gpuE8ELNS1_3repE0EEENS1_30default_config_static_selectorELNS0_4arch9wavefront6targetE1EEEvT1_,comdat
.Lfunc_end669:
	.size	_ZN7rocprim17ROCPRIM_400000_NS6detail17trampoline_kernelINS0_14default_configENS1_33run_length_encode_config_selectorIjjNS0_4plusIjEEEEZZNS1_33reduce_by_key_impl_wrapped_configILNS1_25lookback_scan_determinismE0ES3_S7_PKjNS0_17constant_iteratorIjlEEPjPlSF_S6_NS0_8equal_toIjEEEE10hipError_tPvRmT2_T3_mT4_T5_T6_T7_T8_P12ihipStream_tbENKUlT_T0_E_clISt17integral_constantIbLb1EESY_IbLb0EEEEDaSU_SV_EUlSU_E_NS1_11comp_targetILNS1_3genE4ELNS1_11target_archE910ELNS1_3gpuE8ELNS1_3repE0EEENS1_30default_config_static_selectorELNS0_4arch9wavefront6targetE1EEEvT1_, .Lfunc_end669-_ZN7rocprim17ROCPRIM_400000_NS6detail17trampoline_kernelINS0_14default_configENS1_33run_length_encode_config_selectorIjjNS0_4plusIjEEEEZZNS1_33reduce_by_key_impl_wrapped_configILNS1_25lookback_scan_determinismE0ES3_S7_PKjNS0_17constant_iteratorIjlEEPjPlSF_S6_NS0_8equal_toIjEEEE10hipError_tPvRmT2_T3_mT4_T5_T6_T7_T8_P12ihipStream_tbENKUlT_T0_E_clISt17integral_constantIbLb1EESY_IbLb0EEEEDaSU_SV_EUlSU_E_NS1_11comp_targetILNS1_3genE4ELNS1_11target_archE910ELNS1_3gpuE8ELNS1_3repE0EEENS1_30default_config_static_selectorELNS0_4arch9wavefront6targetE1EEEvT1_
                                        ; -- End function
	.section	.AMDGPU.csdata,"",@progbits
; Kernel info:
; codeLenInByte = 15004
; NumSgprs: 68
; NumVgprs: 104
; NumAgprs: 0
; TotalNumVgprs: 104
; ScratchSize: 0
; MemoryBound: 0
; FloatMode: 240
; IeeeMode: 1
; LDSByteSize: 15360 bytes/workgroup (compile time only)
; SGPRBlocks: 8
; VGPRBlocks: 12
; NumSGPRsForWavesPerEU: 68
; NumVGPRsForWavesPerEU: 104
; AccumOffset: 104
; Occupancy: 4
; WaveLimiterHint : 1
; COMPUTE_PGM_RSRC2:SCRATCH_EN: 0
; COMPUTE_PGM_RSRC2:USER_SGPR: 6
; COMPUTE_PGM_RSRC2:TRAP_HANDLER: 0
; COMPUTE_PGM_RSRC2:TGID_X_EN: 1
; COMPUTE_PGM_RSRC2:TGID_Y_EN: 0
; COMPUTE_PGM_RSRC2:TGID_Z_EN: 0
; COMPUTE_PGM_RSRC2:TIDIG_COMP_CNT: 0
; COMPUTE_PGM_RSRC3_GFX90A:ACCUM_OFFSET: 25
; COMPUTE_PGM_RSRC3_GFX90A:TG_SPLIT: 0
	.section	.text._ZN7rocprim17ROCPRIM_400000_NS6detail17trampoline_kernelINS0_14default_configENS1_33run_length_encode_config_selectorIjjNS0_4plusIjEEEEZZNS1_33reduce_by_key_impl_wrapped_configILNS1_25lookback_scan_determinismE0ES3_S7_PKjNS0_17constant_iteratorIjlEEPjPlSF_S6_NS0_8equal_toIjEEEE10hipError_tPvRmT2_T3_mT4_T5_T6_T7_T8_P12ihipStream_tbENKUlT_T0_E_clISt17integral_constantIbLb1EESY_IbLb0EEEEDaSU_SV_EUlSU_E_NS1_11comp_targetILNS1_3genE3ELNS1_11target_archE908ELNS1_3gpuE7ELNS1_3repE0EEENS1_30default_config_static_selectorELNS0_4arch9wavefront6targetE1EEEvT1_,"axG",@progbits,_ZN7rocprim17ROCPRIM_400000_NS6detail17trampoline_kernelINS0_14default_configENS1_33run_length_encode_config_selectorIjjNS0_4plusIjEEEEZZNS1_33reduce_by_key_impl_wrapped_configILNS1_25lookback_scan_determinismE0ES3_S7_PKjNS0_17constant_iteratorIjlEEPjPlSF_S6_NS0_8equal_toIjEEEE10hipError_tPvRmT2_T3_mT4_T5_T6_T7_T8_P12ihipStream_tbENKUlT_T0_E_clISt17integral_constantIbLb1EESY_IbLb0EEEEDaSU_SV_EUlSU_E_NS1_11comp_targetILNS1_3genE3ELNS1_11target_archE908ELNS1_3gpuE7ELNS1_3repE0EEENS1_30default_config_static_selectorELNS0_4arch9wavefront6targetE1EEEvT1_,comdat
	.protected	_ZN7rocprim17ROCPRIM_400000_NS6detail17trampoline_kernelINS0_14default_configENS1_33run_length_encode_config_selectorIjjNS0_4plusIjEEEEZZNS1_33reduce_by_key_impl_wrapped_configILNS1_25lookback_scan_determinismE0ES3_S7_PKjNS0_17constant_iteratorIjlEEPjPlSF_S6_NS0_8equal_toIjEEEE10hipError_tPvRmT2_T3_mT4_T5_T6_T7_T8_P12ihipStream_tbENKUlT_T0_E_clISt17integral_constantIbLb1EESY_IbLb0EEEEDaSU_SV_EUlSU_E_NS1_11comp_targetILNS1_3genE3ELNS1_11target_archE908ELNS1_3gpuE7ELNS1_3repE0EEENS1_30default_config_static_selectorELNS0_4arch9wavefront6targetE1EEEvT1_ ; -- Begin function _ZN7rocprim17ROCPRIM_400000_NS6detail17trampoline_kernelINS0_14default_configENS1_33run_length_encode_config_selectorIjjNS0_4plusIjEEEEZZNS1_33reduce_by_key_impl_wrapped_configILNS1_25lookback_scan_determinismE0ES3_S7_PKjNS0_17constant_iteratorIjlEEPjPlSF_S6_NS0_8equal_toIjEEEE10hipError_tPvRmT2_T3_mT4_T5_T6_T7_T8_P12ihipStream_tbENKUlT_T0_E_clISt17integral_constantIbLb1EESY_IbLb0EEEEDaSU_SV_EUlSU_E_NS1_11comp_targetILNS1_3genE3ELNS1_11target_archE908ELNS1_3gpuE7ELNS1_3repE0EEENS1_30default_config_static_selectorELNS0_4arch9wavefront6targetE1EEEvT1_
	.globl	_ZN7rocprim17ROCPRIM_400000_NS6detail17trampoline_kernelINS0_14default_configENS1_33run_length_encode_config_selectorIjjNS0_4plusIjEEEEZZNS1_33reduce_by_key_impl_wrapped_configILNS1_25lookback_scan_determinismE0ES3_S7_PKjNS0_17constant_iteratorIjlEEPjPlSF_S6_NS0_8equal_toIjEEEE10hipError_tPvRmT2_T3_mT4_T5_T6_T7_T8_P12ihipStream_tbENKUlT_T0_E_clISt17integral_constantIbLb1EESY_IbLb0EEEEDaSU_SV_EUlSU_E_NS1_11comp_targetILNS1_3genE3ELNS1_11target_archE908ELNS1_3gpuE7ELNS1_3repE0EEENS1_30default_config_static_selectorELNS0_4arch9wavefront6targetE1EEEvT1_
	.p2align	8
	.type	_ZN7rocprim17ROCPRIM_400000_NS6detail17trampoline_kernelINS0_14default_configENS1_33run_length_encode_config_selectorIjjNS0_4plusIjEEEEZZNS1_33reduce_by_key_impl_wrapped_configILNS1_25lookback_scan_determinismE0ES3_S7_PKjNS0_17constant_iteratorIjlEEPjPlSF_S6_NS0_8equal_toIjEEEE10hipError_tPvRmT2_T3_mT4_T5_T6_T7_T8_P12ihipStream_tbENKUlT_T0_E_clISt17integral_constantIbLb1EESY_IbLb0EEEEDaSU_SV_EUlSU_E_NS1_11comp_targetILNS1_3genE3ELNS1_11target_archE908ELNS1_3gpuE7ELNS1_3repE0EEENS1_30default_config_static_selectorELNS0_4arch9wavefront6targetE1EEEvT1_,@function
_ZN7rocprim17ROCPRIM_400000_NS6detail17trampoline_kernelINS0_14default_configENS1_33run_length_encode_config_selectorIjjNS0_4plusIjEEEEZZNS1_33reduce_by_key_impl_wrapped_configILNS1_25lookback_scan_determinismE0ES3_S7_PKjNS0_17constant_iteratorIjlEEPjPlSF_S6_NS0_8equal_toIjEEEE10hipError_tPvRmT2_T3_mT4_T5_T6_T7_T8_P12ihipStream_tbENKUlT_T0_E_clISt17integral_constantIbLb1EESY_IbLb0EEEEDaSU_SV_EUlSU_E_NS1_11comp_targetILNS1_3genE3ELNS1_11target_archE908ELNS1_3gpuE7ELNS1_3repE0EEENS1_30default_config_static_selectorELNS0_4arch9wavefront6targetE1EEEvT1_: ; @_ZN7rocprim17ROCPRIM_400000_NS6detail17trampoline_kernelINS0_14default_configENS1_33run_length_encode_config_selectorIjjNS0_4plusIjEEEEZZNS1_33reduce_by_key_impl_wrapped_configILNS1_25lookback_scan_determinismE0ES3_S7_PKjNS0_17constant_iteratorIjlEEPjPlSF_S6_NS0_8equal_toIjEEEE10hipError_tPvRmT2_T3_mT4_T5_T6_T7_T8_P12ihipStream_tbENKUlT_T0_E_clISt17integral_constantIbLb1EESY_IbLb0EEEEDaSU_SV_EUlSU_E_NS1_11comp_targetILNS1_3genE3ELNS1_11target_archE908ELNS1_3gpuE7ELNS1_3repE0EEENS1_30default_config_static_selectorELNS0_4arch9wavefront6targetE1EEEvT1_
; %bb.0:
	.section	.rodata,"a",@progbits
	.p2align	6, 0x0
	.amdhsa_kernel _ZN7rocprim17ROCPRIM_400000_NS6detail17trampoline_kernelINS0_14default_configENS1_33run_length_encode_config_selectorIjjNS0_4plusIjEEEEZZNS1_33reduce_by_key_impl_wrapped_configILNS1_25lookback_scan_determinismE0ES3_S7_PKjNS0_17constant_iteratorIjlEEPjPlSF_S6_NS0_8equal_toIjEEEE10hipError_tPvRmT2_T3_mT4_T5_T6_T7_T8_P12ihipStream_tbENKUlT_T0_E_clISt17integral_constantIbLb1EESY_IbLb0EEEEDaSU_SV_EUlSU_E_NS1_11comp_targetILNS1_3genE3ELNS1_11target_archE908ELNS1_3gpuE7ELNS1_3repE0EEENS1_30default_config_static_selectorELNS0_4arch9wavefront6targetE1EEEvT1_
		.amdhsa_group_segment_fixed_size 0
		.amdhsa_private_segment_fixed_size 0
		.amdhsa_kernarg_size 128
		.amdhsa_user_sgpr_count 6
		.amdhsa_user_sgpr_private_segment_buffer 1
		.amdhsa_user_sgpr_dispatch_ptr 0
		.amdhsa_user_sgpr_queue_ptr 0
		.amdhsa_user_sgpr_kernarg_segment_ptr 1
		.amdhsa_user_sgpr_dispatch_id 0
		.amdhsa_user_sgpr_flat_scratch_init 0
		.amdhsa_user_sgpr_kernarg_preload_length 0
		.amdhsa_user_sgpr_kernarg_preload_offset 0
		.amdhsa_user_sgpr_private_segment_size 0
		.amdhsa_uses_dynamic_stack 0
		.amdhsa_system_sgpr_private_segment_wavefront_offset 0
		.amdhsa_system_sgpr_workgroup_id_x 1
		.amdhsa_system_sgpr_workgroup_id_y 0
		.amdhsa_system_sgpr_workgroup_id_z 0
		.amdhsa_system_sgpr_workgroup_info 0
		.amdhsa_system_vgpr_workitem_id 0
		.amdhsa_next_free_vgpr 1
		.amdhsa_next_free_sgpr 0
		.amdhsa_accum_offset 4
		.amdhsa_reserve_vcc 0
		.amdhsa_reserve_flat_scratch 0
		.amdhsa_float_round_mode_32 0
		.amdhsa_float_round_mode_16_64 0
		.amdhsa_float_denorm_mode_32 3
		.amdhsa_float_denorm_mode_16_64 3
		.amdhsa_dx10_clamp 1
		.amdhsa_ieee_mode 1
		.amdhsa_fp16_overflow 0
		.amdhsa_tg_split 0
		.amdhsa_exception_fp_ieee_invalid_op 0
		.amdhsa_exception_fp_denorm_src 0
		.amdhsa_exception_fp_ieee_div_zero 0
		.amdhsa_exception_fp_ieee_overflow 0
		.amdhsa_exception_fp_ieee_underflow 0
		.amdhsa_exception_fp_ieee_inexact 0
		.amdhsa_exception_int_div_zero 0
	.end_amdhsa_kernel
	.section	.text._ZN7rocprim17ROCPRIM_400000_NS6detail17trampoline_kernelINS0_14default_configENS1_33run_length_encode_config_selectorIjjNS0_4plusIjEEEEZZNS1_33reduce_by_key_impl_wrapped_configILNS1_25lookback_scan_determinismE0ES3_S7_PKjNS0_17constant_iteratorIjlEEPjPlSF_S6_NS0_8equal_toIjEEEE10hipError_tPvRmT2_T3_mT4_T5_T6_T7_T8_P12ihipStream_tbENKUlT_T0_E_clISt17integral_constantIbLb1EESY_IbLb0EEEEDaSU_SV_EUlSU_E_NS1_11comp_targetILNS1_3genE3ELNS1_11target_archE908ELNS1_3gpuE7ELNS1_3repE0EEENS1_30default_config_static_selectorELNS0_4arch9wavefront6targetE1EEEvT1_,"axG",@progbits,_ZN7rocprim17ROCPRIM_400000_NS6detail17trampoline_kernelINS0_14default_configENS1_33run_length_encode_config_selectorIjjNS0_4plusIjEEEEZZNS1_33reduce_by_key_impl_wrapped_configILNS1_25lookback_scan_determinismE0ES3_S7_PKjNS0_17constant_iteratorIjlEEPjPlSF_S6_NS0_8equal_toIjEEEE10hipError_tPvRmT2_T3_mT4_T5_T6_T7_T8_P12ihipStream_tbENKUlT_T0_E_clISt17integral_constantIbLb1EESY_IbLb0EEEEDaSU_SV_EUlSU_E_NS1_11comp_targetILNS1_3genE3ELNS1_11target_archE908ELNS1_3gpuE7ELNS1_3repE0EEENS1_30default_config_static_selectorELNS0_4arch9wavefront6targetE1EEEvT1_,comdat
.Lfunc_end670:
	.size	_ZN7rocprim17ROCPRIM_400000_NS6detail17trampoline_kernelINS0_14default_configENS1_33run_length_encode_config_selectorIjjNS0_4plusIjEEEEZZNS1_33reduce_by_key_impl_wrapped_configILNS1_25lookback_scan_determinismE0ES3_S7_PKjNS0_17constant_iteratorIjlEEPjPlSF_S6_NS0_8equal_toIjEEEE10hipError_tPvRmT2_T3_mT4_T5_T6_T7_T8_P12ihipStream_tbENKUlT_T0_E_clISt17integral_constantIbLb1EESY_IbLb0EEEEDaSU_SV_EUlSU_E_NS1_11comp_targetILNS1_3genE3ELNS1_11target_archE908ELNS1_3gpuE7ELNS1_3repE0EEENS1_30default_config_static_selectorELNS0_4arch9wavefront6targetE1EEEvT1_, .Lfunc_end670-_ZN7rocprim17ROCPRIM_400000_NS6detail17trampoline_kernelINS0_14default_configENS1_33run_length_encode_config_selectorIjjNS0_4plusIjEEEEZZNS1_33reduce_by_key_impl_wrapped_configILNS1_25lookback_scan_determinismE0ES3_S7_PKjNS0_17constant_iteratorIjlEEPjPlSF_S6_NS0_8equal_toIjEEEE10hipError_tPvRmT2_T3_mT4_T5_T6_T7_T8_P12ihipStream_tbENKUlT_T0_E_clISt17integral_constantIbLb1EESY_IbLb0EEEEDaSU_SV_EUlSU_E_NS1_11comp_targetILNS1_3genE3ELNS1_11target_archE908ELNS1_3gpuE7ELNS1_3repE0EEENS1_30default_config_static_selectorELNS0_4arch9wavefront6targetE1EEEvT1_
                                        ; -- End function
	.section	.AMDGPU.csdata,"",@progbits
; Kernel info:
; codeLenInByte = 0
; NumSgprs: 4
; NumVgprs: 0
; NumAgprs: 0
; TotalNumVgprs: 0
; ScratchSize: 0
; MemoryBound: 0
; FloatMode: 240
; IeeeMode: 1
; LDSByteSize: 0 bytes/workgroup (compile time only)
; SGPRBlocks: 0
; VGPRBlocks: 0
; NumSGPRsForWavesPerEU: 4
; NumVGPRsForWavesPerEU: 1
; AccumOffset: 4
; Occupancy: 8
; WaveLimiterHint : 0
; COMPUTE_PGM_RSRC2:SCRATCH_EN: 0
; COMPUTE_PGM_RSRC2:USER_SGPR: 6
; COMPUTE_PGM_RSRC2:TRAP_HANDLER: 0
; COMPUTE_PGM_RSRC2:TGID_X_EN: 1
; COMPUTE_PGM_RSRC2:TGID_Y_EN: 0
; COMPUTE_PGM_RSRC2:TGID_Z_EN: 0
; COMPUTE_PGM_RSRC2:TIDIG_COMP_CNT: 0
; COMPUTE_PGM_RSRC3_GFX90A:ACCUM_OFFSET: 0
; COMPUTE_PGM_RSRC3_GFX90A:TG_SPLIT: 0
	.section	.text._ZN7rocprim17ROCPRIM_400000_NS6detail17trampoline_kernelINS0_14default_configENS1_33run_length_encode_config_selectorIjjNS0_4plusIjEEEEZZNS1_33reduce_by_key_impl_wrapped_configILNS1_25lookback_scan_determinismE0ES3_S7_PKjNS0_17constant_iteratorIjlEEPjPlSF_S6_NS0_8equal_toIjEEEE10hipError_tPvRmT2_T3_mT4_T5_T6_T7_T8_P12ihipStream_tbENKUlT_T0_E_clISt17integral_constantIbLb1EESY_IbLb0EEEEDaSU_SV_EUlSU_E_NS1_11comp_targetILNS1_3genE2ELNS1_11target_archE906ELNS1_3gpuE6ELNS1_3repE0EEENS1_30default_config_static_selectorELNS0_4arch9wavefront6targetE1EEEvT1_,"axG",@progbits,_ZN7rocprim17ROCPRIM_400000_NS6detail17trampoline_kernelINS0_14default_configENS1_33run_length_encode_config_selectorIjjNS0_4plusIjEEEEZZNS1_33reduce_by_key_impl_wrapped_configILNS1_25lookback_scan_determinismE0ES3_S7_PKjNS0_17constant_iteratorIjlEEPjPlSF_S6_NS0_8equal_toIjEEEE10hipError_tPvRmT2_T3_mT4_T5_T6_T7_T8_P12ihipStream_tbENKUlT_T0_E_clISt17integral_constantIbLb1EESY_IbLb0EEEEDaSU_SV_EUlSU_E_NS1_11comp_targetILNS1_3genE2ELNS1_11target_archE906ELNS1_3gpuE6ELNS1_3repE0EEENS1_30default_config_static_selectorELNS0_4arch9wavefront6targetE1EEEvT1_,comdat
	.protected	_ZN7rocprim17ROCPRIM_400000_NS6detail17trampoline_kernelINS0_14default_configENS1_33run_length_encode_config_selectorIjjNS0_4plusIjEEEEZZNS1_33reduce_by_key_impl_wrapped_configILNS1_25lookback_scan_determinismE0ES3_S7_PKjNS0_17constant_iteratorIjlEEPjPlSF_S6_NS0_8equal_toIjEEEE10hipError_tPvRmT2_T3_mT4_T5_T6_T7_T8_P12ihipStream_tbENKUlT_T0_E_clISt17integral_constantIbLb1EESY_IbLb0EEEEDaSU_SV_EUlSU_E_NS1_11comp_targetILNS1_3genE2ELNS1_11target_archE906ELNS1_3gpuE6ELNS1_3repE0EEENS1_30default_config_static_selectorELNS0_4arch9wavefront6targetE1EEEvT1_ ; -- Begin function _ZN7rocprim17ROCPRIM_400000_NS6detail17trampoline_kernelINS0_14default_configENS1_33run_length_encode_config_selectorIjjNS0_4plusIjEEEEZZNS1_33reduce_by_key_impl_wrapped_configILNS1_25lookback_scan_determinismE0ES3_S7_PKjNS0_17constant_iteratorIjlEEPjPlSF_S6_NS0_8equal_toIjEEEE10hipError_tPvRmT2_T3_mT4_T5_T6_T7_T8_P12ihipStream_tbENKUlT_T0_E_clISt17integral_constantIbLb1EESY_IbLb0EEEEDaSU_SV_EUlSU_E_NS1_11comp_targetILNS1_3genE2ELNS1_11target_archE906ELNS1_3gpuE6ELNS1_3repE0EEENS1_30default_config_static_selectorELNS0_4arch9wavefront6targetE1EEEvT1_
	.globl	_ZN7rocprim17ROCPRIM_400000_NS6detail17trampoline_kernelINS0_14default_configENS1_33run_length_encode_config_selectorIjjNS0_4plusIjEEEEZZNS1_33reduce_by_key_impl_wrapped_configILNS1_25lookback_scan_determinismE0ES3_S7_PKjNS0_17constant_iteratorIjlEEPjPlSF_S6_NS0_8equal_toIjEEEE10hipError_tPvRmT2_T3_mT4_T5_T6_T7_T8_P12ihipStream_tbENKUlT_T0_E_clISt17integral_constantIbLb1EESY_IbLb0EEEEDaSU_SV_EUlSU_E_NS1_11comp_targetILNS1_3genE2ELNS1_11target_archE906ELNS1_3gpuE6ELNS1_3repE0EEENS1_30default_config_static_selectorELNS0_4arch9wavefront6targetE1EEEvT1_
	.p2align	8
	.type	_ZN7rocprim17ROCPRIM_400000_NS6detail17trampoline_kernelINS0_14default_configENS1_33run_length_encode_config_selectorIjjNS0_4plusIjEEEEZZNS1_33reduce_by_key_impl_wrapped_configILNS1_25lookback_scan_determinismE0ES3_S7_PKjNS0_17constant_iteratorIjlEEPjPlSF_S6_NS0_8equal_toIjEEEE10hipError_tPvRmT2_T3_mT4_T5_T6_T7_T8_P12ihipStream_tbENKUlT_T0_E_clISt17integral_constantIbLb1EESY_IbLb0EEEEDaSU_SV_EUlSU_E_NS1_11comp_targetILNS1_3genE2ELNS1_11target_archE906ELNS1_3gpuE6ELNS1_3repE0EEENS1_30default_config_static_selectorELNS0_4arch9wavefront6targetE1EEEvT1_,@function
_ZN7rocprim17ROCPRIM_400000_NS6detail17trampoline_kernelINS0_14default_configENS1_33run_length_encode_config_selectorIjjNS0_4plusIjEEEEZZNS1_33reduce_by_key_impl_wrapped_configILNS1_25lookback_scan_determinismE0ES3_S7_PKjNS0_17constant_iteratorIjlEEPjPlSF_S6_NS0_8equal_toIjEEEE10hipError_tPvRmT2_T3_mT4_T5_T6_T7_T8_P12ihipStream_tbENKUlT_T0_E_clISt17integral_constantIbLb1EESY_IbLb0EEEEDaSU_SV_EUlSU_E_NS1_11comp_targetILNS1_3genE2ELNS1_11target_archE906ELNS1_3gpuE6ELNS1_3repE0EEENS1_30default_config_static_selectorELNS0_4arch9wavefront6targetE1EEEvT1_: ; @_ZN7rocprim17ROCPRIM_400000_NS6detail17trampoline_kernelINS0_14default_configENS1_33run_length_encode_config_selectorIjjNS0_4plusIjEEEEZZNS1_33reduce_by_key_impl_wrapped_configILNS1_25lookback_scan_determinismE0ES3_S7_PKjNS0_17constant_iteratorIjlEEPjPlSF_S6_NS0_8equal_toIjEEEE10hipError_tPvRmT2_T3_mT4_T5_T6_T7_T8_P12ihipStream_tbENKUlT_T0_E_clISt17integral_constantIbLb1EESY_IbLb0EEEEDaSU_SV_EUlSU_E_NS1_11comp_targetILNS1_3genE2ELNS1_11target_archE906ELNS1_3gpuE6ELNS1_3repE0EEENS1_30default_config_static_selectorELNS0_4arch9wavefront6targetE1EEEvT1_
; %bb.0:
	.section	.rodata,"a",@progbits
	.p2align	6, 0x0
	.amdhsa_kernel _ZN7rocprim17ROCPRIM_400000_NS6detail17trampoline_kernelINS0_14default_configENS1_33run_length_encode_config_selectorIjjNS0_4plusIjEEEEZZNS1_33reduce_by_key_impl_wrapped_configILNS1_25lookback_scan_determinismE0ES3_S7_PKjNS0_17constant_iteratorIjlEEPjPlSF_S6_NS0_8equal_toIjEEEE10hipError_tPvRmT2_T3_mT4_T5_T6_T7_T8_P12ihipStream_tbENKUlT_T0_E_clISt17integral_constantIbLb1EESY_IbLb0EEEEDaSU_SV_EUlSU_E_NS1_11comp_targetILNS1_3genE2ELNS1_11target_archE906ELNS1_3gpuE6ELNS1_3repE0EEENS1_30default_config_static_selectorELNS0_4arch9wavefront6targetE1EEEvT1_
		.amdhsa_group_segment_fixed_size 0
		.amdhsa_private_segment_fixed_size 0
		.amdhsa_kernarg_size 128
		.amdhsa_user_sgpr_count 6
		.amdhsa_user_sgpr_private_segment_buffer 1
		.amdhsa_user_sgpr_dispatch_ptr 0
		.amdhsa_user_sgpr_queue_ptr 0
		.amdhsa_user_sgpr_kernarg_segment_ptr 1
		.amdhsa_user_sgpr_dispatch_id 0
		.amdhsa_user_sgpr_flat_scratch_init 0
		.amdhsa_user_sgpr_kernarg_preload_length 0
		.amdhsa_user_sgpr_kernarg_preload_offset 0
		.amdhsa_user_sgpr_private_segment_size 0
		.amdhsa_uses_dynamic_stack 0
		.amdhsa_system_sgpr_private_segment_wavefront_offset 0
		.amdhsa_system_sgpr_workgroup_id_x 1
		.amdhsa_system_sgpr_workgroup_id_y 0
		.amdhsa_system_sgpr_workgroup_id_z 0
		.amdhsa_system_sgpr_workgroup_info 0
		.amdhsa_system_vgpr_workitem_id 0
		.amdhsa_next_free_vgpr 1
		.amdhsa_next_free_sgpr 0
		.amdhsa_accum_offset 4
		.amdhsa_reserve_vcc 0
		.amdhsa_reserve_flat_scratch 0
		.amdhsa_float_round_mode_32 0
		.amdhsa_float_round_mode_16_64 0
		.amdhsa_float_denorm_mode_32 3
		.amdhsa_float_denorm_mode_16_64 3
		.amdhsa_dx10_clamp 1
		.amdhsa_ieee_mode 1
		.amdhsa_fp16_overflow 0
		.amdhsa_tg_split 0
		.amdhsa_exception_fp_ieee_invalid_op 0
		.amdhsa_exception_fp_denorm_src 0
		.amdhsa_exception_fp_ieee_div_zero 0
		.amdhsa_exception_fp_ieee_overflow 0
		.amdhsa_exception_fp_ieee_underflow 0
		.amdhsa_exception_fp_ieee_inexact 0
		.amdhsa_exception_int_div_zero 0
	.end_amdhsa_kernel
	.section	.text._ZN7rocprim17ROCPRIM_400000_NS6detail17trampoline_kernelINS0_14default_configENS1_33run_length_encode_config_selectorIjjNS0_4plusIjEEEEZZNS1_33reduce_by_key_impl_wrapped_configILNS1_25lookback_scan_determinismE0ES3_S7_PKjNS0_17constant_iteratorIjlEEPjPlSF_S6_NS0_8equal_toIjEEEE10hipError_tPvRmT2_T3_mT4_T5_T6_T7_T8_P12ihipStream_tbENKUlT_T0_E_clISt17integral_constantIbLb1EESY_IbLb0EEEEDaSU_SV_EUlSU_E_NS1_11comp_targetILNS1_3genE2ELNS1_11target_archE906ELNS1_3gpuE6ELNS1_3repE0EEENS1_30default_config_static_selectorELNS0_4arch9wavefront6targetE1EEEvT1_,"axG",@progbits,_ZN7rocprim17ROCPRIM_400000_NS6detail17trampoline_kernelINS0_14default_configENS1_33run_length_encode_config_selectorIjjNS0_4plusIjEEEEZZNS1_33reduce_by_key_impl_wrapped_configILNS1_25lookback_scan_determinismE0ES3_S7_PKjNS0_17constant_iteratorIjlEEPjPlSF_S6_NS0_8equal_toIjEEEE10hipError_tPvRmT2_T3_mT4_T5_T6_T7_T8_P12ihipStream_tbENKUlT_T0_E_clISt17integral_constantIbLb1EESY_IbLb0EEEEDaSU_SV_EUlSU_E_NS1_11comp_targetILNS1_3genE2ELNS1_11target_archE906ELNS1_3gpuE6ELNS1_3repE0EEENS1_30default_config_static_selectorELNS0_4arch9wavefront6targetE1EEEvT1_,comdat
.Lfunc_end671:
	.size	_ZN7rocprim17ROCPRIM_400000_NS6detail17trampoline_kernelINS0_14default_configENS1_33run_length_encode_config_selectorIjjNS0_4plusIjEEEEZZNS1_33reduce_by_key_impl_wrapped_configILNS1_25lookback_scan_determinismE0ES3_S7_PKjNS0_17constant_iteratorIjlEEPjPlSF_S6_NS0_8equal_toIjEEEE10hipError_tPvRmT2_T3_mT4_T5_T6_T7_T8_P12ihipStream_tbENKUlT_T0_E_clISt17integral_constantIbLb1EESY_IbLb0EEEEDaSU_SV_EUlSU_E_NS1_11comp_targetILNS1_3genE2ELNS1_11target_archE906ELNS1_3gpuE6ELNS1_3repE0EEENS1_30default_config_static_selectorELNS0_4arch9wavefront6targetE1EEEvT1_, .Lfunc_end671-_ZN7rocprim17ROCPRIM_400000_NS6detail17trampoline_kernelINS0_14default_configENS1_33run_length_encode_config_selectorIjjNS0_4plusIjEEEEZZNS1_33reduce_by_key_impl_wrapped_configILNS1_25lookback_scan_determinismE0ES3_S7_PKjNS0_17constant_iteratorIjlEEPjPlSF_S6_NS0_8equal_toIjEEEE10hipError_tPvRmT2_T3_mT4_T5_T6_T7_T8_P12ihipStream_tbENKUlT_T0_E_clISt17integral_constantIbLb1EESY_IbLb0EEEEDaSU_SV_EUlSU_E_NS1_11comp_targetILNS1_3genE2ELNS1_11target_archE906ELNS1_3gpuE6ELNS1_3repE0EEENS1_30default_config_static_selectorELNS0_4arch9wavefront6targetE1EEEvT1_
                                        ; -- End function
	.section	.AMDGPU.csdata,"",@progbits
; Kernel info:
; codeLenInByte = 0
; NumSgprs: 4
; NumVgprs: 0
; NumAgprs: 0
; TotalNumVgprs: 0
; ScratchSize: 0
; MemoryBound: 0
; FloatMode: 240
; IeeeMode: 1
; LDSByteSize: 0 bytes/workgroup (compile time only)
; SGPRBlocks: 0
; VGPRBlocks: 0
; NumSGPRsForWavesPerEU: 4
; NumVGPRsForWavesPerEU: 1
; AccumOffset: 4
; Occupancy: 8
; WaveLimiterHint : 0
; COMPUTE_PGM_RSRC2:SCRATCH_EN: 0
; COMPUTE_PGM_RSRC2:USER_SGPR: 6
; COMPUTE_PGM_RSRC2:TRAP_HANDLER: 0
; COMPUTE_PGM_RSRC2:TGID_X_EN: 1
; COMPUTE_PGM_RSRC2:TGID_Y_EN: 0
; COMPUTE_PGM_RSRC2:TGID_Z_EN: 0
; COMPUTE_PGM_RSRC2:TIDIG_COMP_CNT: 0
; COMPUTE_PGM_RSRC3_GFX90A:ACCUM_OFFSET: 0
; COMPUTE_PGM_RSRC3_GFX90A:TG_SPLIT: 0
	.section	.text._ZN7rocprim17ROCPRIM_400000_NS6detail17trampoline_kernelINS0_14default_configENS1_33run_length_encode_config_selectorIjjNS0_4plusIjEEEEZZNS1_33reduce_by_key_impl_wrapped_configILNS1_25lookback_scan_determinismE0ES3_S7_PKjNS0_17constant_iteratorIjlEEPjPlSF_S6_NS0_8equal_toIjEEEE10hipError_tPvRmT2_T3_mT4_T5_T6_T7_T8_P12ihipStream_tbENKUlT_T0_E_clISt17integral_constantIbLb1EESY_IbLb0EEEEDaSU_SV_EUlSU_E_NS1_11comp_targetILNS1_3genE10ELNS1_11target_archE1201ELNS1_3gpuE5ELNS1_3repE0EEENS1_30default_config_static_selectorELNS0_4arch9wavefront6targetE1EEEvT1_,"axG",@progbits,_ZN7rocprim17ROCPRIM_400000_NS6detail17trampoline_kernelINS0_14default_configENS1_33run_length_encode_config_selectorIjjNS0_4plusIjEEEEZZNS1_33reduce_by_key_impl_wrapped_configILNS1_25lookback_scan_determinismE0ES3_S7_PKjNS0_17constant_iteratorIjlEEPjPlSF_S6_NS0_8equal_toIjEEEE10hipError_tPvRmT2_T3_mT4_T5_T6_T7_T8_P12ihipStream_tbENKUlT_T0_E_clISt17integral_constantIbLb1EESY_IbLb0EEEEDaSU_SV_EUlSU_E_NS1_11comp_targetILNS1_3genE10ELNS1_11target_archE1201ELNS1_3gpuE5ELNS1_3repE0EEENS1_30default_config_static_selectorELNS0_4arch9wavefront6targetE1EEEvT1_,comdat
	.protected	_ZN7rocprim17ROCPRIM_400000_NS6detail17trampoline_kernelINS0_14default_configENS1_33run_length_encode_config_selectorIjjNS0_4plusIjEEEEZZNS1_33reduce_by_key_impl_wrapped_configILNS1_25lookback_scan_determinismE0ES3_S7_PKjNS0_17constant_iteratorIjlEEPjPlSF_S6_NS0_8equal_toIjEEEE10hipError_tPvRmT2_T3_mT4_T5_T6_T7_T8_P12ihipStream_tbENKUlT_T0_E_clISt17integral_constantIbLb1EESY_IbLb0EEEEDaSU_SV_EUlSU_E_NS1_11comp_targetILNS1_3genE10ELNS1_11target_archE1201ELNS1_3gpuE5ELNS1_3repE0EEENS1_30default_config_static_selectorELNS0_4arch9wavefront6targetE1EEEvT1_ ; -- Begin function _ZN7rocprim17ROCPRIM_400000_NS6detail17trampoline_kernelINS0_14default_configENS1_33run_length_encode_config_selectorIjjNS0_4plusIjEEEEZZNS1_33reduce_by_key_impl_wrapped_configILNS1_25lookback_scan_determinismE0ES3_S7_PKjNS0_17constant_iteratorIjlEEPjPlSF_S6_NS0_8equal_toIjEEEE10hipError_tPvRmT2_T3_mT4_T5_T6_T7_T8_P12ihipStream_tbENKUlT_T0_E_clISt17integral_constantIbLb1EESY_IbLb0EEEEDaSU_SV_EUlSU_E_NS1_11comp_targetILNS1_3genE10ELNS1_11target_archE1201ELNS1_3gpuE5ELNS1_3repE0EEENS1_30default_config_static_selectorELNS0_4arch9wavefront6targetE1EEEvT1_
	.globl	_ZN7rocprim17ROCPRIM_400000_NS6detail17trampoline_kernelINS0_14default_configENS1_33run_length_encode_config_selectorIjjNS0_4plusIjEEEEZZNS1_33reduce_by_key_impl_wrapped_configILNS1_25lookback_scan_determinismE0ES3_S7_PKjNS0_17constant_iteratorIjlEEPjPlSF_S6_NS0_8equal_toIjEEEE10hipError_tPvRmT2_T3_mT4_T5_T6_T7_T8_P12ihipStream_tbENKUlT_T0_E_clISt17integral_constantIbLb1EESY_IbLb0EEEEDaSU_SV_EUlSU_E_NS1_11comp_targetILNS1_3genE10ELNS1_11target_archE1201ELNS1_3gpuE5ELNS1_3repE0EEENS1_30default_config_static_selectorELNS0_4arch9wavefront6targetE1EEEvT1_
	.p2align	8
	.type	_ZN7rocprim17ROCPRIM_400000_NS6detail17trampoline_kernelINS0_14default_configENS1_33run_length_encode_config_selectorIjjNS0_4plusIjEEEEZZNS1_33reduce_by_key_impl_wrapped_configILNS1_25lookback_scan_determinismE0ES3_S7_PKjNS0_17constant_iteratorIjlEEPjPlSF_S6_NS0_8equal_toIjEEEE10hipError_tPvRmT2_T3_mT4_T5_T6_T7_T8_P12ihipStream_tbENKUlT_T0_E_clISt17integral_constantIbLb1EESY_IbLb0EEEEDaSU_SV_EUlSU_E_NS1_11comp_targetILNS1_3genE10ELNS1_11target_archE1201ELNS1_3gpuE5ELNS1_3repE0EEENS1_30default_config_static_selectorELNS0_4arch9wavefront6targetE1EEEvT1_,@function
_ZN7rocprim17ROCPRIM_400000_NS6detail17trampoline_kernelINS0_14default_configENS1_33run_length_encode_config_selectorIjjNS0_4plusIjEEEEZZNS1_33reduce_by_key_impl_wrapped_configILNS1_25lookback_scan_determinismE0ES3_S7_PKjNS0_17constant_iteratorIjlEEPjPlSF_S6_NS0_8equal_toIjEEEE10hipError_tPvRmT2_T3_mT4_T5_T6_T7_T8_P12ihipStream_tbENKUlT_T0_E_clISt17integral_constantIbLb1EESY_IbLb0EEEEDaSU_SV_EUlSU_E_NS1_11comp_targetILNS1_3genE10ELNS1_11target_archE1201ELNS1_3gpuE5ELNS1_3repE0EEENS1_30default_config_static_selectorELNS0_4arch9wavefront6targetE1EEEvT1_: ; @_ZN7rocprim17ROCPRIM_400000_NS6detail17trampoline_kernelINS0_14default_configENS1_33run_length_encode_config_selectorIjjNS0_4plusIjEEEEZZNS1_33reduce_by_key_impl_wrapped_configILNS1_25lookback_scan_determinismE0ES3_S7_PKjNS0_17constant_iteratorIjlEEPjPlSF_S6_NS0_8equal_toIjEEEE10hipError_tPvRmT2_T3_mT4_T5_T6_T7_T8_P12ihipStream_tbENKUlT_T0_E_clISt17integral_constantIbLb1EESY_IbLb0EEEEDaSU_SV_EUlSU_E_NS1_11comp_targetILNS1_3genE10ELNS1_11target_archE1201ELNS1_3gpuE5ELNS1_3repE0EEENS1_30default_config_static_selectorELNS0_4arch9wavefront6targetE1EEEvT1_
; %bb.0:
	.section	.rodata,"a",@progbits
	.p2align	6, 0x0
	.amdhsa_kernel _ZN7rocprim17ROCPRIM_400000_NS6detail17trampoline_kernelINS0_14default_configENS1_33run_length_encode_config_selectorIjjNS0_4plusIjEEEEZZNS1_33reduce_by_key_impl_wrapped_configILNS1_25lookback_scan_determinismE0ES3_S7_PKjNS0_17constant_iteratorIjlEEPjPlSF_S6_NS0_8equal_toIjEEEE10hipError_tPvRmT2_T3_mT4_T5_T6_T7_T8_P12ihipStream_tbENKUlT_T0_E_clISt17integral_constantIbLb1EESY_IbLb0EEEEDaSU_SV_EUlSU_E_NS1_11comp_targetILNS1_3genE10ELNS1_11target_archE1201ELNS1_3gpuE5ELNS1_3repE0EEENS1_30default_config_static_selectorELNS0_4arch9wavefront6targetE1EEEvT1_
		.amdhsa_group_segment_fixed_size 0
		.amdhsa_private_segment_fixed_size 0
		.amdhsa_kernarg_size 128
		.amdhsa_user_sgpr_count 6
		.amdhsa_user_sgpr_private_segment_buffer 1
		.amdhsa_user_sgpr_dispatch_ptr 0
		.amdhsa_user_sgpr_queue_ptr 0
		.amdhsa_user_sgpr_kernarg_segment_ptr 1
		.amdhsa_user_sgpr_dispatch_id 0
		.amdhsa_user_sgpr_flat_scratch_init 0
		.amdhsa_user_sgpr_kernarg_preload_length 0
		.amdhsa_user_sgpr_kernarg_preload_offset 0
		.amdhsa_user_sgpr_private_segment_size 0
		.amdhsa_uses_dynamic_stack 0
		.amdhsa_system_sgpr_private_segment_wavefront_offset 0
		.amdhsa_system_sgpr_workgroup_id_x 1
		.amdhsa_system_sgpr_workgroup_id_y 0
		.amdhsa_system_sgpr_workgroup_id_z 0
		.amdhsa_system_sgpr_workgroup_info 0
		.amdhsa_system_vgpr_workitem_id 0
		.amdhsa_next_free_vgpr 1
		.amdhsa_next_free_sgpr 0
		.amdhsa_accum_offset 4
		.amdhsa_reserve_vcc 0
		.amdhsa_reserve_flat_scratch 0
		.amdhsa_float_round_mode_32 0
		.amdhsa_float_round_mode_16_64 0
		.amdhsa_float_denorm_mode_32 3
		.amdhsa_float_denorm_mode_16_64 3
		.amdhsa_dx10_clamp 1
		.amdhsa_ieee_mode 1
		.amdhsa_fp16_overflow 0
		.amdhsa_tg_split 0
		.amdhsa_exception_fp_ieee_invalid_op 0
		.amdhsa_exception_fp_denorm_src 0
		.amdhsa_exception_fp_ieee_div_zero 0
		.amdhsa_exception_fp_ieee_overflow 0
		.amdhsa_exception_fp_ieee_underflow 0
		.amdhsa_exception_fp_ieee_inexact 0
		.amdhsa_exception_int_div_zero 0
	.end_amdhsa_kernel
	.section	.text._ZN7rocprim17ROCPRIM_400000_NS6detail17trampoline_kernelINS0_14default_configENS1_33run_length_encode_config_selectorIjjNS0_4plusIjEEEEZZNS1_33reduce_by_key_impl_wrapped_configILNS1_25lookback_scan_determinismE0ES3_S7_PKjNS0_17constant_iteratorIjlEEPjPlSF_S6_NS0_8equal_toIjEEEE10hipError_tPvRmT2_T3_mT4_T5_T6_T7_T8_P12ihipStream_tbENKUlT_T0_E_clISt17integral_constantIbLb1EESY_IbLb0EEEEDaSU_SV_EUlSU_E_NS1_11comp_targetILNS1_3genE10ELNS1_11target_archE1201ELNS1_3gpuE5ELNS1_3repE0EEENS1_30default_config_static_selectorELNS0_4arch9wavefront6targetE1EEEvT1_,"axG",@progbits,_ZN7rocprim17ROCPRIM_400000_NS6detail17trampoline_kernelINS0_14default_configENS1_33run_length_encode_config_selectorIjjNS0_4plusIjEEEEZZNS1_33reduce_by_key_impl_wrapped_configILNS1_25lookback_scan_determinismE0ES3_S7_PKjNS0_17constant_iteratorIjlEEPjPlSF_S6_NS0_8equal_toIjEEEE10hipError_tPvRmT2_T3_mT4_T5_T6_T7_T8_P12ihipStream_tbENKUlT_T0_E_clISt17integral_constantIbLb1EESY_IbLb0EEEEDaSU_SV_EUlSU_E_NS1_11comp_targetILNS1_3genE10ELNS1_11target_archE1201ELNS1_3gpuE5ELNS1_3repE0EEENS1_30default_config_static_selectorELNS0_4arch9wavefront6targetE1EEEvT1_,comdat
.Lfunc_end672:
	.size	_ZN7rocprim17ROCPRIM_400000_NS6detail17trampoline_kernelINS0_14default_configENS1_33run_length_encode_config_selectorIjjNS0_4plusIjEEEEZZNS1_33reduce_by_key_impl_wrapped_configILNS1_25lookback_scan_determinismE0ES3_S7_PKjNS0_17constant_iteratorIjlEEPjPlSF_S6_NS0_8equal_toIjEEEE10hipError_tPvRmT2_T3_mT4_T5_T6_T7_T8_P12ihipStream_tbENKUlT_T0_E_clISt17integral_constantIbLb1EESY_IbLb0EEEEDaSU_SV_EUlSU_E_NS1_11comp_targetILNS1_3genE10ELNS1_11target_archE1201ELNS1_3gpuE5ELNS1_3repE0EEENS1_30default_config_static_selectorELNS0_4arch9wavefront6targetE1EEEvT1_, .Lfunc_end672-_ZN7rocprim17ROCPRIM_400000_NS6detail17trampoline_kernelINS0_14default_configENS1_33run_length_encode_config_selectorIjjNS0_4plusIjEEEEZZNS1_33reduce_by_key_impl_wrapped_configILNS1_25lookback_scan_determinismE0ES3_S7_PKjNS0_17constant_iteratorIjlEEPjPlSF_S6_NS0_8equal_toIjEEEE10hipError_tPvRmT2_T3_mT4_T5_T6_T7_T8_P12ihipStream_tbENKUlT_T0_E_clISt17integral_constantIbLb1EESY_IbLb0EEEEDaSU_SV_EUlSU_E_NS1_11comp_targetILNS1_3genE10ELNS1_11target_archE1201ELNS1_3gpuE5ELNS1_3repE0EEENS1_30default_config_static_selectorELNS0_4arch9wavefront6targetE1EEEvT1_
                                        ; -- End function
	.section	.AMDGPU.csdata,"",@progbits
; Kernel info:
; codeLenInByte = 0
; NumSgprs: 4
; NumVgprs: 0
; NumAgprs: 0
; TotalNumVgprs: 0
; ScratchSize: 0
; MemoryBound: 0
; FloatMode: 240
; IeeeMode: 1
; LDSByteSize: 0 bytes/workgroup (compile time only)
; SGPRBlocks: 0
; VGPRBlocks: 0
; NumSGPRsForWavesPerEU: 4
; NumVGPRsForWavesPerEU: 1
; AccumOffset: 4
; Occupancy: 8
; WaveLimiterHint : 0
; COMPUTE_PGM_RSRC2:SCRATCH_EN: 0
; COMPUTE_PGM_RSRC2:USER_SGPR: 6
; COMPUTE_PGM_RSRC2:TRAP_HANDLER: 0
; COMPUTE_PGM_RSRC2:TGID_X_EN: 1
; COMPUTE_PGM_RSRC2:TGID_Y_EN: 0
; COMPUTE_PGM_RSRC2:TGID_Z_EN: 0
; COMPUTE_PGM_RSRC2:TIDIG_COMP_CNT: 0
; COMPUTE_PGM_RSRC3_GFX90A:ACCUM_OFFSET: 0
; COMPUTE_PGM_RSRC3_GFX90A:TG_SPLIT: 0
	.section	.text._ZN7rocprim17ROCPRIM_400000_NS6detail17trampoline_kernelINS0_14default_configENS1_33run_length_encode_config_selectorIjjNS0_4plusIjEEEEZZNS1_33reduce_by_key_impl_wrapped_configILNS1_25lookback_scan_determinismE0ES3_S7_PKjNS0_17constant_iteratorIjlEEPjPlSF_S6_NS0_8equal_toIjEEEE10hipError_tPvRmT2_T3_mT4_T5_T6_T7_T8_P12ihipStream_tbENKUlT_T0_E_clISt17integral_constantIbLb1EESY_IbLb0EEEEDaSU_SV_EUlSU_E_NS1_11comp_targetILNS1_3genE10ELNS1_11target_archE1200ELNS1_3gpuE4ELNS1_3repE0EEENS1_30default_config_static_selectorELNS0_4arch9wavefront6targetE1EEEvT1_,"axG",@progbits,_ZN7rocprim17ROCPRIM_400000_NS6detail17trampoline_kernelINS0_14default_configENS1_33run_length_encode_config_selectorIjjNS0_4plusIjEEEEZZNS1_33reduce_by_key_impl_wrapped_configILNS1_25lookback_scan_determinismE0ES3_S7_PKjNS0_17constant_iteratorIjlEEPjPlSF_S6_NS0_8equal_toIjEEEE10hipError_tPvRmT2_T3_mT4_T5_T6_T7_T8_P12ihipStream_tbENKUlT_T0_E_clISt17integral_constantIbLb1EESY_IbLb0EEEEDaSU_SV_EUlSU_E_NS1_11comp_targetILNS1_3genE10ELNS1_11target_archE1200ELNS1_3gpuE4ELNS1_3repE0EEENS1_30default_config_static_selectorELNS0_4arch9wavefront6targetE1EEEvT1_,comdat
	.protected	_ZN7rocprim17ROCPRIM_400000_NS6detail17trampoline_kernelINS0_14default_configENS1_33run_length_encode_config_selectorIjjNS0_4plusIjEEEEZZNS1_33reduce_by_key_impl_wrapped_configILNS1_25lookback_scan_determinismE0ES3_S7_PKjNS0_17constant_iteratorIjlEEPjPlSF_S6_NS0_8equal_toIjEEEE10hipError_tPvRmT2_T3_mT4_T5_T6_T7_T8_P12ihipStream_tbENKUlT_T0_E_clISt17integral_constantIbLb1EESY_IbLb0EEEEDaSU_SV_EUlSU_E_NS1_11comp_targetILNS1_3genE10ELNS1_11target_archE1200ELNS1_3gpuE4ELNS1_3repE0EEENS1_30default_config_static_selectorELNS0_4arch9wavefront6targetE1EEEvT1_ ; -- Begin function _ZN7rocprim17ROCPRIM_400000_NS6detail17trampoline_kernelINS0_14default_configENS1_33run_length_encode_config_selectorIjjNS0_4plusIjEEEEZZNS1_33reduce_by_key_impl_wrapped_configILNS1_25lookback_scan_determinismE0ES3_S7_PKjNS0_17constant_iteratorIjlEEPjPlSF_S6_NS0_8equal_toIjEEEE10hipError_tPvRmT2_T3_mT4_T5_T6_T7_T8_P12ihipStream_tbENKUlT_T0_E_clISt17integral_constantIbLb1EESY_IbLb0EEEEDaSU_SV_EUlSU_E_NS1_11comp_targetILNS1_3genE10ELNS1_11target_archE1200ELNS1_3gpuE4ELNS1_3repE0EEENS1_30default_config_static_selectorELNS0_4arch9wavefront6targetE1EEEvT1_
	.globl	_ZN7rocprim17ROCPRIM_400000_NS6detail17trampoline_kernelINS0_14default_configENS1_33run_length_encode_config_selectorIjjNS0_4plusIjEEEEZZNS1_33reduce_by_key_impl_wrapped_configILNS1_25lookback_scan_determinismE0ES3_S7_PKjNS0_17constant_iteratorIjlEEPjPlSF_S6_NS0_8equal_toIjEEEE10hipError_tPvRmT2_T3_mT4_T5_T6_T7_T8_P12ihipStream_tbENKUlT_T0_E_clISt17integral_constantIbLb1EESY_IbLb0EEEEDaSU_SV_EUlSU_E_NS1_11comp_targetILNS1_3genE10ELNS1_11target_archE1200ELNS1_3gpuE4ELNS1_3repE0EEENS1_30default_config_static_selectorELNS0_4arch9wavefront6targetE1EEEvT1_
	.p2align	8
	.type	_ZN7rocprim17ROCPRIM_400000_NS6detail17trampoline_kernelINS0_14default_configENS1_33run_length_encode_config_selectorIjjNS0_4plusIjEEEEZZNS1_33reduce_by_key_impl_wrapped_configILNS1_25lookback_scan_determinismE0ES3_S7_PKjNS0_17constant_iteratorIjlEEPjPlSF_S6_NS0_8equal_toIjEEEE10hipError_tPvRmT2_T3_mT4_T5_T6_T7_T8_P12ihipStream_tbENKUlT_T0_E_clISt17integral_constantIbLb1EESY_IbLb0EEEEDaSU_SV_EUlSU_E_NS1_11comp_targetILNS1_3genE10ELNS1_11target_archE1200ELNS1_3gpuE4ELNS1_3repE0EEENS1_30default_config_static_selectorELNS0_4arch9wavefront6targetE1EEEvT1_,@function
_ZN7rocprim17ROCPRIM_400000_NS6detail17trampoline_kernelINS0_14default_configENS1_33run_length_encode_config_selectorIjjNS0_4plusIjEEEEZZNS1_33reduce_by_key_impl_wrapped_configILNS1_25lookback_scan_determinismE0ES3_S7_PKjNS0_17constant_iteratorIjlEEPjPlSF_S6_NS0_8equal_toIjEEEE10hipError_tPvRmT2_T3_mT4_T5_T6_T7_T8_P12ihipStream_tbENKUlT_T0_E_clISt17integral_constantIbLb1EESY_IbLb0EEEEDaSU_SV_EUlSU_E_NS1_11comp_targetILNS1_3genE10ELNS1_11target_archE1200ELNS1_3gpuE4ELNS1_3repE0EEENS1_30default_config_static_selectorELNS0_4arch9wavefront6targetE1EEEvT1_: ; @_ZN7rocprim17ROCPRIM_400000_NS6detail17trampoline_kernelINS0_14default_configENS1_33run_length_encode_config_selectorIjjNS0_4plusIjEEEEZZNS1_33reduce_by_key_impl_wrapped_configILNS1_25lookback_scan_determinismE0ES3_S7_PKjNS0_17constant_iteratorIjlEEPjPlSF_S6_NS0_8equal_toIjEEEE10hipError_tPvRmT2_T3_mT4_T5_T6_T7_T8_P12ihipStream_tbENKUlT_T0_E_clISt17integral_constantIbLb1EESY_IbLb0EEEEDaSU_SV_EUlSU_E_NS1_11comp_targetILNS1_3genE10ELNS1_11target_archE1200ELNS1_3gpuE4ELNS1_3repE0EEENS1_30default_config_static_selectorELNS0_4arch9wavefront6targetE1EEEvT1_
; %bb.0:
	.section	.rodata,"a",@progbits
	.p2align	6, 0x0
	.amdhsa_kernel _ZN7rocprim17ROCPRIM_400000_NS6detail17trampoline_kernelINS0_14default_configENS1_33run_length_encode_config_selectorIjjNS0_4plusIjEEEEZZNS1_33reduce_by_key_impl_wrapped_configILNS1_25lookback_scan_determinismE0ES3_S7_PKjNS0_17constant_iteratorIjlEEPjPlSF_S6_NS0_8equal_toIjEEEE10hipError_tPvRmT2_T3_mT4_T5_T6_T7_T8_P12ihipStream_tbENKUlT_T0_E_clISt17integral_constantIbLb1EESY_IbLb0EEEEDaSU_SV_EUlSU_E_NS1_11comp_targetILNS1_3genE10ELNS1_11target_archE1200ELNS1_3gpuE4ELNS1_3repE0EEENS1_30default_config_static_selectorELNS0_4arch9wavefront6targetE1EEEvT1_
		.amdhsa_group_segment_fixed_size 0
		.amdhsa_private_segment_fixed_size 0
		.amdhsa_kernarg_size 128
		.amdhsa_user_sgpr_count 6
		.amdhsa_user_sgpr_private_segment_buffer 1
		.amdhsa_user_sgpr_dispatch_ptr 0
		.amdhsa_user_sgpr_queue_ptr 0
		.amdhsa_user_sgpr_kernarg_segment_ptr 1
		.amdhsa_user_sgpr_dispatch_id 0
		.amdhsa_user_sgpr_flat_scratch_init 0
		.amdhsa_user_sgpr_kernarg_preload_length 0
		.amdhsa_user_sgpr_kernarg_preload_offset 0
		.amdhsa_user_sgpr_private_segment_size 0
		.amdhsa_uses_dynamic_stack 0
		.amdhsa_system_sgpr_private_segment_wavefront_offset 0
		.amdhsa_system_sgpr_workgroup_id_x 1
		.amdhsa_system_sgpr_workgroup_id_y 0
		.amdhsa_system_sgpr_workgroup_id_z 0
		.amdhsa_system_sgpr_workgroup_info 0
		.amdhsa_system_vgpr_workitem_id 0
		.amdhsa_next_free_vgpr 1
		.amdhsa_next_free_sgpr 0
		.amdhsa_accum_offset 4
		.amdhsa_reserve_vcc 0
		.amdhsa_reserve_flat_scratch 0
		.amdhsa_float_round_mode_32 0
		.amdhsa_float_round_mode_16_64 0
		.amdhsa_float_denorm_mode_32 3
		.amdhsa_float_denorm_mode_16_64 3
		.amdhsa_dx10_clamp 1
		.amdhsa_ieee_mode 1
		.amdhsa_fp16_overflow 0
		.amdhsa_tg_split 0
		.amdhsa_exception_fp_ieee_invalid_op 0
		.amdhsa_exception_fp_denorm_src 0
		.amdhsa_exception_fp_ieee_div_zero 0
		.amdhsa_exception_fp_ieee_overflow 0
		.amdhsa_exception_fp_ieee_underflow 0
		.amdhsa_exception_fp_ieee_inexact 0
		.amdhsa_exception_int_div_zero 0
	.end_amdhsa_kernel
	.section	.text._ZN7rocprim17ROCPRIM_400000_NS6detail17trampoline_kernelINS0_14default_configENS1_33run_length_encode_config_selectorIjjNS0_4plusIjEEEEZZNS1_33reduce_by_key_impl_wrapped_configILNS1_25lookback_scan_determinismE0ES3_S7_PKjNS0_17constant_iteratorIjlEEPjPlSF_S6_NS0_8equal_toIjEEEE10hipError_tPvRmT2_T3_mT4_T5_T6_T7_T8_P12ihipStream_tbENKUlT_T0_E_clISt17integral_constantIbLb1EESY_IbLb0EEEEDaSU_SV_EUlSU_E_NS1_11comp_targetILNS1_3genE10ELNS1_11target_archE1200ELNS1_3gpuE4ELNS1_3repE0EEENS1_30default_config_static_selectorELNS0_4arch9wavefront6targetE1EEEvT1_,"axG",@progbits,_ZN7rocprim17ROCPRIM_400000_NS6detail17trampoline_kernelINS0_14default_configENS1_33run_length_encode_config_selectorIjjNS0_4plusIjEEEEZZNS1_33reduce_by_key_impl_wrapped_configILNS1_25lookback_scan_determinismE0ES3_S7_PKjNS0_17constant_iteratorIjlEEPjPlSF_S6_NS0_8equal_toIjEEEE10hipError_tPvRmT2_T3_mT4_T5_T6_T7_T8_P12ihipStream_tbENKUlT_T0_E_clISt17integral_constantIbLb1EESY_IbLb0EEEEDaSU_SV_EUlSU_E_NS1_11comp_targetILNS1_3genE10ELNS1_11target_archE1200ELNS1_3gpuE4ELNS1_3repE0EEENS1_30default_config_static_selectorELNS0_4arch9wavefront6targetE1EEEvT1_,comdat
.Lfunc_end673:
	.size	_ZN7rocprim17ROCPRIM_400000_NS6detail17trampoline_kernelINS0_14default_configENS1_33run_length_encode_config_selectorIjjNS0_4plusIjEEEEZZNS1_33reduce_by_key_impl_wrapped_configILNS1_25lookback_scan_determinismE0ES3_S7_PKjNS0_17constant_iteratorIjlEEPjPlSF_S6_NS0_8equal_toIjEEEE10hipError_tPvRmT2_T3_mT4_T5_T6_T7_T8_P12ihipStream_tbENKUlT_T0_E_clISt17integral_constantIbLb1EESY_IbLb0EEEEDaSU_SV_EUlSU_E_NS1_11comp_targetILNS1_3genE10ELNS1_11target_archE1200ELNS1_3gpuE4ELNS1_3repE0EEENS1_30default_config_static_selectorELNS0_4arch9wavefront6targetE1EEEvT1_, .Lfunc_end673-_ZN7rocprim17ROCPRIM_400000_NS6detail17trampoline_kernelINS0_14default_configENS1_33run_length_encode_config_selectorIjjNS0_4plusIjEEEEZZNS1_33reduce_by_key_impl_wrapped_configILNS1_25lookback_scan_determinismE0ES3_S7_PKjNS0_17constant_iteratorIjlEEPjPlSF_S6_NS0_8equal_toIjEEEE10hipError_tPvRmT2_T3_mT4_T5_T6_T7_T8_P12ihipStream_tbENKUlT_T0_E_clISt17integral_constantIbLb1EESY_IbLb0EEEEDaSU_SV_EUlSU_E_NS1_11comp_targetILNS1_3genE10ELNS1_11target_archE1200ELNS1_3gpuE4ELNS1_3repE0EEENS1_30default_config_static_selectorELNS0_4arch9wavefront6targetE1EEEvT1_
                                        ; -- End function
	.section	.AMDGPU.csdata,"",@progbits
; Kernel info:
; codeLenInByte = 0
; NumSgprs: 4
; NumVgprs: 0
; NumAgprs: 0
; TotalNumVgprs: 0
; ScratchSize: 0
; MemoryBound: 0
; FloatMode: 240
; IeeeMode: 1
; LDSByteSize: 0 bytes/workgroup (compile time only)
; SGPRBlocks: 0
; VGPRBlocks: 0
; NumSGPRsForWavesPerEU: 4
; NumVGPRsForWavesPerEU: 1
; AccumOffset: 4
; Occupancy: 8
; WaveLimiterHint : 0
; COMPUTE_PGM_RSRC2:SCRATCH_EN: 0
; COMPUTE_PGM_RSRC2:USER_SGPR: 6
; COMPUTE_PGM_RSRC2:TRAP_HANDLER: 0
; COMPUTE_PGM_RSRC2:TGID_X_EN: 1
; COMPUTE_PGM_RSRC2:TGID_Y_EN: 0
; COMPUTE_PGM_RSRC2:TGID_Z_EN: 0
; COMPUTE_PGM_RSRC2:TIDIG_COMP_CNT: 0
; COMPUTE_PGM_RSRC3_GFX90A:ACCUM_OFFSET: 0
; COMPUTE_PGM_RSRC3_GFX90A:TG_SPLIT: 0
	.section	.text._ZN7rocprim17ROCPRIM_400000_NS6detail17trampoline_kernelINS0_14default_configENS1_33run_length_encode_config_selectorIjjNS0_4plusIjEEEEZZNS1_33reduce_by_key_impl_wrapped_configILNS1_25lookback_scan_determinismE0ES3_S7_PKjNS0_17constant_iteratorIjlEEPjPlSF_S6_NS0_8equal_toIjEEEE10hipError_tPvRmT2_T3_mT4_T5_T6_T7_T8_P12ihipStream_tbENKUlT_T0_E_clISt17integral_constantIbLb1EESY_IbLb0EEEEDaSU_SV_EUlSU_E_NS1_11comp_targetILNS1_3genE9ELNS1_11target_archE1100ELNS1_3gpuE3ELNS1_3repE0EEENS1_30default_config_static_selectorELNS0_4arch9wavefront6targetE1EEEvT1_,"axG",@progbits,_ZN7rocprim17ROCPRIM_400000_NS6detail17trampoline_kernelINS0_14default_configENS1_33run_length_encode_config_selectorIjjNS0_4plusIjEEEEZZNS1_33reduce_by_key_impl_wrapped_configILNS1_25lookback_scan_determinismE0ES3_S7_PKjNS0_17constant_iteratorIjlEEPjPlSF_S6_NS0_8equal_toIjEEEE10hipError_tPvRmT2_T3_mT4_T5_T6_T7_T8_P12ihipStream_tbENKUlT_T0_E_clISt17integral_constantIbLb1EESY_IbLb0EEEEDaSU_SV_EUlSU_E_NS1_11comp_targetILNS1_3genE9ELNS1_11target_archE1100ELNS1_3gpuE3ELNS1_3repE0EEENS1_30default_config_static_selectorELNS0_4arch9wavefront6targetE1EEEvT1_,comdat
	.protected	_ZN7rocprim17ROCPRIM_400000_NS6detail17trampoline_kernelINS0_14default_configENS1_33run_length_encode_config_selectorIjjNS0_4plusIjEEEEZZNS1_33reduce_by_key_impl_wrapped_configILNS1_25lookback_scan_determinismE0ES3_S7_PKjNS0_17constant_iteratorIjlEEPjPlSF_S6_NS0_8equal_toIjEEEE10hipError_tPvRmT2_T3_mT4_T5_T6_T7_T8_P12ihipStream_tbENKUlT_T0_E_clISt17integral_constantIbLb1EESY_IbLb0EEEEDaSU_SV_EUlSU_E_NS1_11comp_targetILNS1_3genE9ELNS1_11target_archE1100ELNS1_3gpuE3ELNS1_3repE0EEENS1_30default_config_static_selectorELNS0_4arch9wavefront6targetE1EEEvT1_ ; -- Begin function _ZN7rocprim17ROCPRIM_400000_NS6detail17trampoline_kernelINS0_14default_configENS1_33run_length_encode_config_selectorIjjNS0_4plusIjEEEEZZNS1_33reduce_by_key_impl_wrapped_configILNS1_25lookback_scan_determinismE0ES3_S7_PKjNS0_17constant_iteratorIjlEEPjPlSF_S6_NS0_8equal_toIjEEEE10hipError_tPvRmT2_T3_mT4_T5_T6_T7_T8_P12ihipStream_tbENKUlT_T0_E_clISt17integral_constantIbLb1EESY_IbLb0EEEEDaSU_SV_EUlSU_E_NS1_11comp_targetILNS1_3genE9ELNS1_11target_archE1100ELNS1_3gpuE3ELNS1_3repE0EEENS1_30default_config_static_selectorELNS0_4arch9wavefront6targetE1EEEvT1_
	.globl	_ZN7rocprim17ROCPRIM_400000_NS6detail17trampoline_kernelINS0_14default_configENS1_33run_length_encode_config_selectorIjjNS0_4plusIjEEEEZZNS1_33reduce_by_key_impl_wrapped_configILNS1_25lookback_scan_determinismE0ES3_S7_PKjNS0_17constant_iteratorIjlEEPjPlSF_S6_NS0_8equal_toIjEEEE10hipError_tPvRmT2_T3_mT4_T5_T6_T7_T8_P12ihipStream_tbENKUlT_T0_E_clISt17integral_constantIbLb1EESY_IbLb0EEEEDaSU_SV_EUlSU_E_NS1_11comp_targetILNS1_3genE9ELNS1_11target_archE1100ELNS1_3gpuE3ELNS1_3repE0EEENS1_30default_config_static_selectorELNS0_4arch9wavefront6targetE1EEEvT1_
	.p2align	8
	.type	_ZN7rocprim17ROCPRIM_400000_NS6detail17trampoline_kernelINS0_14default_configENS1_33run_length_encode_config_selectorIjjNS0_4plusIjEEEEZZNS1_33reduce_by_key_impl_wrapped_configILNS1_25lookback_scan_determinismE0ES3_S7_PKjNS0_17constant_iteratorIjlEEPjPlSF_S6_NS0_8equal_toIjEEEE10hipError_tPvRmT2_T3_mT4_T5_T6_T7_T8_P12ihipStream_tbENKUlT_T0_E_clISt17integral_constantIbLb1EESY_IbLb0EEEEDaSU_SV_EUlSU_E_NS1_11comp_targetILNS1_3genE9ELNS1_11target_archE1100ELNS1_3gpuE3ELNS1_3repE0EEENS1_30default_config_static_selectorELNS0_4arch9wavefront6targetE1EEEvT1_,@function
_ZN7rocprim17ROCPRIM_400000_NS6detail17trampoline_kernelINS0_14default_configENS1_33run_length_encode_config_selectorIjjNS0_4plusIjEEEEZZNS1_33reduce_by_key_impl_wrapped_configILNS1_25lookback_scan_determinismE0ES3_S7_PKjNS0_17constant_iteratorIjlEEPjPlSF_S6_NS0_8equal_toIjEEEE10hipError_tPvRmT2_T3_mT4_T5_T6_T7_T8_P12ihipStream_tbENKUlT_T0_E_clISt17integral_constantIbLb1EESY_IbLb0EEEEDaSU_SV_EUlSU_E_NS1_11comp_targetILNS1_3genE9ELNS1_11target_archE1100ELNS1_3gpuE3ELNS1_3repE0EEENS1_30default_config_static_selectorELNS0_4arch9wavefront6targetE1EEEvT1_: ; @_ZN7rocprim17ROCPRIM_400000_NS6detail17trampoline_kernelINS0_14default_configENS1_33run_length_encode_config_selectorIjjNS0_4plusIjEEEEZZNS1_33reduce_by_key_impl_wrapped_configILNS1_25lookback_scan_determinismE0ES3_S7_PKjNS0_17constant_iteratorIjlEEPjPlSF_S6_NS0_8equal_toIjEEEE10hipError_tPvRmT2_T3_mT4_T5_T6_T7_T8_P12ihipStream_tbENKUlT_T0_E_clISt17integral_constantIbLb1EESY_IbLb0EEEEDaSU_SV_EUlSU_E_NS1_11comp_targetILNS1_3genE9ELNS1_11target_archE1100ELNS1_3gpuE3ELNS1_3repE0EEENS1_30default_config_static_selectorELNS0_4arch9wavefront6targetE1EEEvT1_
; %bb.0:
	.section	.rodata,"a",@progbits
	.p2align	6, 0x0
	.amdhsa_kernel _ZN7rocprim17ROCPRIM_400000_NS6detail17trampoline_kernelINS0_14default_configENS1_33run_length_encode_config_selectorIjjNS0_4plusIjEEEEZZNS1_33reduce_by_key_impl_wrapped_configILNS1_25lookback_scan_determinismE0ES3_S7_PKjNS0_17constant_iteratorIjlEEPjPlSF_S6_NS0_8equal_toIjEEEE10hipError_tPvRmT2_T3_mT4_T5_T6_T7_T8_P12ihipStream_tbENKUlT_T0_E_clISt17integral_constantIbLb1EESY_IbLb0EEEEDaSU_SV_EUlSU_E_NS1_11comp_targetILNS1_3genE9ELNS1_11target_archE1100ELNS1_3gpuE3ELNS1_3repE0EEENS1_30default_config_static_selectorELNS0_4arch9wavefront6targetE1EEEvT1_
		.amdhsa_group_segment_fixed_size 0
		.amdhsa_private_segment_fixed_size 0
		.amdhsa_kernarg_size 128
		.amdhsa_user_sgpr_count 6
		.amdhsa_user_sgpr_private_segment_buffer 1
		.amdhsa_user_sgpr_dispatch_ptr 0
		.amdhsa_user_sgpr_queue_ptr 0
		.amdhsa_user_sgpr_kernarg_segment_ptr 1
		.amdhsa_user_sgpr_dispatch_id 0
		.amdhsa_user_sgpr_flat_scratch_init 0
		.amdhsa_user_sgpr_kernarg_preload_length 0
		.amdhsa_user_sgpr_kernarg_preload_offset 0
		.amdhsa_user_sgpr_private_segment_size 0
		.amdhsa_uses_dynamic_stack 0
		.amdhsa_system_sgpr_private_segment_wavefront_offset 0
		.amdhsa_system_sgpr_workgroup_id_x 1
		.amdhsa_system_sgpr_workgroup_id_y 0
		.amdhsa_system_sgpr_workgroup_id_z 0
		.amdhsa_system_sgpr_workgroup_info 0
		.amdhsa_system_vgpr_workitem_id 0
		.amdhsa_next_free_vgpr 1
		.amdhsa_next_free_sgpr 0
		.amdhsa_accum_offset 4
		.amdhsa_reserve_vcc 0
		.amdhsa_reserve_flat_scratch 0
		.amdhsa_float_round_mode_32 0
		.amdhsa_float_round_mode_16_64 0
		.amdhsa_float_denorm_mode_32 3
		.amdhsa_float_denorm_mode_16_64 3
		.amdhsa_dx10_clamp 1
		.amdhsa_ieee_mode 1
		.amdhsa_fp16_overflow 0
		.amdhsa_tg_split 0
		.amdhsa_exception_fp_ieee_invalid_op 0
		.amdhsa_exception_fp_denorm_src 0
		.amdhsa_exception_fp_ieee_div_zero 0
		.amdhsa_exception_fp_ieee_overflow 0
		.amdhsa_exception_fp_ieee_underflow 0
		.amdhsa_exception_fp_ieee_inexact 0
		.amdhsa_exception_int_div_zero 0
	.end_amdhsa_kernel
	.section	.text._ZN7rocprim17ROCPRIM_400000_NS6detail17trampoline_kernelINS0_14default_configENS1_33run_length_encode_config_selectorIjjNS0_4plusIjEEEEZZNS1_33reduce_by_key_impl_wrapped_configILNS1_25lookback_scan_determinismE0ES3_S7_PKjNS0_17constant_iteratorIjlEEPjPlSF_S6_NS0_8equal_toIjEEEE10hipError_tPvRmT2_T3_mT4_T5_T6_T7_T8_P12ihipStream_tbENKUlT_T0_E_clISt17integral_constantIbLb1EESY_IbLb0EEEEDaSU_SV_EUlSU_E_NS1_11comp_targetILNS1_3genE9ELNS1_11target_archE1100ELNS1_3gpuE3ELNS1_3repE0EEENS1_30default_config_static_selectorELNS0_4arch9wavefront6targetE1EEEvT1_,"axG",@progbits,_ZN7rocprim17ROCPRIM_400000_NS6detail17trampoline_kernelINS0_14default_configENS1_33run_length_encode_config_selectorIjjNS0_4plusIjEEEEZZNS1_33reduce_by_key_impl_wrapped_configILNS1_25lookback_scan_determinismE0ES3_S7_PKjNS0_17constant_iteratorIjlEEPjPlSF_S6_NS0_8equal_toIjEEEE10hipError_tPvRmT2_T3_mT4_T5_T6_T7_T8_P12ihipStream_tbENKUlT_T0_E_clISt17integral_constantIbLb1EESY_IbLb0EEEEDaSU_SV_EUlSU_E_NS1_11comp_targetILNS1_3genE9ELNS1_11target_archE1100ELNS1_3gpuE3ELNS1_3repE0EEENS1_30default_config_static_selectorELNS0_4arch9wavefront6targetE1EEEvT1_,comdat
.Lfunc_end674:
	.size	_ZN7rocprim17ROCPRIM_400000_NS6detail17trampoline_kernelINS0_14default_configENS1_33run_length_encode_config_selectorIjjNS0_4plusIjEEEEZZNS1_33reduce_by_key_impl_wrapped_configILNS1_25lookback_scan_determinismE0ES3_S7_PKjNS0_17constant_iteratorIjlEEPjPlSF_S6_NS0_8equal_toIjEEEE10hipError_tPvRmT2_T3_mT4_T5_T6_T7_T8_P12ihipStream_tbENKUlT_T0_E_clISt17integral_constantIbLb1EESY_IbLb0EEEEDaSU_SV_EUlSU_E_NS1_11comp_targetILNS1_3genE9ELNS1_11target_archE1100ELNS1_3gpuE3ELNS1_3repE0EEENS1_30default_config_static_selectorELNS0_4arch9wavefront6targetE1EEEvT1_, .Lfunc_end674-_ZN7rocprim17ROCPRIM_400000_NS6detail17trampoline_kernelINS0_14default_configENS1_33run_length_encode_config_selectorIjjNS0_4plusIjEEEEZZNS1_33reduce_by_key_impl_wrapped_configILNS1_25lookback_scan_determinismE0ES3_S7_PKjNS0_17constant_iteratorIjlEEPjPlSF_S6_NS0_8equal_toIjEEEE10hipError_tPvRmT2_T3_mT4_T5_T6_T7_T8_P12ihipStream_tbENKUlT_T0_E_clISt17integral_constantIbLb1EESY_IbLb0EEEEDaSU_SV_EUlSU_E_NS1_11comp_targetILNS1_3genE9ELNS1_11target_archE1100ELNS1_3gpuE3ELNS1_3repE0EEENS1_30default_config_static_selectorELNS0_4arch9wavefront6targetE1EEEvT1_
                                        ; -- End function
	.section	.AMDGPU.csdata,"",@progbits
; Kernel info:
; codeLenInByte = 0
; NumSgprs: 4
; NumVgprs: 0
; NumAgprs: 0
; TotalNumVgprs: 0
; ScratchSize: 0
; MemoryBound: 0
; FloatMode: 240
; IeeeMode: 1
; LDSByteSize: 0 bytes/workgroup (compile time only)
; SGPRBlocks: 0
; VGPRBlocks: 0
; NumSGPRsForWavesPerEU: 4
; NumVGPRsForWavesPerEU: 1
; AccumOffset: 4
; Occupancy: 8
; WaveLimiterHint : 0
; COMPUTE_PGM_RSRC2:SCRATCH_EN: 0
; COMPUTE_PGM_RSRC2:USER_SGPR: 6
; COMPUTE_PGM_RSRC2:TRAP_HANDLER: 0
; COMPUTE_PGM_RSRC2:TGID_X_EN: 1
; COMPUTE_PGM_RSRC2:TGID_Y_EN: 0
; COMPUTE_PGM_RSRC2:TGID_Z_EN: 0
; COMPUTE_PGM_RSRC2:TIDIG_COMP_CNT: 0
; COMPUTE_PGM_RSRC3_GFX90A:ACCUM_OFFSET: 0
; COMPUTE_PGM_RSRC3_GFX90A:TG_SPLIT: 0
	.section	.text._ZN7rocprim17ROCPRIM_400000_NS6detail17trampoline_kernelINS0_14default_configENS1_33run_length_encode_config_selectorIjjNS0_4plusIjEEEEZZNS1_33reduce_by_key_impl_wrapped_configILNS1_25lookback_scan_determinismE0ES3_S7_PKjNS0_17constant_iteratorIjlEEPjPlSF_S6_NS0_8equal_toIjEEEE10hipError_tPvRmT2_T3_mT4_T5_T6_T7_T8_P12ihipStream_tbENKUlT_T0_E_clISt17integral_constantIbLb1EESY_IbLb0EEEEDaSU_SV_EUlSU_E_NS1_11comp_targetILNS1_3genE8ELNS1_11target_archE1030ELNS1_3gpuE2ELNS1_3repE0EEENS1_30default_config_static_selectorELNS0_4arch9wavefront6targetE1EEEvT1_,"axG",@progbits,_ZN7rocprim17ROCPRIM_400000_NS6detail17trampoline_kernelINS0_14default_configENS1_33run_length_encode_config_selectorIjjNS0_4plusIjEEEEZZNS1_33reduce_by_key_impl_wrapped_configILNS1_25lookback_scan_determinismE0ES3_S7_PKjNS0_17constant_iteratorIjlEEPjPlSF_S6_NS0_8equal_toIjEEEE10hipError_tPvRmT2_T3_mT4_T5_T6_T7_T8_P12ihipStream_tbENKUlT_T0_E_clISt17integral_constantIbLb1EESY_IbLb0EEEEDaSU_SV_EUlSU_E_NS1_11comp_targetILNS1_3genE8ELNS1_11target_archE1030ELNS1_3gpuE2ELNS1_3repE0EEENS1_30default_config_static_selectorELNS0_4arch9wavefront6targetE1EEEvT1_,comdat
	.protected	_ZN7rocprim17ROCPRIM_400000_NS6detail17trampoline_kernelINS0_14default_configENS1_33run_length_encode_config_selectorIjjNS0_4plusIjEEEEZZNS1_33reduce_by_key_impl_wrapped_configILNS1_25lookback_scan_determinismE0ES3_S7_PKjNS0_17constant_iteratorIjlEEPjPlSF_S6_NS0_8equal_toIjEEEE10hipError_tPvRmT2_T3_mT4_T5_T6_T7_T8_P12ihipStream_tbENKUlT_T0_E_clISt17integral_constantIbLb1EESY_IbLb0EEEEDaSU_SV_EUlSU_E_NS1_11comp_targetILNS1_3genE8ELNS1_11target_archE1030ELNS1_3gpuE2ELNS1_3repE0EEENS1_30default_config_static_selectorELNS0_4arch9wavefront6targetE1EEEvT1_ ; -- Begin function _ZN7rocprim17ROCPRIM_400000_NS6detail17trampoline_kernelINS0_14default_configENS1_33run_length_encode_config_selectorIjjNS0_4plusIjEEEEZZNS1_33reduce_by_key_impl_wrapped_configILNS1_25lookback_scan_determinismE0ES3_S7_PKjNS0_17constant_iteratorIjlEEPjPlSF_S6_NS0_8equal_toIjEEEE10hipError_tPvRmT2_T3_mT4_T5_T6_T7_T8_P12ihipStream_tbENKUlT_T0_E_clISt17integral_constantIbLb1EESY_IbLb0EEEEDaSU_SV_EUlSU_E_NS1_11comp_targetILNS1_3genE8ELNS1_11target_archE1030ELNS1_3gpuE2ELNS1_3repE0EEENS1_30default_config_static_selectorELNS0_4arch9wavefront6targetE1EEEvT1_
	.globl	_ZN7rocprim17ROCPRIM_400000_NS6detail17trampoline_kernelINS0_14default_configENS1_33run_length_encode_config_selectorIjjNS0_4plusIjEEEEZZNS1_33reduce_by_key_impl_wrapped_configILNS1_25lookback_scan_determinismE0ES3_S7_PKjNS0_17constant_iteratorIjlEEPjPlSF_S6_NS0_8equal_toIjEEEE10hipError_tPvRmT2_T3_mT4_T5_T6_T7_T8_P12ihipStream_tbENKUlT_T0_E_clISt17integral_constantIbLb1EESY_IbLb0EEEEDaSU_SV_EUlSU_E_NS1_11comp_targetILNS1_3genE8ELNS1_11target_archE1030ELNS1_3gpuE2ELNS1_3repE0EEENS1_30default_config_static_selectorELNS0_4arch9wavefront6targetE1EEEvT1_
	.p2align	8
	.type	_ZN7rocprim17ROCPRIM_400000_NS6detail17trampoline_kernelINS0_14default_configENS1_33run_length_encode_config_selectorIjjNS0_4plusIjEEEEZZNS1_33reduce_by_key_impl_wrapped_configILNS1_25lookback_scan_determinismE0ES3_S7_PKjNS0_17constant_iteratorIjlEEPjPlSF_S6_NS0_8equal_toIjEEEE10hipError_tPvRmT2_T3_mT4_T5_T6_T7_T8_P12ihipStream_tbENKUlT_T0_E_clISt17integral_constantIbLb1EESY_IbLb0EEEEDaSU_SV_EUlSU_E_NS1_11comp_targetILNS1_3genE8ELNS1_11target_archE1030ELNS1_3gpuE2ELNS1_3repE0EEENS1_30default_config_static_selectorELNS0_4arch9wavefront6targetE1EEEvT1_,@function
_ZN7rocprim17ROCPRIM_400000_NS6detail17trampoline_kernelINS0_14default_configENS1_33run_length_encode_config_selectorIjjNS0_4plusIjEEEEZZNS1_33reduce_by_key_impl_wrapped_configILNS1_25lookback_scan_determinismE0ES3_S7_PKjNS0_17constant_iteratorIjlEEPjPlSF_S6_NS0_8equal_toIjEEEE10hipError_tPvRmT2_T3_mT4_T5_T6_T7_T8_P12ihipStream_tbENKUlT_T0_E_clISt17integral_constantIbLb1EESY_IbLb0EEEEDaSU_SV_EUlSU_E_NS1_11comp_targetILNS1_3genE8ELNS1_11target_archE1030ELNS1_3gpuE2ELNS1_3repE0EEENS1_30default_config_static_selectorELNS0_4arch9wavefront6targetE1EEEvT1_: ; @_ZN7rocprim17ROCPRIM_400000_NS6detail17trampoline_kernelINS0_14default_configENS1_33run_length_encode_config_selectorIjjNS0_4plusIjEEEEZZNS1_33reduce_by_key_impl_wrapped_configILNS1_25lookback_scan_determinismE0ES3_S7_PKjNS0_17constant_iteratorIjlEEPjPlSF_S6_NS0_8equal_toIjEEEE10hipError_tPvRmT2_T3_mT4_T5_T6_T7_T8_P12ihipStream_tbENKUlT_T0_E_clISt17integral_constantIbLb1EESY_IbLb0EEEEDaSU_SV_EUlSU_E_NS1_11comp_targetILNS1_3genE8ELNS1_11target_archE1030ELNS1_3gpuE2ELNS1_3repE0EEENS1_30default_config_static_selectorELNS0_4arch9wavefront6targetE1EEEvT1_
; %bb.0:
	.section	.rodata,"a",@progbits
	.p2align	6, 0x0
	.amdhsa_kernel _ZN7rocprim17ROCPRIM_400000_NS6detail17trampoline_kernelINS0_14default_configENS1_33run_length_encode_config_selectorIjjNS0_4plusIjEEEEZZNS1_33reduce_by_key_impl_wrapped_configILNS1_25lookback_scan_determinismE0ES3_S7_PKjNS0_17constant_iteratorIjlEEPjPlSF_S6_NS0_8equal_toIjEEEE10hipError_tPvRmT2_T3_mT4_T5_T6_T7_T8_P12ihipStream_tbENKUlT_T0_E_clISt17integral_constantIbLb1EESY_IbLb0EEEEDaSU_SV_EUlSU_E_NS1_11comp_targetILNS1_3genE8ELNS1_11target_archE1030ELNS1_3gpuE2ELNS1_3repE0EEENS1_30default_config_static_selectorELNS0_4arch9wavefront6targetE1EEEvT1_
		.amdhsa_group_segment_fixed_size 0
		.amdhsa_private_segment_fixed_size 0
		.amdhsa_kernarg_size 128
		.amdhsa_user_sgpr_count 6
		.amdhsa_user_sgpr_private_segment_buffer 1
		.amdhsa_user_sgpr_dispatch_ptr 0
		.amdhsa_user_sgpr_queue_ptr 0
		.amdhsa_user_sgpr_kernarg_segment_ptr 1
		.amdhsa_user_sgpr_dispatch_id 0
		.amdhsa_user_sgpr_flat_scratch_init 0
		.amdhsa_user_sgpr_kernarg_preload_length 0
		.amdhsa_user_sgpr_kernarg_preload_offset 0
		.amdhsa_user_sgpr_private_segment_size 0
		.amdhsa_uses_dynamic_stack 0
		.amdhsa_system_sgpr_private_segment_wavefront_offset 0
		.amdhsa_system_sgpr_workgroup_id_x 1
		.amdhsa_system_sgpr_workgroup_id_y 0
		.amdhsa_system_sgpr_workgroup_id_z 0
		.amdhsa_system_sgpr_workgroup_info 0
		.amdhsa_system_vgpr_workitem_id 0
		.amdhsa_next_free_vgpr 1
		.amdhsa_next_free_sgpr 0
		.amdhsa_accum_offset 4
		.amdhsa_reserve_vcc 0
		.amdhsa_reserve_flat_scratch 0
		.amdhsa_float_round_mode_32 0
		.amdhsa_float_round_mode_16_64 0
		.amdhsa_float_denorm_mode_32 3
		.amdhsa_float_denorm_mode_16_64 3
		.amdhsa_dx10_clamp 1
		.amdhsa_ieee_mode 1
		.amdhsa_fp16_overflow 0
		.amdhsa_tg_split 0
		.amdhsa_exception_fp_ieee_invalid_op 0
		.amdhsa_exception_fp_denorm_src 0
		.amdhsa_exception_fp_ieee_div_zero 0
		.amdhsa_exception_fp_ieee_overflow 0
		.amdhsa_exception_fp_ieee_underflow 0
		.amdhsa_exception_fp_ieee_inexact 0
		.amdhsa_exception_int_div_zero 0
	.end_amdhsa_kernel
	.section	.text._ZN7rocprim17ROCPRIM_400000_NS6detail17trampoline_kernelINS0_14default_configENS1_33run_length_encode_config_selectorIjjNS0_4plusIjEEEEZZNS1_33reduce_by_key_impl_wrapped_configILNS1_25lookback_scan_determinismE0ES3_S7_PKjNS0_17constant_iteratorIjlEEPjPlSF_S6_NS0_8equal_toIjEEEE10hipError_tPvRmT2_T3_mT4_T5_T6_T7_T8_P12ihipStream_tbENKUlT_T0_E_clISt17integral_constantIbLb1EESY_IbLb0EEEEDaSU_SV_EUlSU_E_NS1_11comp_targetILNS1_3genE8ELNS1_11target_archE1030ELNS1_3gpuE2ELNS1_3repE0EEENS1_30default_config_static_selectorELNS0_4arch9wavefront6targetE1EEEvT1_,"axG",@progbits,_ZN7rocprim17ROCPRIM_400000_NS6detail17trampoline_kernelINS0_14default_configENS1_33run_length_encode_config_selectorIjjNS0_4plusIjEEEEZZNS1_33reduce_by_key_impl_wrapped_configILNS1_25lookback_scan_determinismE0ES3_S7_PKjNS0_17constant_iteratorIjlEEPjPlSF_S6_NS0_8equal_toIjEEEE10hipError_tPvRmT2_T3_mT4_T5_T6_T7_T8_P12ihipStream_tbENKUlT_T0_E_clISt17integral_constantIbLb1EESY_IbLb0EEEEDaSU_SV_EUlSU_E_NS1_11comp_targetILNS1_3genE8ELNS1_11target_archE1030ELNS1_3gpuE2ELNS1_3repE0EEENS1_30default_config_static_selectorELNS0_4arch9wavefront6targetE1EEEvT1_,comdat
.Lfunc_end675:
	.size	_ZN7rocprim17ROCPRIM_400000_NS6detail17trampoline_kernelINS0_14default_configENS1_33run_length_encode_config_selectorIjjNS0_4plusIjEEEEZZNS1_33reduce_by_key_impl_wrapped_configILNS1_25lookback_scan_determinismE0ES3_S7_PKjNS0_17constant_iteratorIjlEEPjPlSF_S6_NS0_8equal_toIjEEEE10hipError_tPvRmT2_T3_mT4_T5_T6_T7_T8_P12ihipStream_tbENKUlT_T0_E_clISt17integral_constantIbLb1EESY_IbLb0EEEEDaSU_SV_EUlSU_E_NS1_11comp_targetILNS1_3genE8ELNS1_11target_archE1030ELNS1_3gpuE2ELNS1_3repE0EEENS1_30default_config_static_selectorELNS0_4arch9wavefront6targetE1EEEvT1_, .Lfunc_end675-_ZN7rocprim17ROCPRIM_400000_NS6detail17trampoline_kernelINS0_14default_configENS1_33run_length_encode_config_selectorIjjNS0_4plusIjEEEEZZNS1_33reduce_by_key_impl_wrapped_configILNS1_25lookback_scan_determinismE0ES3_S7_PKjNS0_17constant_iteratorIjlEEPjPlSF_S6_NS0_8equal_toIjEEEE10hipError_tPvRmT2_T3_mT4_T5_T6_T7_T8_P12ihipStream_tbENKUlT_T0_E_clISt17integral_constantIbLb1EESY_IbLb0EEEEDaSU_SV_EUlSU_E_NS1_11comp_targetILNS1_3genE8ELNS1_11target_archE1030ELNS1_3gpuE2ELNS1_3repE0EEENS1_30default_config_static_selectorELNS0_4arch9wavefront6targetE1EEEvT1_
                                        ; -- End function
	.section	.AMDGPU.csdata,"",@progbits
; Kernel info:
; codeLenInByte = 0
; NumSgprs: 4
; NumVgprs: 0
; NumAgprs: 0
; TotalNumVgprs: 0
; ScratchSize: 0
; MemoryBound: 0
; FloatMode: 240
; IeeeMode: 1
; LDSByteSize: 0 bytes/workgroup (compile time only)
; SGPRBlocks: 0
; VGPRBlocks: 0
; NumSGPRsForWavesPerEU: 4
; NumVGPRsForWavesPerEU: 1
; AccumOffset: 4
; Occupancy: 8
; WaveLimiterHint : 0
; COMPUTE_PGM_RSRC2:SCRATCH_EN: 0
; COMPUTE_PGM_RSRC2:USER_SGPR: 6
; COMPUTE_PGM_RSRC2:TRAP_HANDLER: 0
; COMPUTE_PGM_RSRC2:TGID_X_EN: 1
; COMPUTE_PGM_RSRC2:TGID_Y_EN: 0
; COMPUTE_PGM_RSRC2:TGID_Z_EN: 0
; COMPUTE_PGM_RSRC2:TIDIG_COMP_CNT: 0
; COMPUTE_PGM_RSRC3_GFX90A:ACCUM_OFFSET: 0
; COMPUTE_PGM_RSRC3_GFX90A:TG_SPLIT: 0
	.section	.text._ZN7rocprim17ROCPRIM_400000_NS6detail17trampoline_kernelINS0_14default_configENS1_33run_length_encode_config_selectorIjjNS0_4plusIjEEEEZZNS1_33reduce_by_key_impl_wrapped_configILNS1_25lookback_scan_determinismE0ES3_S7_PKjNS0_17constant_iteratorIjlEEPjPlSF_S6_NS0_8equal_toIjEEEE10hipError_tPvRmT2_T3_mT4_T5_T6_T7_T8_P12ihipStream_tbENKUlT_T0_E_clISt17integral_constantIbLb0EESY_IbLb1EEEEDaSU_SV_EUlSU_E_NS1_11comp_targetILNS1_3genE0ELNS1_11target_archE4294967295ELNS1_3gpuE0ELNS1_3repE0EEENS1_30default_config_static_selectorELNS0_4arch9wavefront6targetE1EEEvT1_,"axG",@progbits,_ZN7rocprim17ROCPRIM_400000_NS6detail17trampoline_kernelINS0_14default_configENS1_33run_length_encode_config_selectorIjjNS0_4plusIjEEEEZZNS1_33reduce_by_key_impl_wrapped_configILNS1_25lookback_scan_determinismE0ES3_S7_PKjNS0_17constant_iteratorIjlEEPjPlSF_S6_NS0_8equal_toIjEEEE10hipError_tPvRmT2_T3_mT4_T5_T6_T7_T8_P12ihipStream_tbENKUlT_T0_E_clISt17integral_constantIbLb0EESY_IbLb1EEEEDaSU_SV_EUlSU_E_NS1_11comp_targetILNS1_3genE0ELNS1_11target_archE4294967295ELNS1_3gpuE0ELNS1_3repE0EEENS1_30default_config_static_selectorELNS0_4arch9wavefront6targetE1EEEvT1_,comdat
	.protected	_ZN7rocprim17ROCPRIM_400000_NS6detail17trampoline_kernelINS0_14default_configENS1_33run_length_encode_config_selectorIjjNS0_4plusIjEEEEZZNS1_33reduce_by_key_impl_wrapped_configILNS1_25lookback_scan_determinismE0ES3_S7_PKjNS0_17constant_iteratorIjlEEPjPlSF_S6_NS0_8equal_toIjEEEE10hipError_tPvRmT2_T3_mT4_T5_T6_T7_T8_P12ihipStream_tbENKUlT_T0_E_clISt17integral_constantIbLb0EESY_IbLb1EEEEDaSU_SV_EUlSU_E_NS1_11comp_targetILNS1_3genE0ELNS1_11target_archE4294967295ELNS1_3gpuE0ELNS1_3repE0EEENS1_30default_config_static_selectorELNS0_4arch9wavefront6targetE1EEEvT1_ ; -- Begin function _ZN7rocprim17ROCPRIM_400000_NS6detail17trampoline_kernelINS0_14default_configENS1_33run_length_encode_config_selectorIjjNS0_4plusIjEEEEZZNS1_33reduce_by_key_impl_wrapped_configILNS1_25lookback_scan_determinismE0ES3_S7_PKjNS0_17constant_iteratorIjlEEPjPlSF_S6_NS0_8equal_toIjEEEE10hipError_tPvRmT2_T3_mT4_T5_T6_T7_T8_P12ihipStream_tbENKUlT_T0_E_clISt17integral_constantIbLb0EESY_IbLb1EEEEDaSU_SV_EUlSU_E_NS1_11comp_targetILNS1_3genE0ELNS1_11target_archE4294967295ELNS1_3gpuE0ELNS1_3repE0EEENS1_30default_config_static_selectorELNS0_4arch9wavefront6targetE1EEEvT1_
	.globl	_ZN7rocprim17ROCPRIM_400000_NS6detail17trampoline_kernelINS0_14default_configENS1_33run_length_encode_config_selectorIjjNS0_4plusIjEEEEZZNS1_33reduce_by_key_impl_wrapped_configILNS1_25lookback_scan_determinismE0ES3_S7_PKjNS0_17constant_iteratorIjlEEPjPlSF_S6_NS0_8equal_toIjEEEE10hipError_tPvRmT2_T3_mT4_T5_T6_T7_T8_P12ihipStream_tbENKUlT_T0_E_clISt17integral_constantIbLb0EESY_IbLb1EEEEDaSU_SV_EUlSU_E_NS1_11comp_targetILNS1_3genE0ELNS1_11target_archE4294967295ELNS1_3gpuE0ELNS1_3repE0EEENS1_30default_config_static_selectorELNS0_4arch9wavefront6targetE1EEEvT1_
	.p2align	8
	.type	_ZN7rocprim17ROCPRIM_400000_NS6detail17trampoline_kernelINS0_14default_configENS1_33run_length_encode_config_selectorIjjNS0_4plusIjEEEEZZNS1_33reduce_by_key_impl_wrapped_configILNS1_25lookback_scan_determinismE0ES3_S7_PKjNS0_17constant_iteratorIjlEEPjPlSF_S6_NS0_8equal_toIjEEEE10hipError_tPvRmT2_T3_mT4_T5_T6_T7_T8_P12ihipStream_tbENKUlT_T0_E_clISt17integral_constantIbLb0EESY_IbLb1EEEEDaSU_SV_EUlSU_E_NS1_11comp_targetILNS1_3genE0ELNS1_11target_archE4294967295ELNS1_3gpuE0ELNS1_3repE0EEENS1_30default_config_static_selectorELNS0_4arch9wavefront6targetE1EEEvT1_,@function
_ZN7rocprim17ROCPRIM_400000_NS6detail17trampoline_kernelINS0_14default_configENS1_33run_length_encode_config_selectorIjjNS0_4plusIjEEEEZZNS1_33reduce_by_key_impl_wrapped_configILNS1_25lookback_scan_determinismE0ES3_S7_PKjNS0_17constant_iteratorIjlEEPjPlSF_S6_NS0_8equal_toIjEEEE10hipError_tPvRmT2_T3_mT4_T5_T6_T7_T8_P12ihipStream_tbENKUlT_T0_E_clISt17integral_constantIbLb0EESY_IbLb1EEEEDaSU_SV_EUlSU_E_NS1_11comp_targetILNS1_3genE0ELNS1_11target_archE4294967295ELNS1_3gpuE0ELNS1_3repE0EEENS1_30default_config_static_selectorELNS0_4arch9wavefront6targetE1EEEvT1_: ; @_ZN7rocprim17ROCPRIM_400000_NS6detail17trampoline_kernelINS0_14default_configENS1_33run_length_encode_config_selectorIjjNS0_4plusIjEEEEZZNS1_33reduce_by_key_impl_wrapped_configILNS1_25lookback_scan_determinismE0ES3_S7_PKjNS0_17constant_iteratorIjlEEPjPlSF_S6_NS0_8equal_toIjEEEE10hipError_tPvRmT2_T3_mT4_T5_T6_T7_T8_P12ihipStream_tbENKUlT_T0_E_clISt17integral_constantIbLb0EESY_IbLb1EEEEDaSU_SV_EUlSU_E_NS1_11comp_targetILNS1_3genE0ELNS1_11target_archE4294967295ELNS1_3gpuE0ELNS1_3repE0EEENS1_30default_config_static_selectorELNS0_4arch9wavefront6targetE1EEEvT1_
; %bb.0:
	.section	.rodata,"a",@progbits
	.p2align	6, 0x0
	.amdhsa_kernel _ZN7rocprim17ROCPRIM_400000_NS6detail17trampoline_kernelINS0_14default_configENS1_33run_length_encode_config_selectorIjjNS0_4plusIjEEEEZZNS1_33reduce_by_key_impl_wrapped_configILNS1_25lookback_scan_determinismE0ES3_S7_PKjNS0_17constant_iteratorIjlEEPjPlSF_S6_NS0_8equal_toIjEEEE10hipError_tPvRmT2_T3_mT4_T5_T6_T7_T8_P12ihipStream_tbENKUlT_T0_E_clISt17integral_constantIbLb0EESY_IbLb1EEEEDaSU_SV_EUlSU_E_NS1_11comp_targetILNS1_3genE0ELNS1_11target_archE4294967295ELNS1_3gpuE0ELNS1_3repE0EEENS1_30default_config_static_selectorELNS0_4arch9wavefront6targetE1EEEvT1_
		.amdhsa_group_segment_fixed_size 0
		.amdhsa_private_segment_fixed_size 0
		.amdhsa_kernarg_size 128
		.amdhsa_user_sgpr_count 6
		.amdhsa_user_sgpr_private_segment_buffer 1
		.amdhsa_user_sgpr_dispatch_ptr 0
		.amdhsa_user_sgpr_queue_ptr 0
		.amdhsa_user_sgpr_kernarg_segment_ptr 1
		.amdhsa_user_sgpr_dispatch_id 0
		.amdhsa_user_sgpr_flat_scratch_init 0
		.amdhsa_user_sgpr_kernarg_preload_length 0
		.amdhsa_user_sgpr_kernarg_preload_offset 0
		.amdhsa_user_sgpr_private_segment_size 0
		.amdhsa_uses_dynamic_stack 0
		.amdhsa_system_sgpr_private_segment_wavefront_offset 0
		.amdhsa_system_sgpr_workgroup_id_x 1
		.amdhsa_system_sgpr_workgroup_id_y 0
		.amdhsa_system_sgpr_workgroup_id_z 0
		.amdhsa_system_sgpr_workgroup_info 0
		.amdhsa_system_vgpr_workitem_id 0
		.amdhsa_next_free_vgpr 1
		.amdhsa_next_free_sgpr 0
		.amdhsa_accum_offset 4
		.amdhsa_reserve_vcc 0
		.amdhsa_reserve_flat_scratch 0
		.amdhsa_float_round_mode_32 0
		.amdhsa_float_round_mode_16_64 0
		.amdhsa_float_denorm_mode_32 3
		.amdhsa_float_denorm_mode_16_64 3
		.amdhsa_dx10_clamp 1
		.amdhsa_ieee_mode 1
		.amdhsa_fp16_overflow 0
		.amdhsa_tg_split 0
		.amdhsa_exception_fp_ieee_invalid_op 0
		.amdhsa_exception_fp_denorm_src 0
		.amdhsa_exception_fp_ieee_div_zero 0
		.amdhsa_exception_fp_ieee_overflow 0
		.amdhsa_exception_fp_ieee_underflow 0
		.amdhsa_exception_fp_ieee_inexact 0
		.amdhsa_exception_int_div_zero 0
	.end_amdhsa_kernel
	.section	.text._ZN7rocprim17ROCPRIM_400000_NS6detail17trampoline_kernelINS0_14default_configENS1_33run_length_encode_config_selectorIjjNS0_4plusIjEEEEZZNS1_33reduce_by_key_impl_wrapped_configILNS1_25lookback_scan_determinismE0ES3_S7_PKjNS0_17constant_iteratorIjlEEPjPlSF_S6_NS0_8equal_toIjEEEE10hipError_tPvRmT2_T3_mT4_T5_T6_T7_T8_P12ihipStream_tbENKUlT_T0_E_clISt17integral_constantIbLb0EESY_IbLb1EEEEDaSU_SV_EUlSU_E_NS1_11comp_targetILNS1_3genE0ELNS1_11target_archE4294967295ELNS1_3gpuE0ELNS1_3repE0EEENS1_30default_config_static_selectorELNS0_4arch9wavefront6targetE1EEEvT1_,"axG",@progbits,_ZN7rocprim17ROCPRIM_400000_NS6detail17trampoline_kernelINS0_14default_configENS1_33run_length_encode_config_selectorIjjNS0_4plusIjEEEEZZNS1_33reduce_by_key_impl_wrapped_configILNS1_25lookback_scan_determinismE0ES3_S7_PKjNS0_17constant_iteratorIjlEEPjPlSF_S6_NS0_8equal_toIjEEEE10hipError_tPvRmT2_T3_mT4_T5_T6_T7_T8_P12ihipStream_tbENKUlT_T0_E_clISt17integral_constantIbLb0EESY_IbLb1EEEEDaSU_SV_EUlSU_E_NS1_11comp_targetILNS1_3genE0ELNS1_11target_archE4294967295ELNS1_3gpuE0ELNS1_3repE0EEENS1_30default_config_static_selectorELNS0_4arch9wavefront6targetE1EEEvT1_,comdat
.Lfunc_end676:
	.size	_ZN7rocprim17ROCPRIM_400000_NS6detail17trampoline_kernelINS0_14default_configENS1_33run_length_encode_config_selectorIjjNS0_4plusIjEEEEZZNS1_33reduce_by_key_impl_wrapped_configILNS1_25lookback_scan_determinismE0ES3_S7_PKjNS0_17constant_iteratorIjlEEPjPlSF_S6_NS0_8equal_toIjEEEE10hipError_tPvRmT2_T3_mT4_T5_T6_T7_T8_P12ihipStream_tbENKUlT_T0_E_clISt17integral_constantIbLb0EESY_IbLb1EEEEDaSU_SV_EUlSU_E_NS1_11comp_targetILNS1_3genE0ELNS1_11target_archE4294967295ELNS1_3gpuE0ELNS1_3repE0EEENS1_30default_config_static_selectorELNS0_4arch9wavefront6targetE1EEEvT1_, .Lfunc_end676-_ZN7rocprim17ROCPRIM_400000_NS6detail17trampoline_kernelINS0_14default_configENS1_33run_length_encode_config_selectorIjjNS0_4plusIjEEEEZZNS1_33reduce_by_key_impl_wrapped_configILNS1_25lookback_scan_determinismE0ES3_S7_PKjNS0_17constant_iteratorIjlEEPjPlSF_S6_NS0_8equal_toIjEEEE10hipError_tPvRmT2_T3_mT4_T5_T6_T7_T8_P12ihipStream_tbENKUlT_T0_E_clISt17integral_constantIbLb0EESY_IbLb1EEEEDaSU_SV_EUlSU_E_NS1_11comp_targetILNS1_3genE0ELNS1_11target_archE4294967295ELNS1_3gpuE0ELNS1_3repE0EEENS1_30default_config_static_selectorELNS0_4arch9wavefront6targetE1EEEvT1_
                                        ; -- End function
	.section	.AMDGPU.csdata,"",@progbits
; Kernel info:
; codeLenInByte = 0
; NumSgprs: 4
; NumVgprs: 0
; NumAgprs: 0
; TotalNumVgprs: 0
; ScratchSize: 0
; MemoryBound: 0
; FloatMode: 240
; IeeeMode: 1
; LDSByteSize: 0 bytes/workgroup (compile time only)
; SGPRBlocks: 0
; VGPRBlocks: 0
; NumSGPRsForWavesPerEU: 4
; NumVGPRsForWavesPerEU: 1
; AccumOffset: 4
; Occupancy: 8
; WaveLimiterHint : 0
; COMPUTE_PGM_RSRC2:SCRATCH_EN: 0
; COMPUTE_PGM_RSRC2:USER_SGPR: 6
; COMPUTE_PGM_RSRC2:TRAP_HANDLER: 0
; COMPUTE_PGM_RSRC2:TGID_X_EN: 1
; COMPUTE_PGM_RSRC2:TGID_Y_EN: 0
; COMPUTE_PGM_RSRC2:TGID_Z_EN: 0
; COMPUTE_PGM_RSRC2:TIDIG_COMP_CNT: 0
; COMPUTE_PGM_RSRC3_GFX90A:ACCUM_OFFSET: 0
; COMPUTE_PGM_RSRC3_GFX90A:TG_SPLIT: 0
	.section	.text._ZN7rocprim17ROCPRIM_400000_NS6detail17trampoline_kernelINS0_14default_configENS1_33run_length_encode_config_selectorIjjNS0_4plusIjEEEEZZNS1_33reduce_by_key_impl_wrapped_configILNS1_25lookback_scan_determinismE0ES3_S7_PKjNS0_17constant_iteratorIjlEEPjPlSF_S6_NS0_8equal_toIjEEEE10hipError_tPvRmT2_T3_mT4_T5_T6_T7_T8_P12ihipStream_tbENKUlT_T0_E_clISt17integral_constantIbLb0EESY_IbLb1EEEEDaSU_SV_EUlSU_E_NS1_11comp_targetILNS1_3genE5ELNS1_11target_archE942ELNS1_3gpuE9ELNS1_3repE0EEENS1_30default_config_static_selectorELNS0_4arch9wavefront6targetE1EEEvT1_,"axG",@progbits,_ZN7rocprim17ROCPRIM_400000_NS6detail17trampoline_kernelINS0_14default_configENS1_33run_length_encode_config_selectorIjjNS0_4plusIjEEEEZZNS1_33reduce_by_key_impl_wrapped_configILNS1_25lookback_scan_determinismE0ES3_S7_PKjNS0_17constant_iteratorIjlEEPjPlSF_S6_NS0_8equal_toIjEEEE10hipError_tPvRmT2_T3_mT4_T5_T6_T7_T8_P12ihipStream_tbENKUlT_T0_E_clISt17integral_constantIbLb0EESY_IbLb1EEEEDaSU_SV_EUlSU_E_NS1_11comp_targetILNS1_3genE5ELNS1_11target_archE942ELNS1_3gpuE9ELNS1_3repE0EEENS1_30default_config_static_selectorELNS0_4arch9wavefront6targetE1EEEvT1_,comdat
	.protected	_ZN7rocprim17ROCPRIM_400000_NS6detail17trampoline_kernelINS0_14default_configENS1_33run_length_encode_config_selectorIjjNS0_4plusIjEEEEZZNS1_33reduce_by_key_impl_wrapped_configILNS1_25lookback_scan_determinismE0ES3_S7_PKjNS0_17constant_iteratorIjlEEPjPlSF_S6_NS0_8equal_toIjEEEE10hipError_tPvRmT2_T3_mT4_T5_T6_T7_T8_P12ihipStream_tbENKUlT_T0_E_clISt17integral_constantIbLb0EESY_IbLb1EEEEDaSU_SV_EUlSU_E_NS1_11comp_targetILNS1_3genE5ELNS1_11target_archE942ELNS1_3gpuE9ELNS1_3repE0EEENS1_30default_config_static_selectorELNS0_4arch9wavefront6targetE1EEEvT1_ ; -- Begin function _ZN7rocprim17ROCPRIM_400000_NS6detail17trampoline_kernelINS0_14default_configENS1_33run_length_encode_config_selectorIjjNS0_4plusIjEEEEZZNS1_33reduce_by_key_impl_wrapped_configILNS1_25lookback_scan_determinismE0ES3_S7_PKjNS0_17constant_iteratorIjlEEPjPlSF_S6_NS0_8equal_toIjEEEE10hipError_tPvRmT2_T3_mT4_T5_T6_T7_T8_P12ihipStream_tbENKUlT_T0_E_clISt17integral_constantIbLb0EESY_IbLb1EEEEDaSU_SV_EUlSU_E_NS1_11comp_targetILNS1_3genE5ELNS1_11target_archE942ELNS1_3gpuE9ELNS1_3repE0EEENS1_30default_config_static_selectorELNS0_4arch9wavefront6targetE1EEEvT1_
	.globl	_ZN7rocprim17ROCPRIM_400000_NS6detail17trampoline_kernelINS0_14default_configENS1_33run_length_encode_config_selectorIjjNS0_4plusIjEEEEZZNS1_33reduce_by_key_impl_wrapped_configILNS1_25lookback_scan_determinismE0ES3_S7_PKjNS0_17constant_iteratorIjlEEPjPlSF_S6_NS0_8equal_toIjEEEE10hipError_tPvRmT2_T3_mT4_T5_T6_T7_T8_P12ihipStream_tbENKUlT_T0_E_clISt17integral_constantIbLb0EESY_IbLb1EEEEDaSU_SV_EUlSU_E_NS1_11comp_targetILNS1_3genE5ELNS1_11target_archE942ELNS1_3gpuE9ELNS1_3repE0EEENS1_30default_config_static_selectorELNS0_4arch9wavefront6targetE1EEEvT1_
	.p2align	8
	.type	_ZN7rocprim17ROCPRIM_400000_NS6detail17trampoline_kernelINS0_14default_configENS1_33run_length_encode_config_selectorIjjNS0_4plusIjEEEEZZNS1_33reduce_by_key_impl_wrapped_configILNS1_25lookback_scan_determinismE0ES3_S7_PKjNS0_17constant_iteratorIjlEEPjPlSF_S6_NS0_8equal_toIjEEEE10hipError_tPvRmT2_T3_mT4_T5_T6_T7_T8_P12ihipStream_tbENKUlT_T0_E_clISt17integral_constantIbLb0EESY_IbLb1EEEEDaSU_SV_EUlSU_E_NS1_11comp_targetILNS1_3genE5ELNS1_11target_archE942ELNS1_3gpuE9ELNS1_3repE0EEENS1_30default_config_static_selectorELNS0_4arch9wavefront6targetE1EEEvT1_,@function
_ZN7rocprim17ROCPRIM_400000_NS6detail17trampoline_kernelINS0_14default_configENS1_33run_length_encode_config_selectorIjjNS0_4plusIjEEEEZZNS1_33reduce_by_key_impl_wrapped_configILNS1_25lookback_scan_determinismE0ES3_S7_PKjNS0_17constant_iteratorIjlEEPjPlSF_S6_NS0_8equal_toIjEEEE10hipError_tPvRmT2_T3_mT4_T5_T6_T7_T8_P12ihipStream_tbENKUlT_T0_E_clISt17integral_constantIbLb0EESY_IbLb1EEEEDaSU_SV_EUlSU_E_NS1_11comp_targetILNS1_3genE5ELNS1_11target_archE942ELNS1_3gpuE9ELNS1_3repE0EEENS1_30default_config_static_selectorELNS0_4arch9wavefront6targetE1EEEvT1_: ; @_ZN7rocprim17ROCPRIM_400000_NS6detail17trampoline_kernelINS0_14default_configENS1_33run_length_encode_config_selectorIjjNS0_4plusIjEEEEZZNS1_33reduce_by_key_impl_wrapped_configILNS1_25lookback_scan_determinismE0ES3_S7_PKjNS0_17constant_iteratorIjlEEPjPlSF_S6_NS0_8equal_toIjEEEE10hipError_tPvRmT2_T3_mT4_T5_T6_T7_T8_P12ihipStream_tbENKUlT_T0_E_clISt17integral_constantIbLb0EESY_IbLb1EEEEDaSU_SV_EUlSU_E_NS1_11comp_targetILNS1_3genE5ELNS1_11target_archE942ELNS1_3gpuE9ELNS1_3repE0EEENS1_30default_config_static_selectorELNS0_4arch9wavefront6targetE1EEEvT1_
; %bb.0:
	.section	.rodata,"a",@progbits
	.p2align	6, 0x0
	.amdhsa_kernel _ZN7rocprim17ROCPRIM_400000_NS6detail17trampoline_kernelINS0_14default_configENS1_33run_length_encode_config_selectorIjjNS0_4plusIjEEEEZZNS1_33reduce_by_key_impl_wrapped_configILNS1_25lookback_scan_determinismE0ES3_S7_PKjNS0_17constant_iteratorIjlEEPjPlSF_S6_NS0_8equal_toIjEEEE10hipError_tPvRmT2_T3_mT4_T5_T6_T7_T8_P12ihipStream_tbENKUlT_T0_E_clISt17integral_constantIbLb0EESY_IbLb1EEEEDaSU_SV_EUlSU_E_NS1_11comp_targetILNS1_3genE5ELNS1_11target_archE942ELNS1_3gpuE9ELNS1_3repE0EEENS1_30default_config_static_selectorELNS0_4arch9wavefront6targetE1EEEvT1_
		.amdhsa_group_segment_fixed_size 0
		.amdhsa_private_segment_fixed_size 0
		.amdhsa_kernarg_size 128
		.amdhsa_user_sgpr_count 6
		.amdhsa_user_sgpr_private_segment_buffer 1
		.amdhsa_user_sgpr_dispatch_ptr 0
		.amdhsa_user_sgpr_queue_ptr 0
		.amdhsa_user_sgpr_kernarg_segment_ptr 1
		.amdhsa_user_sgpr_dispatch_id 0
		.amdhsa_user_sgpr_flat_scratch_init 0
		.amdhsa_user_sgpr_kernarg_preload_length 0
		.amdhsa_user_sgpr_kernarg_preload_offset 0
		.amdhsa_user_sgpr_private_segment_size 0
		.amdhsa_uses_dynamic_stack 0
		.amdhsa_system_sgpr_private_segment_wavefront_offset 0
		.amdhsa_system_sgpr_workgroup_id_x 1
		.amdhsa_system_sgpr_workgroup_id_y 0
		.amdhsa_system_sgpr_workgroup_id_z 0
		.amdhsa_system_sgpr_workgroup_info 0
		.amdhsa_system_vgpr_workitem_id 0
		.amdhsa_next_free_vgpr 1
		.amdhsa_next_free_sgpr 0
		.amdhsa_accum_offset 4
		.amdhsa_reserve_vcc 0
		.amdhsa_reserve_flat_scratch 0
		.amdhsa_float_round_mode_32 0
		.amdhsa_float_round_mode_16_64 0
		.amdhsa_float_denorm_mode_32 3
		.amdhsa_float_denorm_mode_16_64 3
		.amdhsa_dx10_clamp 1
		.amdhsa_ieee_mode 1
		.amdhsa_fp16_overflow 0
		.amdhsa_tg_split 0
		.amdhsa_exception_fp_ieee_invalid_op 0
		.amdhsa_exception_fp_denorm_src 0
		.amdhsa_exception_fp_ieee_div_zero 0
		.amdhsa_exception_fp_ieee_overflow 0
		.amdhsa_exception_fp_ieee_underflow 0
		.amdhsa_exception_fp_ieee_inexact 0
		.amdhsa_exception_int_div_zero 0
	.end_amdhsa_kernel
	.section	.text._ZN7rocprim17ROCPRIM_400000_NS6detail17trampoline_kernelINS0_14default_configENS1_33run_length_encode_config_selectorIjjNS0_4plusIjEEEEZZNS1_33reduce_by_key_impl_wrapped_configILNS1_25lookback_scan_determinismE0ES3_S7_PKjNS0_17constant_iteratorIjlEEPjPlSF_S6_NS0_8equal_toIjEEEE10hipError_tPvRmT2_T3_mT4_T5_T6_T7_T8_P12ihipStream_tbENKUlT_T0_E_clISt17integral_constantIbLb0EESY_IbLb1EEEEDaSU_SV_EUlSU_E_NS1_11comp_targetILNS1_3genE5ELNS1_11target_archE942ELNS1_3gpuE9ELNS1_3repE0EEENS1_30default_config_static_selectorELNS0_4arch9wavefront6targetE1EEEvT1_,"axG",@progbits,_ZN7rocprim17ROCPRIM_400000_NS6detail17trampoline_kernelINS0_14default_configENS1_33run_length_encode_config_selectorIjjNS0_4plusIjEEEEZZNS1_33reduce_by_key_impl_wrapped_configILNS1_25lookback_scan_determinismE0ES3_S7_PKjNS0_17constant_iteratorIjlEEPjPlSF_S6_NS0_8equal_toIjEEEE10hipError_tPvRmT2_T3_mT4_T5_T6_T7_T8_P12ihipStream_tbENKUlT_T0_E_clISt17integral_constantIbLb0EESY_IbLb1EEEEDaSU_SV_EUlSU_E_NS1_11comp_targetILNS1_3genE5ELNS1_11target_archE942ELNS1_3gpuE9ELNS1_3repE0EEENS1_30default_config_static_selectorELNS0_4arch9wavefront6targetE1EEEvT1_,comdat
.Lfunc_end677:
	.size	_ZN7rocprim17ROCPRIM_400000_NS6detail17trampoline_kernelINS0_14default_configENS1_33run_length_encode_config_selectorIjjNS0_4plusIjEEEEZZNS1_33reduce_by_key_impl_wrapped_configILNS1_25lookback_scan_determinismE0ES3_S7_PKjNS0_17constant_iteratorIjlEEPjPlSF_S6_NS0_8equal_toIjEEEE10hipError_tPvRmT2_T3_mT4_T5_T6_T7_T8_P12ihipStream_tbENKUlT_T0_E_clISt17integral_constantIbLb0EESY_IbLb1EEEEDaSU_SV_EUlSU_E_NS1_11comp_targetILNS1_3genE5ELNS1_11target_archE942ELNS1_3gpuE9ELNS1_3repE0EEENS1_30default_config_static_selectorELNS0_4arch9wavefront6targetE1EEEvT1_, .Lfunc_end677-_ZN7rocprim17ROCPRIM_400000_NS6detail17trampoline_kernelINS0_14default_configENS1_33run_length_encode_config_selectorIjjNS0_4plusIjEEEEZZNS1_33reduce_by_key_impl_wrapped_configILNS1_25lookback_scan_determinismE0ES3_S7_PKjNS0_17constant_iteratorIjlEEPjPlSF_S6_NS0_8equal_toIjEEEE10hipError_tPvRmT2_T3_mT4_T5_T6_T7_T8_P12ihipStream_tbENKUlT_T0_E_clISt17integral_constantIbLb0EESY_IbLb1EEEEDaSU_SV_EUlSU_E_NS1_11comp_targetILNS1_3genE5ELNS1_11target_archE942ELNS1_3gpuE9ELNS1_3repE0EEENS1_30default_config_static_selectorELNS0_4arch9wavefront6targetE1EEEvT1_
                                        ; -- End function
	.section	.AMDGPU.csdata,"",@progbits
; Kernel info:
; codeLenInByte = 0
; NumSgprs: 4
; NumVgprs: 0
; NumAgprs: 0
; TotalNumVgprs: 0
; ScratchSize: 0
; MemoryBound: 0
; FloatMode: 240
; IeeeMode: 1
; LDSByteSize: 0 bytes/workgroup (compile time only)
; SGPRBlocks: 0
; VGPRBlocks: 0
; NumSGPRsForWavesPerEU: 4
; NumVGPRsForWavesPerEU: 1
; AccumOffset: 4
; Occupancy: 8
; WaveLimiterHint : 0
; COMPUTE_PGM_RSRC2:SCRATCH_EN: 0
; COMPUTE_PGM_RSRC2:USER_SGPR: 6
; COMPUTE_PGM_RSRC2:TRAP_HANDLER: 0
; COMPUTE_PGM_RSRC2:TGID_X_EN: 1
; COMPUTE_PGM_RSRC2:TGID_Y_EN: 0
; COMPUTE_PGM_RSRC2:TGID_Z_EN: 0
; COMPUTE_PGM_RSRC2:TIDIG_COMP_CNT: 0
; COMPUTE_PGM_RSRC3_GFX90A:ACCUM_OFFSET: 0
; COMPUTE_PGM_RSRC3_GFX90A:TG_SPLIT: 0
	.section	.text._ZN7rocprim17ROCPRIM_400000_NS6detail17trampoline_kernelINS0_14default_configENS1_33run_length_encode_config_selectorIjjNS0_4plusIjEEEEZZNS1_33reduce_by_key_impl_wrapped_configILNS1_25lookback_scan_determinismE0ES3_S7_PKjNS0_17constant_iteratorIjlEEPjPlSF_S6_NS0_8equal_toIjEEEE10hipError_tPvRmT2_T3_mT4_T5_T6_T7_T8_P12ihipStream_tbENKUlT_T0_E_clISt17integral_constantIbLb0EESY_IbLb1EEEEDaSU_SV_EUlSU_E_NS1_11comp_targetILNS1_3genE4ELNS1_11target_archE910ELNS1_3gpuE8ELNS1_3repE0EEENS1_30default_config_static_selectorELNS0_4arch9wavefront6targetE1EEEvT1_,"axG",@progbits,_ZN7rocprim17ROCPRIM_400000_NS6detail17trampoline_kernelINS0_14default_configENS1_33run_length_encode_config_selectorIjjNS0_4plusIjEEEEZZNS1_33reduce_by_key_impl_wrapped_configILNS1_25lookback_scan_determinismE0ES3_S7_PKjNS0_17constant_iteratorIjlEEPjPlSF_S6_NS0_8equal_toIjEEEE10hipError_tPvRmT2_T3_mT4_T5_T6_T7_T8_P12ihipStream_tbENKUlT_T0_E_clISt17integral_constantIbLb0EESY_IbLb1EEEEDaSU_SV_EUlSU_E_NS1_11comp_targetILNS1_3genE4ELNS1_11target_archE910ELNS1_3gpuE8ELNS1_3repE0EEENS1_30default_config_static_selectorELNS0_4arch9wavefront6targetE1EEEvT1_,comdat
	.protected	_ZN7rocprim17ROCPRIM_400000_NS6detail17trampoline_kernelINS0_14default_configENS1_33run_length_encode_config_selectorIjjNS0_4plusIjEEEEZZNS1_33reduce_by_key_impl_wrapped_configILNS1_25lookback_scan_determinismE0ES3_S7_PKjNS0_17constant_iteratorIjlEEPjPlSF_S6_NS0_8equal_toIjEEEE10hipError_tPvRmT2_T3_mT4_T5_T6_T7_T8_P12ihipStream_tbENKUlT_T0_E_clISt17integral_constantIbLb0EESY_IbLb1EEEEDaSU_SV_EUlSU_E_NS1_11comp_targetILNS1_3genE4ELNS1_11target_archE910ELNS1_3gpuE8ELNS1_3repE0EEENS1_30default_config_static_selectorELNS0_4arch9wavefront6targetE1EEEvT1_ ; -- Begin function _ZN7rocprim17ROCPRIM_400000_NS6detail17trampoline_kernelINS0_14default_configENS1_33run_length_encode_config_selectorIjjNS0_4plusIjEEEEZZNS1_33reduce_by_key_impl_wrapped_configILNS1_25lookback_scan_determinismE0ES3_S7_PKjNS0_17constant_iteratorIjlEEPjPlSF_S6_NS0_8equal_toIjEEEE10hipError_tPvRmT2_T3_mT4_T5_T6_T7_T8_P12ihipStream_tbENKUlT_T0_E_clISt17integral_constantIbLb0EESY_IbLb1EEEEDaSU_SV_EUlSU_E_NS1_11comp_targetILNS1_3genE4ELNS1_11target_archE910ELNS1_3gpuE8ELNS1_3repE0EEENS1_30default_config_static_selectorELNS0_4arch9wavefront6targetE1EEEvT1_
	.globl	_ZN7rocprim17ROCPRIM_400000_NS6detail17trampoline_kernelINS0_14default_configENS1_33run_length_encode_config_selectorIjjNS0_4plusIjEEEEZZNS1_33reduce_by_key_impl_wrapped_configILNS1_25lookback_scan_determinismE0ES3_S7_PKjNS0_17constant_iteratorIjlEEPjPlSF_S6_NS0_8equal_toIjEEEE10hipError_tPvRmT2_T3_mT4_T5_T6_T7_T8_P12ihipStream_tbENKUlT_T0_E_clISt17integral_constantIbLb0EESY_IbLb1EEEEDaSU_SV_EUlSU_E_NS1_11comp_targetILNS1_3genE4ELNS1_11target_archE910ELNS1_3gpuE8ELNS1_3repE0EEENS1_30default_config_static_selectorELNS0_4arch9wavefront6targetE1EEEvT1_
	.p2align	8
	.type	_ZN7rocprim17ROCPRIM_400000_NS6detail17trampoline_kernelINS0_14default_configENS1_33run_length_encode_config_selectorIjjNS0_4plusIjEEEEZZNS1_33reduce_by_key_impl_wrapped_configILNS1_25lookback_scan_determinismE0ES3_S7_PKjNS0_17constant_iteratorIjlEEPjPlSF_S6_NS0_8equal_toIjEEEE10hipError_tPvRmT2_T3_mT4_T5_T6_T7_T8_P12ihipStream_tbENKUlT_T0_E_clISt17integral_constantIbLb0EESY_IbLb1EEEEDaSU_SV_EUlSU_E_NS1_11comp_targetILNS1_3genE4ELNS1_11target_archE910ELNS1_3gpuE8ELNS1_3repE0EEENS1_30default_config_static_selectorELNS0_4arch9wavefront6targetE1EEEvT1_,@function
_ZN7rocprim17ROCPRIM_400000_NS6detail17trampoline_kernelINS0_14default_configENS1_33run_length_encode_config_selectorIjjNS0_4plusIjEEEEZZNS1_33reduce_by_key_impl_wrapped_configILNS1_25lookback_scan_determinismE0ES3_S7_PKjNS0_17constant_iteratorIjlEEPjPlSF_S6_NS0_8equal_toIjEEEE10hipError_tPvRmT2_T3_mT4_T5_T6_T7_T8_P12ihipStream_tbENKUlT_T0_E_clISt17integral_constantIbLb0EESY_IbLb1EEEEDaSU_SV_EUlSU_E_NS1_11comp_targetILNS1_3genE4ELNS1_11target_archE910ELNS1_3gpuE8ELNS1_3repE0EEENS1_30default_config_static_selectorELNS0_4arch9wavefront6targetE1EEEvT1_: ; @_ZN7rocprim17ROCPRIM_400000_NS6detail17trampoline_kernelINS0_14default_configENS1_33run_length_encode_config_selectorIjjNS0_4plusIjEEEEZZNS1_33reduce_by_key_impl_wrapped_configILNS1_25lookback_scan_determinismE0ES3_S7_PKjNS0_17constant_iteratorIjlEEPjPlSF_S6_NS0_8equal_toIjEEEE10hipError_tPvRmT2_T3_mT4_T5_T6_T7_T8_P12ihipStream_tbENKUlT_T0_E_clISt17integral_constantIbLb0EESY_IbLb1EEEEDaSU_SV_EUlSU_E_NS1_11comp_targetILNS1_3genE4ELNS1_11target_archE910ELNS1_3gpuE8ELNS1_3repE0EEENS1_30default_config_static_selectorELNS0_4arch9wavefront6targetE1EEEvT1_
; %bb.0:
	s_load_dword s12, s[4:5], 0x10
	s_load_dwordx4 s[44:47], s[4:5], 0x20
	s_load_dwordx2 s[52:53], s[4:5], 0x30
	s_load_dwordx2 s[34:35], s[4:5], 0x70
	s_load_dwordx4 s[48:51], s[4:5], 0x60
	s_load_dwordx8 s[36:43], s[4:5], 0x40
	v_cmp_ne_u32_e64 s[2:3], 0, v0
	v_cmp_eq_u32_e64 s[0:1], 0, v0
	s_and_saveexec_b64 s[6:7], s[0:1]
	s_cbranch_execz .LBB678_4
; %bb.1:
	s_mov_b64 s[10:11], exec
	v_mbcnt_lo_u32_b32 v1, s10, 0
	v_mbcnt_hi_u32_b32 v1, s11, v1
	v_cmp_eq_u32_e32 vcc, 0, v1
                                        ; implicit-def: $vgpr2
	s_and_saveexec_b64 s[8:9], vcc
	s_cbranch_execz .LBB678_3
; %bb.2:
	s_load_dwordx2 s[14:15], s[4:5], 0x78
	s_bcnt1_i32_b64 s10, s[10:11]
	v_mov_b32_e32 v2, 0
	v_mov_b32_e32 v3, s10
	s_waitcnt lgkmcnt(0)
	global_atomic_add v2, v2, v3, s[14:15] glc
.LBB678_3:
	s_or_b64 exec, exec, s[8:9]
	s_waitcnt vmcnt(0)
	v_readfirstlane_b32 s8, v2
	v_add_u32_e32 v1, s8, v1
	v_mov_b32_e32 v2, 0
	ds_write_b32 v2, v1
.LBB678_4:
	s_or_b64 exec, exec, s[6:7]
	s_load_dwordx4 s[4:7], s[4:5], 0x0
	v_mov_b32_e32 v3, 0
	s_waitcnt lgkmcnt(0)
	s_barrier
	ds_read_b32 v1, v3
	s_mul_i32 s8, s40, s39
	s_mul_hi_u32 s9, s40, s38
	s_add_i32 s8, s9, s8
	s_mul_i32 s9, s41, s38
	s_add_i32 s8, s8, s9
	s_lshl_b64 s[6:7], s[6:7], 2
	s_add_u32 s4, s4, s6
	s_movk_i32 s6, 0xf00
	s_waitcnt lgkmcnt(0)
	v_mul_lo_u32 v2, v1, s6
	s_mul_i32 s9, s40, s38
	s_addc_u32 s5, s5, s7
	v_readfirstlane_b32 s56, v1
	v_lshlrev_b64 v[2:3], 2, v[2:3]
	v_add_co_u32_e32 v2, vcc, s4, v2
	s_add_u32 s4, s9, s56
	v_mov_b32_e32 v1, s5
	s_addc_u32 s5, s8, 0
	s_add_u32 s8, s42, -1
	s_addc_u32 s9, s43, -1
	s_cmp_eq_u64 s[4:5], s[8:9]
	v_addc_co_u32_e32 v3, vcc, v1, v3, vcc
	s_cselect_b64 s[40:41], -1, 0
	s_cmp_lg_u64 s[4:5], s[8:9]
	s_mov_b64 s[10:11], -1
	s_cselect_b64 s[6:7], -1, 0
	s_mul_i32 s33, s8, 0xfffff100
	s_and_b64 vcc, exec, s[40:41]
	s_barrier
	s_cbranch_vccnz .LBB678_6
; %bb.5:
	v_lshlrev_b32_e32 v1, 2, v0
	v_add_co_u32_e32 v6, vcc, v2, v1
	v_addc_co_u32_e32 v7, vcc, 0, v3, vcc
	v_add_co_u32_e32 v4, vcc, 0x1000, v6
	v_readfirstlane_b32 s8, v2
	v_readfirstlane_b32 s9, v3
	v_addc_co_u32_e32 v5, vcc, 0, v7, vcc
	s_nop 3
	global_load_dword v8, v1, s[8:9]
	global_load_dword v9, v1, s[8:9] offset:1024
	global_load_dword v10, v1, s[8:9] offset:2048
	;; [unrolled: 1-line block ×3, first 2 shown]
	global_load_dword v12, v[4:5], off
	global_load_dword v13, v[4:5], off offset:1024
	global_load_dword v14, v[4:5], off offset:2048
	;; [unrolled: 1-line block ×3, first 2 shown]
	v_add_co_u32_e32 v4, vcc, 0x2000, v6
	v_addc_co_u32_e32 v5, vcc, 0, v7, vcc
	v_add_co_u32_e32 v6, vcc, 0x3000, v6
	v_addc_co_u32_e32 v7, vcc, 0, v7, vcc
	global_load_dword v16, v[4:5], off
	global_load_dword v17, v[4:5], off offset:1024
	global_load_dword v18, v[4:5], off offset:2048
	;; [unrolled: 1-line block ×3, first 2 shown]
	global_load_dword v20, v[6:7], off
	global_load_dword v21, v[6:7], off offset:1024
	global_load_dword v22, v[6:7], off offset:2048
	v_mad_u32_u24 v4, v0, 56, v1
	s_mov_b64 s[8:9], -1
	s_waitcnt vmcnt(13)
	ds_write2st64_b32 v1, v8, v9 offset1:4
	s_waitcnt vmcnt(11)
	ds_write2st64_b32 v1, v10, v11 offset0:8 offset1:12
	s_waitcnt vmcnt(9)
	ds_write2st64_b32 v1, v12, v13 offset0:16 offset1:20
	;; [unrolled: 2-line block ×6, first 2 shown]
	s_waitcnt vmcnt(0)
	ds_write_b32 v1, v22 offset:14336
	s_waitcnt lgkmcnt(0)
	s_barrier
	ds_read2_b32 v[20:21], v4 offset1:1
	ds_read2_b32 v[18:19], v4 offset0:2 offset1:3
	ds_read2_b32 v[16:17], v4 offset0:4 offset1:5
	ds_read2_b32 v[14:15], v4 offset0:6 offset1:7
	ds_read2_b32 v[12:13], v4 offset0:8 offset1:9
	ds_read2_b32 v[10:11], v4 offset0:10 offset1:11
	ds_read2_b32 v[8:9], v4 offset0:12 offset1:13
	ds_read_b32 v1, v4 offset:56
	s_waitcnt lgkmcnt(7)
	v_mov_b32_e32 v24, v20
	s_waitcnt lgkmcnt(6)
	v_mov_b32_e32 v25, v18
	;; [unrolled: 2-line block ×7, first 2 shown]
	s_add_i32 s33, s33, s48
	s_cbranch_execz .LBB678_7
	s_branch .LBB678_38
.LBB678_6:
	s_mov_b64 s[8:9], 0
                                        ; implicit-def: $vgpr1
                                        ; implicit-def: $vgpr8
                                        ; implicit-def: $vgpr10
                                        ; implicit-def: $vgpr12
                                        ; implicit-def: $vgpr14
                                        ; implicit-def: $vgpr16
                                        ; implicit-def: $vgpr18
                                        ; implicit-def: $vgpr20
                                        ; implicit-def: $vgpr4_vgpr5
                                        ; implicit-def: $vgpr6_vgpr7
                                        ; implicit-def: $vgpr24_vgpr25
                                        ; implicit-def: $vgpr22_vgpr23
	s_add_i32 s33, s33, s48
	s_andn2_b64 vcc, exec, s[10:11]
	s_cbranch_vccnz .LBB678_38
.LBB678_7:
	v_cmp_gt_u32_e32 vcc, s33, v0
                                        ; implicit-def: $vgpr1
	s_and_saveexec_b64 s[8:9], vcc
	s_cbranch_execz .LBB678_9
; %bb.8:
	s_waitcnt lgkmcnt(0)
	v_lshlrev_b32_e32 v1, 2, v0
	v_readfirstlane_b32 s10, v2
	v_readfirstlane_b32 s11, v3
	s_nop 4
	global_load_dword v1, v1, s[10:11]
.LBB678_9:
	s_or_b64 exec, exec, s[8:9]
	v_or_b32_e32 v4, 0x100, v0
	v_cmp_gt_u32_e32 vcc, s33, v4
                                        ; implicit-def: $vgpr4
	s_and_saveexec_b64 s[8:9], vcc
	s_cbranch_execz .LBB678_11
; %bb.10:
	v_lshlrev_b32_e32 v4, 2, v0
	v_readfirstlane_b32 s10, v2
	v_readfirstlane_b32 s11, v3
	s_nop 4
	global_load_dword v4, v4, s[10:11] offset:1024
.LBB678_11:
	s_or_b64 exec, exec, s[8:9]
	v_or_b32_e32 v5, 0x200, v0
	v_cmp_gt_u32_e32 vcc, s33, v5
                                        ; implicit-def: $vgpr5
	s_and_saveexec_b64 s[8:9], vcc
	s_cbranch_execz .LBB678_13
; %bb.12:
	v_lshlrev_b32_e32 v5, 2, v0
	v_readfirstlane_b32 s10, v2
	v_readfirstlane_b32 s11, v3
	s_nop 4
	global_load_dword v5, v5, s[10:11] offset:2048
.LBB678_13:
	s_or_b64 exec, exec, s[8:9]
	v_or_b32_e32 v6, 0x300, v0
	v_cmp_gt_u32_e32 vcc, s33, v6
                                        ; implicit-def: $vgpr6
	s_and_saveexec_b64 s[8:9], vcc
	s_cbranch_execz .LBB678_15
; %bb.14:
	v_lshlrev_b32_e32 v6, 2, v0
	v_readfirstlane_b32 s10, v2
	v_readfirstlane_b32 s11, v3
	s_nop 4
	global_load_dword v6, v6, s[10:11] offset:3072
.LBB678_15:
	s_or_b64 exec, exec, s[8:9]
	v_or_b32_e32 v8, 0x400, v0
	v_cmp_gt_u32_e32 vcc, s33, v8
                                        ; implicit-def: $vgpr7
	s_and_saveexec_b64 s[8:9], vcc
	s_cbranch_execz .LBB678_17
; %bb.16:
	v_lshlrev_b32_e32 v7, 2, v8
	v_readfirstlane_b32 s10, v2
	v_readfirstlane_b32 s11, v3
	s_nop 4
	global_load_dword v7, v7, s[10:11]
.LBB678_17:
	s_or_b64 exec, exec, s[8:9]
	v_or_b32_e32 v9, 0x500, v0
	v_cmp_gt_u32_e32 vcc, s33, v9
                                        ; implicit-def: $vgpr8
	s_and_saveexec_b64 s[8:9], vcc
	s_cbranch_execz .LBB678_19
; %bb.18:
	v_lshlrev_b32_e32 v8, 2, v9
	v_readfirstlane_b32 s10, v2
	v_readfirstlane_b32 s11, v3
	s_nop 4
	global_load_dword v8, v8, s[10:11]
.LBB678_19:
	s_or_b64 exec, exec, s[8:9]
	v_or_b32_e32 v10, 0x600, v0
	v_cmp_gt_u32_e32 vcc, s33, v10
                                        ; implicit-def: $vgpr9
	s_and_saveexec_b64 s[8:9], vcc
	s_cbranch_execz .LBB678_21
; %bb.20:
	v_lshlrev_b32_e32 v9, 2, v10
	v_readfirstlane_b32 s10, v2
	v_readfirstlane_b32 s11, v3
	s_nop 4
	global_load_dword v9, v9, s[10:11]
.LBB678_21:
	s_or_b64 exec, exec, s[8:9]
	v_or_b32_e32 v11, 0x700, v0
	v_cmp_gt_u32_e32 vcc, s33, v11
                                        ; implicit-def: $vgpr10
	s_and_saveexec_b64 s[8:9], vcc
	s_cbranch_execz .LBB678_23
; %bb.22:
	v_lshlrev_b32_e32 v10, 2, v11
	v_readfirstlane_b32 s10, v2
	v_readfirstlane_b32 s11, v3
	s_nop 4
	global_load_dword v10, v10, s[10:11]
.LBB678_23:
	s_or_b64 exec, exec, s[8:9]
	v_or_b32_e32 v12, 0x800, v0
	v_cmp_gt_u32_e32 vcc, s33, v12
                                        ; implicit-def: $vgpr11
	s_and_saveexec_b64 s[8:9], vcc
	s_cbranch_execz .LBB678_25
; %bb.24:
	v_lshlrev_b32_e32 v11, 2, v12
	v_readfirstlane_b32 s10, v2
	v_readfirstlane_b32 s11, v3
	s_nop 4
	global_load_dword v11, v11, s[10:11]
.LBB678_25:
	s_or_b64 exec, exec, s[8:9]
	v_or_b32_e32 v13, 0x900, v0
	v_cmp_gt_u32_e32 vcc, s33, v13
                                        ; implicit-def: $vgpr12
	s_and_saveexec_b64 s[8:9], vcc
	s_cbranch_execz .LBB678_27
; %bb.26:
	v_lshlrev_b32_e32 v12, 2, v13
	v_readfirstlane_b32 s10, v2
	v_readfirstlane_b32 s11, v3
	s_nop 4
	global_load_dword v12, v12, s[10:11]
.LBB678_27:
	s_or_b64 exec, exec, s[8:9]
	v_or_b32_e32 v14, 0xa00, v0
	v_cmp_gt_u32_e32 vcc, s33, v14
                                        ; implicit-def: $vgpr13
	s_and_saveexec_b64 s[8:9], vcc
	s_cbranch_execz .LBB678_29
; %bb.28:
	v_lshlrev_b32_e32 v13, 2, v14
	v_readfirstlane_b32 s10, v2
	v_readfirstlane_b32 s11, v3
	s_nop 4
	global_load_dword v13, v13, s[10:11]
.LBB678_29:
	s_or_b64 exec, exec, s[8:9]
	v_or_b32_e32 v15, 0xb00, v0
	v_cmp_gt_u32_e32 vcc, s33, v15
                                        ; implicit-def: $vgpr14
	s_and_saveexec_b64 s[8:9], vcc
	s_cbranch_execz .LBB678_31
; %bb.30:
	v_lshlrev_b32_e32 v14, 2, v15
	v_readfirstlane_b32 s10, v2
	v_readfirstlane_b32 s11, v3
	s_nop 4
	global_load_dword v14, v14, s[10:11]
.LBB678_31:
	s_or_b64 exec, exec, s[8:9]
	v_or_b32_e32 v16, 0xc00, v0
	v_cmp_gt_u32_e32 vcc, s33, v16
                                        ; implicit-def: $vgpr15
	s_and_saveexec_b64 s[8:9], vcc
	s_cbranch_execz .LBB678_33
; %bb.32:
	v_lshlrev_b32_e32 v15, 2, v16
	v_readfirstlane_b32 s10, v2
	v_readfirstlane_b32 s11, v3
	s_nop 4
	global_load_dword v15, v15, s[10:11]
.LBB678_33:
	s_or_b64 exec, exec, s[8:9]
	v_or_b32_e32 v17, 0xd00, v0
	v_cmp_gt_u32_e32 vcc, s33, v17
                                        ; implicit-def: $vgpr16
	s_and_saveexec_b64 s[8:9], vcc
	s_cbranch_execz .LBB678_35
; %bb.34:
	v_lshlrev_b32_e32 v16, 2, v17
	v_readfirstlane_b32 s10, v2
	v_readfirstlane_b32 s11, v3
	s_nop 4
	global_load_dword v16, v16, s[10:11]
.LBB678_35:
	s_or_b64 exec, exec, s[8:9]
	v_or_b32_e32 v18, 0xe00, v0
	v_cmp_gt_u32_e32 vcc, s33, v18
                                        ; implicit-def: $vgpr17
	s_and_saveexec_b64 s[8:9], vcc
	s_cbranch_execz .LBB678_37
; %bb.36:
	v_lshlrev_b32_e32 v17, 2, v18
	v_readfirstlane_b32 s10, v2
	v_readfirstlane_b32 s11, v3
	s_nop 4
	global_load_dword v17, v17, s[10:11]
.LBB678_37:
	s_or_b64 exec, exec, s[8:9]
	v_lshlrev_b32_e32 v18, 2, v0
	s_waitcnt vmcnt(0) lgkmcnt(0)
	ds_write2st64_b32 v18, v1, v4 offset1:4
	ds_write2st64_b32 v18, v5, v6 offset0:8 offset1:12
	ds_write2st64_b32 v18, v7, v8 offset0:16 offset1:20
	ds_write2st64_b32 v18, v9, v10 offset0:24 offset1:28
	ds_write2st64_b32 v18, v11, v12 offset0:32 offset1:36
	ds_write2st64_b32 v18, v13, v14 offset0:40 offset1:44
	ds_write2st64_b32 v18, v15, v16 offset0:48 offset1:52
	ds_write_b32 v18, v17 offset:14336
	v_mad_u32_u24 v1, v0, 56, v18
	s_waitcnt lgkmcnt(0)
	s_barrier
	ds_read2_b32 v[20:21], v1 offset1:1
	ds_read2_b32 v[18:19], v1 offset0:2 offset1:3
	ds_read2_b32 v[16:17], v1 offset0:4 offset1:5
	;; [unrolled: 1-line block ×6, first 2 shown]
	ds_read_b32 v1, v1 offset:56
	v_mad_u32_u24 v4, v0, 15, 14
	v_cmp_gt_u32_e64 s[8:9], s33, v4
	s_waitcnt lgkmcnt(7)
	v_mov_b32_e32 v24, v20
	s_waitcnt lgkmcnt(6)
	v_mov_b32_e32 v25, v18
	;; [unrolled: 2-line block ×7, first 2 shown]
.LBB678_38:
	v_mov_b32_e32 v52, s12
                                        ; implicit-def: $vgpr53
	s_and_saveexec_b64 s[10:11], s[8:9]
; %bb.39:
	v_mov_b32_e32 v53, s12
; %bb.40:
	s_or_b64 exec, exec, s[10:11]
	s_cmp_eq_u64 s[4:5], 0
	s_cselect_b64 s[42:43], -1, 0
	s_cmp_lg_u64 s[4:5], 0
	s_mov_b64 s[54:55], 0
	s_cselect_b64 s[8:9], -1, 0
	s_and_b64 vcc, exec, s[6:7]
	s_waitcnt lgkmcnt(0)
	s_barrier
	s_cbranch_vccz .LBB678_46
; %bb.41:
	s_and_b64 vcc, exec, s[8:9]
	s_cbranch_vccz .LBB678_47
; %bb.42:
	global_load_dword v23, v[2:3], off offset:-4
	v_lshlrev_b32_e32 v26, 2, v0
	ds_write_b32 v26, v1
	s_waitcnt lgkmcnt(0)
	s_barrier
	s_and_saveexec_b64 s[6:7], s[2:3]
	s_cbranch_execz .LBB678_44
; %bb.43:
	s_waitcnt vmcnt(0)
	v_add_u32_e32 v23, -4, v26
	ds_read_b32 v23, v23
.LBB678_44:
	s_or_b64 exec, exec, s[6:7]
	v_cmp_ne_u32_e32 vcc, v24, v21
	v_cndmask_b32_e64 v67, 0, 1, vcc
	v_cmp_ne_u32_e32 vcc, v25, v21
	v_cndmask_b32_e64 v66, 0, 1, vcc
	;; [unrolled: 2-line block ×14, first 2 shown]
	s_waitcnt vmcnt(0) lgkmcnt(0)
	v_cmp_ne_u32_e64 s[6:7], v23, v20
	s_mov_b64 s[54:55], -1
.LBB678_45:
                                        ; implicit-def: $sgpr12
	s_branch .LBB678_59
.LBB678_46:
                                        ; implicit-def: $sgpr6_sgpr7
                                        ; implicit-def: $vgpr54
                                        ; implicit-def: $vgpr55
                                        ; implicit-def: $vgpr56
                                        ; implicit-def: $vgpr57
                                        ; implicit-def: $vgpr58
                                        ; implicit-def: $vgpr59
                                        ; implicit-def: $vgpr60
                                        ; implicit-def: $vgpr61
                                        ; implicit-def: $vgpr62
                                        ; implicit-def: $vgpr63
                                        ; implicit-def: $vgpr64
                                        ; implicit-def: $vgpr65
                                        ; implicit-def: $vgpr66
                                        ; implicit-def: $vgpr67
                                        ; implicit-def: $sgpr12
	s_cbranch_execnz .LBB678_51
	s_branch .LBB678_59
.LBB678_47:
                                        ; implicit-def: $sgpr6_sgpr7
                                        ; implicit-def: $vgpr54
                                        ; implicit-def: $vgpr55
                                        ; implicit-def: $vgpr56
                                        ; implicit-def: $vgpr57
                                        ; implicit-def: $vgpr58
                                        ; implicit-def: $vgpr59
                                        ; implicit-def: $vgpr60
                                        ; implicit-def: $vgpr61
                                        ; implicit-def: $vgpr62
                                        ; implicit-def: $vgpr63
                                        ; implicit-def: $vgpr64
                                        ; implicit-def: $vgpr65
                                        ; implicit-def: $vgpr66
                                        ; implicit-def: $vgpr67
	s_cbranch_execz .LBB678_45
; %bb.48:
	v_cmp_ne_u32_e32 vcc, v21, v24
	v_cndmask_b32_e64 v67, 0, 1, vcc
	v_cmp_ne_u32_e32 vcc, v21, v25
	v_cndmask_b32_e64 v66, 0, 1, vcc
	v_cmp_ne_u32_e32 vcc, v25, v19
	v_cndmask_b32_e64 v65, 0, 1, vcc
	v_cmp_ne_u32_e32 vcc, v6, v19
	v_cndmask_b32_e64 v64, 0, 1, vcc
	v_cmp_ne_u32_e32 vcc, v17, v6
	v_cndmask_b32_e64 v63, 0, 1, vcc
	v_cmp_ne_u32_e32 vcc, v17, v7
	v_cndmask_b32_e64 v62, 0, 1, vcc
	v_cmp_ne_u32_e32 vcc, v7, v15
	v_cndmask_b32_e64 v61, 0, 1, vcc
	v_cmp_ne_u32_e32 vcc, v4, v15
	v_cndmask_b32_e64 v60, 0, 1, vcc
	v_cmp_ne_u32_e32 vcc, v13, v4
	v_cndmask_b32_e64 v59, 0, 1, vcc
	v_cmp_ne_u32_e32 vcc, v13, v5
	v_cndmask_b32_e64 v58, 0, 1, vcc
	v_cmp_ne_u32_e32 vcc, v5, v11
	v_cndmask_b32_e64 v57, 0, 1, vcc
	v_cmp_ne_u32_e32 vcc, v22, v11
	v_cndmask_b32_e64 v56, 0, 1, vcc
	v_cmp_ne_u32_e32 vcc, v9, v22
	v_cndmask_b32_e64 v55, 0, 1, vcc
	v_cmp_ne_u32_e32 vcc, v9, v1
	v_lshlrev_b32_e32 v23, 2, v0
	v_cndmask_b32_e64 v54, 0, 1, vcc
	ds_write_b32 v23, v1
	s_waitcnt lgkmcnt(0)
	s_barrier
	s_waitcnt lgkmcnt(0)
                                        ; implicit-def: $sgpr6_sgpr7
	s_and_saveexec_b64 s[10:11], s[2:3]
	s_xor_b64 s[10:11], exec, s[10:11]
	s_cbranch_execz .LBB678_50
; %bb.49:
	v_add_u32_e32 v4, -4, v23
	ds_read_b32 v4, v4
	s_or_b64 s[54:55], s[54:55], exec
	s_waitcnt lgkmcnt(0)
	v_cmp_ne_u32_e32 vcc, v4, v20
	s_and_b64 s[6:7], vcc, exec
.LBB678_50:
	s_or_b64 exec, exec, s[10:11]
	s_mov_b32 s12, 1
	s_branch .LBB678_59
.LBB678_51:
	s_mul_hi_u32 s6, s4, 0xfffff100
	s_mulk_i32 s5, 0xf100
	s_sub_i32 s6, s6, s4
	s_add_i32 s6, s6, s5
	s_mulk_i32 s4, 0xf100
	s_add_u32 s48, s4, s48
	s_addc_u32 s49, s6, s49
	s_and_b64 vcc, exec, s[8:9]
	v_cmp_ne_u32_e64 s[30:31], v9, v1
	v_cmp_ne_u32_e64 s[28:29], v8, v9
	;; [unrolled: 1-line block ×14, first 2 shown]
	v_mad_u32_u24 v4, v0, 15, 14
	v_mad_u32_u24 v44, v0, 15, 13
	;; [unrolled: 1-line block ×14, first 2 shown]
	s_cbranch_vccz .LBB678_56
; %bb.52:
	global_load_dword v46, v[2:3], off offset:-4
	v_mov_b32_e32 v5, 0
	v_cmp_gt_u64_e32 vcc, s[48:49], v[4:5]
	v_mov_b32_e32 v45, v5
	s_and_b64 s[30:31], vcc, s[30:31]
	v_cmp_gt_u64_e32 vcc, s[48:49], v[44:45]
	v_mov_b32_e32 v43, v5
	s_and_b64 s[28:29], vcc, s[28:29]
	;; [unrolled: 3-line block ×13, first 2 shown]
	v_cmp_gt_u64_e32 vcc, s[48:49], v[6:7]
	v_lshlrev_b32_e32 v3, 2, v0
	v_mul_u32_u24_e32 v2, 15, v0
	s_and_b64 s[4:5], vcc, s[4:5]
	ds_write_b32 v3, v1
	s_waitcnt lgkmcnt(0)
	s_barrier
	s_and_saveexec_b64 s[54:55], s[2:3]
	s_cbranch_execz .LBB678_54
; %bb.53:
	v_add_u32_e32 v3, -4, v3
	s_waitcnt vmcnt(0)
	ds_read_b32 v46, v3
.LBB678_54:
	s_or_b64 exec, exec, s[54:55]
	v_mov_b32_e32 v3, v5
	v_cndmask_b32_e64 v67, 0, 1, s[4:5]
	v_cmp_gt_u64_e32 vcc, s[48:49], v[2:3]
	s_waitcnt vmcnt(0) lgkmcnt(0)
	v_cmp_ne_u32_e64 s[4:5], v46, v20
	v_cndmask_b32_e64 v54, 0, 1, s[30:31]
	v_cndmask_b32_e64 v55, 0, 1, s[28:29]
	;; [unrolled: 1-line block ×13, first 2 shown]
	s_and_b64 s[6:7], vcc, s[4:5]
	s_mov_b64 s[54:55], -1
.LBB678_55:
                                        ; implicit-def: $sgpr12
	v_mov_b32_e32 v68, s12
	s_and_saveexec_b64 s[2:3], s[54:55]
	s_cbranch_execnz .LBB678_60
	s_branch .LBB678_61
.LBB678_56:
                                        ; implicit-def: $sgpr6_sgpr7
                                        ; implicit-def: $vgpr54
                                        ; implicit-def: $vgpr55
                                        ; implicit-def: $vgpr56
                                        ; implicit-def: $vgpr57
                                        ; implicit-def: $vgpr58
                                        ; implicit-def: $vgpr59
                                        ; implicit-def: $vgpr60
                                        ; implicit-def: $vgpr61
                                        ; implicit-def: $vgpr62
                                        ; implicit-def: $vgpr63
                                        ; implicit-def: $vgpr64
                                        ; implicit-def: $vgpr65
                                        ; implicit-def: $vgpr66
                                        ; implicit-def: $vgpr67
	s_cbranch_execz .LBB678_55
; %bb.57:
	v_mov_b32_e32 v5, 0
	v_cmp_gt_u64_e32 vcc, s[48:49], v[4:5]
	v_cmp_ne_u32_e64 s[4:5], v9, v1
	s_and_b64 s[4:5], vcc, s[4:5]
	v_mov_b32_e32 v45, v5
	v_cndmask_b32_e64 v54, 0, 1, s[4:5]
	v_cmp_gt_u64_e32 vcc, s[48:49], v[44:45]
	v_cmp_ne_u32_e64 s[4:5], v8, v9
	s_and_b64 s[4:5], vcc, s[4:5]
	v_mov_b32_e32 v43, v5
	v_cndmask_b32_e64 v55, 0, 1, s[4:5]
	;; [unrolled: 5-line block ×13, first 2 shown]
	v_cmp_gt_u64_e32 vcc, s[48:49], v[6:7]
	v_cmp_ne_u32_e64 s[4:5], v20, v21
	s_and_b64 s[4:5], vcc, s[4:5]
	v_lshlrev_b32_e32 v2, 2, v0
	s_mov_b32 s12, 1
	v_cndmask_b32_e64 v67, 0, 1, s[4:5]
	ds_write_b32 v2, v1
	s_waitcnt lgkmcnt(0)
	s_barrier
	s_waitcnt lgkmcnt(0)
                                        ; implicit-def: $sgpr6_sgpr7
	s_and_saveexec_b64 s[4:5], s[2:3]
	s_cbranch_execz .LBB678_152
; %bb.58:
	v_add_u32_e32 v2, -4, v2
	ds_read_b32 v2, v2
	v_mul_u32_u24_e32 v4, 15, v0
	v_cmp_gt_u64_e32 vcc, s[48:49], v[4:5]
	s_or_b64 s[54:55], s[54:55], exec
	s_waitcnt lgkmcnt(0)
	v_cmp_ne_u32_e64 s[2:3], v2, v20
	s_and_b64 s[2:3], vcc, s[2:3]
	s_and_b64 s[6:7], s[2:3], exec
	s_or_b64 exec, exec, s[4:5]
.LBB678_59:
	v_mov_b32_e32 v68, s12
	s_and_saveexec_b64 s[2:3], s[54:55]
.LBB678_60:
	v_cndmask_b32_e64 v68, 0, 1, s[6:7]
.LBB678_61:
	s_or_b64 exec, exec, s[2:3]
	s_cmp_eq_u64 s[38:39], 0
	v_add3_u32 v2, v67, v68, v66
	s_cselect_b64 s[38:39], -1, 0
	s_cmp_lg_u32 s56, 0
	v_cmp_eq_u32_e64 s[26:27], 0, v67
	v_cmp_eq_u32_e64 s[24:25], 0, v66
	;; [unrolled: 1-line block ×3, first 2 shown]
	v_add3_u32 v72, v2, v65, v64
	v_cmp_eq_u32_e64 s[20:21], 0, v64
	v_cmp_eq_u32_e64 s[18:19], 0, v63
	;; [unrolled: 1-line block ×10, first 2 shown]
	v_cmp_eq_u32_e32 vcc, 0, v54
	v_mbcnt_lo_u32_b32 v71, -1, 0
	v_lshrrev_b32_e32 v69, 6, v0
	v_or_b32_e32 v70, 63, v0
	s_cbranch_scc0 .LBB678_88
; %bb.62:
	v_cndmask_b32_e64 v2, 0, v52, s[26:27]
	v_add_u32_e32 v2, v2, v52
	v_cndmask_b32_e64 v2, 0, v2, s[24:25]
	v_add_u32_e32 v2, v2, v52
	;; [unrolled: 2-line block ×11, first 2 shown]
	v_cndmask_b32_e64 v2, 0, v2, s[4:5]
	v_add3_u32 v3, v72, v63, v62
	v_add_u32_e32 v2, v2, v52
	v_add3_u32 v3, v3, v61, v60
	v_cndmask_b32_e64 v2, 0, v2, s[2:3]
	v_add3_u32 v3, v3, v59, v58
	v_add_u32_e32 v2, v2, v52
	v_add3_u32 v3, v3, v57, v56
	v_cndmask_b32_e32 v2, 0, v2, vcc
	v_add3_u32 v3, v3, v55, v54
	v_add_u32_e32 v2, v2, v53
	v_mbcnt_hi_u32_b32 v25, -1, v71
	v_and_b32_e32 v4, 15, v25
	v_mov_b32_dpp v6, v2 row_shr:1 row_mask:0xf bank_mask:0xf
	v_cmp_eq_u32_e32 vcc, 0, v3
	v_mov_b32_dpp v5, v3 row_shr:1 row_mask:0xf bank_mask:0xf
	v_cndmask_b32_e32 v6, 0, v6, vcc
	v_cmp_eq_u32_e32 vcc, 0, v4
	v_cndmask_b32_e64 v5, v5, 0, vcc
	v_add_u32_e32 v3, v5, v3
	v_cndmask_b32_e64 v5, v6, 0, vcc
	v_add_u32_e32 v2, v5, v2
	v_cmp_eq_u32_e32 vcc, 0, v3
	v_mov_b32_dpp v5, v3 row_shr:2 row_mask:0xf bank_mask:0xf
	v_cmp_lt_u32_e64 s[28:29], 1, v4
	v_mov_b32_dpp v6, v2 row_shr:2 row_mask:0xf bank_mask:0xf
	v_cndmask_b32_e64 v5, 0, v5, s[28:29]
	s_and_b64 vcc, s[28:29], vcc
	v_cndmask_b32_e32 v6, 0, v6, vcc
	v_add_u32_e32 v3, v3, v5
	v_add_u32_e32 v2, v6, v2
	v_cmp_eq_u32_e32 vcc, 0, v3
	v_mov_b32_dpp v5, v3 row_shr:4 row_mask:0xf bank_mask:0xf
	v_cmp_lt_u32_e64 s[28:29], 3, v4
	v_mov_b32_dpp v6, v2 row_shr:4 row_mask:0xf bank_mask:0xf
	v_cndmask_b32_e64 v5, 0, v5, s[28:29]
	s_and_b64 vcc, s[28:29], vcc
	v_cndmask_b32_e32 v6, 0, v6, vcc
	v_add_u32_e32 v3, v5, v3
	v_add_u32_e32 v2, v2, v6
	v_cmp_eq_u32_e32 vcc, 0, v3
	v_cmp_lt_u32_e64 s[28:29], 7, v4
	v_mov_b32_dpp v5, v3 row_shr:8 row_mask:0xf bank_mask:0xf
	v_mov_b32_dpp v6, v2 row_shr:8 row_mask:0xf bank_mask:0xf
	s_and_b64 vcc, s[28:29], vcc
	v_cndmask_b32_e64 v4, 0, v5, s[28:29]
	v_cndmask_b32_e32 v5, 0, v6, vcc
	v_add_u32_e32 v2, v5, v2
	v_add_u32_e32 v3, v4, v3
	v_bfe_i32 v6, v25, 4, 1
	v_mov_b32_dpp v5, v2 row_bcast:15 row_mask:0xf bank_mask:0xf
	v_mov_b32_dpp v4, v3 row_bcast:15 row_mask:0xf bank_mask:0xf
	v_cmp_eq_u32_e32 vcc, 0, v3
	v_cndmask_b32_e32 v5, 0, v5, vcc
	v_and_b32_e32 v4, v6, v4
	v_add_u32_e32 v3, v4, v3
	v_and_b32_e32 v4, v6, v5
	v_add_u32_e32 v4, v4, v2
	v_mov_b32_dpp v2, v3 row_bcast:31 row_mask:0xf bank_mask:0xf
	v_cmp_eq_u32_e32 vcc, 0, v3
	v_cmp_lt_u32_e64 s[28:29], 31, v25
	v_mov_b32_dpp v5, v4 row_bcast:31 row_mask:0xf bank_mask:0xf
	v_cndmask_b32_e64 v2, 0, v2, s[28:29]
	s_and_b64 vcc, s[28:29], vcc
	v_add_u32_e32 v2, v2, v3
	v_cndmask_b32_e32 v3, 0, v5, vcc
	v_add_u32_e32 v3, v3, v4
	v_cmp_eq_u32_e32 vcc, v70, v0
	v_lshlrev_b32_e32 v4, 3, v69
	s_and_saveexec_b64 s[28:29], vcc
	s_cbranch_execz .LBB678_64
; %bb.63:
	ds_write_b64 v4, v[2:3] offset:2064
.LBB678_64:
	s_or_b64 exec, exec, s[28:29]
	v_cmp_gt_u32_e32 vcc, 4, v0
	s_waitcnt lgkmcnt(0)
	s_barrier
	s_and_saveexec_b64 s[30:31], vcc
	s_cbranch_execz .LBB678_66
; %bb.65:
	v_lshlrev_b32_e32 v5, 3, v0
	ds_read_b64 v[6:7], v5 offset:2064
	v_and_b32_e32 v22, 3, v25
	v_cmp_lt_u32_e64 s[28:29], 1, v22
	s_waitcnt lgkmcnt(0)
	v_mov_b32_dpp v24, v7 row_shr:1 row_mask:0xf bank_mask:0xf
	v_cmp_eq_u32_e32 vcc, 0, v6
	v_mov_b32_dpp v23, v6 row_shr:1 row_mask:0xf bank_mask:0xf
	v_cndmask_b32_e32 v24, 0, v24, vcc
	v_cmp_eq_u32_e32 vcc, 0, v22
	v_cndmask_b32_e64 v23, v23, 0, vcc
	v_add_u32_e32 v6, v23, v6
	v_cndmask_b32_e64 v23, v24, 0, vcc
	v_add_u32_e32 v7, v23, v7
	v_cmp_eq_u32_e32 vcc, 0, v6
	v_mov_b32_dpp v23, v6 row_shr:2 row_mask:0xf bank_mask:0xf
	v_mov_b32_dpp v24, v7 row_shr:2 row_mask:0xf bank_mask:0xf
	v_cndmask_b32_e64 v22, 0, v23, s[28:29]
	s_and_b64 vcc, s[28:29], vcc
	v_add_u32_e32 v6, v22, v6
	v_cndmask_b32_e32 v22, 0, v24, vcc
	v_add_u32_e32 v7, v22, v7
	ds_write_b64 v5, v[6:7] offset:2064
.LBB678_66:
	s_or_b64 exec, exec, s[30:31]
	v_cmp_gt_u32_e32 vcc, 64, v0
	v_cmp_lt_u32_e64 s[28:29], 63, v0
	v_mov_b32_e32 v22, 0
	v_mov_b32_e32 v23, 0
	s_waitcnt lgkmcnt(0)
	s_barrier
	s_and_saveexec_b64 s[30:31], s[28:29]
	s_cbranch_execz .LBB678_68
; %bb.67:
	ds_read_b64 v[22:23], v4 offset:2056
	v_cmp_eq_u32_e64 s[28:29], 0, v2
	s_waitcnt lgkmcnt(0)
	v_add_u32_e32 v4, v22, v2
	v_cndmask_b32_e64 v2, 0, v23, s[28:29]
	v_add_u32_e32 v3, v2, v3
	v_mov_b32_e32 v2, v4
.LBB678_68:
	s_or_b64 exec, exec, s[30:31]
	v_add_u32_e32 v4, -1, v25
	v_and_b32_e32 v5, 64, v25
	v_cmp_lt_i32_e64 s[28:29], v4, v5
	v_cndmask_b32_e64 v4, v4, v25, s[28:29]
	v_lshlrev_b32_e32 v4, 2, v4
	ds_bpermute_b32 v30, v4, v2
	ds_bpermute_b32 v31, v4, v3
	v_cmp_eq_u32_e64 s[28:29], 0, v25
	s_and_saveexec_b64 s[48:49], vcc
	s_cbranch_execz .LBB678_87
; %bb.69:
	v_mov_b32_e32 v7, 0
	ds_read_b64 v[2:3], v7 offset:2088
	s_waitcnt lgkmcnt(0)
	v_readfirstlane_b32 s57, v2
	v_readfirstlane_b32 s58, v3
	s_and_saveexec_b64 s[30:31], s[28:29]
	s_cbranch_execz .LBB678_71
; %bb.70:
	s_add_i32 s54, s56, 64
	s_mov_b32 s55, 0
	s_lshl_b64 s[60:61], s[54:55], 4
	s_add_u32 s60, s36, s60
	s_addc_u32 s61, s37, s61
	s_and_b32 s63, s58, 0xff000000
	s_mov_b32 s62, s55
	s_and_b32 s65, s58, 0xff0000
	s_mov_b32 s64, s55
	s_or_b64 s[62:63], s[64:65], s[62:63]
	s_and_b32 s65, s58, 0xff00
	s_or_b64 s[62:63], s[62:63], s[64:65]
	s_and_b32 s65, s58, 0xff
	s_or_b64 s[54:55], s[62:63], s[64:65]
	v_mov_b32_e32 v4, s57
	v_mov_b32_e32 v5, s55
	;; [unrolled: 1-line block ×3, first 2 shown]
	v_pk_mov_b32 v[2:3], s[60:61], s[60:61] op_sel:[0,1]
	;;#ASMSTART
	global_store_dwordx4 v[2:3], v[4:7] off	
s_waitcnt vmcnt(0)
	;;#ASMEND
.LBB678_71:
	s_or_b64 exec, exec, s[30:31]
	v_xad_u32 v24, v25, -1, s56
	v_add_u32_e32 v6, 64, v24
	v_lshlrev_b64 v[2:3], 4, v[6:7]
	v_mov_b32_e32 v4, s37
	v_add_co_u32_e32 v26, vcc, s36, v2
	v_addc_co_u32_e32 v27, vcc, v4, v3, vcc
	;;#ASMSTART
	global_load_dwordx4 v[2:5], v[26:27] off glc	
s_waitcnt vmcnt(0)
	;;#ASMEND
	v_and_b32_e32 v5, 0xff, v3
	v_and_b32_e32 v6, 0xff00, v3
	v_or3_b32 v5, 0, v5, v6
	v_or3_b32 v2, v2, 0, 0
	v_and_b32_e32 v6, 0xff000000, v3
	v_and_b32_e32 v3, 0xff0000, v3
	v_or3_b32 v3, v5, v3, v6
	v_or3_b32 v2, v2, 0, 0
	v_cmp_eq_u16_sdwa s[54:55], v4, v7 src0_sel:BYTE_0 src1_sel:DWORD
	s_and_saveexec_b64 s[30:31], s[54:55]
	s_cbranch_execz .LBB678_75
; %bb.72:
	s_mov_b64 s[54:55], 0
	v_mov_b32_e32 v6, 0
.LBB678_73:                             ; =>This Inner Loop Header: Depth=1
	;;#ASMSTART
	global_load_dwordx4 v[2:5], v[26:27] off glc	
s_waitcnt vmcnt(0)
	;;#ASMEND
	v_cmp_ne_u16_sdwa s[60:61], v4, v6 src0_sel:BYTE_0 src1_sel:DWORD
	s_or_b64 s[54:55], s[60:61], s[54:55]
	s_andn2_b64 exec, exec, s[54:55]
	s_cbranch_execnz .LBB678_73
; %bb.74:
	s_or_b64 exec, exec, s[54:55]
.LBB678_75:
	s_or_b64 exec, exec, s[30:31]
	v_mov_b32_e32 v32, 2
	v_cmp_eq_u16_sdwa s[30:31], v4, v32 src0_sel:BYTE_0 src1_sel:DWORD
	v_lshlrev_b64 v[26:27], v25, -1
	v_and_b32_e32 v5, s31, v27
	v_and_b32_e32 v33, 63, v25
	v_or_b32_e32 v5, 0x80000000, v5
	v_cmp_ne_u32_e32 vcc, 63, v33
	v_and_b32_e32 v6, s30, v26
	v_ffbl_b32_e32 v5, v5
	v_addc_co_u32_e32 v7, vcc, 0, v25, vcc
	v_add_u32_e32 v5, 32, v5
	v_ffbl_b32_e32 v6, v6
	v_lshlrev_b32_e32 v34, 2, v7
	v_min_u32_e32 v5, v6, v5
	ds_bpermute_b32 v6, v34, v3
	v_cmp_eq_u32_e32 vcc, 0, v2
	v_cmp_lt_u32_e64 s[30:31], v33, v5
	ds_bpermute_b32 v7, v34, v2
	s_and_b64 vcc, s[30:31], vcc
	s_waitcnt lgkmcnt(1)
	v_cndmask_b32_e32 v6, 0, v6, vcc
	v_cmp_gt_u32_e32 vcc, 62, v33
	v_add_u32_e32 v3, v6, v3
	v_cndmask_b32_e64 v6, 0, 1, vcc
	v_lshlrev_b32_e32 v6, 1, v6
	v_add_lshl_u32 v35, v6, v25, 2
	s_waitcnt lgkmcnt(0)
	v_cndmask_b32_e64 v7, 0, v7, s[30:31]
	ds_bpermute_b32 v6, v35, v3
	v_add_u32_e32 v2, v7, v2
	ds_bpermute_b32 v7, v35, v2
	v_add_u32_e32 v36, 2, v33
	v_cmp_eq_u32_e32 vcc, 0, v2
	s_waitcnt lgkmcnt(1)
	v_cndmask_b32_e32 v6, 0, v6, vcc
	v_cmp_gt_u32_e32 vcc, v36, v5
	v_cndmask_b32_e64 v6, v6, 0, vcc
	v_add_u32_e32 v3, v6, v3
	s_waitcnt lgkmcnt(0)
	v_cndmask_b32_e64 v6, v7, 0, vcc
	v_cmp_gt_u32_e32 vcc, 60, v33
	v_cndmask_b32_e64 v7, 0, 1, vcc
	v_lshlrev_b32_e32 v7, 2, v7
	v_add_lshl_u32 v37, v7, v25, 2
	ds_bpermute_b32 v7, v37, v3
	v_add_u32_e32 v2, v2, v6
	ds_bpermute_b32 v6, v37, v2
	v_add_u32_e32 v38, 4, v33
	v_cmp_eq_u32_e32 vcc, 0, v2
	s_waitcnt lgkmcnt(1)
	v_cndmask_b32_e32 v7, 0, v7, vcc
	v_cmp_gt_u32_e32 vcc, v38, v5
	v_cndmask_b32_e64 v7, v7, 0, vcc
	s_waitcnt lgkmcnt(0)
	v_cndmask_b32_e64 v6, v6, 0, vcc
	v_cmp_gt_u32_e32 vcc, 56, v33
	v_add_u32_e32 v3, v3, v7
	v_cndmask_b32_e64 v7, 0, 1, vcc
	v_lshlrev_b32_e32 v7, 3, v7
	v_add_lshl_u32 v39, v7, v25, 2
	ds_bpermute_b32 v7, v39, v3
	v_add_u32_e32 v2, v2, v6
	ds_bpermute_b32 v6, v39, v2
	v_add_u32_e32 v40, 8, v33
	v_cmp_eq_u32_e32 vcc, 0, v2
	s_waitcnt lgkmcnt(1)
	v_cndmask_b32_e32 v7, 0, v7, vcc
	v_cmp_gt_u32_e32 vcc, v40, v5
	v_cndmask_b32_e64 v7, v7, 0, vcc
	s_waitcnt lgkmcnt(0)
	v_cndmask_b32_e64 v6, v6, 0, vcc
	v_cmp_gt_u32_e32 vcc, 48, v33
	v_add_u32_e32 v3, v3, v7
	;; [unrolled: 16-line block ×3, first 2 shown]
	v_cndmask_b32_e64 v7, 0, 1, vcc
	v_lshlrev_b32_e32 v7, 5, v7
	v_add_lshl_u32 v43, v7, v25, 2
	ds_bpermute_b32 v7, v43, v3
	v_add_u32_e32 v2, v2, v6
	ds_bpermute_b32 v6, v43, v2
	v_add_u32_e32 v44, 32, v33
	v_cmp_eq_u32_e32 vcc, 0, v2
	s_waitcnt lgkmcnt(1)
	v_cndmask_b32_e32 v7, 0, v7, vcc
	v_cmp_gt_u32_e32 vcc, v44, v5
	v_cndmask_b32_e64 v5, v7, 0, vcc
	v_add_u32_e32 v3, v5, v3
	s_waitcnt lgkmcnt(0)
	v_cndmask_b32_e64 v5, v6, 0, vcc
	v_add_u32_e32 v2, v5, v2
	v_mov_b32_e32 v25, 0
	s_branch .LBB678_77
.LBB678_76:                             ;   in Loop: Header=BB678_77 Depth=1
	s_or_b64 exec, exec, s[30:31]
	v_cmp_eq_u16_sdwa s[30:31], v4, v32 src0_sel:BYTE_0 src1_sel:DWORD
	v_and_b32_e32 v5, s31, v27
	v_or_b32_e32 v5, 0x80000000, v5
	v_and_b32_e32 v28, s30, v26
	v_ffbl_b32_e32 v5, v5
	v_add_u32_e32 v5, 32, v5
	v_ffbl_b32_e32 v28, v28
	v_min_u32_e32 v5, v28, v5
	ds_bpermute_b32 v28, v34, v3
	v_cmp_eq_u32_e32 vcc, 0, v2
	v_cmp_lt_u32_e64 s[30:31], v33, v5
	ds_bpermute_b32 v29, v34, v2
	s_and_b64 vcc, s[30:31], vcc
	s_waitcnt lgkmcnt(1)
	v_cndmask_b32_e32 v28, 0, v28, vcc
	v_add_u32_e32 v3, v28, v3
	ds_bpermute_b32 v28, v35, v3
	s_waitcnt lgkmcnt(1)
	v_cndmask_b32_e64 v29, 0, v29, s[30:31]
	v_add_u32_e32 v2, v29, v2
	v_cmp_eq_u32_e32 vcc, 0, v2
	ds_bpermute_b32 v29, v35, v2
	s_waitcnt lgkmcnt(1)
	v_cndmask_b32_e32 v28, 0, v28, vcc
	v_cmp_gt_u32_e32 vcc, v36, v5
	v_cndmask_b32_e64 v28, v28, 0, vcc
	v_add_u32_e32 v3, v28, v3
	ds_bpermute_b32 v28, v37, v3
	s_waitcnt lgkmcnt(1)
	v_cndmask_b32_e64 v29, v29, 0, vcc
	v_add_u32_e32 v2, v2, v29
	v_cmp_eq_u32_e32 vcc, 0, v2
	ds_bpermute_b32 v29, v37, v2
	s_waitcnt lgkmcnt(1)
	v_cndmask_b32_e32 v28, 0, v28, vcc
	v_cmp_gt_u32_e32 vcc, v38, v5
	v_cndmask_b32_e64 v28, v28, 0, vcc
	v_add_u32_e32 v3, v3, v28
	ds_bpermute_b32 v28, v39, v3
	s_waitcnt lgkmcnt(1)
	v_cndmask_b32_e64 v29, v29, 0, vcc
	v_add_u32_e32 v2, v2, v29
	ds_bpermute_b32 v29, v39, v2
	v_cmp_eq_u32_e32 vcc, 0, v2
	s_waitcnt lgkmcnt(1)
	v_cndmask_b32_e32 v28, 0, v28, vcc
	v_cmp_gt_u32_e32 vcc, v40, v5
	v_cndmask_b32_e64 v28, v28, 0, vcc
	v_add_u32_e32 v3, v3, v28
	ds_bpermute_b32 v28, v41, v3
	s_waitcnt lgkmcnt(1)
	v_cndmask_b32_e64 v29, v29, 0, vcc
	v_add_u32_e32 v2, v2, v29
	ds_bpermute_b32 v29, v41, v2
	v_cmp_eq_u32_e32 vcc, 0, v2
	;; [unrolled: 11-line block ×3, first 2 shown]
	s_waitcnt lgkmcnt(1)
	v_cndmask_b32_e32 v28, 0, v28, vcc
	v_cmp_gt_u32_e32 vcc, v44, v5
	v_cndmask_b32_e64 v5, v28, 0, vcc
	v_add_u32_e32 v3, v5, v3
	s_waitcnt lgkmcnt(0)
	v_cndmask_b32_e64 v5, v29, 0, vcc
	v_cmp_eq_u32_e32 vcc, 0, v6
	v_cndmask_b32_e32 v3, 0, v3, vcc
	v_subrev_u32_e32 v24, 64, v24
	v_add3_u32 v2, v2, v6, v5
	v_add_u32_e32 v3, v3, v7
.LBB678_77:                             ; =>This Loop Header: Depth=1
                                        ;     Child Loop BB678_80 Depth 2
	v_cmp_ne_u16_sdwa s[30:31], v4, v32 src0_sel:BYTE_0 src1_sel:DWORD
	v_mov_b32_e32 v7, v3
	v_cndmask_b32_e64 v3, 0, 1, s[30:31]
	;;#ASMSTART
	;;#ASMEND
	v_cmp_ne_u32_e32 vcc, 0, v3
	s_cmp_lg_u64 vcc, exec
	v_mov_b32_e32 v6, v2
	s_cbranch_scc1 .LBB678_82
; %bb.78:                               ;   in Loop: Header=BB678_77 Depth=1
	v_lshlrev_b64 v[2:3], 4, v[24:25]
	v_mov_b32_e32 v4, s37
	v_add_co_u32_e32 v28, vcc, s36, v2
	v_addc_co_u32_e32 v29, vcc, v4, v3, vcc
	;;#ASMSTART
	global_load_dwordx4 v[2:5], v[28:29] off glc	
s_waitcnt vmcnt(0)
	;;#ASMEND
	v_and_b32_e32 v5, 0xff, v3
	v_and_b32_e32 v45, 0xff00, v3
	v_or3_b32 v5, 0, v5, v45
	v_or3_b32 v2, v2, 0, 0
	v_and_b32_e32 v45, 0xff000000, v3
	v_and_b32_e32 v3, 0xff0000, v3
	v_or3_b32 v3, v5, v3, v45
	v_or3_b32 v2, v2, 0, 0
	v_cmp_eq_u16_sdwa s[54:55], v4, v25 src0_sel:BYTE_0 src1_sel:DWORD
	s_and_saveexec_b64 s[30:31], s[54:55]
	s_cbranch_execz .LBB678_76
; %bb.79:                               ;   in Loop: Header=BB678_77 Depth=1
	s_mov_b64 s[54:55], 0
.LBB678_80:                             ;   Parent Loop BB678_77 Depth=1
                                        ; =>  This Inner Loop Header: Depth=2
	;;#ASMSTART
	global_load_dwordx4 v[2:5], v[28:29] off glc	
s_waitcnt vmcnt(0)
	;;#ASMEND
	v_cmp_ne_u16_sdwa s[60:61], v4, v25 src0_sel:BYTE_0 src1_sel:DWORD
	s_or_b64 s[54:55], s[60:61], s[54:55]
	s_andn2_b64 exec, exec, s[54:55]
	s_cbranch_execnz .LBB678_80
; %bb.81:                               ;   in Loop: Header=BB678_77 Depth=1
	s_or_b64 exec, exec, s[54:55]
	s_branch .LBB678_76
.LBB678_82:                             ;   in Loop: Header=BB678_77 Depth=1
                                        ; implicit-def: $vgpr3
                                        ; implicit-def: $vgpr2
                                        ; implicit-def: $vgpr4
	s_cbranch_execz .LBB678_77
; %bb.83:
	s_and_saveexec_b64 s[30:31], s[28:29]
	s_cbranch_execz .LBB678_85
; %bb.84:
	s_cmp_eq_u32 s57, 0
	s_cselect_b64 vcc, -1, 0
	s_mov_b32 s55, 0
	v_cndmask_b32_e32 v2, 0, v7, vcc
	s_add_i32 s54, s56, 64
	v_add_u32_e32 v2, s58, v2
	s_lshl_b64 s[54:55], s[54:55], 4
	s_add_u32 s54, s36, s54
	v_and_b32_e32 v3, 0xff000000, v2
	v_and_b32_e32 v4, 0xff0000, v2
	s_addc_u32 s55, s37, s55
	v_or_b32_e32 v3, v4, v3
	v_and_b32_e32 v4, 0xff00, v2
	v_and_b32_e32 v2, 0xff, v2
	v_add_u32_e32 v24, s57, v6
	v_mov_b32_e32 v27, 0
	v_or3_b32 v25, v3, v4, v2
	v_mov_b32_e32 v26, 2
	v_pk_mov_b32 v[2:3], s[54:55], s[54:55] op_sel:[0,1]
	;;#ASMSTART
	global_store_dwordx4 v[2:3], v[24:27] off	
s_waitcnt vmcnt(0)
	;;#ASMEND
	v_mov_b32_e32 v4, s57
	v_mov_b32_e32 v5, s58
	ds_write_b128 v27, v[4:7] offset:2048
.LBB678_85:
	s_or_b64 exec, exec, s[30:31]
	s_and_b64 exec, exec, s[0:1]
	s_cbranch_execz .LBB678_87
; %bb.86:
	v_mov_b32_e32 v2, 0
	ds_write_b64 v2, v[6:7] offset:2088
.LBB678_87:
	s_or_b64 exec, exec, s[48:49]
	v_mov_b32_e32 v4, 0
	s_waitcnt lgkmcnt(0)
	s_barrier
	ds_read_b64 v[2:3], v4 offset:2088
	v_cndmask_b32_e64 v6, v30, v22, s[28:29]
	v_cmp_eq_u32_e32 vcc, 0, v6
	v_cndmask_b32_e64 v5, v31, v23, s[28:29]
	s_waitcnt lgkmcnt(0)
	v_cndmask_b32_e32 v7, 0, v3, vcc
	v_add_u32_e32 v5, v7, v5
	v_cndmask_b32_e64 v51, v5, v3, s[0:1]
	v_cndmask_b32_e64 v3, v6, 0, s[0:1]
	v_cmp_eq_u32_e32 vcc, 0, v68
	v_add_u32_e32 v50, v2, v3
	v_cndmask_b32_e32 v2, 0, v51, vcc
	v_add_u32_e32 v49, v2, v52
	v_cndmask_b32_e64 v2, 0, v49, s[26:27]
	v_add_u32_e32 v47, v2, v52
	v_cndmask_b32_e64 v2, 0, v47, s[24:25]
	;; [unrolled: 2-line block ×8, first 2 shown]
	v_add_u32_e32 v48, v50, v68
	v_add_u32_e32 v33, v2, v52
	v_add_u32_e32 v46, v48, v67
	v_cndmask_b32_e64 v2, 0, v33, s[10:11]
	v_add_u32_e32 v44, v46, v66
	v_add_u32_e32 v31, v2, v52
	v_add_u32_e32 v42, v44, v65
	v_cndmask_b32_e64 v2, 0, v31, s[8:9]
	;; [unrolled: 4-line block ×3, first 2 shown]
	v_add_u32_e32 v36, v38, v62
	v_add_u32_e32 v27, v2, v52
	s_barrier
	ds_read_b128 v[2:5], v4 offset:2048
	v_add_u32_e32 v34, v36, v61
	v_add_u32_e32 v32, v34, v60
	;; [unrolled: 1-line block ×4, first 2 shown]
	v_cndmask_b32_e64 v6, 0, v27, s[4:5]
	v_add_u32_e32 v26, v28, v57
	v_add_u32_e32 v23, v6, v52
	s_waitcnt lgkmcnt(0)
	v_cmp_eq_u32_e32 vcc, 0, v2
	v_add_u32_e32 v22, v26, v56
	v_cndmask_b32_e64 v6, 0, v23, s[2:3]
	v_cndmask_b32_e32 v5, 0, v5, vcc
	v_add_u32_e32 v24, v22, v55
	v_add_u32_e32 v25, v6, v52
	;; [unrolled: 1-line block ×3, first 2 shown]
	s_branch .LBB678_100
.LBB678_88:
                                        ; implicit-def: $vgpr2
                                        ; implicit-def: $vgpr6
                                        ; implicit-def: $vgpr24_vgpr25
                                        ; implicit-def: $vgpr22_vgpr23
                                        ; implicit-def: $vgpr26_vgpr27
                                        ; implicit-def: $vgpr28_vgpr29
                                        ; implicit-def: $vgpr50_vgpr51
                                        ; implicit-def: $vgpr48_vgpr49
                                        ; implicit-def: $vgpr46_vgpr47
                                        ; implicit-def: $vgpr44_vgpr45
                                        ; implicit-def: $vgpr42_vgpr43
                                        ; implicit-def: $vgpr40_vgpr41
                                        ; implicit-def: $vgpr38_vgpr39
                                        ; implicit-def: $vgpr36_vgpr37
                                        ; implicit-def: $vgpr34_vgpr35
                                        ; implicit-def: $vgpr32_vgpr33
                                        ; implicit-def: $vgpr30_vgpr31
	s_cbranch_execz .LBB678_100
; %bb.89:
	s_and_b64 s[2:3], s[38:39], exec
	s_cselect_b32 s3, 0, s35
	s_cselect_b32 s2, 0, s34
	s_cmp_eq_u64 s[2:3], 0
	v_mov_b32_e32 v6, v52
	s_cbranch_scc1 .LBB678_91
; %bb.90:
	v_mov_b32_e32 v2, 0
	global_load_dword v6, v2, s[2:3]
.LBB678_91:
	v_cmp_eq_u32_e64 s[2:3], 0, v67
	v_cndmask_b32_e64 v2, 0, v52, s[2:3]
	v_add_u32_e32 v2, v2, v52
	v_cmp_eq_u32_e64 s[4:5], 0, v66
	v_cndmask_b32_e64 v2, 0, v2, s[4:5]
	v_add_u32_e32 v2, v2, v52
	;; [unrolled: 3-line block ×11, first 2 shown]
	v_cmp_eq_u32_e64 s[24:25], 0, v56
	v_cndmask_b32_e64 v2, 0, v2, s[24:25]
	v_add3_u32 v3, v72, v63, v62
	v_add_u32_e32 v2, v2, v52
	v_cmp_eq_u32_e32 vcc, 0, v55
	v_add3_u32 v3, v3, v61, v60
	v_cndmask_b32_e32 v2, 0, v2, vcc
	v_add3_u32 v3, v3, v59, v58
	v_add_u32_e32 v2, v2, v52
	v_cmp_eq_u32_e64 s[26:27], 0, v54
	v_add3_u32 v3, v3, v57, v56
	v_cndmask_b32_e64 v2, 0, v2, s[26:27]
	v_add3_u32 v3, v3, v55, v54
	v_add_u32_e32 v2, v2, v53
	v_mbcnt_hi_u32_b32 v7, -1, v71
	v_and_b32_e32 v4, 15, v7
	v_mov_b32_dpp v22, v2 row_shr:1 row_mask:0xf bank_mask:0xf
	v_cmp_eq_u32_e64 s[26:27], 0, v3
	v_mov_b32_dpp v5, v3 row_shr:1 row_mask:0xf bank_mask:0xf
	v_cndmask_b32_e64 v22, 0, v22, s[26:27]
	v_cmp_eq_u32_e64 s[26:27], 0, v4
	v_cndmask_b32_e64 v5, v5, 0, s[26:27]
	v_add_u32_e32 v3, v5, v3
	v_cndmask_b32_e64 v5, v22, 0, s[26:27]
	v_add_u32_e32 v2, v5, v2
	v_cmp_eq_u32_e64 s[26:27], 0, v3
	v_mov_b32_dpp v5, v3 row_shr:2 row_mask:0xf bank_mask:0xf
	v_cmp_lt_u32_e64 s[28:29], 1, v4
	v_mov_b32_dpp v22, v2 row_shr:2 row_mask:0xf bank_mask:0xf
	v_cndmask_b32_e64 v5, 0, v5, s[28:29]
	s_and_b64 s[26:27], s[28:29], s[26:27]
	v_cndmask_b32_e64 v22, 0, v22, s[26:27]
	v_add_u32_e32 v3, v3, v5
	v_add_u32_e32 v2, v22, v2
	v_cmp_eq_u32_e64 s[26:27], 0, v3
	v_mov_b32_dpp v5, v3 row_shr:4 row_mask:0xf bank_mask:0xf
	v_cmp_lt_u32_e64 s[28:29], 3, v4
	v_mov_b32_dpp v22, v2 row_shr:4 row_mask:0xf bank_mask:0xf
	v_cndmask_b32_e64 v5, 0, v5, s[28:29]
	s_and_b64 s[26:27], s[28:29], s[26:27]
	v_cndmask_b32_e64 v22, 0, v22, s[26:27]
	v_add_u32_e32 v3, v5, v3
	v_add_u32_e32 v2, v2, v22
	v_cmp_eq_u32_e64 s[26:27], 0, v3
	v_cmp_lt_u32_e64 s[28:29], 7, v4
	v_mov_b32_dpp v5, v3 row_shr:8 row_mask:0xf bank_mask:0xf
	v_mov_b32_dpp v22, v2 row_shr:8 row_mask:0xf bank_mask:0xf
	s_and_b64 s[26:27], s[28:29], s[26:27]
	v_cndmask_b32_e64 v4, 0, v5, s[28:29]
	v_cndmask_b32_e64 v5, 0, v22, s[26:27]
	v_add_u32_e32 v2, v5, v2
	v_add_u32_e32 v3, v4, v3
	v_bfe_i32 v22, v7, 4, 1
	v_mov_b32_dpp v5, v2 row_bcast:15 row_mask:0xf bank_mask:0xf
	v_mov_b32_dpp v4, v3 row_bcast:15 row_mask:0xf bank_mask:0xf
	v_cmp_eq_u32_e64 s[26:27], 0, v3
	v_cndmask_b32_e64 v5, 0, v5, s[26:27]
	v_and_b32_e32 v4, v22, v4
	v_add_u32_e32 v3, v4, v3
	v_and_b32_e32 v4, v22, v5
	v_add_u32_e32 v4, v4, v2
	v_mov_b32_dpp v2, v3 row_bcast:31 row_mask:0xf bank_mask:0xf
	v_cmp_eq_u32_e64 s[26:27], 0, v3
	v_cmp_lt_u32_e64 s[28:29], 31, v7
	v_mov_b32_dpp v5, v4 row_bcast:31 row_mask:0xf bank_mask:0xf
	v_cndmask_b32_e64 v2, 0, v2, s[28:29]
	s_and_b64 s[26:27], s[28:29], s[26:27]
	v_add_u32_e32 v2, v2, v3
	v_cndmask_b32_e64 v3, 0, v5, s[26:27]
	v_add_u32_e32 v3, v3, v4
	v_cmp_eq_u32_e64 s[26:27], v70, v0
	v_lshlrev_b32_e32 v5, 3, v69
	s_and_saveexec_b64 s[28:29], s[26:27]
	s_cbranch_execz .LBB678_93
; %bb.92:
	ds_write_b64 v5, v[2:3] offset:2064
.LBB678_93:
	s_or_b64 exec, exec, s[28:29]
	v_cmp_gt_u32_e64 s[26:27], 4, v0
	s_waitcnt lgkmcnt(0)
	s_barrier
	s_and_saveexec_b64 s[30:31], s[26:27]
	s_cbranch_execz .LBB678_95
; %bb.94:
	v_lshlrev_b32_e32 v4, 3, v0
	ds_read_b64 v[22:23], v4 offset:2064
	v_and_b32_e32 v24, 3, v7
	v_cmp_lt_u32_e64 s[28:29], 1, v24
	s_waitcnt lgkmcnt(0)
	v_mov_b32_dpp v26, v23 row_shr:1 row_mask:0xf bank_mask:0xf
	v_cmp_eq_u32_e64 s[26:27], 0, v22
	v_mov_b32_dpp v25, v22 row_shr:1 row_mask:0xf bank_mask:0xf
	v_cndmask_b32_e64 v26, 0, v26, s[26:27]
	v_cmp_eq_u32_e64 s[26:27], 0, v24
	v_cndmask_b32_e64 v25, v25, 0, s[26:27]
	v_add_u32_e32 v22, v25, v22
	v_cndmask_b32_e64 v25, v26, 0, s[26:27]
	v_add_u32_e32 v23, v25, v23
	v_cmp_eq_u32_e64 s[26:27], 0, v22
	v_mov_b32_dpp v25, v22 row_shr:2 row_mask:0xf bank_mask:0xf
	v_mov_b32_dpp v26, v23 row_shr:2 row_mask:0xf bank_mask:0xf
	v_cndmask_b32_e64 v24, 0, v25, s[28:29]
	s_and_b64 s[26:27], s[28:29], s[26:27]
	v_add_u32_e32 v22, v24, v22
	v_cndmask_b32_e64 v24, 0, v26, s[26:27]
	v_add_u32_e32 v23, v24, v23
	ds_write_b64 v4, v[22:23] offset:2064
.LBB678_95:
	s_or_b64 exec, exec, s[30:31]
	v_cmp_lt_u32_e64 s[26:27], 63, v0
	v_mov_b32_e32 v23, 0
	v_mov_b32_e32 v4, 0
	s_waitcnt vmcnt(0)
	v_mov_b32_e32 v22, v6
	s_waitcnt lgkmcnt(0)
	s_barrier
	s_and_saveexec_b64 s[28:29], s[26:27]
	s_cbranch_execz .LBB678_97
; %bb.96:
	ds_read_b64 v[4:5], v5 offset:2056
	s_waitcnt lgkmcnt(0)
	v_cmp_eq_u32_e64 s[26:27], 0, v4
	v_cndmask_b32_e64 v22, 0, v6, s[26:27]
	v_add_u32_e32 v22, v22, v5
.LBB678_97:
	s_or_b64 exec, exec, s[28:29]
	v_cmp_eq_u32_e64 s[26:27], 0, v2
	v_add_u32_e32 v5, v4, v2
	v_cndmask_b32_e64 v2, 0, v22, s[26:27]
	v_add_u32_e32 v2, v2, v3
	v_add_u32_e32 v3, -1, v7
	v_and_b32_e32 v24, 64, v7
	v_cmp_lt_i32_e64 s[26:27], v3, v24
	v_cndmask_b32_e64 v3, v3, v7, s[26:27]
	v_lshlrev_b32_e32 v3, 2, v3
	ds_bpermute_b32 v2, v3, v2
	ds_bpermute_b32 v5, v3, v5
	v_cmp_eq_u32_e64 s[26:27], 0, v7
	s_waitcnt lgkmcnt(1)
	v_cndmask_b32_e64 v2, v2, v22, s[26:27]
	s_waitcnt lgkmcnt(0)
	v_cndmask_b32_e64 v3, v5, v4, s[26:27]
	v_cndmask_b32_e64 v51, v2, v6, s[0:1]
	v_cmp_eq_u32_e64 s[26:27], 0, v68
	v_cndmask_b32_e64 v2, 0, v51, s[26:27]
	v_add_u32_e32 v49, v2, v52
	v_cndmask_b32_e64 v2, 0, v49, s[2:3]
	v_add_u32_e32 v47, v2, v52
	;; [unrolled: 2-line block ×8, first 2 shown]
	v_cndmask_b32_e64 v50, v3, 0, s[0:1]
	v_cndmask_b32_e64 v2, 0, v35, s[16:17]
	v_add_u32_e32 v48, v50, v68
	v_add_u32_e32 v33, v2, v52
	v_add_u32_e32 v46, v48, v67
	v_cndmask_b32_e64 v2, 0, v33, s[18:19]
	v_add_u32_e32 v44, v46, v66
	v_add_u32_e32 v31, v2, v52
	v_add_u32_e32 v42, v44, v65
	;; [unrolled: 4-line block ×3, first 2 shown]
	v_cndmask_b32_e64 v2, 0, v29, s[22:23]
	v_add_u32_e32 v36, v38, v62
	v_add_u32_e32 v27, v2, v52
	ds_read_b64 v[2:3], v23 offset:2088
	v_add_u32_e32 v34, v36, v61
	v_add_u32_e32 v32, v34, v60
	v_add_u32_e32 v30, v32, v59
	v_cndmask_b32_e64 v4, 0, v27, s[24:25]
	v_add_u32_e32 v28, v30, v58
	v_add_u32_e32 v23, v4, v52
	;; [unrolled: 1-line block ×3, first 2 shown]
	v_cndmask_b32_e32 v4, 0, v23, vcc
	s_waitcnt lgkmcnt(0)
	v_cmp_eq_u32_e32 vcc, 0, v2
	v_add_u32_e32 v22, v26, v56
	v_add_u32_e32 v25, v4, v52
	v_cndmask_b32_e32 v4, 0, v6, vcc
	v_add_u32_e32 v24, v22, v55
	v_add_u32_e32 v6, v4, v3
	s_and_saveexec_b64 s[2:3], s[0:1]
	s_cbranch_execz .LBB678_99
; %bb.98:
	s_add_u32 s4, s36, 0x400
	v_and_b32_e32 v3, 0xff000000, v6
	v_and_b32_e32 v4, 0xff0000, v6
	s_addc_u32 s5, s37, 0
	v_or_b32_e32 v3, v4, v3
	v_and_b32_e32 v4, 0xff00, v6
	v_and_b32_e32 v7, 0xff, v6
	v_mov_b32_e32 v5, 0
	v_or3_b32 v3, v3, v4, v7
	v_mov_b32_e32 v4, 2
	v_pk_mov_b32 v[52:53], s[4:5], s[4:5] op_sel:[0,1]
	;;#ASMSTART
	global_store_dwordx4 v[52:53], v[2:5] off	
s_waitcnt vmcnt(0)
	;;#ASMEND
.LBB678_99:
	s_or_b64 exec, exec, s[2:3]
	v_mov_b32_e32 v4, 0
.LBB678_100:
	s_and_b64 s[2:3], s[38:39], exec
	s_cselect_b32 s3, 0, s51
	s_cselect_b32 s2, 0, s50
	s_cmp_eq_u64 s[2:3], 0
	v_pk_mov_b32 v[52:53], 0, 0
	s_barrier
	s_cbranch_scc1 .LBB678_102
; %bb.101:
	v_mov_b32_e32 v3, 0
	global_load_dwordx2 v[52:53], v3, s[2:3]
.LBB678_102:
	s_waitcnt vmcnt(0)
	v_lshlrev_b64 v[70:71], 2, v[52:53]
	v_mov_b32_e32 v3, s45
	v_add_co_u32_e32 v7, vcc, s44, v70
	v_mov_b32_e32 v5, 0
	v_addc_co_u32_e32 v69, vcc, v3, v71, vcc
	v_lshlrev_b64 v[70:71], 2, v[4:5]
	v_add_co_u32_e32 v3, vcc, v7, v70
	v_addc_co_u32_e32 v7, vcc, v69, v71, vcc
	v_cmp_eq_u32_e32 vcc, 0, v68
	v_cndmask_b32_e64 v69, 1, 2, vcc
	v_cmp_eq_u32_e32 vcc, 0, v67
	v_cndmask_b32_e64 v70, 1, 2, vcc
	v_cmp_eq_u32_e32 vcc, 0, v66
	v_and_b32_e32 v69, v70, v69
	v_cndmask_b32_e64 v70, 1, 2, vcc
	v_cmp_eq_u32_e32 vcc, 0, v65
	v_and_b32_e32 v69, v69, v70
	;; [unrolled: 3-line block ×13, first 2 shown]
	v_cndmask_b32_e64 v70, 1, 2, vcc
	s_movk_i32 s34, 0x100
	v_and_b32_e32 v69, v69, v70
	v_cmp_gt_u32_e32 vcc, s34, v2
	v_cmp_ne_u32_e64 s[30:31], 0, v68
	v_cmp_ne_u32_e64 s[28:29], 0, v67
	v_cmp_ne_u32_e64 s[26:27], 0, v66
	v_cmp_ne_u32_e64 s[24:25], 0, v65
	v_cmp_ne_u32_e64 s[22:23], 0, v64
	v_cmp_ne_u32_e64 s[20:21], 0, v63
	v_cmp_ne_u32_e64 s[18:19], 0, v62
	v_cmp_ne_u32_e64 s[16:17], 0, v61
	v_cmp_ne_u32_e64 s[14:15], 0, v60
	v_cmp_ne_u32_e64 s[12:13], 0, v59
	v_cmp_ne_u32_e64 s[10:11], 0, v58
	v_cmp_ne_u32_e64 s[8:9], 0, v57
	v_cmp_ne_u32_e64 s[6:7], 0, v56
	v_cmp_ne_u32_e64 s[4:5], 0, v55
	v_cmp_ne_u32_e64 s[2:3], 0, v54
	s_mov_b64 s[36:37], -1
	v_cmp_gt_i16_e64 s[34:35], 2, v69
	s_cbranch_vccz .LBB678_109
; %bb.103:
	s_and_saveexec_b64 s[36:37], s[34:35]
	s_cbranch_execz .LBB678_108
; %bb.104:
	v_cmp_ne_u16_e32 vcc, 1, v69
	s_mov_b64 s[38:39], 0
	s_and_saveexec_b64 s[34:35], vcc
	s_xor_b64 s[34:35], exec, s[34:35]
	s_cbranch_execnz .LBB678_153
; %bb.105:
	s_andn2_saveexec_b64 s[34:35], s[34:35]
	s_cbranch_execnz .LBB678_169
.LBB678_106:
	s_or_b64 exec, exec, s[34:35]
	s_and_b64 exec, exec, s[38:39]
	s_cbranch_execz .LBB678_108
.LBB678_107:
	v_sub_u32_e32 v70, v24, v4
	v_mov_b32_e32 v71, 0
	v_lshlrev_b64 v[70:71], 2, v[70:71]
	v_add_co_u32_e32 v70, vcc, v3, v70
	v_addc_co_u32_e32 v71, vcc, v7, v71, vcc
	global_store_dword v[70:71], v1, off
.LBB678_108:
	s_or_b64 exec, exec, s[36:37]
	s_mov_b64 s[36:37], 0
.LBB678_109:
	s_and_b64 vcc, exec, s[36:37]
	s_cbranch_vccz .LBB678_131
; %bb.110:
	v_cmp_gt_i16_e32 vcc, 2, v69
	s_and_saveexec_b64 s[34:35], vcc
	s_cbranch_execz .LBB678_115
; %bb.111:
	v_cmp_ne_u16_e32 vcc, 1, v69
	s_mov_b64 s[38:39], 0
	s_and_saveexec_b64 s[36:37], vcc
	s_xor_b64 s[36:37], exec, s[36:37]
	s_cbranch_execnz .LBB678_170
; %bb.112:
	s_andn2_saveexec_b64 s[2:3], s[36:37]
	s_cbranch_execnz .LBB678_186
.LBB678_113:
	s_or_b64 exec, exec, s[2:3]
	s_and_b64 exec, exec, s[38:39]
	s_cbranch_execz .LBB678_115
.LBB678_114:
	v_sub_u32_e32 v8, v24, v4
	v_lshlrev_b32_e32 v8, 2, v8
	ds_write_b32 v8, v1
.LBB678_115:
	s_or_b64 exec, exec, s[34:35]
	v_cmp_lt_u32_e32 vcc, v0, v2
	s_waitcnt lgkmcnt(0)
	s_barrier
	s_and_saveexec_b64 s[4:5], vcc
	s_cbranch_execz .LBB678_130
; %bb.116:
	v_xad_u32 v1, v0, -1, v2
	s_movk_i32 s2, 0x1700
	v_cmp_gt_u32_e64 s[6:7], s2, v1
	s_movk_i32 s2, 0x16ff
	v_cmp_lt_u32_e32 vcc, s2, v1
	v_mov_b32_e32 v8, v0
	s_and_saveexec_b64 s[8:9], vcc
	s_cbranch_execz .LBB678_127
; %bb.117:
	v_sub_u32_e32 v8, v0, v2
	v_or_b32_e32 v8, 0xff, v8
	v_cmp_ge_u32_e32 vcc, v8, v0
	s_mov_b64 s[2:3], -1
	v_mov_b32_e32 v8, v0
	s_and_saveexec_b64 s[10:11], vcc
	s_cbranch_execz .LBB678_126
; %bb.118:
	v_lshrrev_b32_e32 v12, 8, v1
	v_add_u32_e32 v8, -1, v12
	v_or_b32_e32 v1, 0x100, v0
	v_lshrrev_b32_e32 v9, 1, v8
	v_add_u32_e32 v13, 1, v9
	v_cmp_lt_u32_e32 vcc, 13, v8
	v_mov_b32_e32 v16, 0
	v_pk_mov_b32 v[8:9], v[0:1], v[0:1] op_sel:[0,1]
	s_and_saveexec_b64 s[12:13], vcc
	s_cbranch_execz .LBB678_122
; %bb.119:
	v_and_b32_e32 v14, -8, v13
	v_lshlrev_b32_e32 v15, 2, v0
	s_mov_b32 s16, 0
	s_mov_b64 s[14:15], 0
	v_mov_b32_e32 v11, 0
	v_pk_mov_b32 v[8:9], v[0:1], v[0:1] op_sel:[0,1]
.LBB678_120:                            ; =>This Inner Loop Header: Depth=1
	v_mov_b32_e32 v10, v8
	v_add_u32_e32 v14, -8, v14
	v_lshlrev_b64 v[94:95], 2, v[10:11]
	v_mov_b32_e32 v10, v9
	ds_read2st64_b32 v[18:19], v15 offset1:4
	s_add_i32 s16, s16, 16
	v_cmp_eq_u32_e32 vcc, 0, v14
	v_lshlrev_b64 v[98:99], 2, v[10:11]
	v_add_u32_e32 v10, 0x200, v8
	s_or_b64 s[14:15], vcc, s[14:15]
	v_add_co_u32_e32 v98, vcc, v3, v98
	v_add_u32_e32 v16, 0x200, v9
	ds_read2st64_b32 v[20:21], v15 offset0:8 offset1:12
	v_mov_b32_e32 v17, v11
	ds_read2st64_b32 v[72:73], v15 offset0:16 offset1:20
	v_add_co_u32_e64 v94, s[2:3], v3, v94
	v_addc_co_u32_e32 v99, vcc, v7, v99, vcc
	v_lshlrev_b64 v[100:101], 2, v[10:11]
	v_lshlrev_b64 v[96:97], 2, v[16:17]
	v_addc_co_u32_e64 v95, s[2:3], v7, v95, s[2:3]
	v_add_u32_e32 v10, 0x400, v8
	v_add_co_u32_e32 v100, vcc, v3, v100
	v_add_u32_e32 v70, 0x400, v9
	v_mov_b32_e32 v71, v11
	ds_read2st64_b32 v[76:77], v15 offset0:24 offset1:28
	v_add_co_u32_e64 v96, s[2:3], v3, v96
	v_addc_co_u32_e32 v101, vcc, v7, v101, vcc
	v_lshlrev_b64 v[102:103], 2, v[10:11]
	ds_read2st64_b32 v[80:81], v15 offset0:32 offset1:36
	ds_read2st64_b32 v[84:85], v15 offset0:40 offset1:44
	;; [unrolled: 1-line block ×4, first 2 shown]
	v_lshlrev_b64 v[70:71], 2, v[70:71]
	v_addc_co_u32_e64 v97, s[2:3], v7, v97, s[2:3]
	v_add_u32_e32 v10, 0x600, v8
	s_waitcnt lgkmcnt(7)
	global_store_dword v[94:95], v18, off
	global_store_dword v[98:99], v19, off
	s_waitcnt lgkmcnt(6)
	global_store_dword v[100:101], v20, off
	global_store_dword v[96:97], v21, off
	v_add_co_u32_e32 v18, vcc, v3, v102
	v_add_u32_e32 v74, 0x600, v9
	v_mov_b32_e32 v75, v11
	v_add_co_u32_e64 v70, s[2:3], v3, v70
	v_addc_co_u32_e32 v19, vcc, v7, v103, vcc
	v_lshlrev_b64 v[20:21], 2, v[10:11]
	v_lshlrev_b64 v[74:75], 2, v[74:75]
	v_addc_co_u32_e64 v71, s[2:3], v7, v71, s[2:3]
	v_add_u32_e32 v10, 0x800, v8
	s_waitcnt lgkmcnt(5)
	global_store_dword v[18:19], v72, off
	global_store_dword v[70:71], v73, off
	v_add_co_u32_e32 v18, vcc, v3, v20
	v_add_u32_e32 v78, 0x800, v9
	v_mov_b32_e32 v79, v11
	v_add_co_u32_e64 v74, s[2:3], v3, v74
	v_addc_co_u32_e32 v19, vcc, v7, v21, vcc
	v_lshlrev_b64 v[20:21], 2, v[10:11]
	v_lshlrev_b64 v[78:79], 2, v[78:79]
	v_addc_co_u32_e64 v75, s[2:3], v7, v75, s[2:3]
	v_add_u32_e32 v10, 0xa00, v8
	;; [unrolled: 12-line block ×4, first 2 shown]
	s_waitcnt lgkmcnt(2)
	global_store_dword v[18:19], v84, off
	global_store_dword v[82:83], v85, off
	v_add_co_u32_e32 v18, vcc, v3, v20
	v_add_u32_e32 v90, 0xe00, v9
	v_mov_b32_e32 v91, v11
	v_add_co_u32_e64 v86, s[2:3], v3, v86
	v_addc_co_u32_e32 v19, vcc, v7, v21, vcc
	v_lshlrev_b64 v[20:21], 2, v[10:11]
	v_lshlrev_b64 v[90:91], 2, v[90:91]
	v_addc_co_u32_e64 v87, s[2:3], v7, v87, s[2:3]
	s_waitcnt lgkmcnt(1)
	global_store_dword v[18:19], v88, off
	global_store_dword v[86:87], v89, off
	v_add_co_u32_e32 v18, vcc, v3, v20
	v_add_u32_e32 v15, 0x4000, v15
	v_add_u32_e32 v9, 0x1000, v9
	v_mov_b32_e32 v16, s16
	v_add_co_u32_e64 v90, s[2:3], v3, v90
	v_add_u32_e32 v8, 0x1000, v8
	v_addc_co_u32_e32 v19, vcc, v7, v21, vcc
	v_addc_co_u32_e64 v91, s[2:3], v7, v91, s[2:3]
	s_waitcnt lgkmcnt(0)
	global_store_dword v[18:19], v92, off
	global_store_dword v[90:91], v93, off
	s_andn2_b64 exec, exec, s[14:15]
	s_cbranch_execnz .LBB678_120
; %bb.121:
	s_or_b64 exec, exec, s[14:15]
.LBB678_122:
	s_or_b64 exec, exec, s[12:13]
	v_and_b32_e32 v1, 7, v13
	v_cmp_ne_u32_e32 vcc, 0, v1
	s_and_saveexec_b64 s[12:13], vcc
	s_cbranch_execz .LBB678_125
; %bb.123:
	v_lshlrev_b32_e32 v10, 2, v0
	v_lshl_or_b32 v13, v16, 10, v10
	s_mov_b64 s[14:15], 0
	v_mov_b32_e32 v11, 0
.LBB678_124:                            ; =>This Inner Loop Header: Depth=1
	ds_read2st64_b32 v[14:15], v13 offset1:4
	v_mov_b32_e32 v10, v8
	v_add_u32_e32 v1, -1, v1
	v_lshlrev_b64 v[16:17], 2, v[10:11]
	v_mov_b32_e32 v10, v9
	v_cmp_eq_u32_e32 vcc, 0, v1
	v_add_co_u32_e64 v16, s[2:3], v3, v16
	v_lshlrev_b64 v[18:19], 2, v[10:11]
	v_add_u32_e32 v8, 0x200, v8
	v_add_u32_e32 v13, 0x800, v13
	v_add_u32_e32 v9, 0x200, v9
	v_addc_co_u32_e64 v17, s[2:3], v7, v17, s[2:3]
	s_or_b64 s[14:15], vcc, s[14:15]
	v_add_co_u32_e32 v18, vcc, v3, v18
	v_addc_co_u32_e32 v19, vcc, v7, v19, vcc
	s_waitcnt lgkmcnt(0)
	global_store_dword v[16:17], v14, off
	global_store_dword v[18:19], v15, off
	s_andn2_b64 exec, exec, s[14:15]
	s_cbranch_execnz .LBB678_124
.LBB678_125:
	s_or_b64 exec, exec, s[12:13]
	v_add_u32_e32 v1, 1, v12
	v_and_b32_e32 v9, 0x1fffffe, v1
	v_cmp_ne_u32_e32 vcc, v1, v9
	v_lshl_or_b32 v8, v9, 8, v0
	s_orn2_b64 s[2:3], vcc, exec
.LBB678_126:
	s_or_b64 exec, exec, s[10:11]
	s_andn2_b64 s[6:7], s[6:7], exec
	s_and_b64 s[2:3], s[2:3], exec
	s_or_b64 s[6:7], s[6:7], s[2:3]
.LBB678_127:
	s_or_b64 exec, exec, s[8:9]
	s_and_b64 exec, exec, s[6:7]
	s_cbranch_execz .LBB678_130
; %bb.128:
	v_lshlrev_b32_e32 v1, 2, v8
	s_mov_b64 s[2:3], 0
	v_mov_b32_e32 v9, 0
.LBB678_129:                            ; =>This Inner Loop Header: Depth=1
	ds_read_b32 v12, v1
	v_lshlrev_b64 v[10:11], 2, v[8:9]
	v_add_co_u32_e32 v10, vcc, v3, v10
	v_add_u32_e32 v8, 0x100, v8
	v_addc_co_u32_e32 v11, vcc, v7, v11, vcc
	v_cmp_ge_u32_e32 vcc, v8, v2
	v_add_u32_e32 v1, 0x400, v1
	s_or_b64 s[2:3], vcc, s[2:3]
	s_waitcnt lgkmcnt(0)
	global_store_dword v[10:11], v12, off
	s_andn2_b64 exec, exec, s[2:3]
	s_cbranch_execnz .LBB678_129
.LBB678_130:
	s_or_b64 exec, exec, s[4:5]
.LBB678_131:
	s_cmpk_lg_i32 s33, 0xf00
	s_cselect_b64 s[2:3], -1, 0
	v_cndmask_b32_e64 v11, 0, 1, s[42:43]
	s_and_b64 s[2:3], s[2:3], s[40:41]
	v_sub_u32_e32 v1, v2, v11
	v_cndmask_b32_e64 v3, 0, 1, s[2:3]
	s_and_b64 s[0:1], s[0:1], s[42:43]
	v_add_u32_e32 v1, v1, v3
	v_cndmask_b32_e64 v3, v68, 0, s[0:1]
	s_mul_hi_u32 s0, s33, 0x88888889
	s_lshr_b32 s0, s0, 3
	v_mad_i32_i24 v7, v0, -15, s33
	v_cmp_eq_u32_e32 vcc, s0, v0
	v_cmp_ne_u32_e64 s[0:1], 0, v7
	v_cndmask_b32_e64 v8, 1, v3, s[0:1]
	v_cmp_ne_u32_e64 s[0:1], 1, v7
	v_cndmask_b32_e64 v9, 1, v67, s[0:1]
	;; [unrolled: 2-line block ×14, first 2 shown]
	v_cmp_ne_u32_e64 s[0:1], 14, v7
	s_and_b64 vcc, vcc, s[40:41]
	v_cndmask_b32_e64 v7, 1, v54, s[0:1]
	v_cndmask_b32_e32 v20, v57, v20, vcc
	v_cndmask_b32_e32 v19, v58, v19, vcc
	;; [unrolled: 1-line block ×4, first 2 shown]
	v_lshlrev_b64 v[8:9], 3, v[52:53]
	v_cndmask_b32_e32 v54, v54, v7, vcc
	v_cndmask_b32_e32 v55, v55, v68, vcc
	;; [unrolled: 1-line block ×11, first 2 shown]
	v_mov_b32_e32 v3, s47
	v_add_co_u32_e32 v7, vcc, s46, v8
	v_addc_co_u32_e32 v3, vcc, v3, v9, vcc
	v_lshlrev_b64 v[8:9], 3, v[4:5]
	v_add_co_u32_e32 v5, vcc, v7, v8
	v_addc_co_u32_e32 v10, vcc, v3, v9, vcc
	v_lshlrev_b32_e32 v3, 3, v11
	v_add_co_u32_e32 v3, vcc, v3, v5
	v_addc_co_u32_e32 v7, vcc, 0, v10, vcc
	v_add_co_u32_e32 v3, vcc, -8, v3
	v_addc_co_u32_e32 v7, vcc, -1, v7, vcc
	v_cmp_eq_u32_e32 vcc, 0, v58
	v_cndmask_b32_e64 v9, 1, 2, vcc
	v_cmp_eq_u32_e32 vcc, 0, v57
	v_add_u32_e32 v8, v4, v11
	v_cndmask_b32_e64 v11, 1, 2, vcc
	v_cmp_eq_u32_e32 vcc, 0, v56
	v_and_b32_e32 v9, v11, v9
	v_cndmask_b32_e64 v11, 1, 2, vcc
	v_cmp_eq_u32_e32 vcc, 0, v12
	v_and_b32_e32 v9, v9, v11
	;; [unrolled: 3-line block ×13, first 2 shown]
	v_cndmask_b32_e64 v11, 1, 2, vcc
	s_movk_i32 s30, 0x100
	v_and_b32_e32 v9, v9, v11
	v_cmp_gt_u32_e32 vcc, s30, v1
	v_cmp_ne_u32_e64 s[28:29], 0, v58
	v_cmp_ne_u32_e64 s[26:27], 0, v57
	;; [unrolled: 1-line block ×15, first 2 shown]
	s_mov_b64 s[34:35], -1
	v_cmp_gt_i16_e64 s[30:31], 2, v9
	s_barrier
	s_cbranch_vccz .LBB678_138
; %bb.132:
	s_and_saveexec_b64 s[34:35], s[30:31]
	s_cbranch_execz .LBB678_137
; %bb.133:
	v_cmp_ne_u16_e32 vcc, 1, v9
	s_mov_b64 s[36:37], 0
	s_and_saveexec_b64 s[30:31], vcc
	s_xor_b64 s[30:31], exec, s[30:31]
	s_cbranch_execnz .LBB678_187
; %bb.134:
	s_andn2_saveexec_b64 s[30:31], s[30:31]
	s_cbranch_execnz .LBB678_203
.LBB678_135:
	s_or_b64 exec, exec, s[30:31]
	s_and_b64 exec, exec, s[36:37]
	s_cbranch_execz .LBB678_137
.LBB678_136:
	v_mov_b32_e32 v13, 0
	v_sub_u32_e32 v14, v24, v8
	v_mov_b32_e32 v15, v13
	v_lshlrev_b64 v[14:15], 3, v[14:15]
	v_add_co_u32_e32 v14, vcc, v3, v14
	v_mov_b32_e32 v12, v25
	v_addc_co_u32_e32 v15, vcc, v7, v15, vcc
	global_store_dwordx2 v[14:15], v[12:13], off
.LBB678_137:
	s_or_b64 exec, exec, s[34:35]
	s_mov_b64 s[34:35], 0
.LBB678_138:
	s_and_b64 vcc, exec, s[34:35]
	s_cbranch_vccz .LBB678_148
; %bb.139:
	v_cmp_gt_i16_e32 vcc, 2, v9
	s_and_saveexec_b64 s[30:31], vcc
	s_cbranch_execz .LBB678_144
; %bb.140:
	v_cmp_ne_u16_e32 vcc, 1, v9
	s_mov_b64 s[36:37], 0
	s_and_saveexec_b64 s[34:35], vcc
	s_xor_b64 s[34:35], exec, s[34:35]
	s_cbranch_execnz .LBB678_204
; %bb.141:
	s_andn2_saveexec_b64 s[0:1], s[34:35]
	s_cbranch_execnz .LBB678_220
.LBB678_142:
	s_or_b64 exec, exec, s[0:1]
	s_and_b64 exec, exec, s[36:37]
	s_cbranch_execz .LBB678_144
.LBB678_143:
	v_sub_u32_e32 v8, v24, v8
	v_lshlrev_b32_e32 v8, 2, v8
	ds_write_b32 v8, v25
.LBB678_144:
	s_or_b64 exec, exec, s[30:31]
	v_cmp_lt_u32_e32 vcc, v0, v1
	s_waitcnt lgkmcnt(0)
	s_barrier
	s_and_saveexec_b64 s[0:1], vcc
	s_cbranch_execz .LBB678_147
; %bb.145:
	v_lshlrev_b32_e32 v11, 2, v0
	s_mov_b64 s[2:3], 0
	v_mov_b32_e32 v9, 0
	v_mov_b32_e32 v8, v0
.LBB678_146:                            ; =>This Inner Loop Header: Depth=1
	ds_read_b32 v12, v11
	v_lshlrev_b64 v[14:15], 3, v[8:9]
	v_add_co_u32_e32 v14, vcc, v3, v14
	v_add_u32_e32 v8, 0x100, v8
	v_addc_co_u32_e32 v15, vcc, v7, v15, vcc
	v_cmp_ge_u32_e32 vcc, v8, v1
	v_mov_b32_e32 v13, v9
	v_add_u32_e32 v11, 0x400, v11
	s_or_b64 s[2:3], vcc, s[2:3]
	s_waitcnt lgkmcnt(0)
	global_store_dwordx2 v[14:15], v[12:13], off
	s_andn2_b64 exec, exec, s[2:3]
	s_cbranch_execnz .LBB678_146
.LBB678_147:
	s_or_b64 exec, exec, s[0:1]
.LBB678_148:
	s_movk_i32 s0, 0xff
	v_cmp_eq_u32_e32 vcc, s0, v0
	s_and_b64 s[0:1], vcc, s[40:41]
	s_and_saveexec_b64 s[2:3], s[0:1]
	s_cbranch_execz .LBB678_151
; %bb.149:
	v_add_co_u32_e32 v0, vcc, v2, v4
	v_addc_co_u32_e64 v1, s[0:1], 0, 0, vcc
	v_add_co_u32_e32 v0, vcc, v0, v52
	v_mov_b32_e32 v3, 0
	v_addc_co_u32_e32 v1, vcc, v1, v53, vcc
	s_cmpk_lg_i32 s33, 0xf00
	global_store_dwordx2 v3, v[0:1], s[52:53]
	s_cbranch_scc1 .LBB678_151
; %bb.150:
	v_lshlrev_b64 v[0:1], 3, v[2:3]
	v_add_co_u32_e32 v0, vcc, v5, v0
	v_mov_b32_e32 v7, v3
	v_addc_co_u32_e32 v1, vcc, v10, v1, vcc
	global_store_dwordx2 v[0:1], v[6:7], off offset:-8
.LBB678_151:
	s_endpgm
.LBB678_152:
	s_or_b64 exec, exec, s[4:5]
	v_mov_b32_e32 v68, s12
	s_and_saveexec_b64 s[2:3], s[54:55]
	s_cbranch_execnz .LBB678_60
	s_branch .LBB678_61
.LBB678_153:
	s_and_saveexec_b64 s[38:39], s[30:31]
	s_cbranch_execnz .LBB678_221
; %bb.154:
	s_or_b64 exec, exec, s[38:39]
	s_and_saveexec_b64 s[38:39], s[28:29]
	s_cbranch_execnz .LBB678_222
.LBB678_155:
	s_or_b64 exec, exec, s[38:39]
	s_and_saveexec_b64 s[38:39], s[26:27]
	s_cbranch_execnz .LBB678_223
.LBB678_156:
	s_or_b64 exec, exec, s[38:39]
	s_and_saveexec_b64 s[38:39], s[24:25]
	s_cbranch_execnz .LBB678_224
.LBB678_157:
	s_or_b64 exec, exec, s[38:39]
	s_and_saveexec_b64 s[38:39], s[22:23]
	s_cbranch_execnz .LBB678_225
.LBB678_158:
	s_or_b64 exec, exec, s[38:39]
	s_and_saveexec_b64 s[38:39], s[20:21]
	s_cbranch_execnz .LBB678_226
.LBB678_159:
	s_or_b64 exec, exec, s[38:39]
	s_and_saveexec_b64 s[38:39], s[18:19]
	s_cbranch_execnz .LBB678_227
.LBB678_160:
	s_or_b64 exec, exec, s[38:39]
	s_and_saveexec_b64 s[38:39], s[16:17]
	s_cbranch_execnz .LBB678_228
.LBB678_161:
	s_or_b64 exec, exec, s[38:39]
	s_and_saveexec_b64 s[38:39], s[14:15]
	s_cbranch_execnz .LBB678_229
.LBB678_162:
	s_or_b64 exec, exec, s[38:39]
	s_and_saveexec_b64 s[38:39], s[12:13]
	s_cbranch_execnz .LBB678_230
.LBB678_163:
	s_or_b64 exec, exec, s[38:39]
	s_and_saveexec_b64 s[38:39], s[10:11]
	s_cbranch_execnz .LBB678_231
.LBB678_164:
	s_or_b64 exec, exec, s[38:39]
	s_and_saveexec_b64 s[38:39], s[8:9]
	s_cbranch_execnz .LBB678_232
.LBB678_165:
	s_or_b64 exec, exec, s[38:39]
	s_and_saveexec_b64 s[38:39], s[6:7]
	s_cbranch_execnz .LBB678_233
.LBB678_166:
	s_or_b64 exec, exec, s[38:39]
	s_and_saveexec_b64 s[38:39], s[4:5]
	s_cbranch_execz .LBB678_168
.LBB678_167:
	v_sub_u32_e32 v70, v22, v4
	v_mov_b32_e32 v71, 0
	v_lshlrev_b64 v[70:71], 2, v[70:71]
	v_add_co_u32_e32 v70, vcc, v3, v70
	v_addc_co_u32_e32 v71, vcc, v7, v71, vcc
	global_store_dword v[70:71], v9, off
.LBB678_168:
	s_or_b64 exec, exec, s[38:39]
	s_and_b64 s[38:39], s[2:3], exec
	s_andn2_saveexec_b64 s[34:35], s[34:35]
	s_cbranch_execz .LBB678_106
.LBB678_169:
	v_sub_u32_e32 v70, v50, v4
	v_mov_b32_e32 v71, 0
	v_lshlrev_b64 v[72:73], 2, v[70:71]
	v_add_co_u32_e32 v72, vcc, v3, v72
	v_addc_co_u32_e32 v73, vcc, v7, v73, vcc
	v_sub_u32_e32 v70, v48, v4
	global_store_dword v[72:73], v20, off
	v_lshlrev_b64 v[72:73], 2, v[70:71]
	v_add_co_u32_e32 v72, vcc, v3, v72
	v_addc_co_u32_e32 v73, vcc, v7, v73, vcc
	v_sub_u32_e32 v70, v46, v4
	global_store_dword v[72:73], v21, off
	v_lshlrev_b64 v[72:73], 2, v[70:71]
	v_add_co_u32_e32 v72, vcc, v3, v72
	v_addc_co_u32_e32 v73, vcc, v7, v73, vcc
	v_sub_u32_e32 v70, v44, v4
	global_store_dword v[72:73], v18, off
	v_lshlrev_b64 v[72:73], 2, v[70:71]
	v_add_co_u32_e32 v72, vcc, v3, v72
	v_addc_co_u32_e32 v73, vcc, v7, v73, vcc
	v_sub_u32_e32 v70, v42, v4
	global_store_dword v[72:73], v19, off
	v_lshlrev_b64 v[72:73], 2, v[70:71]
	v_add_co_u32_e32 v72, vcc, v3, v72
	v_addc_co_u32_e32 v73, vcc, v7, v73, vcc
	v_sub_u32_e32 v70, v40, v4
	global_store_dword v[72:73], v16, off
	v_lshlrev_b64 v[72:73], 2, v[70:71]
	v_add_co_u32_e32 v72, vcc, v3, v72
	v_addc_co_u32_e32 v73, vcc, v7, v73, vcc
	v_sub_u32_e32 v70, v38, v4
	global_store_dword v[72:73], v17, off
	v_lshlrev_b64 v[72:73], 2, v[70:71]
	v_add_co_u32_e32 v72, vcc, v3, v72
	v_addc_co_u32_e32 v73, vcc, v7, v73, vcc
	v_sub_u32_e32 v70, v36, v4
	global_store_dword v[72:73], v14, off
	v_lshlrev_b64 v[72:73], 2, v[70:71]
	v_add_co_u32_e32 v72, vcc, v3, v72
	v_addc_co_u32_e32 v73, vcc, v7, v73, vcc
	v_sub_u32_e32 v70, v34, v4
	global_store_dword v[72:73], v15, off
	v_lshlrev_b64 v[72:73], 2, v[70:71]
	v_add_co_u32_e32 v72, vcc, v3, v72
	v_addc_co_u32_e32 v73, vcc, v7, v73, vcc
	v_sub_u32_e32 v70, v32, v4
	global_store_dword v[72:73], v12, off
	v_lshlrev_b64 v[72:73], 2, v[70:71]
	v_add_co_u32_e32 v72, vcc, v3, v72
	v_addc_co_u32_e32 v73, vcc, v7, v73, vcc
	v_sub_u32_e32 v70, v30, v4
	global_store_dword v[72:73], v13, off
	v_lshlrev_b64 v[72:73], 2, v[70:71]
	v_add_co_u32_e32 v72, vcc, v3, v72
	v_addc_co_u32_e32 v73, vcc, v7, v73, vcc
	v_sub_u32_e32 v70, v28, v4
	global_store_dword v[72:73], v10, off
	v_lshlrev_b64 v[72:73], 2, v[70:71]
	v_add_co_u32_e32 v72, vcc, v3, v72
	v_addc_co_u32_e32 v73, vcc, v7, v73, vcc
	v_sub_u32_e32 v70, v26, v4
	global_store_dword v[72:73], v11, off
	v_lshlrev_b64 v[72:73], 2, v[70:71]
	v_add_co_u32_e32 v72, vcc, v3, v72
	v_sub_u32_e32 v70, v22, v4
	v_addc_co_u32_e32 v73, vcc, v7, v73, vcc
	v_lshlrev_b64 v[70:71], 2, v[70:71]
	v_add_co_u32_e32 v70, vcc, v3, v70
	v_addc_co_u32_e32 v71, vcc, v7, v71, vcc
	s_or_b64 s[38:39], s[38:39], exec
	global_store_dword v[72:73], v8, off
	global_store_dword v[70:71], v9, off
	s_or_b64 exec, exec, s[34:35]
	s_and_b64 exec, exec, s[38:39]
	s_cbranch_execnz .LBB678_107
	s_branch .LBB678_108
.LBB678_170:
	s_and_saveexec_b64 s[38:39], s[30:31]
	s_cbranch_execnz .LBB678_234
; %bb.171:
	s_or_b64 exec, exec, s[38:39]
	s_and_saveexec_b64 s[30:31], s[28:29]
	s_cbranch_execnz .LBB678_235
.LBB678_172:
	s_or_b64 exec, exec, s[30:31]
	s_and_saveexec_b64 s[28:29], s[26:27]
	s_cbranch_execnz .LBB678_236
.LBB678_173:
	s_or_b64 exec, exec, s[28:29]
	s_and_saveexec_b64 s[26:27], s[24:25]
	s_cbranch_execnz .LBB678_237
.LBB678_174:
	s_or_b64 exec, exec, s[26:27]
	s_and_saveexec_b64 s[24:25], s[22:23]
	s_cbranch_execnz .LBB678_238
.LBB678_175:
	s_or_b64 exec, exec, s[24:25]
	s_and_saveexec_b64 s[22:23], s[20:21]
	s_cbranch_execnz .LBB678_239
.LBB678_176:
	s_or_b64 exec, exec, s[22:23]
	s_and_saveexec_b64 s[20:21], s[18:19]
	s_cbranch_execnz .LBB678_240
.LBB678_177:
	s_or_b64 exec, exec, s[20:21]
	s_and_saveexec_b64 s[18:19], s[16:17]
	s_cbranch_execnz .LBB678_241
.LBB678_178:
	s_or_b64 exec, exec, s[18:19]
	s_and_saveexec_b64 s[16:17], s[14:15]
	s_cbranch_execnz .LBB678_242
.LBB678_179:
	s_or_b64 exec, exec, s[16:17]
	s_and_saveexec_b64 s[14:15], s[12:13]
	s_cbranch_execnz .LBB678_243
.LBB678_180:
	s_or_b64 exec, exec, s[14:15]
	s_and_saveexec_b64 s[12:13], s[10:11]
	s_cbranch_execnz .LBB678_244
.LBB678_181:
	s_or_b64 exec, exec, s[12:13]
	s_and_saveexec_b64 s[10:11], s[8:9]
	s_cbranch_execnz .LBB678_245
.LBB678_182:
	s_or_b64 exec, exec, s[10:11]
	s_and_saveexec_b64 s[8:9], s[6:7]
	s_cbranch_execnz .LBB678_246
.LBB678_183:
	s_or_b64 exec, exec, s[8:9]
	s_and_saveexec_b64 s[6:7], s[4:5]
	s_cbranch_execz .LBB678_185
.LBB678_184:
	v_sub_u32_e32 v8, v22, v4
	v_lshlrev_b32_e32 v8, 2, v8
	ds_write_b32 v8, v9
.LBB678_185:
	s_or_b64 exec, exec, s[6:7]
	s_and_b64 s[38:39], s[2:3], exec
                                        ; implicit-def: $vgpr9
                                        ; implicit-def: $vgpr11
                                        ; implicit-def: $vgpr13
                                        ; implicit-def: $vgpr15
                                        ; implicit-def: $vgpr17
                                        ; implicit-def: $vgpr19
                                        ; implicit-def: $vgpr21
	s_andn2_saveexec_b64 s[2:3], s[36:37]
	s_cbranch_execz .LBB678_113
.LBB678_186:
	v_sub_u32_e32 v69, v50, v4
	v_lshlrev_b32_e32 v69, 2, v69
	ds_write_b32 v69, v20
	v_sub_u32_e32 v20, v48, v4
	v_lshlrev_b32_e32 v20, 2, v20
	ds_write_b32 v20, v21
	;; [unrolled: 3-line block ×13, first 2 shown]
	v_sub_u32_e32 v8, v22, v4
	v_lshlrev_b32_e32 v8, 2, v8
	s_or_b64 s[38:39], s[38:39], exec
	ds_write_b32 v8, v9
	s_or_b64 exec, exec, s[2:3]
	s_and_b64 exec, exec, s[38:39]
	s_cbranch_execnz .LBB678_114
	s_branch .LBB678_115
.LBB678_187:
	s_and_saveexec_b64 s[36:37], s[28:29]
	s_cbranch_execnz .LBB678_247
; %bb.188:
	s_or_b64 exec, exec, s[36:37]
	s_and_saveexec_b64 s[36:37], s[26:27]
	s_cbranch_execnz .LBB678_248
.LBB678_189:
	s_or_b64 exec, exec, s[36:37]
	s_and_saveexec_b64 s[36:37], s[24:25]
	s_cbranch_execnz .LBB678_249
.LBB678_190:
	s_or_b64 exec, exec, s[36:37]
	s_and_saveexec_b64 s[36:37], s[22:23]
	s_cbranch_execnz .LBB678_250
.LBB678_191:
	s_or_b64 exec, exec, s[36:37]
	s_and_saveexec_b64 s[36:37], s[20:21]
	s_cbranch_execnz .LBB678_251
.LBB678_192:
	s_or_b64 exec, exec, s[36:37]
	s_and_saveexec_b64 s[36:37], s[18:19]
	s_cbranch_execnz .LBB678_252
.LBB678_193:
	s_or_b64 exec, exec, s[36:37]
	s_and_saveexec_b64 s[36:37], s[16:17]
	s_cbranch_execnz .LBB678_253
.LBB678_194:
	s_or_b64 exec, exec, s[36:37]
	s_and_saveexec_b64 s[36:37], s[14:15]
	s_cbranch_execnz .LBB678_254
.LBB678_195:
	s_or_b64 exec, exec, s[36:37]
	s_and_saveexec_b64 s[36:37], s[12:13]
	s_cbranch_execnz .LBB678_255
.LBB678_196:
	s_or_b64 exec, exec, s[36:37]
	s_and_saveexec_b64 s[36:37], s[10:11]
	s_cbranch_execnz .LBB678_256
.LBB678_197:
	s_or_b64 exec, exec, s[36:37]
	s_and_saveexec_b64 s[36:37], s[8:9]
	s_cbranch_execnz .LBB678_257
.LBB678_198:
	s_or_b64 exec, exec, s[36:37]
	s_and_saveexec_b64 s[36:37], s[6:7]
	s_cbranch_execnz .LBB678_258
.LBB678_199:
	s_or_b64 exec, exec, s[36:37]
	s_and_saveexec_b64 s[36:37], s[4:5]
	s_cbranch_execnz .LBB678_259
.LBB678_200:
	s_or_b64 exec, exec, s[36:37]
	s_and_saveexec_b64 s[36:37], s[2:3]
	s_cbranch_execz .LBB678_202
.LBB678_201:
	v_sub_u32_e32 v12, v22, v8
	v_mov_b32_e32 v13, 0
	v_lshlrev_b64 v[14:15], 3, v[12:13]
	v_add_co_u32_e32 v14, vcc, v3, v14
	v_addc_co_u32_e32 v15, vcc, v7, v15, vcc
	v_mov_b32_e32 v12, v23
	global_store_dwordx2 v[14:15], v[12:13], off
.LBB678_202:
	s_or_b64 exec, exec, s[36:37]
	s_and_b64 s[36:37], s[0:1], exec
	s_andn2_saveexec_b64 s[30:31], s[30:31]
	s_cbranch_execz .LBB678_135
.LBB678_203:
	v_mov_b32_e32 v13, 0
	v_sub_u32_e32 v14, v50, v8
	v_mov_b32_e32 v15, v13
	v_lshlrev_b64 v[14:15], 3, v[14:15]
	v_add_co_u32_e32 v14, vcc, v3, v14
	v_mov_b32_e32 v12, v51
	v_addc_co_u32_e32 v15, vcc, v7, v15, vcc
	global_store_dwordx2 v[14:15], v[12:13], off
	v_sub_u32_e32 v14, v48, v8
	v_mov_b32_e32 v15, v13
	v_lshlrev_b64 v[14:15], 3, v[14:15]
	v_add_co_u32_e32 v14, vcc, v3, v14
	v_mov_b32_e32 v12, v49
	v_addc_co_u32_e32 v15, vcc, v7, v15, vcc
	global_store_dwordx2 v[14:15], v[12:13], off
	;; [unrolled: 7-line block ×13, first 2 shown]
	v_sub_u32_e32 v14, v22, v8
	v_mov_b32_e32 v15, v13
	v_lshlrev_b64 v[14:15], 3, v[14:15]
	v_add_co_u32_e32 v14, vcc, v3, v14
	v_mov_b32_e32 v12, v23
	v_addc_co_u32_e32 v15, vcc, v7, v15, vcc
	s_or_b64 s[36:37], s[36:37], exec
	global_store_dwordx2 v[14:15], v[12:13], off
	s_or_b64 exec, exec, s[30:31]
	s_and_b64 exec, exec, s[36:37]
	s_cbranch_execnz .LBB678_136
	s_branch .LBB678_137
.LBB678_204:
	s_and_saveexec_b64 s[36:37], s[28:29]
	s_cbranch_execnz .LBB678_260
; %bb.205:
	s_or_b64 exec, exec, s[36:37]
	s_and_saveexec_b64 s[28:29], s[26:27]
	s_cbranch_execnz .LBB678_261
.LBB678_206:
	s_or_b64 exec, exec, s[28:29]
	s_and_saveexec_b64 s[26:27], s[24:25]
	s_cbranch_execnz .LBB678_262
.LBB678_207:
	s_or_b64 exec, exec, s[26:27]
	s_and_saveexec_b64 s[24:25], s[22:23]
	s_cbranch_execnz .LBB678_263
.LBB678_208:
	s_or_b64 exec, exec, s[24:25]
	s_and_saveexec_b64 s[22:23], s[20:21]
	s_cbranch_execnz .LBB678_264
.LBB678_209:
	s_or_b64 exec, exec, s[22:23]
	s_and_saveexec_b64 s[20:21], s[18:19]
	s_cbranch_execnz .LBB678_265
.LBB678_210:
	s_or_b64 exec, exec, s[20:21]
	s_and_saveexec_b64 s[18:19], s[16:17]
	s_cbranch_execnz .LBB678_266
.LBB678_211:
	s_or_b64 exec, exec, s[18:19]
	s_and_saveexec_b64 s[16:17], s[14:15]
	s_cbranch_execnz .LBB678_267
.LBB678_212:
	s_or_b64 exec, exec, s[16:17]
	s_and_saveexec_b64 s[14:15], s[12:13]
	s_cbranch_execnz .LBB678_268
.LBB678_213:
	s_or_b64 exec, exec, s[14:15]
	s_and_saveexec_b64 s[12:13], s[10:11]
	s_cbranch_execnz .LBB678_269
.LBB678_214:
	s_or_b64 exec, exec, s[12:13]
	s_and_saveexec_b64 s[10:11], s[8:9]
	s_cbranch_execnz .LBB678_270
.LBB678_215:
	s_or_b64 exec, exec, s[10:11]
	s_and_saveexec_b64 s[8:9], s[6:7]
	s_cbranch_execnz .LBB678_271
.LBB678_216:
	s_or_b64 exec, exec, s[8:9]
	s_and_saveexec_b64 s[6:7], s[4:5]
	s_cbranch_execnz .LBB678_272
.LBB678_217:
	s_or_b64 exec, exec, s[6:7]
	s_and_saveexec_b64 s[4:5], s[2:3]
	s_cbranch_execz .LBB678_219
.LBB678_218:
	v_sub_u32_e32 v9, v22, v8
	v_lshlrev_b32_e32 v9, 2, v9
	ds_write_b32 v9, v23
.LBB678_219:
	s_or_b64 exec, exec, s[4:5]
	s_and_b64 s[36:37], s[0:1], exec
                                        ; implicit-def: $vgpr22_vgpr23
                                        ; implicit-def: $vgpr26_vgpr27
                                        ; implicit-def: $vgpr28_vgpr29
                                        ; implicit-def: $vgpr50_vgpr51
                                        ; implicit-def: $vgpr48_vgpr49
                                        ; implicit-def: $vgpr46_vgpr47
                                        ; implicit-def: $vgpr44_vgpr45
                                        ; implicit-def: $vgpr42_vgpr43
                                        ; implicit-def: $vgpr40_vgpr41
                                        ; implicit-def: $vgpr38_vgpr39
                                        ; implicit-def: $vgpr36_vgpr37
                                        ; implicit-def: $vgpr34_vgpr35
                                        ; implicit-def: $vgpr32_vgpr33
                                        ; implicit-def: $vgpr30_vgpr31
	s_andn2_saveexec_b64 s[0:1], s[34:35]
	s_cbranch_execz .LBB678_142
.LBB678_220:
	v_sub_u32_e32 v9, v50, v8
	v_lshlrev_b32_e32 v9, 2, v9
	ds_write_b32 v9, v51
	v_sub_u32_e32 v9, v48, v8
	v_lshlrev_b32_e32 v9, 2, v9
	ds_write_b32 v9, v49
	;; [unrolled: 3-line block ×13, first 2 shown]
	v_sub_u32_e32 v9, v22, v8
	v_lshlrev_b32_e32 v9, 2, v9
	s_or_b64 s[36:37], s[36:37], exec
	ds_write_b32 v9, v23
	s_or_b64 exec, exec, s[0:1]
	s_and_b64 exec, exec, s[36:37]
	s_cbranch_execnz .LBB678_143
	s_branch .LBB678_144
.LBB678_221:
	v_sub_u32_e32 v70, v50, v4
	v_mov_b32_e32 v71, 0
	v_lshlrev_b64 v[70:71], 2, v[70:71]
	v_add_co_u32_e32 v70, vcc, v3, v70
	v_addc_co_u32_e32 v71, vcc, v7, v71, vcc
	global_store_dword v[70:71], v20, off
	s_or_b64 exec, exec, s[38:39]
	s_and_saveexec_b64 s[38:39], s[28:29]
	s_cbranch_execz .LBB678_155
.LBB678_222:
	v_sub_u32_e32 v70, v48, v4
	v_mov_b32_e32 v71, 0
	v_lshlrev_b64 v[70:71], 2, v[70:71]
	v_add_co_u32_e32 v70, vcc, v3, v70
	v_addc_co_u32_e32 v71, vcc, v7, v71, vcc
	global_store_dword v[70:71], v21, off
	s_or_b64 exec, exec, s[38:39]
	s_and_saveexec_b64 s[38:39], s[26:27]
	s_cbranch_execz .LBB678_156
.LBB678_223:
	v_sub_u32_e32 v70, v46, v4
	v_mov_b32_e32 v71, 0
	v_lshlrev_b64 v[70:71], 2, v[70:71]
	v_add_co_u32_e32 v70, vcc, v3, v70
	v_addc_co_u32_e32 v71, vcc, v7, v71, vcc
	global_store_dword v[70:71], v18, off
	s_or_b64 exec, exec, s[38:39]
	s_and_saveexec_b64 s[38:39], s[24:25]
	s_cbranch_execz .LBB678_157
.LBB678_224:
	v_sub_u32_e32 v70, v44, v4
	v_mov_b32_e32 v71, 0
	v_lshlrev_b64 v[70:71], 2, v[70:71]
	v_add_co_u32_e32 v70, vcc, v3, v70
	v_addc_co_u32_e32 v71, vcc, v7, v71, vcc
	global_store_dword v[70:71], v19, off
	s_or_b64 exec, exec, s[38:39]
	s_and_saveexec_b64 s[38:39], s[22:23]
	s_cbranch_execz .LBB678_158
.LBB678_225:
	v_sub_u32_e32 v70, v42, v4
	v_mov_b32_e32 v71, 0
	v_lshlrev_b64 v[70:71], 2, v[70:71]
	v_add_co_u32_e32 v70, vcc, v3, v70
	v_addc_co_u32_e32 v71, vcc, v7, v71, vcc
	global_store_dword v[70:71], v16, off
	s_or_b64 exec, exec, s[38:39]
	s_and_saveexec_b64 s[38:39], s[20:21]
	s_cbranch_execz .LBB678_159
.LBB678_226:
	v_sub_u32_e32 v70, v40, v4
	v_mov_b32_e32 v71, 0
	v_lshlrev_b64 v[70:71], 2, v[70:71]
	v_add_co_u32_e32 v70, vcc, v3, v70
	v_addc_co_u32_e32 v71, vcc, v7, v71, vcc
	global_store_dword v[70:71], v17, off
	s_or_b64 exec, exec, s[38:39]
	s_and_saveexec_b64 s[38:39], s[18:19]
	s_cbranch_execz .LBB678_160
.LBB678_227:
	v_sub_u32_e32 v70, v38, v4
	v_mov_b32_e32 v71, 0
	v_lshlrev_b64 v[70:71], 2, v[70:71]
	v_add_co_u32_e32 v70, vcc, v3, v70
	v_addc_co_u32_e32 v71, vcc, v7, v71, vcc
	global_store_dword v[70:71], v14, off
	s_or_b64 exec, exec, s[38:39]
	s_and_saveexec_b64 s[38:39], s[16:17]
	s_cbranch_execz .LBB678_161
.LBB678_228:
	v_sub_u32_e32 v70, v36, v4
	v_mov_b32_e32 v71, 0
	v_lshlrev_b64 v[70:71], 2, v[70:71]
	v_add_co_u32_e32 v70, vcc, v3, v70
	v_addc_co_u32_e32 v71, vcc, v7, v71, vcc
	global_store_dword v[70:71], v15, off
	s_or_b64 exec, exec, s[38:39]
	s_and_saveexec_b64 s[38:39], s[14:15]
	s_cbranch_execz .LBB678_162
.LBB678_229:
	v_sub_u32_e32 v70, v34, v4
	v_mov_b32_e32 v71, 0
	v_lshlrev_b64 v[70:71], 2, v[70:71]
	v_add_co_u32_e32 v70, vcc, v3, v70
	v_addc_co_u32_e32 v71, vcc, v7, v71, vcc
	global_store_dword v[70:71], v12, off
	s_or_b64 exec, exec, s[38:39]
	s_and_saveexec_b64 s[38:39], s[12:13]
	s_cbranch_execz .LBB678_163
.LBB678_230:
	v_sub_u32_e32 v70, v32, v4
	v_mov_b32_e32 v71, 0
	v_lshlrev_b64 v[70:71], 2, v[70:71]
	v_add_co_u32_e32 v70, vcc, v3, v70
	v_addc_co_u32_e32 v71, vcc, v7, v71, vcc
	global_store_dword v[70:71], v13, off
	s_or_b64 exec, exec, s[38:39]
	s_and_saveexec_b64 s[38:39], s[10:11]
	s_cbranch_execz .LBB678_164
.LBB678_231:
	v_sub_u32_e32 v70, v30, v4
	v_mov_b32_e32 v71, 0
	v_lshlrev_b64 v[70:71], 2, v[70:71]
	v_add_co_u32_e32 v70, vcc, v3, v70
	v_addc_co_u32_e32 v71, vcc, v7, v71, vcc
	global_store_dword v[70:71], v10, off
	s_or_b64 exec, exec, s[38:39]
	s_and_saveexec_b64 s[38:39], s[8:9]
	s_cbranch_execz .LBB678_165
.LBB678_232:
	v_sub_u32_e32 v70, v28, v4
	v_mov_b32_e32 v71, 0
	v_lshlrev_b64 v[70:71], 2, v[70:71]
	v_add_co_u32_e32 v70, vcc, v3, v70
	v_addc_co_u32_e32 v71, vcc, v7, v71, vcc
	global_store_dword v[70:71], v11, off
	s_or_b64 exec, exec, s[38:39]
	s_and_saveexec_b64 s[38:39], s[6:7]
	s_cbranch_execz .LBB678_166
.LBB678_233:
	v_sub_u32_e32 v70, v26, v4
	v_mov_b32_e32 v71, 0
	v_lshlrev_b64 v[70:71], 2, v[70:71]
	v_add_co_u32_e32 v70, vcc, v3, v70
	v_addc_co_u32_e32 v71, vcc, v7, v71, vcc
	global_store_dword v[70:71], v8, off
	s_or_b64 exec, exec, s[38:39]
	s_and_saveexec_b64 s[38:39], s[4:5]
	s_cbranch_execnz .LBB678_167
	s_branch .LBB678_168
.LBB678_234:
	v_sub_u32_e32 v69, v50, v4
	v_lshlrev_b32_e32 v69, 2, v69
	ds_write_b32 v69, v20
	s_or_b64 exec, exec, s[38:39]
	s_and_saveexec_b64 s[30:31], s[28:29]
	s_cbranch_execz .LBB678_172
.LBB678_235:
	v_sub_u32_e32 v20, v48, v4
	v_lshlrev_b32_e32 v20, 2, v20
	ds_write_b32 v20, v21
	s_or_b64 exec, exec, s[30:31]
	s_and_saveexec_b64 s[28:29], s[26:27]
	s_cbranch_execz .LBB678_173
.LBB678_236:
	v_sub_u32_e32 v20, v46, v4
	v_lshlrev_b32_e32 v20, 2, v20
	ds_write_b32 v20, v18
	s_or_b64 exec, exec, s[28:29]
	s_and_saveexec_b64 s[26:27], s[24:25]
	s_cbranch_execz .LBB678_174
.LBB678_237:
	v_sub_u32_e32 v18, v44, v4
	v_lshlrev_b32_e32 v18, 2, v18
	ds_write_b32 v18, v19
	s_or_b64 exec, exec, s[26:27]
	s_and_saveexec_b64 s[24:25], s[22:23]
	s_cbranch_execz .LBB678_175
.LBB678_238:
	v_sub_u32_e32 v18, v42, v4
	v_lshlrev_b32_e32 v18, 2, v18
	ds_write_b32 v18, v16
	s_or_b64 exec, exec, s[24:25]
	s_and_saveexec_b64 s[22:23], s[20:21]
	s_cbranch_execz .LBB678_176
.LBB678_239:
	v_sub_u32_e32 v16, v40, v4
	v_lshlrev_b32_e32 v16, 2, v16
	ds_write_b32 v16, v17
	s_or_b64 exec, exec, s[22:23]
	s_and_saveexec_b64 s[20:21], s[18:19]
	s_cbranch_execz .LBB678_177
.LBB678_240:
	v_sub_u32_e32 v16, v38, v4
	v_lshlrev_b32_e32 v16, 2, v16
	ds_write_b32 v16, v14
	s_or_b64 exec, exec, s[20:21]
	s_and_saveexec_b64 s[18:19], s[16:17]
	s_cbranch_execz .LBB678_178
.LBB678_241:
	v_sub_u32_e32 v14, v36, v4
	v_lshlrev_b32_e32 v14, 2, v14
	ds_write_b32 v14, v15
	s_or_b64 exec, exec, s[18:19]
	s_and_saveexec_b64 s[16:17], s[14:15]
	s_cbranch_execz .LBB678_179
.LBB678_242:
	v_sub_u32_e32 v14, v34, v4
	v_lshlrev_b32_e32 v14, 2, v14
	ds_write_b32 v14, v12
	s_or_b64 exec, exec, s[16:17]
	s_and_saveexec_b64 s[14:15], s[12:13]
	s_cbranch_execz .LBB678_180
.LBB678_243:
	v_sub_u32_e32 v12, v32, v4
	v_lshlrev_b32_e32 v12, 2, v12
	ds_write_b32 v12, v13
	s_or_b64 exec, exec, s[14:15]
	s_and_saveexec_b64 s[12:13], s[10:11]
	s_cbranch_execz .LBB678_181
.LBB678_244:
	v_sub_u32_e32 v12, v30, v4
	v_lshlrev_b32_e32 v12, 2, v12
	ds_write_b32 v12, v10
	s_or_b64 exec, exec, s[12:13]
	s_and_saveexec_b64 s[10:11], s[8:9]
	s_cbranch_execz .LBB678_182
.LBB678_245:
	v_sub_u32_e32 v10, v28, v4
	v_lshlrev_b32_e32 v10, 2, v10
	ds_write_b32 v10, v11
	s_or_b64 exec, exec, s[10:11]
	s_and_saveexec_b64 s[8:9], s[6:7]
	s_cbranch_execz .LBB678_183
.LBB678_246:
	v_sub_u32_e32 v10, v26, v4
	v_lshlrev_b32_e32 v10, 2, v10
	ds_write_b32 v10, v8
	s_or_b64 exec, exec, s[8:9]
	s_and_saveexec_b64 s[6:7], s[4:5]
	s_cbranch_execnz .LBB678_184
	s_branch .LBB678_185
.LBB678_247:
	v_sub_u32_e32 v12, v50, v8
	v_mov_b32_e32 v13, 0
	v_lshlrev_b64 v[14:15], 3, v[12:13]
	v_add_co_u32_e32 v14, vcc, v3, v14
	v_addc_co_u32_e32 v15, vcc, v7, v15, vcc
	v_mov_b32_e32 v12, v51
	global_store_dwordx2 v[14:15], v[12:13], off
	s_or_b64 exec, exec, s[36:37]
	s_and_saveexec_b64 s[36:37], s[26:27]
	s_cbranch_execz .LBB678_189
.LBB678_248:
	v_sub_u32_e32 v12, v48, v8
	v_mov_b32_e32 v13, 0
	v_lshlrev_b64 v[14:15], 3, v[12:13]
	v_add_co_u32_e32 v14, vcc, v3, v14
	v_addc_co_u32_e32 v15, vcc, v7, v15, vcc
	v_mov_b32_e32 v12, v49
	global_store_dwordx2 v[14:15], v[12:13], off
	s_or_b64 exec, exec, s[36:37]
	s_and_saveexec_b64 s[36:37], s[24:25]
	s_cbranch_execz .LBB678_190
.LBB678_249:
	v_sub_u32_e32 v12, v46, v8
	v_mov_b32_e32 v13, 0
	v_lshlrev_b64 v[14:15], 3, v[12:13]
	v_add_co_u32_e32 v14, vcc, v3, v14
	v_addc_co_u32_e32 v15, vcc, v7, v15, vcc
	v_mov_b32_e32 v12, v47
	global_store_dwordx2 v[14:15], v[12:13], off
	s_or_b64 exec, exec, s[36:37]
	s_and_saveexec_b64 s[36:37], s[22:23]
	s_cbranch_execz .LBB678_191
.LBB678_250:
	v_sub_u32_e32 v12, v44, v8
	v_mov_b32_e32 v13, 0
	v_lshlrev_b64 v[14:15], 3, v[12:13]
	v_add_co_u32_e32 v14, vcc, v3, v14
	v_addc_co_u32_e32 v15, vcc, v7, v15, vcc
	v_mov_b32_e32 v12, v45
	global_store_dwordx2 v[14:15], v[12:13], off
	s_or_b64 exec, exec, s[36:37]
	s_and_saveexec_b64 s[36:37], s[20:21]
	s_cbranch_execz .LBB678_192
.LBB678_251:
	v_sub_u32_e32 v12, v42, v8
	v_mov_b32_e32 v13, 0
	v_lshlrev_b64 v[14:15], 3, v[12:13]
	v_add_co_u32_e32 v14, vcc, v3, v14
	v_addc_co_u32_e32 v15, vcc, v7, v15, vcc
	v_mov_b32_e32 v12, v43
	global_store_dwordx2 v[14:15], v[12:13], off
	s_or_b64 exec, exec, s[36:37]
	s_and_saveexec_b64 s[36:37], s[18:19]
	s_cbranch_execz .LBB678_193
.LBB678_252:
	v_sub_u32_e32 v12, v40, v8
	v_mov_b32_e32 v13, 0
	v_lshlrev_b64 v[14:15], 3, v[12:13]
	v_add_co_u32_e32 v14, vcc, v3, v14
	v_addc_co_u32_e32 v15, vcc, v7, v15, vcc
	v_mov_b32_e32 v12, v41
	global_store_dwordx2 v[14:15], v[12:13], off
	s_or_b64 exec, exec, s[36:37]
	s_and_saveexec_b64 s[36:37], s[16:17]
	s_cbranch_execz .LBB678_194
.LBB678_253:
	v_sub_u32_e32 v12, v38, v8
	v_mov_b32_e32 v13, 0
	v_lshlrev_b64 v[14:15], 3, v[12:13]
	v_add_co_u32_e32 v14, vcc, v3, v14
	v_addc_co_u32_e32 v15, vcc, v7, v15, vcc
	v_mov_b32_e32 v12, v39
	global_store_dwordx2 v[14:15], v[12:13], off
	s_or_b64 exec, exec, s[36:37]
	s_and_saveexec_b64 s[36:37], s[14:15]
	s_cbranch_execz .LBB678_195
.LBB678_254:
	v_sub_u32_e32 v12, v36, v8
	v_mov_b32_e32 v13, 0
	v_lshlrev_b64 v[14:15], 3, v[12:13]
	v_add_co_u32_e32 v14, vcc, v3, v14
	v_addc_co_u32_e32 v15, vcc, v7, v15, vcc
	v_mov_b32_e32 v12, v37
	global_store_dwordx2 v[14:15], v[12:13], off
	s_or_b64 exec, exec, s[36:37]
	s_and_saveexec_b64 s[36:37], s[12:13]
	s_cbranch_execz .LBB678_196
.LBB678_255:
	v_sub_u32_e32 v12, v34, v8
	v_mov_b32_e32 v13, 0
	v_lshlrev_b64 v[14:15], 3, v[12:13]
	v_add_co_u32_e32 v14, vcc, v3, v14
	v_addc_co_u32_e32 v15, vcc, v7, v15, vcc
	v_mov_b32_e32 v12, v35
	global_store_dwordx2 v[14:15], v[12:13], off
	s_or_b64 exec, exec, s[36:37]
	s_and_saveexec_b64 s[36:37], s[10:11]
	s_cbranch_execz .LBB678_197
.LBB678_256:
	v_sub_u32_e32 v12, v32, v8
	v_mov_b32_e32 v13, 0
	v_lshlrev_b64 v[14:15], 3, v[12:13]
	v_add_co_u32_e32 v14, vcc, v3, v14
	v_addc_co_u32_e32 v15, vcc, v7, v15, vcc
	v_mov_b32_e32 v12, v33
	global_store_dwordx2 v[14:15], v[12:13], off
	s_or_b64 exec, exec, s[36:37]
	s_and_saveexec_b64 s[36:37], s[8:9]
	s_cbranch_execz .LBB678_198
.LBB678_257:
	v_sub_u32_e32 v12, v30, v8
	v_mov_b32_e32 v13, 0
	v_lshlrev_b64 v[14:15], 3, v[12:13]
	v_add_co_u32_e32 v14, vcc, v3, v14
	v_addc_co_u32_e32 v15, vcc, v7, v15, vcc
	v_mov_b32_e32 v12, v31
	global_store_dwordx2 v[14:15], v[12:13], off
	s_or_b64 exec, exec, s[36:37]
	s_and_saveexec_b64 s[36:37], s[6:7]
	s_cbranch_execz .LBB678_199
.LBB678_258:
	v_sub_u32_e32 v12, v28, v8
	v_mov_b32_e32 v13, 0
	v_lshlrev_b64 v[14:15], 3, v[12:13]
	v_add_co_u32_e32 v14, vcc, v3, v14
	v_addc_co_u32_e32 v15, vcc, v7, v15, vcc
	v_mov_b32_e32 v12, v29
	global_store_dwordx2 v[14:15], v[12:13], off
	s_or_b64 exec, exec, s[36:37]
	s_and_saveexec_b64 s[36:37], s[4:5]
	s_cbranch_execz .LBB678_200
.LBB678_259:
	v_sub_u32_e32 v12, v26, v8
	v_mov_b32_e32 v13, 0
	v_lshlrev_b64 v[14:15], 3, v[12:13]
	v_add_co_u32_e32 v14, vcc, v3, v14
	v_addc_co_u32_e32 v15, vcc, v7, v15, vcc
	v_mov_b32_e32 v12, v27
	global_store_dwordx2 v[14:15], v[12:13], off
	s_or_b64 exec, exec, s[36:37]
	s_and_saveexec_b64 s[36:37], s[2:3]
	s_cbranch_execnz .LBB678_201
	s_branch .LBB678_202
.LBB678_260:
	v_sub_u32_e32 v9, v50, v8
	v_lshlrev_b32_e32 v9, 2, v9
	ds_write_b32 v9, v51
	s_or_b64 exec, exec, s[36:37]
	s_and_saveexec_b64 s[28:29], s[26:27]
	s_cbranch_execz .LBB678_206
.LBB678_261:
	v_sub_u32_e32 v9, v48, v8
	v_lshlrev_b32_e32 v9, 2, v9
	ds_write_b32 v9, v49
	s_or_b64 exec, exec, s[28:29]
	s_and_saveexec_b64 s[26:27], s[24:25]
	s_cbranch_execz .LBB678_207
.LBB678_262:
	v_sub_u32_e32 v9, v46, v8
	v_lshlrev_b32_e32 v9, 2, v9
	ds_write_b32 v9, v47
	s_or_b64 exec, exec, s[26:27]
	s_and_saveexec_b64 s[24:25], s[22:23]
	s_cbranch_execz .LBB678_208
.LBB678_263:
	v_sub_u32_e32 v9, v44, v8
	v_lshlrev_b32_e32 v9, 2, v9
	ds_write_b32 v9, v45
	s_or_b64 exec, exec, s[24:25]
	s_and_saveexec_b64 s[22:23], s[20:21]
	s_cbranch_execz .LBB678_209
.LBB678_264:
	v_sub_u32_e32 v9, v42, v8
	v_lshlrev_b32_e32 v9, 2, v9
	ds_write_b32 v9, v43
	s_or_b64 exec, exec, s[22:23]
	s_and_saveexec_b64 s[20:21], s[18:19]
	s_cbranch_execz .LBB678_210
.LBB678_265:
	v_sub_u32_e32 v9, v40, v8
	v_lshlrev_b32_e32 v9, 2, v9
	ds_write_b32 v9, v41
	s_or_b64 exec, exec, s[20:21]
	s_and_saveexec_b64 s[18:19], s[16:17]
	s_cbranch_execz .LBB678_211
.LBB678_266:
	v_sub_u32_e32 v9, v38, v8
	v_lshlrev_b32_e32 v9, 2, v9
	ds_write_b32 v9, v39
	s_or_b64 exec, exec, s[18:19]
	s_and_saveexec_b64 s[16:17], s[14:15]
	s_cbranch_execz .LBB678_212
.LBB678_267:
	v_sub_u32_e32 v9, v36, v8
	v_lshlrev_b32_e32 v9, 2, v9
	ds_write_b32 v9, v37
	s_or_b64 exec, exec, s[16:17]
	s_and_saveexec_b64 s[14:15], s[12:13]
	s_cbranch_execz .LBB678_213
.LBB678_268:
	v_sub_u32_e32 v9, v34, v8
	v_lshlrev_b32_e32 v9, 2, v9
	ds_write_b32 v9, v35
	s_or_b64 exec, exec, s[14:15]
	s_and_saveexec_b64 s[12:13], s[10:11]
	s_cbranch_execz .LBB678_214
.LBB678_269:
	v_sub_u32_e32 v9, v32, v8
	v_lshlrev_b32_e32 v9, 2, v9
	ds_write_b32 v9, v33
	s_or_b64 exec, exec, s[12:13]
	s_and_saveexec_b64 s[10:11], s[8:9]
	s_cbranch_execz .LBB678_215
.LBB678_270:
	v_sub_u32_e32 v9, v30, v8
	v_lshlrev_b32_e32 v9, 2, v9
	ds_write_b32 v9, v31
	s_or_b64 exec, exec, s[10:11]
	s_and_saveexec_b64 s[8:9], s[6:7]
	s_cbranch_execz .LBB678_216
.LBB678_271:
	v_sub_u32_e32 v9, v28, v8
	v_lshlrev_b32_e32 v9, 2, v9
	ds_write_b32 v9, v29
	s_or_b64 exec, exec, s[8:9]
	s_and_saveexec_b64 s[6:7], s[4:5]
	s_cbranch_execz .LBB678_217
.LBB678_272:
	v_sub_u32_e32 v9, v26, v8
	v_lshlrev_b32_e32 v9, 2, v9
	ds_write_b32 v9, v27
	s_or_b64 exec, exec, s[6:7]
	s_and_saveexec_b64 s[4:5], s[2:3]
	s_cbranch_execnz .LBB678_218
	s_branch .LBB678_219
	.section	.rodata,"a",@progbits
	.p2align	6, 0x0
	.amdhsa_kernel _ZN7rocprim17ROCPRIM_400000_NS6detail17trampoline_kernelINS0_14default_configENS1_33run_length_encode_config_selectorIjjNS0_4plusIjEEEEZZNS1_33reduce_by_key_impl_wrapped_configILNS1_25lookback_scan_determinismE0ES3_S7_PKjNS0_17constant_iteratorIjlEEPjPlSF_S6_NS0_8equal_toIjEEEE10hipError_tPvRmT2_T3_mT4_T5_T6_T7_T8_P12ihipStream_tbENKUlT_T0_E_clISt17integral_constantIbLb0EESY_IbLb1EEEEDaSU_SV_EUlSU_E_NS1_11comp_targetILNS1_3genE4ELNS1_11target_archE910ELNS1_3gpuE8ELNS1_3repE0EEENS1_30default_config_static_selectorELNS0_4arch9wavefront6targetE1EEEvT1_
		.amdhsa_group_segment_fixed_size 15360
		.amdhsa_private_segment_fixed_size 0
		.amdhsa_kernarg_size 128
		.amdhsa_user_sgpr_count 6
		.amdhsa_user_sgpr_private_segment_buffer 1
		.amdhsa_user_sgpr_dispatch_ptr 0
		.amdhsa_user_sgpr_queue_ptr 0
		.amdhsa_user_sgpr_kernarg_segment_ptr 1
		.amdhsa_user_sgpr_dispatch_id 0
		.amdhsa_user_sgpr_flat_scratch_init 0
		.amdhsa_user_sgpr_kernarg_preload_length 0
		.amdhsa_user_sgpr_kernarg_preload_offset 0
		.amdhsa_user_sgpr_private_segment_size 0
		.amdhsa_uses_dynamic_stack 0
		.amdhsa_system_sgpr_private_segment_wavefront_offset 0
		.amdhsa_system_sgpr_workgroup_id_x 1
		.amdhsa_system_sgpr_workgroup_id_y 0
		.amdhsa_system_sgpr_workgroup_id_z 0
		.amdhsa_system_sgpr_workgroup_info 0
		.amdhsa_system_vgpr_workitem_id 0
		.amdhsa_next_free_vgpr 104
		.amdhsa_next_free_sgpr 66
		.amdhsa_accum_offset 104
		.amdhsa_reserve_vcc 1
		.amdhsa_reserve_flat_scratch 0
		.amdhsa_float_round_mode_32 0
		.amdhsa_float_round_mode_16_64 0
		.amdhsa_float_denorm_mode_32 3
		.amdhsa_float_denorm_mode_16_64 3
		.amdhsa_dx10_clamp 1
		.amdhsa_ieee_mode 1
		.amdhsa_fp16_overflow 0
		.amdhsa_tg_split 0
		.amdhsa_exception_fp_ieee_invalid_op 0
		.amdhsa_exception_fp_denorm_src 0
		.amdhsa_exception_fp_ieee_div_zero 0
		.amdhsa_exception_fp_ieee_overflow 0
		.amdhsa_exception_fp_ieee_underflow 0
		.amdhsa_exception_fp_ieee_inexact 0
		.amdhsa_exception_int_div_zero 0
	.end_amdhsa_kernel
	.section	.text._ZN7rocprim17ROCPRIM_400000_NS6detail17trampoline_kernelINS0_14default_configENS1_33run_length_encode_config_selectorIjjNS0_4plusIjEEEEZZNS1_33reduce_by_key_impl_wrapped_configILNS1_25lookback_scan_determinismE0ES3_S7_PKjNS0_17constant_iteratorIjlEEPjPlSF_S6_NS0_8equal_toIjEEEE10hipError_tPvRmT2_T3_mT4_T5_T6_T7_T8_P12ihipStream_tbENKUlT_T0_E_clISt17integral_constantIbLb0EESY_IbLb1EEEEDaSU_SV_EUlSU_E_NS1_11comp_targetILNS1_3genE4ELNS1_11target_archE910ELNS1_3gpuE8ELNS1_3repE0EEENS1_30default_config_static_selectorELNS0_4arch9wavefront6targetE1EEEvT1_,"axG",@progbits,_ZN7rocprim17ROCPRIM_400000_NS6detail17trampoline_kernelINS0_14default_configENS1_33run_length_encode_config_selectorIjjNS0_4plusIjEEEEZZNS1_33reduce_by_key_impl_wrapped_configILNS1_25lookback_scan_determinismE0ES3_S7_PKjNS0_17constant_iteratorIjlEEPjPlSF_S6_NS0_8equal_toIjEEEE10hipError_tPvRmT2_T3_mT4_T5_T6_T7_T8_P12ihipStream_tbENKUlT_T0_E_clISt17integral_constantIbLb0EESY_IbLb1EEEEDaSU_SV_EUlSU_E_NS1_11comp_targetILNS1_3genE4ELNS1_11target_archE910ELNS1_3gpuE8ELNS1_3repE0EEENS1_30default_config_static_selectorELNS0_4arch9wavefront6targetE1EEEvT1_,comdat
.Lfunc_end678:
	.size	_ZN7rocprim17ROCPRIM_400000_NS6detail17trampoline_kernelINS0_14default_configENS1_33run_length_encode_config_selectorIjjNS0_4plusIjEEEEZZNS1_33reduce_by_key_impl_wrapped_configILNS1_25lookback_scan_determinismE0ES3_S7_PKjNS0_17constant_iteratorIjlEEPjPlSF_S6_NS0_8equal_toIjEEEE10hipError_tPvRmT2_T3_mT4_T5_T6_T7_T8_P12ihipStream_tbENKUlT_T0_E_clISt17integral_constantIbLb0EESY_IbLb1EEEEDaSU_SV_EUlSU_E_NS1_11comp_targetILNS1_3genE4ELNS1_11target_archE910ELNS1_3gpuE8ELNS1_3repE0EEENS1_30default_config_static_selectorELNS0_4arch9wavefront6targetE1EEEvT1_, .Lfunc_end678-_ZN7rocprim17ROCPRIM_400000_NS6detail17trampoline_kernelINS0_14default_configENS1_33run_length_encode_config_selectorIjjNS0_4plusIjEEEEZZNS1_33reduce_by_key_impl_wrapped_configILNS1_25lookback_scan_determinismE0ES3_S7_PKjNS0_17constant_iteratorIjlEEPjPlSF_S6_NS0_8equal_toIjEEEE10hipError_tPvRmT2_T3_mT4_T5_T6_T7_T8_P12ihipStream_tbENKUlT_T0_E_clISt17integral_constantIbLb0EESY_IbLb1EEEEDaSU_SV_EUlSU_E_NS1_11comp_targetILNS1_3genE4ELNS1_11target_archE910ELNS1_3gpuE8ELNS1_3repE0EEENS1_30default_config_static_selectorELNS0_4arch9wavefront6targetE1EEEvT1_
                                        ; -- End function
	.section	.AMDGPU.csdata,"",@progbits
; Kernel info:
; codeLenInByte = 15200
; NumSgprs: 70
; NumVgprs: 104
; NumAgprs: 0
; TotalNumVgprs: 104
; ScratchSize: 0
; MemoryBound: 0
; FloatMode: 240
; IeeeMode: 1
; LDSByteSize: 15360 bytes/workgroup (compile time only)
; SGPRBlocks: 8
; VGPRBlocks: 12
; NumSGPRsForWavesPerEU: 70
; NumVGPRsForWavesPerEU: 104
; AccumOffset: 104
; Occupancy: 4
; WaveLimiterHint : 1
; COMPUTE_PGM_RSRC2:SCRATCH_EN: 0
; COMPUTE_PGM_RSRC2:USER_SGPR: 6
; COMPUTE_PGM_RSRC2:TRAP_HANDLER: 0
; COMPUTE_PGM_RSRC2:TGID_X_EN: 1
; COMPUTE_PGM_RSRC2:TGID_Y_EN: 0
; COMPUTE_PGM_RSRC2:TGID_Z_EN: 0
; COMPUTE_PGM_RSRC2:TIDIG_COMP_CNT: 0
; COMPUTE_PGM_RSRC3_GFX90A:ACCUM_OFFSET: 25
; COMPUTE_PGM_RSRC3_GFX90A:TG_SPLIT: 0
	.section	.text._ZN7rocprim17ROCPRIM_400000_NS6detail17trampoline_kernelINS0_14default_configENS1_33run_length_encode_config_selectorIjjNS0_4plusIjEEEEZZNS1_33reduce_by_key_impl_wrapped_configILNS1_25lookback_scan_determinismE0ES3_S7_PKjNS0_17constant_iteratorIjlEEPjPlSF_S6_NS0_8equal_toIjEEEE10hipError_tPvRmT2_T3_mT4_T5_T6_T7_T8_P12ihipStream_tbENKUlT_T0_E_clISt17integral_constantIbLb0EESY_IbLb1EEEEDaSU_SV_EUlSU_E_NS1_11comp_targetILNS1_3genE3ELNS1_11target_archE908ELNS1_3gpuE7ELNS1_3repE0EEENS1_30default_config_static_selectorELNS0_4arch9wavefront6targetE1EEEvT1_,"axG",@progbits,_ZN7rocprim17ROCPRIM_400000_NS6detail17trampoline_kernelINS0_14default_configENS1_33run_length_encode_config_selectorIjjNS0_4plusIjEEEEZZNS1_33reduce_by_key_impl_wrapped_configILNS1_25lookback_scan_determinismE0ES3_S7_PKjNS0_17constant_iteratorIjlEEPjPlSF_S6_NS0_8equal_toIjEEEE10hipError_tPvRmT2_T3_mT4_T5_T6_T7_T8_P12ihipStream_tbENKUlT_T0_E_clISt17integral_constantIbLb0EESY_IbLb1EEEEDaSU_SV_EUlSU_E_NS1_11comp_targetILNS1_3genE3ELNS1_11target_archE908ELNS1_3gpuE7ELNS1_3repE0EEENS1_30default_config_static_selectorELNS0_4arch9wavefront6targetE1EEEvT1_,comdat
	.protected	_ZN7rocprim17ROCPRIM_400000_NS6detail17trampoline_kernelINS0_14default_configENS1_33run_length_encode_config_selectorIjjNS0_4plusIjEEEEZZNS1_33reduce_by_key_impl_wrapped_configILNS1_25lookback_scan_determinismE0ES3_S7_PKjNS0_17constant_iteratorIjlEEPjPlSF_S6_NS0_8equal_toIjEEEE10hipError_tPvRmT2_T3_mT4_T5_T6_T7_T8_P12ihipStream_tbENKUlT_T0_E_clISt17integral_constantIbLb0EESY_IbLb1EEEEDaSU_SV_EUlSU_E_NS1_11comp_targetILNS1_3genE3ELNS1_11target_archE908ELNS1_3gpuE7ELNS1_3repE0EEENS1_30default_config_static_selectorELNS0_4arch9wavefront6targetE1EEEvT1_ ; -- Begin function _ZN7rocprim17ROCPRIM_400000_NS6detail17trampoline_kernelINS0_14default_configENS1_33run_length_encode_config_selectorIjjNS0_4plusIjEEEEZZNS1_33reduce_by_key_impl_wrapped_configILNS1_25lookback_scan_determinismE0ES3_S7_PKjNS0_17constant_iteratorIjlEEPjPlSF_S6_NS0_8equal_toIjEEEE10hipError_tPvRmT2_T3_mT4_T5_T6_T7_T8_P12ihipStream_tbENKUlT_T0_E_clISt17integral_constantIbLb0EESY_IbLb1EEEEDaSU_SV_EUlSU_E_NS1_11comp_targetILNS1_3genE3ELNS1_11target_archE908ELNS1_3gpuE7ELNS1_3repE0EEENS1_30default_config_static_selectorELNS0_4arch9wavefront6targetE1EEEvT1_
	.globl	_ZN7rocprim17ROCPRIM_400000_NS6detail17trampoline_kernelINS0_14default_configENS1_33run_length_encode_config_selectorIjjNS0_4plusIjEEEEZZNS1_33reduce_by_key_impl_wrapped_configILNS1_25lookback_scan_determinismE0ES3_S7_PKjNS0_17constant_iteratorIjlEEPjPlSF_S6_NS0_8equal_toIjEEEE10hipError_tPvRmT2_T3_mT4_T5_T6_T7_T8_P12ihipStream_tbENKUlT_T0_E_clISt17integral_constantIbLb0EESY_IbLb1EEEEDaSU_SV_EUlSU_E_NS1_11comp_targetILNS1_3genE3ELNS1_11target_archE908ELNS1_3gpuE7ELNS1_3repE0EEENS1_30default_config_static_selectorELNS0_4arch9wavefront6targetE1EEEvT1_
	.p2align	8
	.type	_ZN7rocprim17ROCPRIM_400000_NS6detail17trampoline_kernelINS0_14default_configENS1_33run_length_encode_config_selectorIjjNS0_4plusIjEEEEZZNS1_33reduce_by_key_impl_wrapped_configILNS1_25lookback_scan_determinismE0ES3_S7_PKjNS0_17constant_iteratorIjlEEPjPlSF_S6_NS0_8equal_toIjEEEE10hipError_tPvRmT2_T3_mT4_T5_T6_T7_T8_P12ihipStream_tbENKUlT_T0_E_clISt17integral_constantIbLb0EESY_IbLb1EEEEDaSU_SV_EUlSU_E_NS1_11comp_targetILNS1_3genE3ELNS1_11target_archE908ELNS1_3gpuE7ELNS1_3repE0EEENS1_30default_config_static_selectorELNS0_4arch9wavefront6targetE1EEEvT1_,@function
_ZN7rocprim17ROCPRIM_400000_NS6detail17trampoline_kernelINS0_14default_configENS1_33run_length_encode_config_selectorIjjNS0_4plusIjEEEEZZNS1_33reduce_by_key_impl_wrapped_configILNS1_25lookback_scan_determinismE0ES3_S7_PKjNS0_17constant_iteratorIjlEEPjPlSF_S6_NS0_8equal_toIjEEEE10hipError_tPvRmT2_T3_mT4_T5_T6_T7_T8_P12ihipStream_tbENKUlT_T0_E_clISt17integral_constantIbLb0EESY_IbLb1EEEEDaSU_SV_EUlSU_E_NS1_11comp_targetILNS1_3genE3ELNS1_11target_archE908ELNS1_3gpuE7ELNS1_3repE0EEENS1_30default_config_static_selectorELNS0_4arch9wavefront6targetE1EEEvT1_: ; @_ZN7rocprim17ROCPRIM_400000_NS6detail17trampoline_kernelINS0_14default_configENS1_33run_length_encode_config_selectorIjjNS0_4plusIjEEEEZZNS1_33reduce_by_key_impl_wrapped_configILNS1_25lookback_scan_determinismE0ES3_S7_PKjNS0_17constant_iteratorIjlEEPjPlSF_S6_NS0_8equal_toIjEEEE10hipError_tPvRmT2_T3_mT4_T5_T6_T7_T8_P12ihipStream_tbENKUlT_T0_E_clISt17integral_constantIbLb0EESY_IbLb1EEEEDaSU_SV_EUlSU_E_NS1_11comp_targetILNS1_3genE3ELNS1_11target_archE908ELNS1_3gpuE7ELNS1_3repE0EEENS1_30default_config_static_selectorELNS0_4arch9wavefront6targetE1EEEvT1_
; %bb.0:
	.section	.rodata,"a",@progbits
	.p2align	6, 0x0
	.amdhsa_kernel _ZN7rocprim17ROCPRIM_400000_NS6detail17trampoline_kernelINS0_14default_configENS1_33run_length_encode_config_selectorIjjNS0_4plusIjEEEEZZNS1_33reduce_by_key_impl_wrapped_configILNS1_25lookback_scan_determinismE0ES3_S7_PKjNS0_17constant_iteratorIjlEEPjPlSF_S6_NS0_8equal_toIjEEEE10hipError_tPvRmT2_T3_mT4_T5_T6_T7_T8_P12ihipStream_tbENKUlT_T0_E_clISt17integral_constantIbLb0EESY_IbLb1EEEEDaSU_SV_EUlSU_E_NS1_11comp_targetILNS1_3genE3ELNS1_11target_archE908ELNS1_3gpuE7ELNS1_3repE0EEENS1_30default_config_static_selectorELNS0_4arch9wavefront6targetE1EEEvT1_
		.amdhsa_group_segment_fixed_size 0
		.amdhsa_private_segment_fixed_size 0
		.amdhsa_kernarg_size 128
		.amdhsa_user_sgpr_count 6
		.amdhsa_user_sgpr_private_segment_buffer 1
		.amdhsa_user_sgpr_dispatch_ptr 0
		.amdhsa_user_sgpr_queue_ptr 0
		.amdhsa_user_sgpr_kernarg_segment_ptr 1
		.amdhsa_user_sgpr_dispatch_id 0
		.amdhsa_user_sgpr_flat_scratch_init 0
		.amdhsa_user_sgpr_kernarg_preload_length 0
		.amdhsa_user_sgpr_kernarg_preload_offset 0
		.amdhsa_user_sgpr_private_segment_size 0
		.amdhsa_uses_dynamic_stack 0
		.amdhsa_system_sgpr_private_segment_wavefront_offset 0
		.amdhsa_system_sgpr_workgroup_id_x 1
		.amdhsa_system_sgpr_workgroup_id_y 0
		.amdhsa_system_sgpr_workgroup_id_z 0
		.amdhsa_system_sgpr_workgroup_info 0
		.amdhsa_system_vgpr_workitem_id 0
		.amdhsa_next_free_vgpr 1
		.amdhsa_next_free_sgpr 0
		.amdhsa_accum_offset 4
		.amdhsa_reserve_vcc 0
		.amdhsa_reserve_flat_scratch 0
		.amdhsa_float_round_mode_32 0
		.amdhsa_float_round_mode_16_64 0
		.amdhsa_float_denorm_mode_32 3
		.amdhsa_float_denorm_mode_16_64 3
		.amdhsa_dx10_clamp 1
		.amdhsa_ieee_mode 1
		.amdhsa_fp16_overflow 0
		.amdhsa_tg_split 0
		.amdhsa_exception_fp_ieee_invalid_op 0
		.amdhsa_exception_fp_denorm_src 0
		.amdhsa_exception_fp_ieee_div_zero 0
		.amdhsa_exception_fp_ieee_overflow 0
		.amdhsa_exception_fp_ieee_underflow 0
		.amdhsa_exception_fp_ieee_inexact 0
		.amdhsa_exception_int_div_zero 0
	.end_amdhsa_kernel
	.section	.text._ZN7rocprim17ROCPRIM_400000_NS6detail17trampoline_kernelINS0_14default_configENS1_33run_length_encode_config_selectorIjjNS0_4plusIjEEEEZZNS1_33reduce_by_key_impl_wrapped_configILNS1_25lookback_scan_determinismE0ES3_S7_PKjNS0_17constant_iteratorIjlEEPjPlSF_S6_NS0_8equal_toIjEEEE10hipError_tPvRmT2_T3_mT4_T5_T6_T7_T8_P12ihipStream_tbENKUlT_T0_E_clISt17integral_constantIbLb0EESY_IbLb1EEEEDaSU_SV_EUlSU_E_NS1_11comp_targetILNS1_3genE3ELNS1_11target_archE908ELNS1_3gpuE7ELNS1_3repE0EEENS1_30default_config_static_selectorELNS0_4arch9wavefront6targetE1EEEvT1_,"axG",@progbits,_ZN7rocprim17ROCPRIM_400000_NS6detail17trampoline_kernelINS0_14default_configENS1_33run_length_encode_config_selectorIjjNS0_4plusIjEEEEZZNS1_33reduce_by_key_impl_wrapped_configILNS1_25lookback_scan_determinismE0ES3_S7_PKjNS0_17constant_iteratorIjlEEPjPlSF_S6_NS0_8equal_toIjEEEE10hipError_tPvRmT2_T3_mT4_T5_T6_T7_T8_P12ihipStream_tbENKUlT_T0_E_clISt17integral_constantIbLb0EESY_IbLb1EEEEDaSU_SV_EUlSU_E_NS1_11comp_targetILNS1_3genE3ELNS1_11target_archE908ELNS1_3gpuE7ELNS1_3repE0EEENS1_30default_config_static_selectorELNS0_4arch9wavefront6targetE1EEEvT1_,comdat
.Lfunc_end679:
	.size	_ZN7rocprim17ROCPRIM_400000_NS6detail17trampoline_kernelINS0_14default_configENS1_33run_length_encode_config_selectorIjjNS0_4plusIjEEEEZZNS1_33reduce_by_key_impl_wrapped_configILNS1_25lookback_scan_determinismE0ES3_S7_PKjNS0_17constant_iteratorIjlEEPjPlSF_S6_NS0_8equal_toIjEEEE10hipError_tPvRmT2_T3_mT4_T5_T6_T7_T8_P12ihipStream_tbENKUlT_T0_E_clISt17integral_constantIbLb0EESY_IbLb1EEEEDaSU_SV_EUlSU_E_NS1_11comp_targetILNS1_3genE3ELNS1_11target_archE908ELNS1_3gpuE7ELNS1_3repE0EEENS1_30default_config_static_selectorELNS0_4arch9wavefront6targetE1EEEvT1_, .Lfunc_end679-_ZN7rocprim17ROCPRIM_400000_NS6detail17trampoline_kernelINS0_14default_configENS1_33run_length_encode_config_selectorIjjNS0_4plusIjEEEEZZNS1_33reduce_by_key_impl_wrapped_configILNS1_25lookback_scan_determinismE0ES3_S7_PKjNS0_17constant_iteratorIjlEEPjPlSF_S6_NS0_8equal_toIjEEEE10hipError_tPvRmT2_T3_mT4_T5_T6_T7_T8_P12ihipStream_tbENKUlT_T0_E_clISt17integral_constantIbLb0EESY_IbLb1EEEEDaSU_SV_EUlSU_E_NS1_11comp_targetILNS1_3genE3ELNS1_11target_archE908ELNS1_3gpuE7ELNS1_3repE0EEENS1_30default_config_static_selectorELNS0_4arch9wavefront6targetE1EEEvT1_
                                        ; -- End function
	.section	.AMDGPU.csdata,"",@progbits
; Kernel info:
; codeLenInByte = 0
; NumSgprs: 4
; NumVgprs: 0
; NumAgprs: 0
; TotalNumVgprs: 0
; ScratchSize: 0
; MemoryBound: 0
; FloatMode: 240
; IeeeMode: 1
; LDSByteSize: 0 bytes/workgroup (compile time only)
; SGPRBlocks: 0
; VGPRBlocks: 0
; NumSGPRsForWavesPerEU: 4
; NumVGPRsForWavesPerEU: 1
; AccumOffset: 4
; Occupancy: 8
; WaveLimiterHint : 0
; COMPUTE_PGM_RSRC2:SCRATCH_EN: 0
; COMPUTE_PGM_RSRC2:USER_SGPR: 6
; COMPUTE_PGM_RSRC2:TRAP_HANDLER: 0
; COMPUTE_PGM_RSRC2:TGID_X_EN: 1
; COMPUTE_PGM_RSRC2:TGID_Y_EN: 0
; COMPUTE_PGM_RSRC2:TGID_Z_EN: 0
; COMPUTE_PGM_RSRC2:TIDIG_COMP_CNT: 0
; COMPUTE_PGM_RSRC3_GFX90A:ACCUM_OFFSET: 0
; COMPUTE_PGM_RSRC3_GFX90A:TG_SPLIT: 0
	.section	.text._ZN7rocprim17ROCPRIM_400000_NS6detail17trampoline_kernelINS0_14default_configENS1_33run_length_encode_config_selectorIjjNS0_4plusIjEEEEZZNS1_33reduce_by_key_impl_wrapped_configILNS1_25lookback_scan_determinismE0ES3_S7_PKjNS0_17constant_iteratorIjlEEPjPlSF_S6_NS0_8equal_toIjEEEE10hipError_tPvRmT2_T3_mT4_T5_T6_T7_T8_P12ihipStream_tbENKUlT_T0_E_clISt17integral_constantIbLb0EESY_IbLb1EEEEDaSU_SV_EUlSU_E_NS1_11comp_targetILNS1_3genE2ELNS1_11target_archE906ELNS1_3gpuE6ELNS1_3repE0EEENS1_30default_config_static_selectorELNS0_4arch9wavefront6targetE1EEEvT1_,"axG",@progbits,_ZN7rocprim17ROCPRIM_400000_NS6detail17trampoline_kernelINS0_14default_configENS1_33run_length_encode_config_selectorIjjNS0_4plusIjEEEEZZNS1_33reduce_by_key_impl_wrapped_configILNS1_25lookback_scan_determinismE0ES3_S7_PKjNS0_17constant_iteratorIjlEEPjPlSF_S6_NS0_8equal_toIjEEEE10hipError_tPvRmT2_T3_mT4_T5_T6_T7_T8_P12ihipStream_tbENKUlT_T0_E_clISt17integral_constantIbLb0EESY_IbLb1EEEEDaSU_SV_EUlSU_E_NS1_11comp_targetILNS1_3genE2ELNS1_11target_archE906ELNS1_3gpuE6ELNS1_3repE0EEENS1_30default_config_static_selectorELNS0_4arch9wavefront6targetE1EEEvT1_,comdat
	.protected	_ZN7rocprim17ROCPRIM_400000_NS6detail17trampoline_kernelINS0_14default_configENS1_33run_length_encode_config_selectorIjjNS0_4plusIjEEEEZZNS1_33reduce_by_key_impl_wrapped_configILNS1_25lookback_scan_determinismE0ES3_S7_PKjNS0_17constant_iteratorIjlEEPjPlSF_S6_NS0_8equal_toIjEEEE10hipError_tPvRmT2_T3_mT4_T5_T6_T7_T8_P12ihipStream_tbENKUlT_T0_E_clISt17integral_constantIbLb0EESY_IbLb1EEEEDaSU_SV_EUlSU_E_NS1_11comp_targetILNS1_3genE2ELNS1_11target_archE906ELNS1_3gpuE6ELNS1_3repE0EEENS1_30default_config_static_selectorELNS0_4arch9wavefront6targetE1EEEvT1_ ; -- Begin function _ZN7rocprim17ROCPRIM_400000_NS6detail17trampoline_kernelINS0_14default_configENS1_33run_length_encode_config_selectorIjjNS0_4plusIjEEEEZZNS1_33reduce_by_key_impl_wrapped_configILNS1_25lookback_scan_determinismE0ES3_S7_PKjNS0_17constant_iteratorIjlEEPjPlSF_S6_NS0_8equal_toIjEEEE10hipError_tPvRmT2_T3_mT4_T5_T6_T7_T8_P12ihipStream_tbENKUlT_T0_E_clISt17integral_constantIbLb0EESY_IbLb1EEEEDaSU_SV_EUlSU_E_NS1_11comp_targetILNS1_3genE2ELNS1_11target_archE906ELNS1_3gpuE6ELNS1_3repE0EEENS1_30default_config_static_selectorELNS0_4arch9wavefront6targetE1EEEvT1_
	.globl	_ZN7rocprim17ROCPRIM_400000_NS6detail17trampoline_kernelINS0_14default_configENS1_33run_length_encode_config_selectorIjjNS0_4plusIjEEEEZZNS1_33reduce_by_key_impl_wrapped_configILNS1_25lookback_scan_determinismE0ES3_S7_PKjNS0_17constant_iteratorIjlEEPjPlSF_S6_NS0_8equal_toIjEEEE10hipError_tPvRmT2_T3_mT4_T5_T6_T7_T8_P12ihipStream_tbENKUlT_T0_E_clISt17integral_constantIbLb0EESY_IbLb1EEEEDaSU_SV_EUlSU_E_NS1_11comp_targetILNS1_3genE2ELNS1_11target_archE906ELNS1_3gpuE6ELNS1_3repE0EEENS1_30default_config_static_selectorELNS0_4arch9wavefront6targetE1EEEvT1_
	.p2align	8
	.type	_ZN7rocprim17ROCPRIM_400000_NS6detail17trampoline_kernelINS0_14default_configENS1_33run_length_encode_config_selectorIjjNS0_4plusIjEEEEZZNS1_33reduce_by_key_impl_wrapped_configILNS1_25lookback_scan_determinismE0ES3_S7_PKjNS0_17constant_iteratorIjlEEPjPlSF_S6_NS0_8equal_toIjEEEE10hipError_tPvRmT2_T3_mT4_T5_T6_T7_T8_P12ihipStream_tbENKUlT_T0_E_clISt17integral_constantIbLb0EESY_IbLb1EEEEDaSU_SV_EUlSU_E_NS1_11comp_targetILNS1_3genE2ELNS1_11target_archE906ELNS1_3gpuE6ELNS1_3repE0EEENS1_30default_config_static_selectorELNS0_4arch9wavefront6targetE1EEEvT1_,@function
_ZN7rocprim17ROCPRIM_400000_NS6detail17trampoline_kernelINS0_14default_configENS1_33run_length_encode_config_selectorIjjNS0_4plusIjEEEEZZNS1_33reduce_by_key_impl_wrapped_configILNS1_25lookback_scan_determinismE0ES3_S7_PKjNS0_17constant_iteratorIjlEEPjPlSF_S6_NS0_8equal_toIjEEEE10hipError_tPvRmT2_T3_mT4_T5_T6_T7_T8_P12ihipStream_tbENKUlT_T0_E_clISt17integral_constantIbLb0EESY_IbLb1EEEEDaSU_SV_EUlSU_E_NS1_11comp_targetILNS1_3genE2ELNS1_11target_archE906ELNS1_3gpuE6ELNS1_3repE0EEENS1_30default_config_static_selectorELNS0_4arch9wavefront6targetE1EEEvT1_: ; @_ZN7rocprim17ROCPRIM_400000_NS6detail17trampoline_kernelINS0_14default_configENS1_33run_length_encode_config_selectorIjjNS0_4plusIjEEEEZZNS1_33reduce_by_key_impl_wrapped_configILNS1_25lookback_scan_determinismE0ES3_S7_PKjNS0_17constant_iteratorIjlEEPjPlSF_S6_NS0_8equal_toIjEEEE10hipError_tPvRmT2_T3_mT4_T5_T6_T7_T8_P12ihipStream_tbENKUlT_T0_E_clISt17integral_constantIbLb0EESY_IbLb1EEEEDaSU_SV_EUlSU_E_NS1_11comp_targetILNS1_3genE2ELNS1_11target_archE906ELNS1_3gpuE6ELNS1_3repE0EEENS1_30default_config_static_selectorELNS0_4arch9wavefront6targetE1EEEvT1_
; %bb.0:
	.section	.rodata,"a",@progbits
	.p2align	6, 0x0
	.amdhsa_kernel _ZN7rocprim17ROCPRIM_400000_NS6detail17trampoline_kernelINS0_14default_configENS1_33run_length_encode_config_selectorIjjNS0_4plusIjEEEEZZNS1_33reduce_by_key_impl_wrapped_configILNS1_25lookback_scan_determinismE0ES3_S7_PKjNS0_17constant_iteratorIjlEEPjPlSF_S6_NS0_8equal_toIjEEEE10hipError_tPvRmT2_T3_mT4_T5_T6_T7_T8_P12ihipStream_tbENKUlT_T0_E_clISt17integral_constantIbLb0EESY_IbLb1EEEEDaSU_SV_EUlSU_E_NS1_11comp_targetILNS1_3genE2ELNS1_11target_archE906ELNS1_3gpuE6ELNS1_3repE0EEENS1_30default_config_static_selectorELNS0_4arch9wavefront6targetE1EEEvT1_
		.amdhsa_group_segment_fixed_size 0
		.amdhsa_private_segment_fixed_size 0
		.amdhsa_kernarg_size 128
		.amdhsa_user_sgpr_count 6
		.amdhsa_user_sgpr_private_segment_buffer 1
		.amdhsa_user_sgpr_dispatch_ptr 0
		.amdhsa_user_sgpr_queue_ptr 0
		.amdhsa_user_sgpr_kernarg_segment_ptr 1
		.amdhsa_user_sgpr_dispatch_id 0
		.amdhsa_user_sgpr_flat_scratch_init 0
		.amdhsa_user_sgpr_kernarg_preload_length 0
		.amdhsa_user_sgpr_kernarg_preload_offset 0
		.amdhsa_user_sgpr_private_segment_size 0
		.amdhsa_uses_dynamic_stack 0
		.amdhsa_system_sgpr_private_segment_wavefront_offset 0
		.amdhsa_system_sgpr_workgroup_id_x 1
		.amdhsa_system_sgpr_workgroup_id_y 0
		.amdhsa_system_sgpr_workgroup_id_z 0
		.amdhsa_system_sgpr_workgroup_info 0
		.amdhsa_system_vgpr_workitem_id 0
		.amdhsa_next_free_vgpr 1
		.amdhsa_next_free_sgpr 0
		.amdhsa_accum_offset 4
		.amdhsa_reserve_vcc 0
		.amdhsa_reserve_flat_scratch 0
		.amdhsa_float_round_mode_32 0
		.amdhsa_float_round_mode_16_64 0
		.amdhsa_float_denorm_mode_32 3
		.amdhsa_float_denorm_mode_16_64 3
		.amdhsa_dx10_clamp 1
		.amdhsa_ieee_mode 1
		.amdhsa_fp16_overflow 0
		.amdhsa_tg_split 0
		.amdhsa_exception_fp_ieee_invalid_op 0
		.amdhsa_exception_fp_denorm_src 0
		.amdhsa_exception_fp_ieee_div_zero 0
		.amdhsa_exception_fp_ieee_overflow 0
		.amdhsa_exception_fp_ieee_underflow 0
		.amdhsa_exception_fp_ieee_inexact 0
		.amdhsa_exception_int_div_zero 0
	.end_amdhsa_kernel
	.section	.text._ZN7rocprim17ROCPRIM_400000_NS6detail17trampoline_kernelINS0_14default_configENS1_33run_length_encode_config_selectorIjjNS0_4plusIjEEEEZZNS1_33reduce_by_key_impl_wrapped_configILNS1_25lookback_scan_determinismE0ES3_S7_PKjNS0_17constant_iteratorIjlEEPjPlSF_S6_NS0_8equal_toIjEEEE10hipError_tPvRmT2_T3_mT4_T5_T6_T7_T8_P12ihipStream_tbENKUlT_T0_E_clISt17integral_constantIbLb0EESY_IbLb1EEEEDaSU_SV_EUlSU_E_NS1_11comp_targetILNS1_3genE2ELNS1_11target_archE906ELNS1_3gpuE6ELNS1_3repE0EEENS1_30default_config_static_selectorELNS0_4arch9wavefront6targetE1EEEvT1_,"axG",@progbits,_ZN7rocprim17ROCPRIM_400000_NS6detail17trampoline_kernelINS0_14default_configENS1_33run_length_encode_config_selectorIjjNS0_4plusIjEEEEZZNS1_33reduce_by_key_impl_wrapped_configILNS1_25lookback_scan_determinismE0ES3_S7_PKjNS0_17constant_iteratorIjlEEPjPlSF_S6_NS0_8equal_toIjEEEE10hipError_tPvRmT2_T3_mT4_T5_T6_T7_T8_P12ihipStream_tbENKUlT_T0_E_clISt17integral_constantIbLb0EESY_IbLb1EEEEDaSU_SV_EUlSU_E_NS1_11comp_targetILNS1_3genE2ELNS1_11target_archE906ELNS1_3gpuE6ELNS1_3repE0EEENS1_30default_config_static_selectorELNS0_4arch9wavefront6targetE1EEEvT1_,comdat
.Lfunc_end680:
	.size	_ZN7rocprim17ROCPRIM_400000_NS6detail17trampoline_kernelINS0_14default_configENS1_33run_length_encode_config_selectorIjjNS0_4plusIjEEEEZZNS1_33reduce_by_key_impl_wrapped_configILNS1_25lookback_scan_determinismE0ES3_S7_PKjNS0_17constant_iteratorIjlEEPjPlSF_S6_NS0_8equal_toIjEEEE10hipError_tPvRmT2_T3_mT4_T5_T6_T7_T8_P12ihipStream_tbENKUlT_T0_E_clISt17integral_constantIbLb0EESY_IbLb1EEEEDaSU_SV_EUlSU_E_NS1_11comp_targetILNS1_3genE2ELNS1_11target_archE906ELNS1_3gpuE6ELNS1_3repE0EEENS1_30default_config_static_selectorELNS0_4arch9wavefront6targetE1EEEvT1_, .Lfunc_end680-_ZN7rocprim17ROCPRIM_400000_NS6detail17trampoline_kernelINS0_14default_configENS1_33run_length_encode_config_selectorIjjNS0_4plusIjEEEEZZNS1_33reduce_by_key_impl_wrapped_configILNS1_25lookback_scan_determinismE0ES3_S7_PKjNS0_17constant_iteratorIjlEEPjPlSF_S6_NS0_8equal_toIjEEEE10hipError_tPvRmT2_T3_mT4_T5_T6_T7_T8_P12ihipStream_tbENKUlT_T0_E_clISt17integral_constantIbLb0EESY_IbLb1EEEEDaSU_SV_EUlSU_E_NS1_11comp_targetILNS1_3genE2ELNS1_11target_archE906ELNS1_3gpuE6ELNS1_3repE0EEENS1_30default_config_static_selectorELNS0_4arch9wavefront6targetE1EEEvT1_
                                        ; -- End function
	.section	.AMDGPU.csdata,"",@progbits
; Kernel info:
; codeLenInByte = 0
; NumSgprs: 4
; NumVgprs: 0
; NumAgprs: 0
; TotalNumVgprs: 0
; ScratchSize: 0
; MemoryBound: 0
; FloatMode: 240
; IeeeMode: 1
; LDSByteSize: 0 bytes/workgroup (compile time only)
; SGPRBlocks: 0
; VGPRBlocks: 0
; NumSGPRsForWavesPerEU: 4
; NumVGPRsForWavesPerEU: 1
; AccumOffset: 4
; Occupancy: 8
; WaveLimiterHint : 0
; COMPUTE_PGM_RSRC2:SCRATCH_EN: 0
; COMPUTE_PGM_RSRC2:USER_SGPR: 6
; COMPUTE_PGM_RSRC2:TRAP_HANDLER: 0
; COMPUTE_PGM_RSRC2:TGID_X_EN: 1
; COMPUTE_PGM_RSRC2:TGID_Y_EN: 0
; COMPUTE_PGM_RSRC2:TGID_Z_EN: 0
; COMPUTE_PGM_RSRC2:TIDIG_COMP_CNT: 0
; COMPUTE_PGM_RSRC3_GFX90A:ACCUM_OFFSET: 0
; COMPUTE_PGM_RSRC3_GFX90A:TG_SPLIT: 0
	.section	.text._ZN7rocprim17ROCPRIM_400000_NS6detail17trampoline_kernelINS0_14default_configENS1_33run_length_encode_config_selectorIjjNS0_4plusIjEEEEZZNS1_33reduce_by_key_impl_wrapped_configILNS1_25lookback_scan_determinismE0ES3_S7_PKjNS0_17constant_iteratorIjlEEPjPlSF_S6_NS0_8equal_toIjEEEE10hipError_tPvRmT2_T3_mT4_T5_T6_T7_T8_P12ihipStream_tbENKUlT_T0_E_clISt17integral_constantIbLb0EESY_IbLb1EEEEDaSU_SV_EUlSU_E_NS1_11comp_targetILNS1_3genE10ELNS1_11target_archE1201ELNS1_3gpuE5ELNS1_3repE0EEENS1_30default_config_static_selectorELNS0_4arch9wavefront6targetE1EEEvT1_,"axG",@progbits,_ZN7rocprim17ROCPRIM_400000_NS6detail17trampoline_kernelINS0_14default_configENS1_33run_length_encode_config_selectorIjjNS0_4plusIjEEEEZZNS1_33reduce_by_key_impl_wrapped_configILNS1_25lookback_scan_determinismE0ES3_S7_PKjNS0_17constant_iteratorIjlEEPjPlSF_S6_NS0_8equal_toIjEEEE10hipError_tPvRmT2_T3_mT4_T5_T6_T7_T8_P12ihipStream_tbENKUlT_T0_E_clISt17integral_constantIbLb0EESY_IbLb1EEEEDaSU_SV_EUlSU_E_NS1_11comp_targetILNS1_3genE10ELNS1_11target_archE1201ELNS1_3gpuE5ELNS1_3repE0EEENS1_30default_config_static_selectorELNS0_4arch9wavefront6targetE1EEEvT1_,comdat
	.protected	_ZN7rocprim17ROCPRIM_400000_NS6detail17trampoline_kernelINS0_14default_configENS1_33run_length_encode_config_selectorIjjNS0_4plusIjEEEEZZNS1_33reduce_by_key_impl_wrapped_configILNS1_25lookback_scan_determinismE0ES3_S7_PKjNS0_17constant_iteratorIjlEEPjPlSF_S6_NS0_8equal_toIjEEEE10hipError_tPvRmT2_T3_mT4_T5_T6_T7_T8_P12ihipStream_tbENKUlT_T0_E_clISt17integral_constantIbLb0EESY_IbLb1EEEEDaSU_SV_EUlSU_E_NS1_11comp_targetILNS1_3genE10ELNS1_11target_archE1201ELNS1_3gpuE5ELNS1_3repE0EEENS1_30default_config_static_selectorELNS0_4arch9wavefront6targetE1EEEvT1_ ; -- Begin function _ZN7rocprim17ROCPRIM_400000_NS6detail17trampoline_kernelINS0_14default_configENS1_33run_length_encode_config_selectorIjjNS0_4plusIjEEEEZZNS1_33reduce_by_key_impl_wrapped_configILNS1_25lookback_scan_determinismE0ES3_S7_PKjNS0_17constant_iteratorIjlEEPjPlSF_S6_NS0_8equal_toIjEEEE10hipError_tPvRmT2_T3_mT4_T5_T6_T7_T8_P12ihipStream_tbENKUlT_T0_E_clISt17integral_constantIbLb0EESY_IbLb1EEEEDaSU_SV_EUlSU_E_NS1_11comp_targetILNS1_3genE10ELNS1_11target_archE1201ELNS1_3gpuE5ELNS1_3repE0EEENS1_30default_config_static_selectorELNS0_4arch9wavefront6targetE1EEEvT1_
	.globl	_ZN7rocprim17ROCPRIM_400000_NS6detail17trampoline_kernelINS0_14default_configENS1_33run_length_encode_config_selectorIjjNS0_4plusIjEEEEZZNS1_33reduce_by_key_impl_wrapped_configILNS1_25lookback_scan_determinismE0ES3_S7_PKjNS0_17constant_iteratorIjlEEPjPlSF_S6_NS0_8equal_toIjEEEE10hipError_tPvRmT2_T3_mT4_T5_T6_T7_T8_P12ihipStream_tbENKUlT_T0_E_clISt17integral_constantIbLb0EESY_IbLb1EEEEDaSU_SV_EUlSU_E_NS1_11comp_targetILNS1_3genE10ELNS1_11target_archE1201ELNS1_3gpuE5ELNS1_3repE0EEENS1_30default_config_static_selectorELNS0_4arch9wavefront6targetE1EEEvT1_
	.p2align	8
	.type	_ZN7rocprim17ROCPRIM_400000_NS6detail17trampoline_kernelINS0_14default_configENS1_33run_length_encode_config_selectorIjjNS0_4plusIjEEEEZZNS1_33reduce_by_key_impl_wrapped_configILNS1_25lookback_scan_determinismE0ES3_S7_PKjNS0_17constant_iteratorIjlEEPjPlSF_S6_NS0_8equal_toIjEEEE10hipError_tPvRmT2_T3_mT4_T5_T6_T7_T8_P12ihipStream_tbENKUlT_T0_E_clISt17integral_constantIbLb0EESY_IbLb1EEEEDaSU_SV_EUlSU_E_NS1_11comp_targetILNS1_3genE10ELNS1_11target_archE1201ELNS1_3gpuE5ELNS1_3repE0EEENS1_30default_config_static_selectorELNS0_4arch9wavefront6targetE1EEEvT1_,@function
_ZN7rocprim17ROCPRIM_400000_NS6detail17trampoline_kernelINS0_14default_configENS1_33run_length_encode_config_selectorIjjNS0_4plusIjEEEEZZNS1_33reduce_by_key_impl_wrapped_configILNS1_25lookback_scan_determinismE0ES3_S7_PKjNS0_17constant_iteratorIjlEEPjPlSF_S6_NS0_8equal_toIjEEEE10hipError_tPvRmT2_T3_mT4_T5_T6_T7_T8_P12ihipStream_tbENKUlT_T0_E_clISt17integral_constantIbLb0EESY_IbLb1EEEEDaSU_SV_EUlSU_E_NS1_11comp_targetILNS1_3genE10ELNS1_11target_archE1201ELNS1_3gpuE5ELNS1_3repE0EEENS1_30default_config_static_selectorELNS0_4arch9wavefront6targetE1EEEvT1_: ; @_ZN7rocprim17ROCPRIM_400000_NS6detail17trampoline_kernelINS0_14default_configENS1_33run_length_encode_config_selectorIjjNS0_4plusIjEEEEZZNS1_33reduce_by_key_impl_wrapped_configILNS1_25lookback_scan_determinismE0ES3_S7_PKjNS0_17constant_iteratorIjlEEPjPlSF_S6_NS0_8equal_toIjEEEE10hipError_tPvRmT2_T3_mT4_T5_T6_T7_T8_P12ihipStream_tbENKUlT_T0_E_clISt17integral_constantIbLb0EESY_IbLb1EEEEDaSU_SV_EUlSU_E_NS1_11comp_targetILNS1_3genE10ELNS1_11target_archE1201ELNS1_3gpuE5ELNS1_3repE0EEENS1_30default_config_static_selectorELNS0_4arch9wavefront6targetE1EEEvT1_
; %bb.0:
	.section	.rodata,"a",@progbits
	.p2align	6, 0x0
	.amdhsa_kernel _ZN7rocprim17ROCPRIM_400000_NS6detail17trampoline_kernelINS0_14default_configENS1_33run_length_encode_config_selectorIjjNS0_4plusIjEEEEZZNS1_33reduce_by_key_impl_wrapped_configILNS1_25lookback_scan_determinismE0ES3_S7_PKjNS0_17constant_iteratorIjlEEPjPlSF_S6_NS0_8equal_toIjEEEE10hipError_tPvRmT2_T3_mT4_T5_T6_T7_T8_P12ihipStream_tbENKUlT_T0_E_clISt17integral_constantIbLb0EESY_IbLb1EEEEDaSU_SV_EUlSU_E_NS1_11comp_targetILNS1_3genE10ELNS1_11target_archE1201ELNS1_3gpuE5ELNS1_3repE0EEENS1_30default_config_static_selectorELNS0_4arch9wavefront6targetE1EEEvT1_
		.amdhsa_group_segment_fixed_size 0
		.amdhsa_private_segment_fixed_size 0
		.amdhsa_kernarg_size 128
		.amdhsa_user_sgpr_count 6
		.amdhsa_user_sgpr_private_segment_buffer 1
		.amdhsa_user_sgpr_dispatch_ptr 0
		.amdhsa_user_sgpr_queue_ptr 0
		.amdhsa_user_sgpr_kernarg_segment_ptr 1
		.amdhsa_user_sgpr_dispatch_id 0
		.amdhsa_user_sgpr_flat_scratch_init 0
		.amdhsa_user_sgpr_kernarg_preload_length 0
		.amdhsa_user_sgpr_kernarg_preload_offset 0
		.amdhsa_user_sgpr_private_segment_size 0
		.amdhsa_uses_dynamic_stack 0
		.amdhsa_system_sgpr_private_segment_wavefront_offset 0
		.amdhsa_system_sgpr_workgroup_id_x 1
		.amdhsa_system_sgpr_workgroup_id_y 0
		.amdhsa_system_sgpr_workgroup_id_z 0
		.amdhsa_system_sgpr_workgroup_info 0
		.amdhsa_system_vgpr_workitem_id 0
		.amdhsa_next_free_vgpr 1
		.amdhsa_next_free_sgpr 0
		.amdhsa_accum_offset 4
		.amdhsa_reserve_vcc 0
		.amdhsa_reserve_flat_scratch 0
		.amdhsa_float_round_mode_32 0
		.amdhsa_float_round_mode_16_64 0
		.amdhsa_float_denorm_mode_32 3
		.amdhsa_float_denorm_mode_16_64 3
		.amdhsa_dx10_clamp 1
		.amdhsa_ieee_mode 1
		.amdhsa_fp16_overflow 0
		.amdhsa_tg_split 0
		.amdhsa_exception_fp_ieee_invalid_op 0
		.amdhsa_exception_fp_denorm_src 0
		.amdhsa_exception_fp_ieee_div_zero 0
		.amdhsa_exception_fp_ieee_overflow 0
		.amdhsa_exception_fp_ieee_underflow 0
		.amdhsa_exception_fp_ieee_inexact 0
		.amdhsa_exception_int_div_zero 0
	.end_amdhsa_kernel
	.section	.text._ZN7rocprim17ROCPRIM_400000_NS6detail17trampoline_kernelINS0_14default_configENS1_33run_length_encode_config_selectorIjjNS0_4plusIjEEEEZZNS1_33reduce_by_key_impl_wrapped_configILNS1_25lookback_scan_determinismE0ES3_S7_PKjNS0_17constant_iteratorIjlEEPjPlSF_S6_NS0_8equal_toIjEEEE10hipError_tPvRmT2_T3_mT4_T5_T6_T7_T8_P12ihipStream_tbENKUlT_T0_E_clISt17integral_constantIbLb0EESY_IbLb1EEEEDaSU_SV_EUlSU_E_NS1_11comp_targetILNS1_3genE10ELNS1_11target_archE1201ELNS1_3gpuE5ELNS1_3repE0EEENS1_30default_config_static_selectorELNS0_4arch9wavefront6targetE1EEEvT1_,"axG",@progbits,_ZN7rocprim17ROCPRIM_400000_NS6detail17trampoline_kernelINS0_14default_configENS1_33run_length_encode_config_selectorIjjNS0_4plusIjEEEEZZNS1_33reduce_by_key_impl_wrapped_configILNS1_25lookback_scan_determinismE0ES3_S7_PKjNS0_17constant_iteratorIjlEEPjPlSF_S6_NS0_8equal_toIjEEEE10hipError_tPvRmT2_T3_mT4_T5_T6_T7_T8_P12ihipStream_tbENKUlT_T0_E_clISt17integral_constantIbLb0EESY_IbLb1EEEEDaSU_SV_EUlSU_E_NS1_11comp_targetILNS1_3genE10ELNS1_11target_archE1201ELNS1_3gpuE5ELNS1_3repE0EEENS1_30default_config_static_selectorELNS0_4arch9wavefront6targetE1EEEvT1_,comdat
.Lfunc_end681:
	.size	_ZN7rocprim17ROCPRIM_400000_NS6detail17trampoline_kernelINS0_14default_configENS1_33run_length_encode_config_selectorIjjNS0_4plusIjEEEEZZNS1_33reduce_by_key_impl_wrapped_configILNS1_25lookback_scan_determinismE0ES3_S7_PKjNS0_17constant_iteratorIjlEEPjPlSF_S6_NS0_8equal_toIjEEEE10hipError_tPvRmT2_T3_mT4_T5_T6_T7_T8_P12ihipStream_tbENKUlT_T0_E_clISt17integral_constantIbLb0EESY_IbLb1EEEEDaSU_SV_EUlSU_E_NS1_11comp_targetILNS1_3genE10ELNS1_11target_archE1201ELNS1_3gpuE5ELNS1_3repE0EEENS1_30default_config_static_selectorELNS0_4arch9wavefront6targetE1EEEvT1_, .Lfunc_end681-_ZN7rocprim17ROCPRIM_400000_NS6detail17trampoline_kernelINS0_14default_configENS1_33run_length_encode_config_selectorIjjNS0_4plusIjEEEEZZNS1_33reduce_by_key_impl_wrapped_configILNS1_25lookback_scan_determinismE0ES3_S7_PKjNS0_17constant_iteratorIjlEEPjPlSF_S6_NS0_8equal_toIjEEEE10hipError_tPvRmT2_T3_mT4_T5_T6_T7_T8_P12ihipStream_tbENKUlT_T0_E_clISt17integral_constantIbLb0EESY_IbLb1EEEEDaSU_SV_EUlSU_E_NS1_11comp_targetILNS1_3genE10ELNS1_11target_archE1201ELNS1_3gpuE5ELNS1_3repE0EEENS1_30default_config_static_selectorELNS0_4arch9wavefront6targetE1EEEvT1_
                                        ; -- End function
	.section	.AMDGPU.csdata,"",@progbits
; Kernel info:
; codeLenInByte = 0
; NumSgprs: 4
; NumVgprs: 0
; NumAgprs: 0
; TotalNumVgprs: 0
; ScratchSize: 0
; MemoryBound: 0
; FloatMode: 240
; IeeeMode: 1
; LDSByteSize: 0 bytes/workgroup (compile time only)
; SGPRBlocks: 0
; VGPRBlocks: 0
; NumSGPRsForWavesPerEU: 4
; NumVGPRsForWavesPerEU: 1
; AccumOffset: 4
; Occupancy: 8
; WaveLimiterHint : 0
; COMPUTE_PGM_RSRC2:SCRATCH_EN: 0
; COMPUTE_PGM_RSRC2:USER_SGPR: 6
; COMPUTE_PGM_RSRC2:TRAP_HANDLER: 0
; COMPUTE_PGM_RSRC2:TGID_X_EN: 1
; COMPUTE_PGM_RSRC2:TGID_Y_EN: 0
; COMPUTE_PGM_RSRC2:TGID_Z_EN: 0
; COMPUTE_PGM_RSRC2:TIDIG_COMP_CNT: 0
; COMPUTE_PGM_RSRC3_GFX90A:ACCUM_OFFSET: 0
; COMPUTE_PGM_RSRC3_GFX90A:TG_SPLIT: 0
	.section	.text._ZN7rocprim17ROCPRIM_400000_NS6detail17trampoline_kernelINS0_14default_configENS1_33run_length_encode_config_selectorIjjNS0_4plusIjEEEEZZNS1_33reduce_by_key_impl_wrapped_configILNS1_25lookback_scan_determinismE0ES3_S7_PKjNS0_17constant_iteratorIjlEEPjPlSF_S6_NS0_8equal_toIjEEEE10hipError_tPvRmT2_T3_mT4_T5_T6_T7_T8_P12ihipStream_tbENKUlT_T0_E_clISt17integral_constantIbLb0EESY_IbLb1EEEEDaSU_SV_EUlSU_E_NS1_11comp_targetILNS1_3genE10ELNS1_11target_archE1200ELNS1_3gpuE4ELNS1_3repE0EEENS1_30default_config_static_selectorELNS0_4arch9wavefront6targetE1EEEvT1_,"axG",@progbits,_ZN7rocprim17ROCPRIM_400000_NS6detail17trampoline_kernelINS0_14default_configENS1_33run_length_encode_config_selectorIjjNS0_4plusIjEEEEZZNS1_33reduce_by_key_impl_wrapped_configILNS1_25lookback_scan_determinismE0ES3_S7_PKjNS0_17constant_iteratorIjlEEPjPlSF_S6_NS0_8equal_toIjEEEE10hipError_tPvRmT2_T3_mT4_T5_T6_T7_T8_P12ihipStream_tbENKUlT_T0_E_clISt17integral_constantIbLb0EESY_IbLb1EEEEDaSU_SV_EUlSU_E_NS1_11comp_targetILNS1_3genE10ELNS1_11target_archE1200ELNS1_3gpuE4ELNS1_3repE0EEENS1_30default_config_static_selectorELNS0_4arch9wavefront6targetE1EEEvT1_,comdat
	.protected	_ZN7rocprim17ROCPRIM_400000_NS6detail17trampoline_kernelINS0_14default_configENS1_33run_length_encode_config_selectorIjjNS0_4plusIjEEEEZZNS1_33reduce_by_key_impl_wrapped_configILNS1_25lookback_scan_determinismE0ES3_S7_PKjNS0_17constant_iteratorIjlEEPjPlSF_S6_NS0_8equal_toIjEEEE10hipError_tPvRmT2_T3_mT4_T5_T6_T7_T8_P12ihipStream_tbENKUlT_T0_E_clISt17integral_constantIbLb0EESY_IbLb1EEEEDaSU_SV_EUlSU_E_NS1_11comp_targetILNS1_3genE10ELNS1_11target_archE1200ELNS1_3gpuE4ELNS1_3repE0EEENS1_30default_config_static_selectorELNS0_4arch9wavefront6targetE1EEEvT1_ ; -- Begin function _ZN7rocprim17ROCPRIM_400000_NS6detail17trampoline_kernelINS0_14default_configENS1_33run_length_encode_config_selectorIjjNS0_4plusIjEEEEZZNS1_33reduce_by_key_impl_wrapped_configILNS1_25lookback_scan_determinismE0ES3_S7_PKjNS0_17constant_iteratorIjlEEPjPlSF_S6_NS0_8equal_toIjEEEE10hipError_tPvRmT2_T3_mT4_T5_T6_T7_T8_P12ihipStream_tbENKUlT_T0_E_clISt17integral_constantIbLb0EESY_IbLb1EEEEDaSU_SV_EUlSU_E_NS1_11comp_targetILNS1_3genE10ELNS1_11target_archE1200ELNS1_3gpuE4ELNS1_3repE0EEENS1_30default_config_static_selectorELNS0_4arch9wavefront6targetE1EEEvT1_
	.globl	_ZN7rocprim17ROCPRIM_400000_NS6detail17trampoline_kernelINS0_14default_configENS1_33run_length_encode_config_selectorIjjNS0_4plusIjEEEEZZNS1_33reduce_by_key_impl_wrapped_configILNS1_25lookback_scan_determinismE0ES3_S7_PKjNS0_17constant_iteratorIjlEEPjPlSF_S6_NS0_8equal_toIjEEEE10hipError_tPvRmT2_T3_mT4_T5_T6_T7_T8_P12ihipStream_tbENKUlT_T0_E_clISt17integral_constantIbLb0EESY_IbLb1EEEEDaSU_SV_EUlSU_E_NS1_11comp_targetILNS1_3genE10ELNS1_11target_archE1200ELNS1_3gpuE4ELNS1_3repE0EEENS1_30default_config_static_selectorELNS0_4arch9wavefront6targetE1EEEvT1_
	.p2align	8
	.type	_ZN7rocprim17ROCPRIM_400000_NS6detail17trampoline_kernelINS0_14default_configENS1_33run_length_encode_config_selectorIjjNS0_4plusIjEEEEZZNS1_33reduce_by_key_impl_wrapped_configILNS1_25lookback_scan_determinismE0ES3_S7_PKjNS0_17constant_iteratorIjlEEPjPlSF_S6_NS0_8equal_toIjEEEE10hipError_tPvRmT2_T3_mT4_T5_T6_T7_T8_P12ihipStream_tbENKUlT_T0_E_clISt17integral_constantIbLb0EESY_IbLb1EEEEDaSU_SV_EUlSU_E_NS1_11comp_targetILNS1_3genE10ELNS1_11target_archE1200ELNS1_3gpuE4ELNS1_3repE0EEENS1_30default_config_static_selectorELNS0_4arch9wavefront6targetE1EEEvT1_,@function
_ZN7rocprim17ROCPRIM_400000_NS6detail17trampoline_kernelINS0_14default_configENS1_33run_length_encode_config_selectorIjjNS0_4plusIjEEEEZZNS1_33reduce_by_key_impl_wrapped_configILNS1_25lookback_scan_determinismE0ES3_S7_PKjNS0_17constant_iteratorIjlEEPjPlSF_S6_NS0_8equal_toIjEEEE10hipError_tPvRmT2_T3_mT4_T5_T6_T7_T8_P12ihipStream_tbENKUlT_T0_E_clISt17integral_constantIbLb0EESY_IbLb1EEEEDaSU_SV_EUlSU_E_NS1_11comp_targetILNS1_3genE10ELNS1_11target_archE1200ELNS1_3gpuE4ELNS1_3repE0EEENS1_30default_config_static_selectorELNS0_4arch9wavefront6targetE1EEEvT1_: ; @_ZN7rocprim17ROCPRIM_400000_NS6detail17trampoline_kernelINS0_14default_configENS1_33run_length_encode_config_selectorIjjNS0_4plusIjEEEEZZNS1_33reduce_by_key_impl_wrapped_configILNS1_25lookback_scan_determinismE0ES3_S7_PKjNS0_17constant_iteratorIjlEEPjPlSF_S6_NS0_8equal_toIjEEEE10hipError_tPvRmT2_T3_mT4_T5_T6_T7_T8_P12ihipStream_tbENKUlT_T0_E_clISt17integral_constantIbLb0EESY_IbLb1EEEEDaSU_SV_EUlSU_E_NS1_11comp_targetILNS1_3genE10ELNS1_11target_archE1200ELNS1_3gpuE4ELNS1_3repE0EEENS1_30default_config_static_selectorELNS0_4arch9wavefront6targetE1EEEvT1_
; %bb.0:
	.section	.rodata,"a",@progbits
	.p2align	6, 0x0
	.amdhsa_kernel _ZN7rocprim17ROCPRIM_400000_NS6detail17trampoline_kernelINS0_14default_configENS1_33run_length_encode_config_selectorIjjNS0_4plusIjEEEEZZNS1_33reduce_by_key_impl_wrapped_configILNS1_25lookback_scan_determinismE0ES3_S7_PKjNS0_17constant_iteratorIjlEEPjPlSF_S6_NS0_8equal_toIjEEEE10hipError_tPvRmT2_T3_mT4_T5_T6_T7_T8_P12ihipStream_tbENKUlT_T0_E_clISt17integral_constantIbLb0EESY_IbLb1EEEEDaSU_SV_EUlSU_E_NS1_11comp_targetILNS1_3genE10ELNS1_11target_archE1200ELNS1_3gpuE4ELNS1_3repE0EEENS1_30default_config_static_selectorELNS0_4arch9wavefront6targetE1EEEvT1_
		.amdhsa_group_segment_fixed_size 0
		.amdhsa_private_segment_fixed_size 0
		.amdhsa_kernarg_size 128
		.amdhsa_user_sgpr_count 6
		.amdhsa_user_sgpr_private_segment_buffer 1
		.amdhsa_user_sgpr_dispatch_ptr 0
		.amdhsa_user_sgpr_queue_ptr 0
		.amdhsa_user_sgpr_kernarg_segment_ptr 1
		.amdhsa_user_sgpr_dispatch_id 0
		.amdhsa_user_sgpr_flat_scratch_init 0
		.amdhsa_user_sgpr_kernarg_preload_length 0
		.amdhsa_user_sgpr_kernarg_preload_offset 0
		.amdhsa_user_sgpr_private_segment_size 0
		.amdhsa_uses_dynamic_stack 0
		.amdhsa_system_sgpr_private_segment_wavefront_offset 0
		.amdhsa_system_sgpr_workgroup_id_x 1
		.amdhsa_system_sgpr_workgroup_id_y 0
		.amdhsa_system_sgpr_workgroup_id_z 0
		.amdhsa_system_sgpr_workgroup_info 0
		.amdhsa_system_vgpr_workitem_id 0
		.amdhsa_next_free_vgpr 1
		.amdhsa_next_free_sgpr 0
		.amdhsa_accum_offset 4
		.amdhsa_reserve_vcc 0
		.amdhsa_reserve_flat_scratch 0
		.amdhsa_float_round_mode_32 0
		.amdhsa_float_round_mode_16_64 0
		.amdhsa_float_denorm_mode_32 3
		.amdhsa_float_denorm_mode_16_64 3
		.amdhsa_dx10_clamp 1
		.amdhsa_ieee_mode 1
		.amdhsa_fp16_overflow 0
		.amdhsa_tg_split 0
		.amdhsa_exception_fp_ieee_invalid_op 0
		.amdhsa_exception_fp_denorm_src 0
		.amdhsa_exception_fp_ieee_div_zero 0
		.amdhsa_exception_fp_ieee_overflow 0
		.amdhsa_exception_fp_ieee_underflow 0
		.amdhsa_exception_fp_ieee_inexact 0
		.amdhsa_exception_int_div_zero 0
	.end_amdhsa_kernel
	.section	.text._ZN7rocprim17ROCPRIM_400000_NS6detail17trampoline_kernelINS0_14default_configENS1_33run_length_encode_config_selectorIjjNS0_4plusIjEEEEZZNS1_33reduce_by_key_impl_wrapped_configILNS1_25lookback_scan_determinismE0ES3_S7_PKjNS0_17constant_iteratorIjlEEPjPlSF_S6_NS0_8equal_toIjEEEE10hipError_tPvRmT2_T3_mT4_T5_T6_T7_T8_P12ihipStream_tbENKUlT_T0_E_clISt17integral_constantIbLb0EESY_IbLb1EEEEDaSU_SV_EUlSU_E_NS1_11comp_targetILNS1_3genE10ELNS1_11target_archE1200ELNS1_3gpuE4ELNS1_3repE0EEENS1_30default_config_static_selectorELNS0_4arch9wavefront6targetE1EEEvT1_,"axG",@progbits,_ZN7rocprim17ROCPRIM_400000_NS6detail17trampoline_kernelINS0_14default_configENS1_33run_length_encode_config_selectorIjjNS0_4plusIjEEEEZZNS1_33reduce_by_key_impl_wrapped_configILNS1_25lookback_scan_determinismE0ES3_S7_PKjNS0_17constant_iteratorIjlEEPjPlSF_S6_NS0_8equal_toIjEEEE10hipError_tPvRmT2_T3_mT4_T5_T6_T7_T8_P12ihipStream_tbENKUlT_T0_E_clISt17integral_constantIbLb0EESY_IbLb1EEEEDaSU_SV_EUlSU_E_NS1_11comp_targetILNS1_3genE10ELNS1_11target_archE1200ELNS1_3gpuE4ELNS1_3repE0EEENS1_30default_config_static_selectorELNS0_4arch9wavefront6targetE1EEEvT1_,comdat
.Lfunc_end682:
	.size	_ZN7rocprim17ROCPRIM_400000_NS6detail17trampoline_kernelINS0_14default_configENS1_33run_length_encode_config_selectorIjjNS0_4plusIjEEEEZZNS1_33reduce_by_key_impl_wrapped_configILNS1_25lookback_scan_determinismE0ES3_S7_PKjNS0_17constant_iteratorIjlEEPjPlSF_S6_NS0_8equal_toIjEEEE10hipError_tPvRmT2_T3_mT4_T5_T6_T7_T8_P12ihipStream_tbENKUlT_T0_E_clISt17integral_constantIbLb0EESY_IbLb1EEEEDaSU_SV_EUlSU_E_NS1_11comp_targetILNS1_3genE10ELNS1_11target_archE1200ELNS1_3gpuE4ELNS1_3repE0EEENS1_30default_config_static_selectorELNS0_4arch9wavefront6targetE1EEEvT1_, .Lfunc_end682-_ZN7rocprim17ROCPRIM_400000_NS6detail17trampoline_kernelINS0_14default_configENS1_33run_length_encode_config_selectorIjjNS0_4plusIjEEEEZZNS1_33reduce_by_key_impl_wrapped_configILNS1_25lookback_scan_determinismE0ES3_S7_PKjNS0_17constant_iteratorIjlEEPjPlSF_S6_NS0_8equal_toIjEEEE10hipError_tPvRmT2_T3_mT4_T5_T6_T7_T8_P12ihipStream_tbENKUlT_T0_E_clISt17integral_constantIbLb0EESY_IbLb1EEEEDaSU_SV_EUlSU_E_NS1_11comp_targetILNS1_3genE10ELNS1_11target_archE1200ELNS1_3gpuE4ELNS1_3repE0EEENS1_30default_config_static_selectorELNS0_4arch9wavefront6targetE1EEEvT1_
                                        ; -- End function
	.section	.AMDGPU.csdata,"",@progbits
; Kernel info:
; codeLenInByte = 0
; NumSgprs: 4
; NumVgprs: 0
; NumAgprs: 0
; TotalNumVgprs: 0
; ScratchSize: 0
; MemoryBound: 0
; FloatMode: 240
; IeeeMode: 1
; LDSByteSize: 0 bytes/workgroup (compile time only)
; SGPRBlocks: 0
; VGPRBlocks: 0
; NumSGPRsForWavesPerEU: 4
; NumVGPRsForWavesPerEU: 1
; AccumOffset: 4
; Occupancy: 8
; WaveLimiterHint : 0
; COMPUTE_PGM_RSRC2:SCRATCH_EN: 0
; COMPUTE_PGM_RSRC2:USER_SGPR: 6
; COMPUTE_PGM_RSRC2:TRAP_HANDLER: 0
; COMPUTE_PGM_RSRC2:TGID_X_EN: 1
; COMPUTE_PGM_RSRC2:TGID_Y_EN: 0
; COMPUTE_PGM_RSRC2:TGID_Z_EN: 0
; COMPUTE_PGM_RSRC2:TIDIG_COMP_CNT: 0
; COMPUTE_PGM_RSRC3_GFX90A:ACCUM_OFFSET: 0
; COMPUTE_PGM_RSRC3_GFX90A:TG_SPLIT: 0
	.section	.text._ZN7rocprim17ROCPRIM_400000_NS6detail17trampoline_kernelINS0_14default_configENS1_33run_length_encode_config_selectorIjjNS0_4plusIjEEEEZZNS1_33reduce_by_key_impl_wrapped_configILNS1_25lookback_scan_determinismE0ES3_S7_PKjNS0_17constant_iteratorIjlEEPjPlSF_S6_NS0_8equal_toIjEEEE10hipError_tPvRmT2_T3_mT4_T5_T6_T7_T8_P12ihipStream_tbENKUlT_T0_E_clISt17integral_constantIbLb0EESY_IbLb1EEEEDaSU_SV_EUlSU_E_NS1_11comp_targetILNS1_3genE9ELNS1_11target_archE1100ELNS1_3gpuE3ELNS1_3repE0EEENS1_30default_config_static_selectorELNS0_4arch9wavefront6targetE1EEEvT1_,"axG",@progbits,_ZN7rocprim17ROCPRIM_400000_NS6detail17trampoline_kernelINS0_14default_configENS1_33run_length_encode_config_selectorIjjNS0_4plusIjEEEEZZNS1_33reduce_by_key_impl_wrapped_configILNS1_25lookback_scan_determinismE0ES3_S7_PKjNS0_17constant_iteratorIjlEEPjPlSF_S6_NS0_8equal_toIjEEEE10hipError_tPvRmT2_T3_mT4_T5_T6_T7_T8_P12ihipStream_tbENKUlT_T0_E_clISt17integral_constantIbLb0EESY_IbLb1EEEEDaSU_SV_EUlSU_E_NS1_11comp_targetILNS1_3genE9ELNS1_11target_archE1100ELNS1_3gpuE3ELNS1_3repE0EEENS1_30default_config_static_selectorELNS0_4arch9wavefront6targetE1EEEvT1_,comdat
	.protected	_ZN7rocprim17ROCPRIM_400000_NS6detail17trampoline_kernelINS0_14default_configENS1_33run_length_encode_config_selectorIjjNS0_4plusIjEEEEZZNS1_33reduce_by_key_impl_wrapped_configILNS1_25lookback_scan_determinismE0ES3_S7_PKjNS0_17constant_iteratorIjlEEPjPlSF_S6_NS0_8equal_toIjEEEE10hipError_tPvRmT2_T3_mT4_T5_T6_T7_T8_P12ihipStream_tbENKUlT_T0_E_clISt17integral_constantIbLb0EESY_IbLb1EEEEDaSU_SV_EUlSU_E_NS1_11comp_targetILNS1_3genE9ELNS1_11target_archE1100ELNS1_3gpuE3ELNS1_3repE0EEENS1_30default_config_static_selectorELNS0_4arch9wavefront6targetE1EEEvT1_ ; -- Begin function _ZN7rocprim17ROCPRIM_400000_NS6detail17trampoline_kernelINS0_14default_configENS1_33run_length_encode_config_selectorIjjNS0_4plusIjEEEEZZNS1_33reduce_by_key_impl_wrapped_configILNS1_25lookback_scan_determinismE0ES3_S7_PKjNS0_17constant_iteratorIjlEEPjPlSF_S6_NS0_8equal_toIjEEEE10hipError_tPvRmT2_T3_mT4_T5_T6_T7_T8_P12ihipStream_tbENKUlT_T0_E_clISt17integral_constantIbLb0EESY_IbLb1EEEEDaSU_SV_EUlSU_E_NS1_11comp_targetILNS1_3genE9ELNS1_11target_archE1100ELNS1_3gpuE3ELNS1_3repE0EEENS1_30default_config_static_selectorELNS0_4arch9wavefront6targetE1EEEvT1_
	.globl	_ZN7rocprim17ROCPRIM_400000_NS6detail17trampoline_kernelINS0_14default_configENS1_33run_length_encode_config_selectorIjjNS0_4plusIjEEEEZZNS1_33reduce_by_key_impl_wrapped_configILNS1_25lookback_scan_determinismE0ES3_S7_PKjNS0_17constant_iteratorIjlEEPjPlSF_S6_NS0_8equal_toIjEEEE10hipError_tPvRmT2_T3_mT4_T5_T6_T7_T8_P12ihipStream_tbENKUlT_T0_E_clISt17integral_constantIbLb0EESY_IbLb1EEEEDaSU_SV_EUlSU_E_NS1_11comp_targetILNS1_3genE9ELNS1_11target_archE1100ELNS1_3gpuE3ELNS1_3repE0EEENS1_30default_config_static_selectorELNS0_4arch9wavefront6targetE1EEEvT1_
	.p2align	8
	.type	_ZN7rocprim17ROCPRIM_400000_NS6detail17trampoline_kernelINS0_14default_configENS1_33run_length_encode_config_selectorIjjNS0_4plusIjEEEEZZNS1_33reduce_by_key_impl_wrapped_configILNS1_25lookback_scan_determinismE0ES3_S7_PKjNS0_17constant_iteratorIjlEEPjPlSF_S6_NS0_8equal_toIjEEEE10hipError_tPvRmT2_T3_mT4_T5_T6_T7_T8_P12ihipStream_tbENKUlT_T0_E_clISt17integral_constantIbLb0EESY_IbLb1EEEEDaSU_SV_EUlSU_E_NS1_11comp_targetILNS1_3genE9ELNS1_11target_archE1100ELNS1_3gpuE3ELNS1_3repE0EEENS1_30default_config_static_selectorELNS0_4arch9wavefront6targetE1EEEvT1_,@function
_ZN7rocprim17ROCPRIM_400000_NS6detail17trampoline_kernelINS0_14default_configENS1_33run_length_encode_config_selectorIjjNS0_4plusIjEEEEZZNS1_33reduce_by_key_impl_wrapped_configILNS1_25lookback_scan_determinismE0ES3_S7_PKjNS0_17constant_iteratorIjlEEPjPlSF_S6_NS0_8equal_toIjEEEE10hipError_tPvRmT2_T3_mT4_T5_T6_T7_T8_P12ihipStream_tbENKUlT_T0_E_clISt17integral_constantIbLb0EESY_IbLb1EEEEDaSU_SV_EUlSU_E_NS1_11comp_targetILNS1_3genE9ELNS1_11target_archE1100ELNS1_3gpuE3ELNS1_3repE0EEENS1_30default_config_static_selectorELNS0_4arch9wavefront6targetE1EEEvT1_: ; @_ZN7rocprim17ROCPRIM_400000_NS6detail17trampoline_kernelINS0_14default_configENS1_33run_length_encode_config_selectorIjjNS0_4plusIjEEEEZZNS1_33reduce_by_key_impl_wrapped_configILNS1_25lookback_scan_determinismE0ES3_S7_PKjNS0_17constant_iteratorIjlEEPjPlSF_S6_NS0_8equal_toIjEEEE10hipError_tPvRmT2_T3_mT4_T5_T6_T7_T8_P12ihipStream_tbENKUlT_T0_E_clISt17integral_constantIbLb0EESY_IbLb1EEEEDaSU_SV_EUlSU_E_NS1_11comp_targetILNS1_3genE9ELNS1_11target_archE1100ELNS1_3gpuE3ELNS1_3repE0EEENS1_30default_config_static_selectorELNS0_4arch9wavefront6targetE1EEEvT1_
; %bb.0:
	.section	.rodata,"a",@progbits
	.p2align	6, 0x0
	.amdhsa_kernel _ZN7rocprim17ROCPRIM_400000_NS6detail17trampoline_kernelINS0_14default_configENS1_33run_length_encode_config_selectorIjjNS0_4plusIjEEEEZZNS1_33reduce_by_key_impl_wrapped_configILNS1_25lookback_scan_determinismE0ES3_S7_PKjNS0_17constant_iteratorIjlEEPjPlSF_S6_NS0_8equal_toIjEEEE10hipError_tPvRmT2_T3_mT4_T5_T6_T7_T8_P12ihipStream_tbENKUlT_T0_E_clISt17integral_constantIbLb0EESY_IbLb1EEEEDaSU_SV_EUlSU_E_NS1_11comp_targetILNS1_3genE9ELNS1_11target_archE1100ELNS1_3gpuE3ELNS1_3repE0EEENS1_30default_config_static_selectorELNS0_4arch9wavefront6targetE1EEEvT1_
		.amdhsa_group_segment_fixed_size 0
		.amdhsa_private_segment_fixed_size 0
		.amdhsa_kernarg_size 128
		.amdhsa_user_sgpr_count 6
		.amdhsa_user_sgpr_private_segment_buffer 1
		.amdhsa_user_sgpr_dispatch_ptr 0
		.amdhsa_user_sgpr_queue_ptr 0
		.amdhsa_user_sgpr_kernarg_segment_ptr 1
		.amdhsa_user_sgpr_dispatch_id 0
		.amdhsa_user_sgpr_flat_scratch_init 0
		.amdhsa_user_sgpr_kernarg_preload_length 0
		.amdhsa_user_sgpr_kernarg_preload_offset 0
		.amdhsa_user_sgpr_private_segment_size 0
		.amdhsa_uses_dynamic_stack 0
		.amdhsa_system_sgpr_private_segment_wavefront_offset 0
		.amdhsa_system_sgpr_workgroup_id_x 1
		.amdhsa_system_sgpr_workgroup_id_y 0
		.amdhsa_system_sgpr_workgroup_id_z 0
		.amdhsa_system_sgpr_workgroup_info 0
		.amdhsa_system_vgpr_workitem_id 0
		.amdhsa_next_free_vgpr 1
		.amdhsa_next_free_sgpr 0
		.amdhsa_accum_offset 4
		.amdhsa_reserve_vcc 0
		.amdhsa_reserve_flat_scratch 0
		.amdhsa_float_round_mode_32 0
		.amdhsa_float_round_mode_16_64 0
		.amdhsa_float_denorm_mode_32 3
		.amdhsa_float_denorm_mode_16_64 3
		.amdhsa_dx10_clamp 1
		.amdhsa_ieee_mode 1
		.amdhsa_fp16_overflow 0
		.amdhsa_tg_split 0
		.amdhsa_exception_fp_ieee_invalid_op 0
		.amdhsa_exception_fp_denorm_src 0
		.amdhsa_exception_fp_ieee_div_zero 0
		.amdhsa_exception_fp_ieee_overflow 0
		.amdhsa_exception_fp_ieee_underflow 0
		.amdhsa_exception_fp_ieee_inexact 0
		.amdhsa_exception_int_div_zero 0
	.end_amdhsa_kernel
	.section	.text._ZN7rocprim17ROCPRIM_400000_NS6detail17trampoline_kernelINS0_14default_configENS1_33run_length_encode_config_selectorIjjNS0_4plusIjEEEEZZNS1_33reduce_by_key_impl_wrapped_configILNS1_25lookback_scan_determinismE0ES3_S7_PKjNS0_17constant_iteratorIjlEEPjPlSF_S6_NS0_8equal_toIjEEEE10hipError_tPvRmT2_T3_mT4_T5_T6_T7_T8_P12ihipStream_tbENKUlT_T0_E_clISt17integral_constantIbLb0EESY_IbLb1EEEEDaSU_SV_EUlSU_E_NS1_11comp_targetILNS1_3genE9ELNS1_11target_archE1100ELNS1_3gpuE3ELNS1_3repE0EEENS1_30default_config_static_selectorELNS0_4arch9wavefront6targetE1EEEvT1_,"axG",@progbits,_ZN7rocprim17ROCPRIM_400000_NS6detail17trampoline_kernelINS0_14default_configENS1_33run_length_encode_config_selectorIjjNS0_4plusIjEEEEZZNS1_33reduce_by_key_impl_wrapped_configILNS1_25lookback_scan_determinismE0ES3_S7_PKjNS0_17constant_iteratorIjlEEPjPlSF_S6_NS0_8equal_toIjEEEE10hipError_tPvRmT2_T3_mT4_T5_T6_T7_T8_P12ihipStream_tbENKUlT_T0_E_clISt17integral_constantIbLb0EESY_IbLb1EEEEDaSU_SV_EUlSU_E_NS1_11comp_targetILNS1_3genE9ELNS1_11target_archE1100ELNS1_3gpuE3ELNS1_3repE0EEENS1_30default_config_static_selectorELNS0_4arch9wavefront6targetE1EEEvT1_,comdat
.Lfunc_end683:
	.size	_ZN7rocprim17ROCPRIM_400000_NS6detail17trampoline_kernelINS0_14default_configENS1_33run_length_encode_config_selectorIjjNS0_4plusIjEEEEZZNS1_33reduce_by_key_impl_wrapped_configILNS1_25lookback_scan_determinismE0ES3_S7_PKjNS0_17constant_iteratorIjlEEPjPlSF_S6_NS0_8equal_toIjEEEE10hipError_tPvRmT2_T3_mT4_T5_T6_T7_T8_P12ihipStream_tbENKUlT_T0_E_clISt17integral_constantIbLb0EESY_IbLb1EEEEDaSU_SV_EUlSU_E_NS1_11comp_targetILNS1_3genE9ELNS1_11target_archE1100ELNS1_3gpuE3ELNS1_3repE0EEENS1_30default_config_static_selectorELNS0_4arch9wavefront6targetE1EEEvT1_, .Lfunc_end683-_ZN7rocprim17ROCPRIM_400000_NS6detail17trampoline_kernelINS0_14default_configENS1_33run_length_encode_config_selectorIjjNS0_4plusIjEEEEZZNS1_33reduce_by_key_impl_wrapped_configILNS1_25lookback_scan_determinismE0ES3_S7_PKjNS0_17constant_iteratorIjlEEPjPlSF_S6_NS0_8equal_toIjEEEE10hipError_tPvRmT2_T3_mT4_T5_T6_T7_T8_P12ihipStream_tbENKUlT_T0_E_clISt17integral_constantIbLb0EESY_IbLb1EEEEDaSU_SV_EUlSU_E_NS1_11comp_targetILNS1_3genE9ELNS1_11target_archE1100ELNS1_3gpuE3ELNS1_3repE0EEENS1_30default_config_static_selectorELNS0_4arch9wavefront6targetE1EEEvT1_
                                        ; -- End function
	.section	.AMDGPU.csdata,"",@progbits
; Kernel info:
; codeLenInByte = 0
; NumSgprs: 4
; NumVgprs: 0
; NumAgprs: 0
; TotalNumVgprs: 0
; ScratchSize: 0
; MemoryBound: 0
; FloatMode: 240
; IeeeMode: 1
; LDSByteSize: 0 bytes/workgroup (compile time only)
; SGPRBlocks: 0
; VGPRBlocks: 0
; NumSGPRsForWavesPerEU: 4
; NumVGPRsForWavesPerEU: 1
; AccumOffset: 4
; Occupancy: 8
; WaveLimiterHint : 0
; COMPUTE_PGM_RSRC2:SCRATCH_EN: 0
; COMPUTE_PGM_RSRC2:USER_SGPR: 6
; COMPUTE_PGM_RSRC2:TRAP_HANDLER: 0
; COMPUTE_PGM_RSRC2:TGID_X_EN: 1
; COMPUTE_PGM_RSRC2:TGID_Y_EN: 0
; COMPUTE_PGM_RSRC2:TGID_Z_EN: 0
; COMPUTE_PGM_RSRC2:TIDIG_COMP_CNT: 0
; COMPUTE_PGM_RSRC3_GFX90A:ACCUM_OFFSET: 0
; COMPUTE_PGM_RSRC3_GFX90A:TG_SPLIT: 0
	.section	.text._ZN7rocprim17ROCPRIM_400000_NS6detail17trampoline_kernelINS0_14default_configENS1_33run_length_encode_config_selectorIjjNS0_4plusIjEEEEZZNS1_33reduce_by_key_impl_wrapped_configILNS1_25lookback_scan_determinismE0ES3_S7_PKjNS0_17constant_iteratorIjlEEPjPlSF_S6_NS0_8equal_toIjEEEE10hipError_tPvRmT2_T3_mT4_T5_T6_T7_T8_P12ihipStream_tbENKUlT_T0_E_clISt17integral_constantIbLb0EESY_IbLb1EEEEDaSU_SV_EUlSU_E_NS1_11comp_targetILNS1_3genE8ELNS1_11target_archE1030ELNS1_3gpuE2ELNS1_3repE0EEENS1_30default_config_static_selectorELNS0_4arch9wavefront6targetE1EEEvT1_,"axG",@progbits,_ZN7rocprim17ROCPRIM_400000_NS6detail17trampoline_kernelINS0_14default_configENS1_33run_length_encode_config_selectorIjjNS0_4plusIjEEEEZZNS1_33reduce_by_key_impl_wrapped_configILNS1_25lookback_scan_determinismE0ES3_S7_PKjNS0_17constant_iteratorIjlEEPjPlSF_S6_NS0_8equal_toIjEEEE10hipError_tPvRmT2_T3_mT4_T5_T6_T7_T8_P12ihipStream_tbENKUlT_T0_E_clISt17integral_constantIbLb0EESY_IbLb1EEEEDaSU_SV_EUlSU_E_NS1_11comp_targetILNS1_3genE8ELNS1_11target_archE1030ELNS1_3gpuE2ELNS1_3repE0EEENS1_30default_config_static_selectorELNS0_4arch9wavefront6targetE1EEEvT1_,comdat
	.protected	_ZN7rocprim17ROCPRIM_400000_NS6detail17trampoline_kernelINS0_14default_configENS1_33run_length_encode_config_selectorIjjNS0_4plusIjEEEEZZNS1_33reduce_by_key_impl_wrapped_configILNS1_25lookback_scan_determinismE0ES3_S7_PKjNS0_17constant_iteratorIjlEEPjPlSF_S6_NS0_8equal_toIjEEEE10hipError_tPvRmT2_T3_mT4_T5_T6_T7_T8_P12ihipStream_tbENKUlT_T0_E_clISt17integral_constantIbLb0EESY_IbLb1EEEEDaSU_SV_EUlSU_E_NS1_11comp_targetILNS1_3genE8ELNS1_11target_archE1030ELNS1_3gpuE2ELNS1_3repE0EEENS1_30default_config_static_selectorELNS0_4arch9wavefront6targetE1EEEvT1_ ; -- Begin function _ZN7rocprim17ROCPRIM_400000_NS6detail17trampoline_kernelINS0_14default_configENS1_33run_length_encode_config_selectorIjjNS0_4plusIjEEEEZZNS1_33reduce_by_key_impl_wrapped_configILNS1_25lookback_scan_determinismE0ES3_S7_PKjNS0_17constant_iteratorIjlEEPjPlSF_S6_NS0_8equal_toIjEEEE10hipError_tPvRmT2_T3_mT4_T5_T6_T7_T8_P12ihipStream_tbENKUlT_T0_E_clISt17integral_constantIbLb0EESY_IbLb1EEEEDaSU_SV_EUlSU_E_NS1_11comp_targetILNS1_3genE8ELNS1_11target_archE1030ELNS1_3gpuE2ELNS1_3repE0EEENS1_30default_config_static_selectorELNS0_4arch9wavefront6targetE1EEEvT1_
	.globl	_ZN7rocprim17ROCPRIM_400000_NS6detail17trampoline_kernelINS0_14default_configENS1_33run_length_encode_config_selectorIjjNS0_4plusIjEEEEZZNS1_33reduce_by_key_impl_wrapped_configILNS1_25lookback_scan_determinismE0ES3_S7_PKjNS0_17constant_iteratorIjlEEPjPlSF_S6_NS0_8equal_toIjEEEE10hipError_tPvRmT2_T3_mT4_T5_T6_T7_T8_P12ihipStream_tbENKUlT_T0_E_clISt17integral_constantIbLb0EESY_IbLb1EEEEDaSU_SV_EUlSU_E_NS1_11comp_targetILNS1_3genE8ELNS1_11target_archE1030ELNS1_3gpuE2ELNS1_3repE0EEENS1_30default_config_static_selectorELNS0_4arch9wavefront6targetE1EEEvT1_
	.p2align	8
	.type	_ZN7rocprim17ROCPRIM_400000_NS6detail17trampoline_kernelINS0_14default_configENS1_33run_length_encode_config_selectorIjjNS0_4plusIjEEEEZZNS1_33reduce_by_key_impl_wrapped_configILNS1_25lookback_scan_determinismE0ES3_S7_PKjNS0_17constant_iteratorIjlEEPjPlSF_S6_NS0_8equal_toIjEEEE10hipError_tPvRmT2_T3_mT4_T5_T6_T7_T8_P12ihipStream_tbENKUlT_T0_E_clISt17integral_constantIbLb0EESY_IbLb1EEEEDaSU_SV_EUlSU_E_NS1_11comp_targetILNS1_3genE8ELNS1_11target_archE1030ELNS1_3gpuE2ELNS1_3repE0EEENS1_30default_config_static_selectorELNS0_4arch9wavefront6targetE1EEEvT1_,@function
_ZN7rocprim17ROCPRIM_400000_NS6detail17trampoline_kernelINS0_14default_configENS1_33run_length_encode_config_selectorIjjNS0_4plusIjEEEEZZNS1_33reduce_by_key_impl_wrapped_configILNS1_25lookback_scan_determinismE0ES3_S7_PKjNS0_17constant_iteratorIjlEEPjPlSF_S6_NS0_8equal_toIjEEEE10hipError_tPvRmT2_T3_mT4_T5_T6_T7_T8_P12ihipStream_tbENKUlT_T0_E_clISt17integral_constantIbLb0EESY_IbLb1EEEEDaSU_SV_EUlSU_E_NS1_11comp_targetILNS1_3genE8ELNS1_11target_archE1030ELNS1_3gpuE2ELNS1_3repE0EEENS1_30default_config_static_selectorELNS0_4arch9wavefront6targetE1EEEvT1_: ; @_ZN7rocprim17ROCPRIM_400000_NS6detail17trampoline_kernelINS0_14default_configENS1_33run_length_encode_config_selectorIjjNS0_4plusIjEEEEZZNS1_33reduce_by_key_impl_wrapped_configILNS1_25lookback_scan_determinismE0ES3_S7_PKjNS0_17constant_iteratorIjlEEPjPlSF_S6_NS0_8equal_toIjEEEE10hipError_tPvRmT2_T3_mT4_T5_T6_T7_T8_P12ihipStream_tbENKUlT_T0_E_clISt17integral_constantIbLb0EESY_IbLb1EEEEDaSU_SV_EUlSU_E_NS1_11comp_targetILNS1_3genE8ELNS1_11target_archE1030ELNS1_3gpuE2ELNS1_3repE0EEENS1_30default_config_static_selectorELNS0_4arch9wavefront6targetE1EEEvT1_
; %bb.0:
	.section	.rodata,"a",@progbits
	.p2align	6, 0x0
	.amdhsa_kernel _ZN7rocprim17ROCPRIM_400000_NS6detail17trampoline_kernelINS0_14default_configENS1_33run_length_encode_config_selectorIjjNS0_4plusIjEEEEZZNS1_33reduce_by_key_impl_wrapped_configILNS1_25lookback_scan_determinismE0ES3_S7_PKjNS0_17constant_iteratorIjlEEPjPlSF_S6_NS0_8equal_toIjEEEE10hipError_tPvRmT2_T3_mT4_T5_T6_T7_T8_P12ihipStream_tbENKUlT_T0_E_clISt17integral_constantIbLb0EESY_IbLb1EEEEDaSU_SV_EUlSU_E_NS1_11comp_targetILNS1_3genE8ELNS1_11target_archE1030ELNS1_3gpuE2ELNS1_3repE0EEENS1_30default_config_static_selectorELNS0_4arch9wavefront6targetE1EEEvT1_
		.amdhsa_group_segment_fixed_size 0
		.amdhsa_private_segment_fixed_size 0
		.amdhsa_kernarg_size 128
		.amdhsa_user_sgpr_count 6
		.amdhsa_user_sgpr_private_segment_buffer 1
		.amdhsa_user_sgpr_dispatch_ptr 0
		.amdhsa_user_sgpr_queue_ptr 0
		.amdhsa_user_sgpr_kernarg_segment_ptr 1
		.amdhsa_user_sgpr_dispatch_id 0
		.amdhsa_user_sgpr_flat_scratch_init 0
		.amdhsa_user_sgpr_kernarg_preload_length 0
		.amdhsa_user_sgpr_kernarg_preload_offset 0
		.amdhsa_user_sgpr_private_segment_size 0
		.amdhsa_uses_dynamic_stack 0
		.amdhsa_system_sgpr_private_segment_wavefront_offset 0
		.amdhsa_system_sgpr_workgroup_id_x 1
		.amdhsa_system_sgpr_workgroup_id_y 0
		.amdhsa_system_sgpr_workgroup_id_z 0
		.amdhsa_system_sgpr_workgroup_info 0
		.amdhsa_system_vgpr_workitem_id 0
		.amdhsa_next_free_vgpr 1
		.amdhsa_next_free_sgpr 0
		.amdhsa_accum_offset 4
		.amdhsa_reserve_vcc 0
		.amdhsa_reserve_flat_scratch 0
		.amdhsa_float_round_mode_32 0
		.amdhsa_float_round_mode_16_64 0
		.amdhsa_float_denorm_mode_32 3
		.amdhsa_float_denorm_mode_16_64 3
		.amdhsa_dx10_clamp 1
		.amdhsa_ieee_mode 1
		.amdhsa_fp16_overflow 0
		.amdhsa_tg_split 0
		.amdhsa_exception_fp_ieee_invalid_op 0
		.amdhsa_exception_fp_denorm_src 0
		.amdhsa_exception_fp_ieee_div_zero 0
		.amdhsa_exception_fp_ieee_overflow 0
		.amdhsa_exception_fp_ieee_underflow 0
		.amdhsa_exception_fp_ieee_inexact 0
		.amdhsa_exception_int_div_zero 0
	.end_amdhsa_kernel
	.section	.text._ZN7rocprim17ROCPRIM_400000_NS6detail17trampoline_kernelINS0_14default_configENS1_33run_length_encode_config_selectorIjjNS0_4plusIjEEEEZZNS1_33reduce_by_key_impl_wrapped_configILNS1_25lookback_scan_determinismE0ES3_S7_PKjNS0_17constant_iteratorIjlEEPjPlSF_S6_NS0_8equal_toIjEEEE10hipError_tPvRmT2_T3_mT4_T5_T6_T7_T8_P12ihipStream_tbENKUlT_T0_E_clISt17integral_constantIbLb0EESY_IbLb1EEEEDaSU_SV_EUlSU_E_NS1_11comp_targetILNS1_3genE8ELNS1_11target_archE1030ELNS1_3gpuE2ELNS1_3repE0EEENS1_30default_config_static_selectorELNS0_4arch9wavefront6targetE1EEEvT1_,"axG",@progbits,_ZN7rocprim17ROCPRIM_400000_NS6detail17trampoline_kernelINS0_14default_configENS1_33run_length_encode_config_selectorIjjNS0_4plusIjEEEEZZNS1_33reduce_by_key_impl_wrapped_configILNS1_25lookback_scan_determinismE0ES3_S7_PKjNS0_17constant_iteratorIjlEEPjPlSF_S6_NS0_8equal_toIjEEEE10hipError_tPvRmT2_T3_mT4_T5_T6_T7_T8_P12ihipStream_tbENKUlT_T0_E_clISt17integral_constantIbLb0EESY_IbLb1EEEEDaSU_SV_EUlSU_E_NS1_11comp_targetILNS1_3genE8ELNS1_11target_archE1030ELNS1_3gpuE2ELNS1_3repE0EEENS1_30default_config_static_selectorELNS0_4arch9wavefront6targetE1EEEvT1_,comdat
.Lfunc_end684:
	.size	_ZN7rocprim17ROCPRIM_400000_NS6detail17trampoline_kernelINS0_14default_configENS1_33run_length_encode_config_selectorIjjNS0_4plusIjEEEEZZNS1_33reduce_by_key_impl_wrapped_configILNS1_25lookback_scan_determinismE0ES3_S7_PKjNS0_17constant_iteratorIjlEEPjPlSF_S6_NS0_8equal_toIjEEEE10hipError_tPvRmT2_T3_mT4_T5_T6_T7_T8_P12ihipStream_tbENKUlT_T0_E_clISt17integral_constantIbLb0EESY_IbLb1EEEEDaSU_SV_EUlSU_E_NS1_11comp_targetILNS1_3genE8ELNS1_11target_archE1030ELNS1_3gpuE2ELNS1_3repE0EEENS1_30default_config_static_selectorELNS0_4arch9wavefront6targetE1EEEvT1_, .Lfunc_end684-_ZN7rocprim17ROCPRIM_400000_NS6detail17trampoline_kernelINS0_14default_configENS1_33run_length_encode_config_selectorIjjNS0_4plusIjEEEEZZNS1_33reduce_by_key_impl_wrapped_configILNS1_25lookback_scan_determinismE0ES3_S7_PKjNS0_17constant_iteratorIjlEEPjPlSF_S6_NS0_8equal_toIjEEEE10hipError_tPvRmT2_T3_mT4_T5_T6_T7_T8_P12ihipStream_tbENKUlT_T0_E_clISt17integral_constantIbLb0EESY_IbLb1EEEEDaSU_SV_EUlSU_E_NS1_11comp_targetILNS1_3genE8ELNS1_11target_archE1030ELNS1_3gpuE2ELNS1_3repE0EEENS1_30default_config_static_selectorELNS0_4arch9wavefront6targetE1EEEvT1_
                                        ; -- End function
	.section	.AMDGPU.csdata,"",@progbits
; Kernel info:
; codeLenInByte = 0
; NumSgprs: 4
; NumVgprs: 0
; NumAgprs: 0
; TotalNumVgprs: 0
; ScratchSize: 0
; MemoryBound: 0
; FloatMode: 240
; IeeeMode: 1
; LDSByteSize: 0 bytes/workgroup (compile time only)
; SGPRBlocks: 0
; VGPRBlocks: 0
; NumSGPRsForWavesPerEU: 4
; NumVGPRsForWavesPerEU: 1
; AccumOffset: 4
; Occupancy: 8
; WaveLimiterHint : 0
; COMPUTE_PGM_RSRC2:SCRATCH_EN: 0
; COMPUTE_PGM_RSRC2:USER_SGPR: 6
; COMPUTE_PGM_RSRC2:TRAP_HANDLER: 0
; COMPUTE_PGM_RSRC2:TGID_X_EN: 1
; COMPUTE_PGM_RSRC2:TGID_Y_EN: 0
; COMPUTE_PGM_RSRC2:TGID_Z_EN: 0
; COMPUTE_PGM_RSRC2:TIDIG_COMP_CNT: 0
; COMPUTE_PGM_RSRC3_GFX90A:ACCUM_OFFSET: 0
; COMPUTE_PGM_RSRC3_GFX90A:TG_SPLIT: 0
	.section	.text._ZN2at6native8internal12_GLOBAL__N_126adjacent_difference_kernelIPKmEEvlT_Pi,"axG",@progbits,_ZN2at6native8internal12_GLOBAL__N_126adjacent_difference_kernelIPKmEEvlT_Pi,comdat
	.globl	_ZN2at6native8internal12_GLOBAL__N_126adjacent_difference_kernelIPKmEEvlT_Pi ; -- Begin function _ZN2at6native8internal12_GLOBAL__N_126adjacent_difference_kernelIPKmEEvlT_Pi
	.p2align	8
	.type	_ZN2at6native8internal12_GLOBAL__N_126adjacent_difference_kernelIPKmEEvlT_Pi,@function
_ZN2at6native8internal12_GLOBAL__N_126adjacent_difference_kernelIPKmEEvlT_Pi: ; @_ZN2at6native8internal12_GLOBAL__N_126adjacent_difference_kernelIPKmEEvlT_Pi
; %bb.0:
	s_load_dword s7, s[4:5], 0x24
	s_load_dwordx4 s[0:3], s[4:5], 0x0
	s_add_u32 s10, s4, 24
	s_addc_u32 s11, s5, 0
	v_mov_b32_e32 v1, 0
	s_waitcnt lgkmcnt(0)
	s_and_b32 s7, s7, 0xffff
	v_mov_b32_e32 v2, s6
	v_mad_u64_u32 v[4:5], s[8:9], s7, v2, v[0:1]
	v_cmp_gt_i64_e32 vcc, s[0:1], v[4:5]
	s_and_saveexec_b64 s[8:9], vcc
	s_cbranch_execz .LBB685_5
; %bb.1:
	s_load_dword s12, s[10:11], 0x0
	s_load_dwordx2 s[8:9], s[4:5], 0x10
	s_mul_hi_u32 s13, s7, s6
	s_mul_i32 s10, s7, s6
	s_mov_b32 s6, 0
	s_waitcnt lgkmcnt(0)
	s_mul_i32 s11, s12, s7
	v_mov_b32_e32 v2, v1
	v_mov_b32_e32 v3, v4
	s_mov_b64 s[4:5], 0
	v_mov_b32_e32 v6, s9
	v_mov_b32_e32 v7, s6
	;; [unrolled: 1-line block ×4, first 2 shown]
	v_pk_mov_b32 v[4:5], v[0:1], v[0:1] op_sel:[0,1]
	s_branch .LBB685_3
.LBB685_2:                              ;   in Loop: Header=BB685_3 Depth=1
	s_or_b64 exec, exec, s[6:7]
	v_ashrrev_i64 v[10:11], 30, v[2:3]
	v_add_co_u32_e32 v10, vcc, s8, v10
	v_addc_co_u32_e32 v11, vcc, v6, v11, vcc
	v_add_co_u32_e32 v4, vcc, s11, v4
	v_addc_co_u32_e32 v5, vcc, v5, v7, vcc
	global_store_dword v[10:11], v0, off
	v_add_co_u32_e32 v10, vcc, s10, v4
	v_addc_co_u32_e32 v11, vcc, v8, v5, vcc
	v_cmp_le_i64_e32 vcc, s[0:1], v[10:11]
	s_or_b64 s[4:5], vcc, s[4:5]
	v_add_co_u32_e32 v2, vcc, 0, v2
	v_addc_co_u32_e32 v3, vcc, v3, v9, vcc
	s_andn2_b64 exec, exec, s[4:5]
	s_cbranch_execz .LBB685_5
.LBB685_3:                              ; =>This Inner Loop Header: Depth=1
	v_add_u32_e32 v0, s10, v4
	v_cmp_lt_i32_e32 vcc, 0, v0
	v_mov_b32_e32 v0, 0
	s_and_saveexec_b64 s[6:7], vcc
	s_cbranch_execz .LBB685_2
; %bb.4:                                ;   in Loop: Header=BB685_3 Depth=1
	v_add_u32_e32 v12, s10, v4
	v_and_b32_e32 v0, 0x7fffffff, v12
	v_lshlrev_b64 v[10:11], 3, v[0:1]
	v_mov_b32_e32 v14, s3
	v_add_co_u32_e32 v10, vcc, s2, v10
	v_add_u32_e32 v0, -1, v12
	v_addc_co_u32_e32 v11, vcc, v14, v11, vcc
	v_lshlrev_b64 v[12:13], 3, v[0:1]
	v_add_co_u32_e32 v12, vcc, s2, v12
	v_addc_co_u32_e32 v13, vcc, v14, v13, vcc
	global_load_dwordx2 v[14:15], v[10:11], off
	global_load_dwordx2 v[16:17], v[12:13], off
	s_waitcnt vmcnt(0)
	v_cmp_ne_u64_e32 vcc, v[14:15], v[16:17]
	v_cndmask_b32_e64 v0, 0, 1, vcc
	s_branch .LBB685_2
.LBB685_5:
	s_endpgm
	.section	.rodata,"a",@progbits
	.p2align	6, 0x0
	.amdhsa_kernel _ZN2at6native8internal12_GLOBAL__N_126adjacent_difference_kernelIPKmEEvlT_Pi
		.amdhsa_group_segment_fixed_size 0
		.amdhsa_private_segment_fixed_size 0
		.amdhsa_kernarg_size 280
		.amdhsa_user_sgpr_count 6
		.amdhsa_user_sgpr_private_segment_buffer 1
		.amdhsa_user_sgpr_dispatch_ptr 0
		.amdhsa_user_sgpr_queue_ptr 0
		.amdhsa_user_sgpr_kernarg_segment_ptr 1
		.amdhsa_user_sgpr_dispatch_id 0
		.amdhsa_user_sgpr_flat_scratch_init 0
		.amdhsa_user_sgpr_kernarg_preload_length 0
		.amdhsa_user_sgpr_kernarg_preload_offset 0
		.amdhsa_user_sgpr_private_segment_size 0
		.amdhsa_uses_dynamic_stack 0
		.amdhsa_system_sgpr_private_segment_wavefront_offset 0
		.amdhsa_system_sgpr_workgroup_id_x 1
		.amdhsa_system_sgpr_workgroup_id_y 0
		.amdhsa_system_sgpr_workgroup_id_z 0
		.amdhsa_system_sgpr_workgroup_info 0
		.amdhsa_system_vgpr_workitem_id 0
		.amdhsa_next_free_vgpr 18
		.amdhsa_next_free_sgpr 14
		.amdhsa_accum_offset 20
		.amdhsa_reserve_vcc 1
		.amdhsa_reserve_flat_scratch 0
		.amdhsa_float_round_mode_32 0
		.amdhsa_float_round_mode_16_64 0
		.amdhsa_float_denorm_mode_32 3
		.amdhsa_float_denorm_mode_16_64 3
		.amdhsa_dx10_clamp 1
		.amdhsa_ieee_mode 1
		.amdhsa_fp16_overflow 0
		.amdhsa_tg_split 0
		.amdhsa_exception_fp_ieee_invalid_op 0
		.amdhsa_exception_fp_denorm_src 0
		.amdhsa_exception_fp_ieee_div_zero 0
		.amdhsa_exception_fp_ieee_overflow 0
		.amdhsa_exception_fp_ieee_underflow 0
		.amdhsa_exception_fp_ieee_inexact 0
		.amdhsa_exception_int_div_zero 0
	.end_amdhsa_kernel
	.section	.text._ZN2at6native8internal12_GLOBAL__N_126adjacent_difference_kernelIPKmEEvlT_Pi,"axG",@progbits,_ZN2at6native8internal12_GLOBAL__N_126adjacent_difference_kernelIPKmEEvlT_Pi,comdat
.Lfunc_end685:
	.size	_ZN2at6native8internal12_GLOBAL__N_126adjacent_difference_kernelIPKmEEvlT_Pi, .Lfunc_end685-_ZN2at6native8internal12_GLOBAL__N_126adjacent_difference_kernelIPKmEEvlT_Pi
                                        ; -- End function
	.section	.AMDGPU.csdata,"",@progbits
; Kernel info:
; codeLenInByte = 320
; NumSgprs: 18
; NumVgprs: 18
; NumAgprs: 0
; TotalNumVgprs: 18
; ScratchSize: 0
; MemoryBound: 0
; FloatMode: 240
; IeeeMode: 1
; LDSByteSize: 0 bytes/workgroup (compile time only)
; SGPRBlocks: 2
; VGPRBlocks: 2
; NumSGPRsForWavesPerEU: 18
; NumVGPRsForWavesPerEU: 18
; AccumOffset: 20
; Occupancy: 8
; WaveLimiterHint : 0
; COMPUTE_PGM_RSRC2:SCRATCH_EN: 0
; COMPUTE_PGM_RSRC2:USER_SGPR: 6
; COMPUTE_PGM_RSRC2:TRAP_HANDLER: 0
; COMPUTE_PGM_RSRC2:TGID_X_EN: 1
; COMPUTE_PGM_RSRC2:TGID_Y_EN: 0
; COMPUTE_PGM_RSRC2:TGID_Z_EN: 0
; COMPUTE_PGM_RSRC2:TIDIG_COMP_CNT: 0
; COMPUTE_PGM_RSRC3_GFX90A:ACCUM_OFFSET: 4
; COMPUTE_PGM_RSRC3_GFX90A:TG_SPLIT: 0
	.section	.text._ZN7rocprim17ROCPRIM_400000_NS6detail17trampoline_kernelINS0_14default_configENS1_25partition_config_selectorILNS1_17partition_subalgoE8EmNS0_10empty_typeEbEEZZNS1_14partition_implILS5_8ELb0ES3_jPKmPS6_PKS6_NS0_5tupleIJPmS6_EEENSE_IJSB_SB_EEENS0_18inequality_wrapperIN6hipcub16HIPCUB_304000_NS8EqualityEEEPlJS6_EEE10hipError_tPvRmT3_T4_T5_T6_T7_T9_mT8_P12ihipStream_tbDpT10_ENKUlT_T0_E_clISt17integral_constantIbLb0EES17_EEDaS12_S13_EUlS12_E_NS1_11comp_targetILNS1_3genE0ELNS1_11target_archE4294967295ELNS1_3gpuE0ELNS1_3repE0EEENS1_30default_config_static_selectorELNS0_4arch9wavefront6targetE1EEEvT1_,"axG",@progbits,_ZN7rocprim17ROCPRIM_400000_NS6detail17trampoline_kernelINS0_14default_configENS1_25partition_config_selectorILNS1_17partition_subalgoE8EmNS0_10empty_typeEbEEZZNS1_14partition_implILS5_8ELb0ES3_jPKmPS6_PKS6_NS0_5tupleIJPmS6_EEENSE_IJSB_SB_EEENS0_18inequality_wrapperIN6hipcub16HIPCUB_304000_NS8EqualityEEEPlJS6_EEE10hipError_tPvRmT3_T4_T5_T6_T7_T9_mT8_P12ihipStream_tbDpT10_ENKUlT_T0_E_clISt17integral_constantIbLb0EES17_EEDaS12_S13_EUlS12_E_NS1_11comp_targetILNS1_3genE0ELNS1_11target_archE4294967295ELNS1_3gpuE0ELNS1_3repE0EEENS1_30default_config_static_selectorELNS0_4arch9wavefront6targetE1EEEvT1_,comdat
	.protected	_ZN7rocprim17ROCPRIM_400000_NS6detail17trampoline_kernelINS0_14default_configENS1_25partition_config_selectorILNS1_17partition_subalgoE8EmNS0_10empty_typeEbEEZZNS1_14partition_implILS5_8ELb0ES3_jPKmPS6_PKS6_NS0_5tupleIJPmS6_EEENSE_IJSB_SB_EEENS0_18inequality_wrapperIN6hipcub16HIPCUB_304000_NS8EqualityEEEPlJS6_EEE10hipError_tPvRmT3_T4_T5_T6_T7_T9_mT8_P12ihipStream_tbDpT10_ENKUlT_T0_E_clISt17integral_constantIbLb0EES17_EEDaS12_S13_EUlS12_E_NS1_11comp_targetILNS1_3genE0ELNS1_11target_archE4294967295ELNS1_3gpuE0ELNS1_3repE0EEENS1_30default_config_static_selectorELNS0_4arch9wavefront6targetE1EEEvT1_ ; -- Begin function _ZN7rocprim17ROCPRIM_400000_NS6detail17trampoline_kernelINS0_14default_configENS1_25partition_config_selectorILNS1_17partition_subalgoE8EmNS0_10empty_typeEbEEZZNS1_14partition_implILS5_8ELb0ES3_jPKmPS6_PKS6_NS0_5tupleIJPmS6_EEENSE_IJSB_SB_EEENS0_18inequality_wrapperIN6hipcub16HIPCUB_304000_NS8EqualityEEEPlJS6_EEE10hipError_tPvRmT3_T4_T5_T6_T7_T9_mT8_P12ihipStream_tbDpT10_ENKUlT_T0_E_clISt17integral_constantIbLb0EES17_EEDaS12_S13_EUlS12_E_NS1_11comp_targetILNS1_3genE0ELNS1_11target_archE4294967295ELNS1_3gpuE0ELNS1_3repE0EEENS1_30default_config_static_selectorELNS0_4arch9wavefront6targetE1EEEvT1_
	.globl	_ZN7rocprim17ROCPRIM_400000_NS6detail17trampoline_kernelINS0_14default_configENS1_25partition_config_selectorILNS1_17partition_subalgoE8EmNS0_10empty_typeEbEEZZNS1_14partition_implILS5_8ELb0ES3_jPKmPS6_PKS6_NS0_5tupleIJPmS6_EEENSE_IJSB_SB_EEENS0_18inequality_wrapperIN6hipcub16HIPCUB_304000_NS8EqualityEEEPlJS6_EEE10hipError_tPvRmT3_T4_T5_T6_T7_T9_mT8_P12ihipStream_tbDpT10_ENKUlT_T0_E_clISt17integral_constantIbLb0EES17_EEDaS12_S13_EUlS12_E_NS1_11comp_targetILNS1_3genE0ELNS1_11target_archE4294967295ELNS1_3gpuE0ELNS1_3repE0EEENS1_30default_config_static_selectorELNS0_4arch9wavefront6targetE1EEEvT1_
	.p2align	8
	.type	_ZN7rocprim17ROCPRIM_400000_NS6detail17trampoline_kernelINS0_14default_configENS1_25partition_config_selectorILNS1_17partition_subalgoE8EmNS0_10empty_typeEbEEZZNS1_14partition_implILS5_8ELb0ES3_jPKmPS6_PKS6_NS0_5tupleIJPmS6_EEENSE_IJSB_SB_EEENS0_18inequality_wrapperIN6hipcub16HIPCUB_304000_NS8EqualityEEEPlJS6_EEE10hipError_tPvRmT3_T4_T5_T6_T7_T9_mT8_P12ihipStream_tbDpT10_ENKUlT_T0_E_clISt17integral_constantIbLb0EES17_EEDaS12_S13_EUlS12_E_NS1_11comp_targetILNS1_3genE0ELNS1_11target_archE4294967295ELNS1_3gpuE0ELNS1_3repE0EEENS1_30default_config_static_selectorELNS0_4arch9wavefront6targetE1EEEvT1_,@function
_ZN7rocprim17ROCPRIM_400000_NS6detail17trampoline_kernelINS0_14default_configENS1_25partition_config_selectorILNS1_17partition_subalgoE8EmNS0_10empty_typeEbEEZZNS1_14partition_implILS5_8ELb0ES3_jPKmPS6_PKS6_NS0_5tupleIJPmS6_EEENSE_IJSB_SB_EEENS0_18inequality_wrapperIN6hipcub16HIPCUB_304000_NS8EqualityEEEPlJS6_EEE10hipError_tPvRmT3_T4_T5_T6_T7_T9_mT8_P12ihipStream_tbDpT10_ENKUlT_T0_E_clISt17integral_constantIbLb0EES17_EEDaS12_S13_EUlS12_E_NS1_11comp_targetILNS1_3genE0ELNS1_11target_archE4294967295ELNS1_3gpuE0ELNS1_3repE0EEENS1_30default_config_static_selectorELNS0_4arch9wavefront6targetE1EEEvT1_: ; @_ZN7rocprim17ROCPRIM_400000_NS6detail17trampoline_kernelINS0_14default_configENS1_25partition_config_selectorILNS1_17partition_subalgoE8EmNS0_10empty_typeEbEEZZNS1_14partition_implILS5_8ELb0ES3_jPKmPS6_PKS6_NS0_5tupleIJPmS6_EEENSE_IJSB_SB_EEENS0_18inequality_wrapperIN6hipcub16HIPCUB_304000_NS8EqualityEEEPlJS6_EEE10hipError_tPvRmT3_T4_T5_T6_T7_T9_mT8_P12ihipStream_tbDpT10_ENKUlT_T0_E_clISt17integral_constantIbLb0EES17_EEDaS12_S13_EUlS12_E_NS1_11comp_targetILNS1_3genE0ELNS1_11target_archE4294967295ELNS1_3gpuE0ELNS1_3repE0EEENS1_30default_config_static_selectorELNS0_4arch9wavefront6targetE1EEEvT1_
; %bb.0:
	.section	.rodata,"a",@progbits
	.p2align	6, 0x0
	.amdhsa_kernel _ZN7rocprim17ROCPRIM_400000_NS6detail17trampoline_kernelINS0_14default_configENS1_25partition_config_selectorILNS1_17partition_subalgoE8EmNS0_10empty_typeEbEEZZNS1_14partition_implILS5_8ELb0ES3_jPKmPS6_PKS6_NS0_5tupleIJPmS6_EEENSE_IJSB_SB_EEENS0_18inequality_wrapperIN6hipcub16HIPCUB_304000_NS8EqualityEEEPlJS6_EEE10hipError_tPvRmT3_T4_T5_T6_T7_T9_mT8_P12ihipStream_tbDpT10_ENKUlT_T0_E_clISt17integral_constantIbLb0EES17_EEDaS12_S13_EUlS12_E_NS1_11comp_targetILNS1_3genE0ELNS1_11target_archE4294967295ELNS1_3gpuE0ELNS1_3repE0EEENS1_30default_config_static_selectorELNS0_4arch9wavefront6targetE1EEEvT1_
		.amdhsa_group_segment_fixed_size 0
		.amdhsa_private_segment_fixed_size 0
		.amdhsa_kernarg_size 112
		.amdhsa_user_sgpr_count 6
		.amdhsa_user_sgpr_private_segment_buffer 1
		.amdhsa_user_sgpr_dispatch_ptr 0
		.amdhsa_user_sgpr_queue_ptr 0
		.amdhsa_user_sgpr_kernarg_segment_ptr 1
		.amdhsa_user_sgpr_dispatch_id 0
		.amdhsa_user_sgpr_flat_scratch_init 0
		.amdhsa_user_sgpr_kernarg_preload_length 0
		.amdhsa_user_sgpr_kernarg_preload_offset 0
		.amdhsa_user_sgpr_private_segment_size 0
		.amdhsa_uses_dynamic_stack 0
		.amdhsa_system_sgpr_private_segment_wavefront_offset 0
		.amdhsa_system_sgpr_workgroup_id_x 1
		.amdhsa_system_sgpr_workgroup_id_y 0
		.amdhsa_system_sgpr_workgroup_id_z 0
		.amdhsa_system_sgpr_workgroup_info 0
		.amdhsa_system_vgpr_workitem_id 0
		.amdhsa_next_free_vgpr 1
		.amdhsa_next_free_sgpr 0
		.amdhsa_accum_offset 4
		.amdhsa_reserve_vcc 0
		.amdhsa_reserve_flat_scratch 0
		.amdhsa_float_round_mode_32 0
		.amdhsa_float_round_mode_16_64 0
		.amdhsa_float_denorm_mode_32 3
		.amdhsa_float_denorm_mode_16_64 3
		.amdhsa_dx10_clamp 1
		.amdhsa_ieee_mode 1
		.amdhsa_fp16_overflow 0
		.amdhsa_tg_split 0
		.amdhsa_exception_fp_ieee_invalid_op 0
		.amdhsa_exception_fp_denorm_src 0
		.amdhsa_exception_fp_ieee_div_zero 0
		.amdhsa_exception_fp_ieee_overflow 0
		.amdhsa_exception_fp_ieee_underflow 0
		.amdhsa_exception_fp_ieee_inexact 0
		.amdhsa_exception_int_div_zero 0
	.end_amdhsa_kernel
	.section	.text._ZN7rocprim17ROCPRIM_400000_NS6detail17trampoline_kernelINS0_14default_configENS1_25partition_config_selectorILNS1_17partition_subalgoE8EmNS0_10empty_typeEbEEZZNS1_14partition_implILS5_8ELb0ES3_jPKmPS6_PKS6_NS0_5tupleIJPmS6_EEENSE_IJSB_SB_EEENS0_18inequality_wrapperIN6hipcub16HIPCUB_304000_NS8EqualityEEEPlJS6_EEE10hipError_tPvRmT3_T4_T5_T6_T7_T9_mT8_P12ihipStream_tbDpT10_ENKUlT_T0_E_clISt17integral_constantIbLb0EES17_EEDaS12_S13_EUlS12_E_NS1_11comp_targetILNS1_3genE0ELNS1_11target_archE4294967295ELNS1_3gpuE0ELNS1_3repE0EEENS1_30default_config_static_selectorELNS0_4arch9wavefront6targetE1EEEvT1_,"axG",@progbits,_ZN7rocprim17ROCPRIM_400000_NS6detail17trampoline_kernelINS0_14default_configENS1_25partition_config_selectorILNS1_17partition_subalgoE8EmNS0_10empty_typeEbEEZZNS1_14partition_implILS5_8ELb0ES3_jPKmPS6_PKS6_NS0_5tupleIJPmS6_EEENSE_IJSB_SB_EEENS0_18inequality_wrapperIN6hipcub16HIPCUB_304000_NS8EqualityEEEPlJS6_EEE10hipError_tPvRmT3_T4_T5_T6_T7_T9_mT8_P12ihipStream_tbDpT10_ENKUlT_T0_E_clISt17integral_constantIbLb0EES17_EEDaS12_S13_EUlS12_E_NS1_11comp_targetILNS1_3genE0ELNS1_11target_archE4294967295ELNS1_3gpuE0ELNS1_3repE0EEENS1_30default_config_static_selectorELNS0_4arch9wavefront6targetE1EEEvT1_,comdat
.Lfunc_end686:
	.size	_ZN7rocprim17ROCPRIM_400000_NS6detail17trampoline_kernelINS0_14default_configENS1_25partition_config_selectorILNS1_17partition_subalgoE8EmNS0_10empty_typeEbEEZZNS1_14partition_implILS5_8ELb0ES3_jPKmPS6_PKS6_NS0_5tupleIJPmS6_EEENSE_IJSB_SB_EEENS0_18inequality_wrapperIN6hipcub16HIPCUB_304000_NS8EqualityEEEPlJS6_EEE10hipError_tPvRmT3_T4_T5_T6_T7_T9_mT8_P12ihipStream_tbDpT10_ENKUlT_T0_E_clISt17integral_constantIbLb0EES17_EEDaS12_S13_EUlS12_E_NS1_11comp_targetILNS1_3genE0ELNS1_11target_archE4294967295ELNS1_3gpuE0ELNS1_3repE0EEENS1_30default_config_static_selectorELNS0_4arch9wavefront6targetE1EEEvT1_, .Lfunc_end686-_ZN7rocprim17ROCPRIM_400000_NS6detail17trampoline_kernelINS0_14default_configENS1_25partition_config_selectorILNS1_17partition_subalgoE8EmNS0_10empty_typeEbEEZZNS1_14partition_implILS5_8ELb0ES3_jPKmPS6_PKS6_NS0_5tupleIJPmS6_EEENSE_IJSB_SB_EEENS0_18inequality_wrapperIN6hipcub16HIPCUB_304000_NS8EqualityEEEPlJS6_EEE10hipError_tPvRmT3_T4_T5_T6_T7_T9_mT8_P12ihipStream_tbDpT10_ENKUlT_T0_E_clISt17integral_constantIbLb0EES17_EEDaS12_S13_EUlS12_E_NS1_11comp_targetILNS1_3genE0ELNS1_11target_archE4294967295ELNS1_3gpuE0ELNS1_3repE0EEENS1_30default_config_static_selectorELNS0_4arch9wavefront6targetE1EEEvT1_
                                        ; -- End function
	.section	.AMDGPU.csdata,"",@progbits
; Kernel info:
; codeLenInByte = 0
; NumSgprs: 4
; NumVgprs: 0
; NumAgprs: 0
; TotalNumVgprs: 0
; ScratchSize: 0
; MemoryBound: 0
; FloatMode: 240
; IeeeMode: 1
; LDSByteSize: 0 bytes/workgroup (compile time only)
; SGPRBlocks: 0
; VGPRBlocks: 0
; NumSGPRsForWavesPerEU: 4
; NumVGPRsForWavesPerEU: 1
; AccumOffset: 4
; Occupancy: 8
; WaveLimiterHint : 0
; COMPUTE_PGM_RSRC2:SCRATCH_EN: 0
; COMPUTE_PGM_RSRC2:USER_SGPR: 6
; COMPUTE_PGM_RSRC2:TRAP_HANDLER: 0
; COMPUTE_PGM_RSRC2:TGID_X_EN: 1
; COMPUTE_PGM_RSRC2:TGID_Y_EN: 0
; COMPUTE_PGM_RSRC2:TGID_Z_EN: 0
; COMPUTE_PGM_RSRC2:TIDIG_COMP_CNT: 0
; COMPUTE_PGM_RSRC3_GFX90A:ACCUM_OFFSET: 0
; COMPUTE_PGM_RSRC3_GFX90A:TG_SPLIT: 0
	.section	.text._ZN7rocprim17ROCPRIM_400000_NS6detail17trampoline_kernelINS0_14default_configENS1_25partition_config_selectorILNS1_17partition_subalgoE8EmNS0_10empty_typeEbEEZZNS1_14partition_implILS5_8ELb0ES3_jPKmPS6_PKS6_NS0_5tupleIJPmS6_EEENSE_IJSB_SB_EEENS0_18inequality_wrapperIN6hipcub16HIPCUB_304000_NS8EqualityEEEPlJS6_EEE10hipError_tPvRmT3_T4_T5_T6_T7_T9_mT8_P12ihipStream_tbDpT10_ENKUlT_T0_E_clISt17integral_constantIbLb0EES17_EEDaS12_S13_EUlS12_E_NS1_11comp_targetILNS1_3genE5ELNS1_11target_archE942ELNS1_3gpuE9ELNS1_3repE0EEENS1_30default_config_static_selectorELNS0_4arch9wavefront6targetE1EEEvT1_,"axG",@progbits,_ZN7rocprim17ROCPRIM_400000_NS6detail17trampoline_kernelINS0_14default_configENS1_25partition_config_selectorILNS1_17partition_subalgoE8EmNS0_10empty_typeEbEEZZNS1_14partition_implILS5_8ELb0ES3_jPKmPS6_PKS6_NS0_5tupleIJPmS6_EEENSE_IJSB_SB_EEENS0_18inequality_wrapperIN6hipcub16HIPCUB_304000_NS8EqualityEEEPlJS6_EEE10hipError_tPvRmT3_T4_T5_T6_T7_T9_mT8_P12ihipStream_tbDpT10_ENKUlT_T0_E_clISt17integral_constantIbLb0EES17_EEDaS12_S13_EUlS12_E_NS1_11comp_targetILNS1_3genE5ELNS1_11target_archE942ELNS1_3gpuE9ELNS1_3repE0EEENS1_30default_config_static_selectorELNS0_4arch9wavefront6targetE1EEEvT1_,comdat
	.protected	_ZN7rocprim17ROCPRIM_400000_NS6detail17trampoline_kernelINS0_14default_configENS1_25partition_config_selectorILNS1_17partition_subalgoE8EmNS0_10empty_typeEbEEZZNS1_14partition_implILS5_8ELb0ES3_jPKmPS6_PKS6_NS0_5tupleIJPmS6_EEENSE_IJSB_SB_EEENS0_18inequality_wrapperIN6hipcub16HIPCUB_304000_NS8EqualityEEEPlJS6_EEE10hipError_tPvRmT3_T4_T5_T6_T7_T9_mT8_P12ihipStream_tbDpT10_ENKUlT_T0_E_clISt17integral_constantIbLb0EES17_EEDaS12_S13_EUlS12_E_NS1_11comp_targetILNS1_3genE5ELNS1_11target_archE942ELNS1_3gpuE9ELNS1_3repE0EEENS1_30default_config_static_selectorELNS0_4arch9wavefront6targetE1EEEvT1_ ; -- Begin function _ZN7rocprim17ROCPRIM_400000_NS6detail17trampoline_kernelINS0_14default_configENS1_25partition_config_selectorILNS1_17partition_subalgoE8EmNS0_10empty_typeEbEEZZNS1_14partition_implILS5_8ELb0ES3_jPKmPS6_PKS6_NS0_5tupleIJPmS6_EEENSE_IJSB_SB_EEENS0_18inequality_wrapperIN6hipcub16HIPCUB_304000_NS8EqualityEEEPlJS6_EEE10hipError_tPvRmT3_T4_T5_T6_T7_T9_mT8_P12ihipStream_tbDpT10_ENKUlT_T0_E_clISt17integral_constantIbLb0EES17_EEDaS12_S13_EUlS12_E_NS1_11comp_targetILNS1_3genE5ELNS1_11target_archE942ELNS1_3gpuE9ELNS1_3repE0EEENS1_30default_config_static_selectorELNS0_4arch9wavefront6targetE1EEEvT1_
	.globl	_ZN7rocprim17ROCPRIM_400000_NS6detail17trampoline_kernelINS0_14default_configENS1_25partition_config_selectorILNS1_17partition_subalgoE8EmNS0_10empty_typeEbEEZZNS1_14partition_implILS5_8ELb0ES3_jPKmPS6_PKS6_NS0_5tupleIJPmS6_EEENSE_IJSB_SB_EEENS0_18inequality_wrapperIN6hipcub16HIPCUB_304000_NS8EqualityEEEPlJS6_EEE10hipError_tPvRmT3_T4_T5_T6_T7_T9_mT8_P12ihipStream_tbDpT10_ENKUlT_T0_E_clISt17integral_constantIbLb0EES17_EEDaS12_S13_EUlS12_E_NS1_11comp_targetILNS1_3genE5ELNS1_11target_archE942ELNS1_3gpuE9ELNS1_3repE0EEENS1_30default_config_static_selectorELNS0_4arch9wavefront6targetE1EEEvT1_
	.p2align	8
	.type	_ZN7rocprim17ROCPRIM_400000_NS6detail17trampoline_kernelINS0_14default_configENS1_25partition_config_selectorILNS1_17partition_subalgoE8EmNS0_10empty_typeEbEEZZNS1_14partition_implILS5_8ELb0ES3_jPKmPS6_PKS6_NS0_5tupleIJPmS6_EEENSE_IJSB_SB_EEENS0_18inequality_wrapperIN6hipcub16HIPCUB_304000_NS8EqualityEEEPlJS6_EEE10hipError_tPvRmT3_T4_T5_T6_T7_T9_mT8_P12ihipStream_tbDpT10_ENKUlT_T0_E_clISt17integral_constantIbLb0EES17_EEDaS12_S13_EUlS12_E_NS1_11comp_targetILNS1_3genE5ELNS1_11target_archE942ELNS1_3gpuE9ELNS1_3repE0EEENS1_30default_config_static_selectorELNS0_4arch9wavefront6targetE1EEEvT1_,@function
_ZN7rocprim17ROCPRIM_400000_NS6detail17trampoline_kernelINS0_14default_configENS1_25partition_config_selectorILNS1_17partition_subalgoE8EmNS0_10empty_typeEbEEZZNS1_14partition_implILS5_8ELb0ES3_jPKmPS6_PKS6_NS0_5tupleIJPmS6_EEENSE_IJSB_SB_EEENS0_18inequality_wrapperIN6hipcub16HIPCUB_304000_NS8EqualityEEEPlJS6_EEE10hipError_tPvRmT3_T4_T5_T6_T7_T9_mT8_P12ihipStream_tbDpT10_ENKUlT_T0_E_clISt17integral_constantIbLb0EES17_EEDaS12_S13_EUlS12_E_NS1_11comp_targetILNS1_3genE5ELNS1_11target_archE942ELNS1_3gpuE9ELNS1_3repE0EEENS1_30default_config_static_selectorELNS0_4arch9wavefront6targetE1EEEvT1_: ; @_ZN7rocprim17ROCPRIM_400000_NS6detail17trampoline_kernelINS0_14default_configENS1_25partition_config_selectorILNS1_17partition_subalgoE8EmNS0_10empty_typeEbEEZZNS1_14partition_implILS5_8ELb0ES3_jPKmPS6_PKS6_NS0_5tupleIJPmS6_EEENSE_IJSB_SB_EEENS0_18inequality_wrapperIN6hipcub16HIPCUB_304000_NS8EqualityEEEPlJS6_EEE10hipError_tPvRmT3_T4_T5_T6_T7_T9_mT8_P12ihipStream_tbDpT10_ENKUlT_T0_E_clISt17integral_constantIbLb0EES17_EEDaS12_S13_EUlS12_E_NS1_11comp_targetILNS1_3genE5ELNS1_11target_archE942ELNS1_3gpuE9ELNS1_3repE0EEENS1_30default_config_static_selectorELNS0_4arch9wavefront6targetE1EEEvT1_
; %bb.0:
	.section	.rodata,"a",@progbits
	.p2align	6, 0x0
	.amdhsa_kernel _ZN7rocprim17ROCPRIM_400000_NS6detail17trampoline_kernelINS0_14default_configENS1_25partition_config_selectorILNS1_17partition_subalgoE8EmNS0_10empty_typeEbEEZZNS1_14partition_implILS5_8ELb0ES3_jPKmPS6_PKS6_NS0_5tupleIJPmS6_EEENSE_IJSB_SB_EEENS0_18inequality_wrapperIN6hipcub16HIPCUB_304000_NS8EqualityEEEPlJS6_EEE10hipError_tPvRmT3_T4_T5_T6_T7_T9_mT8_P12ihipStream_tbDpT10_ENKUlT_T0_E_clISt17integral_constantIbLb0EES17_EEDaS12_S13_EUlS12_E_NS1_11comp_targetILNS1_3genE5ELNS1_11target_archE942ELNS1_3gpuE9ELNS1_3repE0EEENS1_30default_config_static_selectorELNS0_4arch9wavefront6targetE1EEEvT1_
		.amdhsa_group_segment_fixed_size 0
		.amdhsa_private_segment_fixed_size 0
		.amdhsa_kernarg_size 112
		.amdhsa_user_sgpr_count 6
		.amdhsa_user_sgpr_private_segment_buffer 1
		.amdhsa_user_sgpr_dispatch_ptr 0
		.amdhsa_user_sgpr_queue_ptr 0
		.amdhsa_user_sgpr_kernarg_segment_ptr 1
		.amdhsa_user_sgpr_dispatch_id 0
		.amdhsa_user_sgpr_flat_scratch_init 0
		.amdhsa_user_sgpr_kernarg_preload_length 0
		.amdhsa_user_sgpr_kernarg_preload_offset 0
		.amdhsa_user_sgpr_private_segment_size 0
		.amdhsa_uses_dynamic_stack 0
		.amdhsa_system_sgpr_private_segment_wavefront_offset 0
		.amdhsa_system_sgpr_workgroup_id_x 1
		.amdhsa_system_sgpr_workgroup_id_y 0
		.amdhsa_system_sgpr_workgroup_id_z 0
		.amdhsa_system_sgpr_workgroup_info 0
		.amdhsa_system_vgpr_workitem_id 0
		.amdhsa_next_free_vgpr 1
		.amdhsa_next_free_sgpr 0
		.amdhsa_accum_offset 4
		.amdhsa_reserve_vcc 0
		.amdhsa_reserve_flat_scratch 0
		.amdhsa_float_round_mode_32 0
		.amdhsa_float_round_mode_16_64 0
		.amdhsa_float_denorm_mode_32 3
		.amdhsa_float_denorm_mode_16_64 3
		.amdhsa_dx10_clamp 1
		.amdhsa_ieee_mode 1
		.amdhsa_fp16_overflow 0
		.amdhsa_tg_split 0
		.amdhsa_exception_fp_ieee_invalid_op 0
		.amdhsa_exception_fp_denorm_src 0
		.amdhsa_exception_fp_ieee_div_zero 0
		.amdhsa_exception_fp_ieee_overflow 0
		.amdhsa_exception_fp_ieee_underflow 0
		.amdhsa_exception_fp_ieee_inexact 0
		.amdhsa_exception_int_div_zero 0
	.end_amdhsa_kernel
	.section	.text._ZN7rocprim17ROCPRIM_400000_NS6detail17trampoline_kernelINS0_14default_configENS1_25partition_config_selectorILNS1_17partition_subalgoE8EmNS0_10empty_typeEbEEZZNS1_14partition_implILS5_8ELb0ES3_jPKmPS6_PKS6_NS0_5tupleIJPmS6_EEENSE_IJSB_SB_EEENS0_18inequality_wrapperIN6hipcub16HIPCUB_304000_NS8EqualityEEEPlJS6_EEE10hipError_tPvRmT3_T4_T5_T6_T7_T9_mT8_P12ihipStream_tbDpT10_ENKUlT_T0_E_clISt17integral_constantIbLb0EES17_EEDaS12_S13_EUlS12_E_NS1_11comp_targetILNS1_3genE5ELNS1_11target_archE942ELNS1_3gpuE9ELNS1_3repE0EEENS1_30default_config_static_selectorELNS0_4arch9wavefront6targetE1EEEvT1_,"axG",@progbits,_ZN7rocprim17ROCPRIM_400000_NS6detail17trampoline_kernelINS0_14default_configENS1_25partition_config_selectorILNS1_17partition_subalgoE8EmNS0_10empty_typeEbEEZZNS1_14partition_implILS5_8ELb0ES3_jPKmPS6_PKS6_NS0_5tupleIJPmS6_EEENSE_IJSB_SB_EEENS0_18inequality_wrapperIN6hipcub16HIPCUB_304000_NS8EqualityEEEPlJS6_EEE10hipError_tPvRmT3_T4_T5_T6_T7_T9_mT8_P12ihipStream_tbDpT10_ENKUlT_T0_E_clISt17integral_constantIbLb0EES17_EEDaS12_S13_EUlS12_E_NS1_11comp_targetILNS1_3genE5ELNS1_11target_archE942ELNS1_3gpuE9ELNS1_3repE0EEENS1_30default_config_static_selectorELNS0_4arch9wavefront6targetE1EEEvT1_,comdat
.Lfunc_end687:
	.size	_ZN7rocprim17ROCPRIM_400000_NS6detail17trampoline_kernelINS0_14default_configENS1_25partition_config_selectorILNS1_17partition_subalgoE8EmNS0_10empty_typeEbEEZZNS1_14partition_implILS5_8ELb0ES3_jPKmPS6_PKS6_NS0_5tupleIJPmS6_EEENSE_IJSB_SB_EEENS0_18inequality_wrapperIN6hipcub16HIPCUB_304000_NS8EqualityEEEPlJS6_EEE10hipError_tPvRmT3_T4_T5_T6_T7_T9_mT8_P12ihipStream_tbDpT10_ENKUlT_T0_E_clISt17integral_constantIbLb0EES17_EEDaS12_S13_EUlS12_E_NS1_11comp_targetILNS1_3genE5ELNS1_11target_archE942ELNS1_3gpuE9ELNS1_3repE0EEENS1_30default_config_static_selectorELNS0_4arch9wavefront6targetE1EEEvT1_, .Lfunc_end687-_ZN7rocprim17ROCPRIM_400000_NS6detail17trampoline_kernelINS0_14default_configENS1_25partition_config_selectorILNS1_17partition_subalgoE8EmNS0_10empty_typeEbEEZZNS1_14partition_implILS5_8ELb0ES3_jPKmPS6_PKS6_NS0_5tupleIJPmS6_EEENSE_IJSB_SB_EEENS0_18inequality_wrapperIN6hipcub16HIPCUB_304000_NS8EqualityEEEPlJS6_EEE10hipError_tPvRmT3_T4_T5_T6_T7_T9_mT8_P12ihipStream_tbDpT10_ENKUlT_T0_E_clISt17integral_constantIbLb0EES17_EEDaS12_S13_EUlS12_E_NS1_11comp_targetILNS1_3genE5ELNS1_11target_archE942ELNS1_3gpuE9ELNS1_3repE0EEENS1_30default_config_static_selectorELNS0_4arch9wavefront6targetE1EEEvT1_
                                        ; -- End function
	.section	.AMDGPU.csdata,"",@progbits
; Kernel info:
; codeLenInByte = 0
; NumSgprs: 4
; NumVgprs: 0
; NumAgprs: 0
; TotalNumVgprs: 0
; ScratchSize: 0
; MemoryBound: 0
; FloatMode: 240
; IeeeMode: 1
; LDSByteSize: 0 bytes/workgroup (compile time only)
; SGPRBlocks: 0
; VGPRBlocks: 0
; NumSGPRsForWavesPerEU: 4
; NumVGPRsForWavesPerEU: 1
; AccumOffset: 4
; Occupancy: 8
; WaveLimiterHint : 0
; COMPUTE_PGM_RSRC2:SCRATCH_EN: 0
; COMPUTE_PGM_RSRC2:USER_SGPR: 6
; COMPUTE_PGM_RSRC2:TRAP_HANDLER: 0
; COMPUTE_PGM_RSRC2:TGID_X_EN: 1
; COMPUTE_PGM_RSRC2:TGID_Y_EN: 0
; COMPUTE_PGM_RSRC2:TGID_Z_EN: 0
; COMPUTE_PGM_RSRC2:TIDIG_COMP_CNT: 0
; COMPUTE_PGM_RSRC3_GFX90A:ACCUM_OFFSET: 0
; COMPUTE_PGM_RSRC3_GFX90A:TG_SPLIT: 0
	.section	.text._ZN7rocprim17ROCPRIM_400000_NS6detail17trampoline_kernelINS0_14default_configENS1_25partition_config_selectorILNS1_17partition_subalgoE8EmNS0_10empty_typeEbEEZZNS1_14partition_implILS5_8ELb0ES3_jPKmPS6_PKS6_NS0_5tupleIJPmS6_EEENSE_IJSB_SB_EEENS0_18inequality_wrapperIN6hipcub16HIPCUB_304000_NS8EqualityEEEPlJS6_EEE10hipError_tPvRmT3_T4_T5_T6_T7_T9_mT8_P12ihipStream_tbDpT10_ENKUlT_T0_E_clISt17integral_constantIbLb0EES17_EEDaS12_S13_EUlS12_E_NS1_11comp_targetILNS1_3genE4ELNS1_11target_archE910ELNS1_3gpuE8ELNS1_3repE0EEENS1_30default_config_static_selectorELNS0_4arch9wavefront6targetE1EEEvT1_,"axG",@progbits,_ZN7rocprim17ROCPRIM_400000_NS6detail17trampoline_kernelINS0_14default_configENS1_25partition_config_selectorILNS1_17partition_subalgoE8EmNS0_10empty_typeEbEEZZNS1_14partition_implILS5_8ELb0ES3_jPKmPS6_PKS6_NS0_5tupleIJPmS6_EEENSE_IJSB_SB_EEENS0_18inequality_wrapperIN6hipcub16HIPCUB_304000_NS8EqualityEEEPlJS6_EEE10hipError_tPvRmT3_T4_T5_T6_T7_T9_mT8_P12ihipStream_tbDpT10_ENKUlT_T0_E_clISt17integral_constantIbLb0EES17_EEDaS12_S13_EUlS12_E_NS1_11comp_targetILNS1_3genE4ELNS1_11target_archE910ELNS1_3gpuE8ELNS1_3repE0EEENS1_30default_config_static_selectorELNS0_4arch9wavefront6targetE1EEEvT1_,comdat
	.protected	_ZN7rocprim17ROCPRIM_400000_NS6detail17trampoline_kernelINS0_14default_configENS1_25partition_config_selectorILNS1_17partition_subalgoE8EmNS0_10empty_typeEbEEZZNS1_14partition_implILS5_8ELb0ES3_jPKmPS6_PKS6_NS0_5tupleIJPmS6_EEENSE_IJSB_SB_EEENS0_18inequality_wrapperIN6hipcub16HIPCUB_304000_NS8EqualityEEEPlJS6_EEE10hipError_tPvRmT3_T4_T5_T6_T7_T9_mT8_P12ihipStream_tbDpT10_ENKUlT_T0_E_clISt17integral_constantIbLb0EES17_EEDaS12_S13_EUlS12_E_NS1_11comp_targetILNS1_3genE4ELNS1_11target_archE910ELNS1_3gpuE8ELNS1_3repE0EEENS1_30default_config_static_selectorELNS0_4arch9wavefront6targetE1EEEvT1_ ; -- Begin function _ZN7rocprim17ROCPRIM_400000_NS6detail17trampoline_kernelINS0_14default_configENS1_25partition_config_selectorILNS1_17partition_subalgoE8EmNS0_10empty_typeEbEEZZNS1_14partition_implILS5_8ELb0ES3_jPKmPS6_PKS6_NS0_5tupleIJPmS6_EEENSE_IJSB_SB_EEENS0_18inequality_wrapperIN6hipcub16HIPCUB_304000_NS8EqualityEEEPlJS6_EEE10hipError_tPvRmT3_T4_T5_T6_T7_T9_mT8_P12ihipStream_tbDpT10_ENKUlT_T0_E_clISt17integral_constantIbLb0EES17_EEDaS12_S13_EUlS12_E_NS1_11comp_targetILNS1_3genE4ELNS1_11target_archE910ELNS1_3gpuE8ELNS1_3repE0EEENS1_30default_config_static_selectorELNS0_4arch9wavefront6targetE1EEEvT1_
	.globl	_ZN7rocprim17ROCPRIM_400000_NS6detail17trampoline_kernelINS0_14default_configENS1_25partition_config_selectorILNS1_17partition_subalgoE8EmNS0_10empty_typeEbEEZZNS1_14partition_implILS5_8ELb0ES3_jPKmPS6_PKS6_NS0_5tupleIJPmS6_EEENSE_IJSB_SB_EEENS0_18inequality_wrapperIN6hipcub16HIPCUB_304000_NS8EqualityEEEPlJS6_EEE10hipError_tPvRmT3_T4_T5_T6_T7_T9_mT8_P12ihipStream_tbDpT10_ENKUlT_T0_E_clISt17integral_constantIbLb0EES17_EEDaS12_S13_EUlS12_E_NS1_11comp_targetILNS1_3genE4ELNS1_11target_archE910ELNS1_3gpuE8ELNS1_3repE0EEENS1_30default_config_static_selectorELNS0_4arch9wavefront6targetE1EEEvT1_
	.p2align	8
	.type	_ZN7rocprim17ROCPRIM_400000_NS6detail17trampoline_kernelINS0_14default_configENS1_25partition_config_selectorILNS1_17partition_subalgoE8EmNS0_10empty_typeEbEEZZNS1_14partition_implILS5_8ELb0ES3_jPKmPS6_PKS6_NS0_5tupleIJPmS6_EEENSE_IJSB_SB_EEENS0_18inequality_wrapperIN6hipcub16HIPCUB_304000_NS8EqualityEEEPlJS6_EEE10hipError_tPvRmT3_T4_T5_T6_T7_T9_mT8_P12ihipStream_tbDpT10_ENKUlT_T0_E_clISt17integral_constantIbLb0EES17_EEDaS12_S13_EUlS12_E_NS1_11comp_targetILNS1_3genE4ELNS1_11target_archE910ELNS1_3gpuE8ELNS1_3repE0EEENS1_30default_config_static_selectorELNS0_4arch9wavefront6targetE1EEEvT1_,@function
_ZN7rocprim17ROCPRIM_400000_NS6detail17trampoline_kernelINS0_14default_configENS1_25partition_config_selectorILNS1_17partition_subalgoE8EmNS0_10empty_typeEbEEZZNS1_14partition_implILS5_8ELb0ES3_jPKmPS6_PKS6_NS0_5tupleIJPmS6_EEENSE_IJSB_SB_EEENS0_18inequality_wrapperIN6hipcub16HIPCUB_304000_NS8EqualityEEEPlJS6_EEE10hipError_tPvRmT3_T4_T5_T6_T7_T9_mT8_P12ihipStream_tbDpT10_ENKUlT_T0_E_clISt17integral_constantIbLb0EES17_EEDaS12_S13_EUlS12_E_NS1_11comp_targetILNS1_3genE4ELNS1_11target_archE910ELNS1_3gpuE8ELNS1_3repE0EEENS1_30default_config_static_selectorELNS0_4arch9wavefront6targetE1EEEvT1_: ; @_ZN7rocprim17ROCPRIM_400000_NS6detail17trampoline_kernelINS0_14default_configENS1_25partition_config_selectorILNS1_17partition_subalgoE8EmNS0_10empty_typeEbEEZZNS1_14partition_implILS5_8ELb0ES3_jPKmPS6_PKS6_NS0_5tupleIJPmS6_EEENSE_IJSB_SB_EEENS0_18inequality_wrapperIN6hipcub16HIPCUB_304000_NS8EqualityEEEPlJS6_EEE10hipError_tPvRmT3_T4_T5_T6_T7_T9_mT8_P12ihipStream_tbDpT10_ENKUlT_T0_E_clISt17integral_constantIbLb0EES17_EEDaS12_S13_EUlS12_E_NS1_11comp_targetILNS1_3genE4ELNS1_11target_archE910ELNS1_3gpuE8ELNS1_3repE0EEENS1_30default_config_static_selectorELNS0_4arch9wavefront6targetE1EEEvT1_
; %bb.0:
	s_load_dwordx2 s[8:9], s[4:5], 0x50
	s_load_dwordx4 s[0:3], s[4:5], 0x8
	s_load_dwordx4 s[20:23], s[4:5], 0x40
	s_load_dword s7, s[4:5], 0x68
	s_waitcnt lgkmcnt(0)
	v_mov_b32_e32 v3, s9
	s_lshl_b64 s[10:11], s[2:3], 3
	s_add_u32 s10, s0, s10
	s_mul_i32 s9, s7, 0x500
	s_addc_u32 s11, s1, s11
	s_add_i32 s1, s9, s2
	s_add_i32 s12, s7, -1
	s_sub_i32 s7, s8, s1
	v_mov_b32_e32 v2, s8
	s_add_u32 s8, s2, s9
	s_addc_u32 s9, s3, 0
	s_cmp_eq_u32 s6, s12
	s_load_dwordx2 s[22:23], s[22:23], 0x0
	v_cmp_ge_u64_e32 vcc, s[8:9], v[2:3]
	s_cselect_b64 s[24:25], -1, 0
	s_mul_i32 s0, s6, 0x500
	s_mov_b32 s1, 0
	s_and_b64 s[12:13], s[24:25], vcc
	s_xor_b64 s[26:27], s[12:13], -1
	s_lshl_b64 s[0:1], s[0:1], 3
	s_add_u32 s0, s10, s0
	s_mov_b64 s[8:9], -1
	s_addc_u32 s1, s11, s1
	s_and_b64 vcc, exec, s[26:27]
	s_cbranch_vccz .LBB688_2
; %bb.1:
	v_lshlrev_b32_e32 v1, 3, v0
	v_mov_b32_e32 v2, s1
	v_add_co_u32_e32 v12, vcc, s0, v1
	v_addc_co_u32_e32 v13, vcc, 0, v2, vcc
	v_add_co_u32_e32 v2, vcc, 0x1000, v12
	v_addc_co_u32_e32 v3, vcc, 0, v13, vcc
	global_load_dwordx2 v[4:5], v1, s[0:1]
	global_load_dwordx2 v[6:7], v1, s[0:1] offset:2048
	global_load_dwordx2 v[8:9], v[2:3], off
	global_load_dwordx2 v[10:11], v[2:3], off offset:2048
	v_add_co_u32_e32 v2, vcc, 0x2000, v12
	v_addc_co_u32_e32 v3, vcc, 0, v13, vcc
	global_load_dwordx2 v[2:3], v[2:3], off
	s_mov_b64 s[8:9], 0
	s_waitcnt vmcnt(3)
	ds_write2st64_b64 v1, v[4:5], v[6:7] offset1:4
	s_waitcnt vmcnt(1)
	ds_write2st64_b64 v1, v[8:9], v[10:11] offset0:8 offset1:12
	s_waitcnt vmcnt(0)
	ds_write_b64 v1, v[2:3] offset:8192
	s_waitcnt lgkmcnt(0)
	s_barrier
.LBB688_2:
	s_andn2_b64 vcc, exec, s[8:9]
	s_addk_i32 s7, 0x500
	s_cbranch_vccnz .LBB688_14
; %bb.3:
	v_cmp_gt_u32_e32 vcc, s7, v0
                                        ; implicit-def: $vgpr2_vgpr3_vgpr4_vgpr5_vgpr6_vgpr7_vgpr8_vgpr9_vgpr10_vgpr11_vgpr12_vgpr13_vgpr14_vgpr15_vgpr16_vgpr17
	s_and_saveexec_b64 s[8:9], vcc
	s_cbranch_execz .LBB688_5
; %bb.4:
	v_lshlrev_b32_e32 v1, 3, v0
	global_load_dwordx2 v[2:3], v1, s[0:1]
.LBB688_5:
	s_or_b64 exec, exec, s[8:9]
	v_or_b32_e32 v1, 0x100, v0
	v_cmp_gt_u32_e32 vcc, s7, v1
	s_and_saveexec_b64 s[8:9], vcc
	s_cbranch_execz .LBB688_7
; %bb.6:
	v_lshlrev_b32_e32 v1, 3, v0
	global_load_dwordx2 v[4:5], v1, s[0:1] offset:2048
.LBB688_7:
	s_or_b64 exec, exec, s[8:9]
	v_or_b32_e32 v1, 0x200, v0
	v_cmp_gt_u32_e32 vcc, s7, v1
	s_and_saveexec_b64 s[8:9], vcc
	s_cbranch_execz .LBB688_9
; %bb.8:
	v_lshlrev_b32_e32 v1, 3, v1
	global_load_dwordx2 v[6:7], v1, s[0:1]
.LBB688_9:
	s_or_b64 exec, exec, s[8:9]
	v_or_b32_e32 v1, 0x300, v0
	v_cmp_gt_u32_e32 vcc, s7, v1
	s_and_saveexec_b64 s[8:9], vcc
	s_cbranch_execz .LBB688_11
; %bb.10:
	v_lshlrev_b32_e32 v1, 3, v1
	global_load_dwordx2 v[8:9], v1, s[0:1]
.LBB688_11:
	;; [unrolled: 9-line block ×3, first 2 shown]
	s_or_b64 exec, exec, s[8:9]
	v_lshlrev_b32_e32 v1, 3, v0
	s_waitcnt vmcnt(0)
	ds_write2st64_b64 v1, v[2:3], v[4:5] offset1:4
	ds_write2st64_b64 v1, v[6:7], v[8:9] offset0:8 offset1:12
	ds_write_b64 v1, v[10:11] offset:8192
	s_waitcnt lgkmcnt(0)
	s_barrier
.LBB688_14:
	v_mul_u32_u24_e32 v16, 5, v0
	v_lshlrev_b32_e32 v1, 3, v16
	s_waitcnt lgkmcnt(0)
	ds_read2_b64 v[6:9], v1 offset1:1
	ds_read2_b64 v[2:5], v1 offset0:2 offset1:3
	ds_read_b64 v[10:11], v1 offset:32
	s_cmp_lg_u32 s6, 0
	s_cselect_b64 s[16:17], -1, 0
	s_cmp_lg_u64 s[2:3], 0
	s_cselect_b64 s[2:3], -1, 0
	s_or_b64 s[2:3], s[16:17], s[2:3]
	v_mad_u32_u24 v19, v0, 5, 1
	v_mad_u32_u24 v17, v0, 5, 2
	;; [unrolled: 1-line block ×4, first 2 shown]
	s_mov_b64 s[14:15], 0
	s_and_b64 vcc, exec, s[2:3]
	s_waitcnt lgkmcnt(0)
	s_barrier
	s_cbranch_vccz .LBB688_19
; %bb.15:
	s_add_u32 s0, s0, -8
	s_addc_u32 s1, s1, -1
	s_load_dwordx2 s[2:3], s[0:1], 0x0
	v_lshlrev_b32_e32 v12, 3, v0
	s_and_b64 vcc, exec, s[26:27]
	ds_write_b64 v12, v[10:11]
	s_cbranch_vccz .LBB688_20
; %bb.16:
	v_cmp_ne_u32_e32 vcc, 0, v0
	s_waitcnt lgkmcnt(0)
	v_pk_mov_b32 v[14:15], s[2:3], s[2:3] op_sel:[0,1]
	s_barrier
	s_and_saveexec_b64 s[0:1], vcc
	s_cbranch_execz .LBB688_18
; %bb.17:
	v_add_u32_e32 v13, -8, v12
	ds_read_b64 v[14:15], v13
.LBB688_18:
	s_or_b64 exec, exec, s[0:1]
	v_cmp_ne_u64_e32 vcc, v[4:5], v[10:11]
	v_cndmask_b32_e64 v13, 0, 1, vcc
	v_cmp_ne_u64_e32 vcc, v[2:3], v[4:5]
	v_cndmask_b32_e64 v21, 0, 1, vcc
	;; [unrolled: 2-line block ×4, first 2 shown]
	s_waitcnt lgkmcnt(0)
	v_cmp_ne_u64_e64 s[0:1], v[14:15], v[6:7]
	v_lshlrev_b16_e32 v14, 8, v21
	v_or_b32_sdwa v14, v22, v14 dst_sel:WORD_1 dst_unused:UNUSED_PAD src0_sel:DWORD src1_sel:DWORD
	v_lshlrev_b16_e32 v15, 8, v23
	v_or_b32_e32 v14, v15, v14
	s_branch .LBB688_24
.LBB688_19:
                                        ; implicit-def: $sgpr0_sgpr1
                                        ; implicit-def: $vgpr13
                                        ; implicit-def: $vgpr14
	s_branch .LBB688_25
.LBB688_20:
                                        ; implicit-def: $sgpr0_sgpr1
                                        ; implicit-def: $vgpr13
                                        ; implicit-def: $vgpr14
	s_cbranch_execz .LBB688_24
; %bb.21:
	v_cmp_ne_u32_e32 vcc, 0, v0
	s_waitcnt lgkmcnt(0)
	v_pk_mov_b32 v[14:15], s[2:3], s[2:3] op_sel:[0,1]
	s_barrier
	s_and_saveexec_b64 s[0:1], vcc
	s_cbranch_execz .LBB688_23
; %bb.22:
	v_add_u32_e32 v12, -8, v12
	ds_read_b64 v[14:15], v12
.LBB688_23:
	s_or_b64 exec, exec, s[0:1]
	v_cmp_gt_u32_e32 vcc, s7, v18
	v_cmp_ne_u64_e64 s[0:1], v[4:5], v[10:11]
	s_and_b64 s[0:1], vcc, s[0:1]
	v_cndmask_b32_e64 v13, 0, 1, s[0:1]
	v_cmp_gt_u32_e32 vcc, s7, v20
	v_cmp_ne_u64_e64 s[0:1], v[2:3], v[4:5]
	s_and_b64 s[0:1], vcc, s[0:1]
	v_cndmask_b32_e64 v12, 0, 1, s[0:1]
	;; [unrolled: 4-line block ×4, first 2 shown]
	v_lshlrev_b16_e32 v12, 8, v12
	v_cmp_gt_u32_e32 vcc, s7, v16
	s_waitcnt lgkmcnt(0)
	v_cmp_ne_u64_e64 s[0:1], v[14:15], v[6:7]
	v_or_b32_sdwa v12, v21, v12 dst_sel:WORD_1 dst_unused:UNUSED_PAD src0_sel:DWORD src1_sel:DWORD
	v_lshlrev_b16_e32 v14, 8, v22
	s_and_b64 s[0:1], vcc, s[0:1]
	v_or_b32_e32 v14, v14, v12
.LBB688_24:
	s_waitcnt lgkmcnt(0)
	s_mov_b64 s[14:15], -1
	s_cbranch_execnz .LBB688_33
.LBB688_25:
	v_lshlrev_b32_e32 v12, 5, v0
	v_sub_u32_e32 v15, v1, v12
	s_and_b64 vcc, exec, s[26:27]
	v_cmp_ne_u64_e64 s[0:1], v[4:5], v[10:11]
	v_cmp_ne_u64_e64 s[2:3], v[2:3], v[4:5]
	;; [unrolled: 1-line block ×4, first 2 shown]
	ds_write_b64 v15, v[10:11]
	s_cbranch_vccz .LBB688_29
; %bb.26:
	v_cndmask_b32_e64 v12, 0, 1, s[2:3]
	v_cndmask_b32_e64 v13, 0, 1, s[10:11]
	;; [unrolled: 1-line block ×3, first 2 shown]
	v_lshlrev_b16_e32 v12, 8, v12
	v_or_b32_sdwa v12, v13, v12 dst_sel:WORD_1 dst_unused:UNUSED_PAD src0_sel:DWORD src1_sel:DWORD
	v_lshlrev_b16_e32 v13, 8, v14
	v_or_b32_e32 v13, 1, v13
	v_or_b32_sdwa v12, v13, v12 dst_sel:DWORD dst_unused:UNUSED_PAD src0_sel:WORD_0 src1_sel:DWORD
	v_cndmask_b32_e64 v13, 0, 1, s[0:1]
	v_cmp_ne_u32_e32 vcc, 0, v0
	s_waitcnt lgkmcnt(0)
	s_barrier
	s_waitcnt lgkmcnt(0)
                                        ; implicit-def: $sgpr0_sgpr1
                                        ; implicit-def: $vgpr14
	s_and_saveexec_b64 s[2:3], vcc
	s_xor_b64 s[2:3], exec, s[2:3]
	s_cbranch_execz .LBB688_28
; %bb.27:
	v_add_u32_e32 v14, -8, v15
	ds_read_b64 v[22:23], v14
	s_mov_b32 s0, 0x3020104
	v_perm_b32 v14, v12, v12, s0
	s_or_b64 s[14:15], s[14:15], exec
	s_waitcnt lgkmcnt(0)
	v_cmp_ne_u64_e32 vcc, v[22:23], v[6:7]
	s_and_b64 s[0:1], vcc, exec
.LBB688_28:
	s_or_b64 exec, exec, s[2:3]
	s_branch .LBB688_33
.LBB688_29:
                                        ; implicit-def: $sgpr0_sgpr1
                                        ; implicit-def: $vgpr13
                                        ; implicit-def: $vgpr14
	s_cbranch_execz .LBB688_33
; %bb.30:
	v_cmp_gt_u32_e64 s[2:3], s7, v20
	v_cmp_ne_u64_e64 s[8:9], v[2:3], v[4:5]
	s_and_b64 s[2:3], s[2:3], s[8:9]
	v_cndmask_b32_e64 v12, 0, 1, s[2:3]
	v_cmp_gt_u32_e64 s[2:3], s7, v17
	v_cmp_ne_u64_e64 s[8:9], v[8:9], v[2:3]
	s_and_b64 s[2:3], s[2:3], s[8:9]
	v_cndmask_b32_e64 v13, 0, 1, s[2:3]
	;; [unrolled: 4-line block ×3, first 2 shown]
	v_lshlrev_b16_e32 v12, 8, v12
	v_cmp_gt_u32_e32 vcc, s7, v18
	v_cmp_ne_u64_e64 s[0:1], v[4:5], v[10:11]
	v_or_b32_sdwa v12, v13, v12 dst_sel:WORD_1 dst_unused:UNUSED_PAD src0_sel:DWORD src1_sel:DWORD
	v_lshlrev_b16_e32 v13, 8, v14
	v_or_b32_e32 v13, 1, v13
	s_and_b64 s[0:1], vcc, s[0:1]
	v_or_b32_sdwa v12, v13, v12 dst_sel:DWORD dst_unused:UNUSED_PAD src0_sel:WORD_0 src1_sel:DWORD
	v_cndmask_b32_e64 v13, 0, 1, s[0:1]
	v_cmp_ne_u32_e32 vcc, 0, v0
	s_waitcnt lgkmcnt(0)
	s_barrier
	s_waitcnt lgkmcnt(0)
                                        ; implicit-def: $sgpr0_sgpr1
                                        ; implicit-def: $vgpr14
	s_and_saveexec_b64 s[2:3], vcc
	s_cbranch_execz .LBB688_32
; %bb.31:
	v_add_u32_e32 v14, -8, v15
	ds_read_b64 v[22:23], v14
	s_mov_b32 s0, 0x3020104
	v_cmp_gt_u32_e32 vcc, s7, v16
	v_perm_b32 v14, v12, v12, s0
	s_or_b64 s[14:15], s[14:15], exec
	s_waitcnt lgkmcnt(0)
	v_cmp_ne_u64_e64 s[0:1], v[22:23], v[6:7]
	s_and_b64 s[0:1], vcc, s[0:1]
	s_and_b64 s[0:1], s[0:1], exec
.LBB688_32:
	s_or_b64 exec, exec, s[2:3]
.LBB688_33:
	s_and_saveexec_b64 s[2:3], s[14:15]
	s_cbranch_execz .LBB688_35
; %bb.34:
	v_cndmask_b32_e64 v12, 0, 1, s[0:1]
	v_lshrrev_b32_e32 v15, 24, v14
	s_movk_i32 s0, 0xff
	v_lshlrev_b16_e32 v15, 8, v15
	v_and_b32_sdwa v21, v14, s0 dst_sel:DWORD dst_unused:UNUSED_PAD src0_sel:WORD_1 src1_sel:DWORD
	v_or_b32_sdwa v15, v21, v15 dst_sel:WORD_1 dst_unused:UNUSED_PAD src0_sel:DWORD src1_sel:DWORD
	v_mov_b32_e32 v21, 8
	v_lshrrev_b32_sdwa v14, v21, v14 dst_sel:BYTE_1 dst_unused:UNUSED_PAD src0_sel:DWORD src1_sel:DWORD
	v_or_b32_e32 v12, v12, v14
	s_mov_b32 s0, 0xffff
	v_or_b32_sdwa v12, v12, v15 dst_sel:DWORD dst_unused:UNUSED_PAD src0_sel:WORD_0 src1_sel:DWORD
	v_and_b32_sdwa v13, s0, v13 dst_sel:DWORD dst_unused:UNUSED_PAD src0_sel:DWORD src1_sel:BYTE_0
.LBB688_35:
	s_or_b64 exec, exec, s[2:3]
	s_load_dwordx2 s[28:29], s[4:5], 0x60
	s_andn2_b64 vcc, exec, s[12:13]
	s_cbranch_vccnz .LBB688_37
; %bb.36:
	v_cmp_gt_u32_e32 vcc, s7, v16
	v_cndmask_b32_e32 v14, 0, v12, vcc
	v_and_b32_e32 v14, 0xffff00ff, v14
	v_cmp_gt_u32_e64 s[0:1], s7, v19
	v_cndmask_b32_e64 v14, v14, v12, s[0:1]
	v_lshrrev_b32_e32 v15, 24, v14
	s_mov_b32 s2, 0x40c0100
	v_perm_b32 v14, v15, v14, s2
	v_cmp_gt_u32_e64 s[2:3], s7, v17
	v_cmp_gt_u32_e64 s[8:9], s7, v20
	v_cndmask_b32_e64 v14, v14, v12, s[2:3]
	s_or_b64 s[2:3], s[8:9], s[2:3]
	s_or_b64 s[0:1], s[2:3], s[0:1]
	s_or_b64 vcc, s[0:1], vcc
	v_and_b32_e32 v14, 0xffffff, v14
	v_cndmask_b32_e32 v15, 0, v13, vcc
	v_cndmask_b32_e64 v14, v14, v12, s[8:9]
	v_and_b32_e32 v15, 0xffffff00, v15
	v_cmp_gt_u32_e32 vcc, s7, v18
	v_cndmask_b32_e32 v12, v14, v12, vcc
	v_cndmask_b32_e32 v13, v15, v13, vcc
	s_mov_b32 s0, 0x3020104
	v_and_b32_e32 v13, 0xff, v13
	v_perm_b32 v12, v12, v12, s0
.LBB688_37:
	v_and_b32_e32 v25, 0xff, v12
	v_bfe_u32 v27, v12, 8, 8
	v_bfe_u32 v28, v12, 16, 8
	v_alignbit_b32 v14, v13, v12, 24
	v_and_b32_e32 v29, 0xff, v14
	v_and_b32_e32 v14, 0xff, v13
	v_add3_u32 v15, v27, v25, v28
	v_add3_u32 v32, v15, v29, v14
	v_mbcnt_lo_u32_b32 v14, -1, 0
	v_mbcnt_hi_u32_b32 v30, -1, v14
	v_and_b32_e32 v14, 15, v30
	v_cmp_eq_u32_e64 s[14:15], 0, v14
	v_cmp_lt_u32_e64 s[12:13], 1, v14
	v_cmp_lt_u32_e64 s[10:11], 3, v14
	;; [unrolled: 1-line block ×3, first 2 shown]
	v_and_b32_e32 v14, 16, v30
	v_cmp_eq_u32_e64 s[18:19], 0, v14
	v_or_b32_e32 v14, 63, v0
	v_cmp_lt_u32_e64 s[0:1], 31, v30
	v_lshrrev_b32_e32 v31, 6, v0
	v_cmp_eq_u32_e64 s[2:3], v14, v0
	s_and_b64 vcc, exec, s[16:17]
	s_waitcnt lgkmcnt(0)
	s_barrier
	s_cbranch_vccz .LBB688_64
; %bb.38:
	v_mov_b32_dpp v14, v32 row_shr:1 row_mask:0xf bank_mask:0xf
	v_cndmask_b32_e64 v14, v14, 0, s[14:15]
	v_add_u32_e32 v14, v14, v32
	s_nop 1
	v_mov_b32_dpp v15, v14 row_shr:2 row_mask:0xf bank_mask:0xf
	v_cndmask_b32_e64 v15, 0, v15, s[12:13]
	v_add_u32_e32 v14, v14, v15
	s_nop 1
	;; [unrolled: 4-line block ×4, first 2 shown]
	v_mov_b32_dpp v15, v14 row_bcast:15 row_mask:0xf bank_mask:0xf
	v_cndmask_b32_e64 v15, v15, 0, s[18:19]
	v_add_u32_e32 v14, v14, v15
	s_nop 1
	v_mov_b32_dpp v15, v14 row_bcast:31 row_mask:0xf bank_mask:0xf
	v_cndmask_b32_e64 v15, 0, v15, s[0:1]
	v_add_u32_e32 v14, v14, v15
	s_and_saveexec_b64 s[16:17], s[2:3]
	s_cbranch_execz .LBB688_40
; %bb.39:
	v_lshlrev_b32_e32 v15, 2, v31
	ds_write_b32 v15, v14
.LBB688_40:
	s_or_b64 exec, exec, s[16:17]
	v_cmp_gt_u32_e32 vcc, 4, v0
	s_waitcnt lgkmcnt(0)
	s_barrier
	s_and_saveexec_b64 s[16:17], vcc
	s_cbranch_execz .LBB688_42
; %bb.41:
	v_lshlrev_b32_e32 v15, 2, v0
	ds_read_b32 v16, v15
	v_and_b32_e32 v17, 3, v30
	v_cmp_ne_u32_e32 vcc, 0, v17
	s_waitcnt lgkmcnt(0)
	v_mov_b32_dpp v18, v16 row_shr:1 row_mask:0xf bank_mask:0xf
	v_cndmask_b32_e32 v18, 0, v18, vcc
	v_add_u32_e32 v16, v18, v16
	v_cmp_lt_u32_e32 vcc, 1, v17
	s_nop 0
	v_mov_b32_dpp v18, v16 row_shr:2 row_mask:0xf bank_mask:0xf
	v_cndmask_b32_e32 v17, 0, v18, vcc
	v_add_u32_e32 v16, v16, v17
	ds_write_b32 v15, v16
.LBB688_42:
	s_or_b64 exec, exec, s[16:17]
	v_cmp_gt_u32_e32 vcc, 64, v0
	v_cmp_lt_u32_e64 s[16:17], 63, v0
	s_waitcnt lgkmcnt(0)
	s_barrier
	s_waitcnt lgkmcnt(0)
                                        ; implicit-def: $vgpr24
	s_and_saveexec_b64 s[30:31], s[16:17]
	s_cbranch_execz .LBB688_44
; %bb.43:
	v_lshl_add_u32 v15, v31, 2, -4
	ds_read_b32 v24, v15
	s_waitcnt lgkmcnt(0)
	v_add_u32_e32 v14, v24, v14
.LBB688_44:
	s_or_b64 exec, exec, s[30:31]
	v_add_u32_e32 v15, -1, v30
	v_and_b32_e32 v16, 64, v30
	v_cmp_lt_i32_e64 s[16:17], v15, v16
	v_cndmask_b32_e64 v15, v15, v30, s[16:17]
	v_lshlrev_b32_e32 v15, 2, v15
	ds_bpermute_b32 v26, v15, v14
	v_cmp_eq_u32_e64 s[16:17], 0, v30
	s_and_saveexec_b64 s[30:31], vcc
	s_cbranch_execz .LBB688_63
; %bb.45:
	v_mov_b32_e32 v21, 0
	ds_read_b32 v14, v21 offset:12
	s_and_saveexec_b64 s[34:35], s[16:17]
	s_cbranch_execz .LBB688_47
; %bb.46:
	s_add_i32 s36, s6, 64
	s_mov_b32 s37, 0
	s_lshl_b64 s[36:37], s[36:37], 3
	s_add_u32 s36, s28, s36
	v_mov_b32_e32 v15, 1
	s_addc_u32 s37, s29, s37
	s_waitcnt lgkmcnt(0)
	global_store_dwordx2 v21, v[14:15], s[36:37]
.LBB688_47:
	s_or_b64 exec, exec, s[34:35]
	v_xad_u32 v16, v30, -1, s6
	v_add_u32_e32 v20, 64, v16
	v_lshlrev_b64 v[18:19], 3, v[20:21]
	v_mov_b32_e32 v15, s29
	v_add_co_u32_e32 v22, vcc, s28, v18
	v_addc_co_u32_e32 v23, vcc, v15, v19, vcc
	global_load_dwordx2 v[18:19], v[22:23], off glc
	s_waitcnt vmcnt(0)
	v_cmp_eq_u16_sdwa s[36:37], v19, v21 src0_sel:BYTE_0 src1_sel:DWORD
	s_and_saveexec_b64 s[34:35], s[36:37]
	s_cbranch_execz .LBB688_51
; %bb.48:
	s_mov_b64 s[36:37], 0
	v_mov_b32_e32 v15, 0
.LBB688_49:                             ; =>This Inner Loop Header: Depth=1
	global_load_dwordx2 v[18:19], v[22:23], off glc
	s_waitcnt vmcnt(0)
	v_cmp_ne_u16_sdwa s[38:39], v19, v15 src0_sel:BYTE_0 src1_sel:DWORD
	s_or_b64 s[36:37], s[38:39], s[36:37]
	s_andn2_b64 exec, exec, s[36:37]
	s_cbranch_execnz .LBB688_49
; %bb.50:
	s_or_b64 exec, exec, s[36:37]
.LBB688_51:
	s_or_b64 exec, exec, s[34:35]
	v_and_b32_e32 v34, 63, v30
	v_mov_b32_e32 v33, 2
	v_cmp_ne_u32_e32 vcc, 63, v34
	v_cmp_eq_u16_sdwa s[34:35], v19, v33 src0_sel:BYTE_0 src1_sel:DWORD
	v_lshlrev_b64 v[20:21], v30, -1
	v_addc_co_u32_e32 v22, vcc, 0, v30, vcc
	v_and_b32_e32 v15, s35, v21
	v_lshlrev_b32_e32 v35, 2, v22
	v_or_b32_e32 v15, 0x80000000, v15
	ds_bpermute_b32 v22, v35, v18
	v_and_b32_e32 v17, s34, v20
	v_ffbl_b32_e32 v15, v15
	v_add_u32_e32 v15, 32, v15
	v_ffbl_b32_e32 v17, v17
	v_min_u32_e32 v15, v17, v15
	v_cmp_lt_u32_e32 vcc, v34, v15
	s_waitcnt lgkmcnt(0)
	v_cndmask_b32_e32 v17, 0, v22, vcc
	v_cmp_gt_u32_e32 vcc, 62, v34
	v_add_u32_e32 v17, v17, v18
	v_cndmask_b32_e64 v18, 0, 1, vcc
	v_lshlrev_b32_e32 v18, 1, v18
	v_add_lshl_u32 v36, v18, v30, 2
	ds_bpermute_b32 v18, v36, v17
	v_add_u32_e32 v37, 2, v34
	v_cmp_le_u32_e32 vcc, v37, v15
	v_add_u32_e32 v39, 4, v34
	v_add_u32_e32 v41, 8, v34
	s_waitcnt lgkmcnt(0)
	v_cndmask_b32_e32 v18, 0, v18, vcc
	v_cmp_gt_u32_e32 vcc, 60, v34
	v_add_u32_e32 v17, v17, v18
	v_cndmask_b32_e64 v18, 0, 1, vcc
	v_lshlrev_b32_e32 v18, 2, v18
	v_add_lshl_u32 v38, v18, v30, 2
	ds_bpermute_b32 v18, v38, v17
	v_cmp_le_u32_e32 vcc, v39, v15
	v_add_u32_e32 v43, 16, v34
	v_add_u32_e32 v45, 32, v34
	s_waitcnt lgkmcnt(0)
	v_cndmask_b32_e32 v18, 0, v18, vcc
	v_cmp_gt_u32_e32 vcc, 56, v34
	v_add_u32_e32 v17, v17, v18
	v_cndmask_b32_e64 v18, 0, 1, vcc
	v_lshlrev_b32_e32 v18, 3, v18
	v_add_lshl_u32 v40, v18, v30, 2
	ds_bpermute_b32 v18, v40, v17
	v_cmp_le_u32_e32 vcc, v41, v15
	s_waitcnt lgkmcnt(0)
	v_cndmask_b32_e32 v18, 0, v18, vcc
	v_cmp_gt_u32_e32 vcc, 48, v34
	v_add_u32_e32 v17, v17, v18
	v_cndmask_b32_e64 v18, 0, 1, vcc
	v_lshlrev_b32_e32 v18, 4, v18
	v_add_lshl_u32 v42, v18, v30, 2
	ds_bpermute_b32 v18, v42, v17
	v_cmp_le_u32_e32 vcc, v43, v15
	s_waitcnt lgkmcnt(0)
	v_cndmask_b32_e32 v18, 0, v18, vcc
	v_cmp_gt_u32_e32 vcc, 32, v34
	v_add_u32_e32 v17, v17, v18
	v_cndmask_b32_e64 v18, 0, 1, vcc
	v_lshlrev_b32_e32 v18, 5, v18
	v_add_lshl_u32 v44, v18, v30, 2
	ds_bpermute_b32 v18, v44, v17
	v_cmp_le_u32_e32 vcc, v45, v15
	s_waitcnt lgkmcnt(0)
	v_cndmask_b32_e32 v15, 0, v18, vcc
	v_add_u32_e32 v18, v17, v15
	v_mov_b32_e32 v17, 0
	s_branch .LBB688_53
.LBB688_52:                             ;   in Loop: Header=BB688_53 Depth=1
	s_or_b64 exec, exec, s[34:35]
	v_cmp_eq_u16_sdwa s[34:35], v19, v33 src0_sel:BYTE_0 src1_sel:DWORD
	v_and_b32_e32 v22, s35, v21
	v_or_b32_e32 v22, 0x80000000, v22
	ds_bpermute_b32 v46, v35, v18
	v_and_b32_e32 v23, s34, v20
	v_ffbl_b32_e32 v22, v22
	v_add_u32_e32 v22, 32, v22
	v_ffbl_b32_e32 v23, v23
	v_min_u32_e32 v22, v23, v22
	v_cmp_lt_u32_e32 vcc, v34, v22
	s_waitcnt lgkmcnt(0)
	v_cndmask_b32_e32 v23, 0, v46, vcc
	v_add_u32_e32 v18, v23, v18
	ds_bpermute_b32 v23, v36, v18
	v_cmp_le_u32_e32 vcc, v37, v22
	v_subrev_u32_e32 v16, 64, v16
	s_waitcnt lgkmcnt(0)
	v_cndmask_b32_e32 v23, 0, v23, vcc
	v_add_u32_e32 v18, v18, v23
	ds_bpermute_b32 v23, v38, v18
	v_cmp_le_u32_e32 vcc, v39, v22
	s_waitcnt lgkmcnt(0)
	v_cndmask_b32_e32 v23, 0, v23, vcc
	v_add_u32_e32 v18, v18, v23
	ds_bpermute_b32 v23, v40, v18
	v_cmp_le_u32_e32 vcc, v41, v22
	;; [unrolled: 5-line block ×4, first 2 shown]
	s_waitcnt lgkmcnt(0)
	v_cndmask_b32_e32 v22, 0, v23, vcc
	v_add3_u32 v18, v22, v15, v18
.LBB688_53:                             ; =>This Loop Header: Depth=1
                                        ;     Child Loop BB688_56 Depth 2
	v_cmp_ne_u16_sdwa s[34:35], v19, v33 src0_sel:BYTE_0 src1_sel:DWORD
	v_cndmask_b32_e64 v15, 0, 1, s[34:35]
	;;#ASMSTART
	;;#ASMEND
	v_cmp_ne_u32_e32 vcc, 0, v15
	s_cmp_lg_u64 vcc, exec
	v_mov_b32_e32 v15, v18
	s_cbranch_scc1 .LBB688_58
; %bb.54:                               ;   in Loop: Header=BB688_53 Depth=1
	v_lshlrev_b64 v[18:19], 3, v[16:17]
	v_mov_b32_e32 v23, s29
	v_add_co_u32_e32 v22, vcc, s28, v18
	v_addc_co_u32_e32 v23, vcc, v23, v19, vcc
	global_load_dwordx2 v[18:19], v[22:23], off glc
	s_waitcnt vmcnt(0)
	v_cmp_eq_u16_sdwa s[36:37], v19, v17 src0_sel:BYTE_0 src1_sel:DWORD
	s_and_saveexec_b64 s[34:35], s[36:37]
	s_cbranch_execz .LBB688_52
; %bb.55:                               ;   in Loop: Header=BB688_53 Depth=1
	s_mov_b64 s[36:37], 0
.LBB688_56:                             ;   Parent Loop BB688_53 Depth=1
                                        ; =>  This Inner Loop Header: Depth=2
	global_load_dwordx2 v[18:19], v[22:23], off glc
	s_waitcnt vmcnt(0)
	v_cmp_ne_u16_sdwa s[38:39], v19, v17 src0_sel:BYTE_0 src1_sel:DWORD
	s_or_b64 s[36:37], s[38:39], s[36:37]
	s_andn2_b64 exec, exec, s[36:37]
	s_cbranch_execnz .LBB688_56
; %bb.57:                               ;   in Loop: Header=BB688_53 Depth=1
	s_or_b64 exec, exec, s[36:37]
	s_branch .LBB688_52
.LBB688_58:                             ;   in Loop: Header=BB688_53 Depth=1
                                        ; implicit-def: $vgpr18
                                        ; implicit-def: $vgpr19
	s_cbranch_execz .LBB688_53
; %bb.59:
	s_and_saveexec_b64 s[34:35], s[16:17]
	s_cbranch_execz .LBB688_61
; %bb.60:
	s_add_i32 s6, s6, 64
	s_mov_b32 s7, 0
	s_lshl_b64 s[6:7], s[6:7], 3
	s_add_u32 s6, s28, s6
	v_add_u32_e32 v16, v15, v14
	v_mov_b32_e32 v17, 2
	s_addc_u32 s7, s29, s7
	v_mov_b32_e32 v18, 0
	global_store_dwordx2 v18, v[16:17], s[6:7]
	ds_write_b64 v18, v[14:15] offset:10240
.LBB688_61:
	s_or_b64 exec, exec, s[34:35]
	v_cmp_eq_u32_e32 vcc, 0, v0
	s_and_b64 exec, exec, vcc
	s_cbranch_execz .LBB688_63
; %bb.62:
	v_mov_b32_e32 v14, 0
	ds_write_b32 v14, v15 offset:12
.LBB688_63:
	s_or_b64 exec, exec, s[30:31]
	v_mov_b32_e32 v14, 0
	s_waitcnt lgkmcnt(0)
	s_barrier
	ds_read_b32 v15, v14 offset:12
	v_cndmask_b32_e64 v16, v26, v24, s[16:17]
	v_cmp_ne_u32_e32 vcc, 0, v0
	v_cndmask_b32_e32 v16, 0, v16, vcc
	s_waitcnt lgkmcnt(0)
	v_add_u32_e32 v26, v15, v16
	s_barrier
	ds_read_b64 v[14:15], v14 offset:10240
	v_add_u32_e32 v24, v26, v25
	v_add_u32_e32 v22, v24, v27
	;; [unrolled: 1-line block ×4, first 2 shown]
	s_load_dwordx2 s[4:5], s[4:5], 0x28
	v_lshrrev_b64 v[16:17], 24, v[12:13]
	s_branch .LBB688_74
.LBB688_64:
                                        ; implicit-def: $vgpr15
                                        ; implicit-def: $vgpr18
                                        ; implicit-def: $vgpr20
                                        ; implicit-def: $vgpr22
                                        ; implicit-def: $vgpr24
                                        ; implicit-def: $vgpr26
	s_load_dwordx2 s[4:5], s[4:5], 0x28
	v_lshrrev_b64 v[16:17], 24, v[12:13]
	s_cbranch_execz .LBB688_74
; %bb.65:
	s_waitcnt lgkmcnt(0)
	v_mov_b32_dpp v14, v32 row_shr:1 row_mask:0xf bank_mask:0xf
	v_cndmask_b32_e64 v14, v14, 0, s[14:15]
	v_add_u32_e32 v14, v14, v32
	s_nop 1
	v_mov_b32_dpp v15, v14 row_shr:2 row_mask:0xf bank_mask:0xf
	v_cndmask_b32_e64 v15, 0, v15, s[12:13]
	v_add_u32_e32 v14, v14, v15
	s_nop 1
	;; [unrolled: 4-line block ×4, first 2 shown]
	v_mov_b32_dpp v15, v14 row_bcast:15 row_mask:0xf bank_mask:0xf
	v_cndmask_b32_e64 v15, v15, 0, s[18:19]
	v_add_u32_e32 v14, v14, v15
	s_nop 1
	v_mov_b32_dpp v15, v14 row_bcast:31 row_mask:0xf bank_mask:0xf
	v_cndmask_b32_e64 v15, 0, v15, s[0:1]
	v_add_u32_e32 v14, v14, v15
	s_and_saveexec_b64 s[0:1], s[2:3]
	s_cbranch_execz .LBB688_67
; %bb.66:
	v_lshlrev_b32_e32 v15, 2, v31
	ds_write_b32 v15, v14
.LBB688_67:
	s_or_b64 exec, exec, s[0:1]
	v_cmp_gt_u32_e32 vcc, 4, v0
	s_waitcnt lgkmcnt(0)
	s_barrier
	s_and_saveexec_b64 s[0:1], vcc
	s_cbranch_execz .LBB688_69
; %bb.68:
	s_movk_i32 s2, 0xffdc
	v_mad_i32_i24 v1, v0, s2, v1
	ds_read_b32 v15, v1
	v_and_b32_e32 v17, 3, v30
	v_cmp_ne_u32_e32 vcc, 0, v17
	s_waitcnt lgkmcnt(0)
	v_mov_b32_dpp v18, v15 row_shr:1 row_mask:0xf bank_mask:0xf
	v_cndmask_b32_e32 v18, 0, v18, vcc
	v_add_u32_e32 v15, v18, v15
	v_cmp_lt_u32_e32 vcc, 1, v17
	s_nop 0
	v_mov_b32_dpp v18, v15 row_shr:2 row_mask:0xf bank_mask:0xf
	v_cndmask_b32_e32 v17, 0, v18, vcc
	v_add_u32_e32 v15, v15, v17
	ds_write_b32 v1, v15
.LBB688_69:
	s_or_b64 exec, exec, s[0:1]
	v_cmp_lt_u32_e32 vcc, 63, v0
	v_mov_b32_e32 v15, 0
	v_mov_b32_e32 v1, 0
	s_waitcnt lgkmcnt(0)
	s_barrier
	s_and_saveexec_b64 s[0:1], vcc
	s_cbranch_execz .LBB688_71
; %bb.70:
	v_lshl_add_u32 v1, v31, 2, -4
	ds_read_b32 v1, v1
.LBB688_71:
	s_or_b64 exec, exec, s[0:1]
	v_add_u32_e32 v17, -1, v30
	v_and_b32_e32 v18, 64, v30
	v_cmp_lt_i32_e32 vcc, v17, v18
	v_cndmask_b32_e32 v17, v17, v30, vcc
	s_waitcnt lgkmcnt(0)
	v_add_u32_e32 v14, v1, v14
	v_lshlrev_b32_e32 v17, 2, v17
	ds_bpermute_b32 v17, v17, v14
	ds_read_b32 v14, v15 offset:12
	v_cmp_eq_u32_e32 vcc, 0, v0
	s_and_saveexec_b64 s[0:1], vcc
	s_cbranch_execz .LBB688_73
; %bb.72:
	v_mov_b32_e32 v18, 0
	v_mov_b32_e32 v15, 2
	s_waitcnt lgkmcnt(0)
	global_store_dwordx2 v18, v[14:15], s[28:29] offset:512
.LBB688_73:
	s_or_b64 exec, exec, s[0:1]
	v_cmp_eq_u32_e64 s[0:1], 0, v30
	s_waitcnt lgkmcnt(1)
	v_cndmask_b32_e64 v1, v17, v1, s[0:1]
	v_cndmask_b32_e64 v26, v1, 0, vcc
	v_add_u32_e32 v24, v26, v25
	v_add_u32_e32 v22, v24, v27
	;; [unrolled: 1-line block ×3, first 2 shown]
	v_mov_b32_e32 v15, 0
	v_add_u32_e32 v18, v20, v29
	s_waitcnt lgkmcnt(0)
	s_barrier
.LBB688_74:
	s_movk_i32 s0, 0x101
	s_waitcnt lgkmcnt(0)
	v_cmp_gt_u32_e32 vcc, s0, v14
	v_lshrrev_b32_e32 v1, 8, v12
	s_mov_b64 s[0:1], -1
	s_cbranch_vccnz .LBB688_78
; %bb.75:
	s_and_b64 vcc, exec, s[0:1]
	s_cbranch_vccnz .LBB688_94
.LBB688_76:
	v_cmp_eq_u32_e32 vcc, 0, v0
	s_and_b64 s[0:1], vcc, s[24:25]
	s_and_saveexec_b64 s[2:3], s[0:1]
	s_cbranch_execnz .LBB688_108
.LBB688_77:
	s_endpgm
.LBB688_78:
	v_add_u32_e32 v17, v15, v14
	v_cmp_lt_u32_e32 vcc, v26, v17
	s_or_b64 s[2:3], s[26:27], vcc
	s_and_saveexec_b64 s[0:1], s[2:3]
	s_cbranch_execz .LBB688_81
; %bb.79:
	v_and_b32_e32 v19, 1, v12
	v_cmp_eq_u32_e32 vcc, 1, v19
	s_and_b64 exec, exec, vcc
	s_cbranch_execz .LBB688_81
; %bb.80:
	s_lshl_b64 s[2:3], s[22:23], 3
	s_add_u32 s2, s4, s2
	v_mov_b32_e32 v27, 0
	s_addc_u32 s3, s5, s3
	v_lshlrev_b64 v[28:29], 3, v[26:27]
	v_mov_b32_e32 v19, s3
	v_add_co_u32_e32 v28, vcc, s2, v28
	v_addc_co_u32_e32 v29, vcc, v19, v29, vcc
	global_store_dwordx2 v[28:29], v[6:7], off
.LBB688_81:
	s_or_b64 exec, exec, s[0:1]
	v_cmp_lt_u32_e32 vcc, v24, v17
	s_or_b64 s[2:3], s[26:27], vcc
	s_and_saveexec_b64 s[0:1], s[2:3]
	s_cbranch_execz .LBB688_84
; %bb.82:
	v_and_b32_e32 v19, 1, v1
	v_cmp_eq_u32_e32 vcc, 1, v19
	s_and_b64 exec, exec, vcc
	s_cbranch_execz .LBB688_84
; %bb.83:
	s_lshl_b64 s[2:3], s[22:23], 3
	s_add_u32 s2, s4, s2
	v_mov_b32_e32 v25, 0
	s_addc_u32 s3, s5, s3
	v_lshlrev_b64 v[28:29], 3, v[24:25]
	v_mov_b32_e32 v19, s3
	v_add_co_u32_e32 v28, vcc, s2, v28
	v_addc_co_u32_e32 v29, vcc, v19, v29, vcc
	global_store_dwordx2 v[28:29], v[8:9], off
.LBB688_84:
	s_or_b64 exec, exec, s[0:1]
	v_cmp_lt_u32_e32 vcc, v22, v17
	s_or_b64 s[2:3], s[26:27], vcc
	s_and_saveexec_b64 s[0:1], s[2:3]
	s_cbranch_execz .LBB688_87
; %bb.85:
	v_mov_b32_e32 v19, 1
	v_and_b32_sdwa v19, v19, v12 dst_sel:DWORD dst_unused:UNUSED_PAD src0_sel:DWORD src1_sel:WORD_1
	v_cmp_eq_u32_e32 vcc, 1, v19
	s_and_b64 exec, exec, vcc
	s_cbranch_execz .LBB688_87
; %bb.86:
	s_lshl_b64 s[2:3], s[22:23], 3
	s_add_u32 s2, s4, s2
	v_mov_b32_e32 v23, 0
	s_addc_u32 s3, s5, s3
	v_lshlrev_b64 v[28:29], 3, v[22:23]
	v_mov_b32_e32 v19, s3
	v_add_co_u32_e32 v28, vcc, s2, v28
	v_addc_co_u32_e32 v29, vcc, v19, v29, vcc
	global_store_dwordx2 v[28:29], v[2:3], off
.LBB688_87:
	s_or_b64 exec, exec, s[0:1]
	v_cmp_lt_u32_e32 vcc, v20, v17
	s_or_b64 s[2:3], s[26:27], vcc
	s_and_saveexec_b64 s[0:1], s[2:3]
	s_cbranch_execz .LBB688_90
; %bb.88:
	v_and_b32_e32 v19, 1, v16
	v_cmp_eq_u32_e32 vcc, 1, v19
	s_and_b64 exec, exec, vcc
	s_cbranch_execz .LBB688_90
; %bb.89:
	s_lshl_b64 s[2:3], s[22:23], 3
	s_add_u32 s2, s4, s2
	v_mov_b32_e32 v21, 0
	s_addc_u32 s3, s5, s3
	v_lshlrev_b64 v[28:29], 3, v[20:21]
	v_mov_b32_e32 v19, s3
	v_add_co_u32_e32 v28, vcc, s2, v28
	v_addc_co_u32_e32 v29, vcc, v19, v29, vcc
	global_store_dwordx2 v[28:29], v[4:5], off
.LBB688_90:
	s_or_b64 exec, exec, s[0:1]
	v_cmp_lt_u32_e32 vcc, v18, v17
	s_or_b64 s[2:3], s[26:27], vcc
	s_and_saveexec_b64 s[0:1], s[2:3]
	s_cbranch_execz .LBB688_93
; %bb.91:
	v_and_b32_e32 v17, 1, v13
	v_cmp_eq_u32_e32 vcc, 1, v17
	s_and_b64 exec, exec, vcc
	s_cbranch_execz .LBB688_93
; %bb.92:
	s_lshl_b64 s[2:3], s[22:23], 3
	s_add_u32 s2, s4, s2
	v_mov_b32_e32 v19, 0
	s_addc_u32 s3, s5, s3
	v_lshlrev_b64 v[28:29], 3, v[18:19]
	v_mov_b32_e32 v17, s3
	v_add_co_u32_e32 v28, vcc, s2, v28
	v_addc_co_u32_e32 v29, vcc, v17, v29, vcc
	global_store_dwordx2 v[28:29], v[10:11], off
.LBB688_93:
	s_or_b64 exec, exec, s[0:1]
	s_branch .LBB688_76
.LBB688_94:
	v_and_b32_e32 v17, 1, v12
	v_cmp_eq_u32_e32 vcc, 1, v17
	s_and_saveexec_b64 s[0:1], vcc
	s_cbranch_execz .LBB688_96
; %bb.95:
	v_sub_u32_e32 v17, v26, v15
	v_lshlrev_b32_e32 v17, 3, v17
	ds_write_b64 v17, v[6:7]
.LBB688_96:
	s_or_b64 exec, exec, s[0:1]
	v_and_b32_e32 v1, 1, v1
	v_cmp_eq_u32_e32 vcc, 1, v1
	s_and_saveexec_b64 s[0:1], vcc
	s_cbranch_execz .LBB688_98
; %bb.97:
	v_sub_u32_e32 v1, v24, v15
	v_lshlrev_b32_e32 v1, 3, v1
	ds_write_b64 v1, v[8:9]
.LBB688_98:
	s_or_b64 exec, exec, s[0:1]
	v_mov_b32_e32 v1, 1
	v_and_b32_sdwa v1, v1, v12 dst_sel:DWORD dst_unused:UNUSED_PAD src0_sel:DWORD src1_sel:WORD_1
	v_cmp_eq_u32_e32 vcc, 1, v1
	s_and_saveexec_b64 s[0:1], vcc
	s_cbranch_execz .LBB688_100
; %bb.99:
	v_sub_u32_e32 v1, v22, v15
	v_lshlrev_b32_e32 v1, 3, v1
	ds_write_b64 v1, v[2:3]
.LBB688_100:
	s_or_b64 exec, exec, s[0:1]
	v_and_b32_e32 v1, 1, v16
	v_cmp_eq_u32_e32 vcc, 1, v1
	s_and_saveexec_b64 s[0:1], vcc
	s_cbranch_execz .LBB688_102
; %bb.101:
	v_sub_u32_e32 v1, v20, v15
	v_lshlrev_b32_e32 v1, 3, v1
	ds_write_b64 v1, v[4:5]
.LBB688_102:
	s_or_b64 exec, exec, s[0:1]
	v_and_b32_e32 v1, 1, v13
	v_cmp_eq_u32_e32 vcc, 1, v1
	s_and_saveexec_b64 s[0:1], vcc
	s_cbranch_execz .LBB688_104
; %bb.103:
	v_sub_u32_e32 v1, v18, v15
	v_lshlrev_b32_e32 v1, 3, v1
	ds_write_b64 v1, v[10:11]
.LBB688_104:
	s_or_b64 exec, exec, s[0:1]
	v_cmp_lt_u32_e32 vcc, v0, v14
	s_waitcnt lgkmcnt(0)
	s_barrier
	s_and_saveexec_b64 s[0:1], vcc
	s_cbranch_execz .LBB688_107
; %bb.105:
	v_mov_b32_e32 v3, 0
	v_mov_b32_e32 v2, v15
	v_lshlrev_b64 v[4:5], 3, v[2:3]
	v_mov_b32_e32 v1, s5
	v_add_co_u32_e32 v2, vcc, s4, v4
	v_addc_co_u32_e32 v4, vcc, v1, v5, vcc
	s_lshl_b64 s[2:3], s[22:23], 3
	v_mov_b32_e32 v5, s3
	v_add_co_u32_e32 v1, vcc, s2, v2
	v_addc_co_u32_e32 v4, vcc, v4, v5, vcc
	v_lshlrev_b32_e32 v5, 3, v0
	s_mov_b64 s[2:3], 0
	v_mov_b32_e32 v2, v0
.LBB688_106:                            ; =>This Inner Loop Header: Depth=1
	ds_read_b64 v[6:7], v5
	v_lshlrev_b64 v[8:9], 3, v[2:3]
	v_add_co_u32_e32 v8, vcc, v1, v8
	v_add_u32_e32 v2, 0x100, v2
	v_addc_co_u32_e32 v9, vcc, v4, v9, vcc
	v_cmp_ge_u32_e32 vcc, v2, v14
	v_add_u32_e32 v5, 0x800, v5
	s_or_b64 s[2:3], vcc, s[2:3]
	s_waitcnt lgkmcnt(0)
	global_store_dwordx2 v[8:9], v[6:7], off
	s_andn2_b64 exec, exec, s[2:3]
	s_cbranch_execnz .LBB688_106
.LBB688_107:
	s_or_b64 exec, exec, s[0:1]
	v_cmp_eq_u32_e32 vcc, 0, v0
	s_and_b64 s[0:1], vcc, s[24:25]
	s_and_saveexec_b64 s[2:3], s[0:1]
	s_cbranch_execz .LBB688_77
.LBB688_108:
	v_mov_b32_e32 v0, s23
	v_add_co_u32_e32 v1, vcc, s22, v14
	v_addc_co_u32_e32 v3, vcc, 0, v0, vcc
	v_add_co_u32_e32 v0, vcc, v1, v15
	v_mov_b32_e32 v2, 0
	v_addc_co_u32_e32 v1, vcc, 0, v3, vcc
	global_store_dwordx2 v2, v[0:1], s[20:21]
	s_endpgm
	.section	.rodata,"a",@progbits
	.p2align	6, 0x0
	.amdhsa_kernel _ZN7rocprim17ROCPRIM_400000_NS6detail17trampoline_kernelINS0_14default_configENS1_25partition_config_selectorILNS1_17partition_subalgoE8EmNS0_10empty_typeEbEEZZNS1_14partition_implILS5_8ELb0ES3_jPKmPS6_PKS6_NS0_5tupleIJPmS6_EEENSE_IJSB_SB_EEENS0_18inequality_wrapperIN6hipcub16HIPCUB_304000_NS8EqualityEEEPlJS6_EEE10hipError_tPvRmT3_T4_T5_T6_T7_T9_mT8_P12ihipStream_tbDpT10_ENKUlT_T0_E_clISt17integral_constantIbLb0EES17_EEDaS12_S13_EUlS12_E_NS1_11comp_targetILNS1_3genE4ELNS1_11target_archE910ELNS1_3gpuE8ELNS1_3repE0EEENS1_30default_config_static_selectorELNS0_4arch9wavefront6targetE1EEEvT1_
		.amdhsa_group_segment_fixed_size 10248
		.amdhsa_private_segment_fixed_size 0
		.amdhsa_kernarg_size 112
		.amdhsa_user_sgpr_count 6
		.amdhsa_user_sgpr_private_segment_buffer 1
		.amdhsa_user_sgpr_dispatch_ptr 0
		.amdhsa_user_sgpr_queue_ptr 0
		.amdhsa_user_sgpr_kernarg_segment_ptr 1
		.amdhsa_user_sgpr_dispatch_id 0
		.amdhsa_user_sgpr_flat_scratch_init 0
		.amdhsa_user_sgpr_kernarg_preload_length 0
		.amdhsa_user_sgpr_kernarg_preload_offset 0
		.amdhsa_user_sgpr_private_segment_size 0
		.amdhsa_uses_dynamic_stack 0
		.amdhsa_system_sgpr_private_segment_wavefront_offset 0
		.amdhsa_system_sgpr_workgroup_id_x 1
		.amdhsa_system_sgpr_workgroup_id_y 0
		.amdhsa_system_sgpr_workgroup_id_z 0
		.amdhsa_system_sgpr_workgroup_info 0
		.amdhsa_system_vgpr_workitem_id 0
		.amdhsa_next_free_vgpr 47
		.amdhsa_next_free_sgpr 40
		.amdhsa_accum_offset 48
		.amdhsa_reserve_vcc 1
		.amdhsa_reserve_flat_scratch 0
		.amdhsa_float_round_mode_32 0
		.amdhsa_float_round_mode_16_64 0
		.amdhsa_float_denorm_mode_32 3
		.amdhsa_float_denorm_mode_16_64 3
		.amdhsa_dx10_clamp 1
		.amdhsa_ieee_mode 1
		.amdhsa_fp16_overflow 0
		.amdhsa_tg_split 0
		.amdhsa_exception_fp_ieee_invalid_op 0
		.amdhsa_exception_fp_denorm_src 0
		.amdhsa_exception_fp_ieee_div_zero 0
		.amdhsa_exception_fp_ieee_overflow 0
		.amdhsa_exception_fp_ieee_underflow 0
		.amdhsa_exception_fp_ieee_inexact 0
		.amdhsa_exception_int_div_zero 0
	.end_amdhsa_kernel
	.section	.text._ZN7rocprim17ROCPRIM_400000_NS6detail17trampoline_kernelINS0_14default_configENS1_25partition_config_selectorILNS1_17partition_subalgoE8EmNS0_10empty_typeEbEEZZNS1_14partition_implILS5_8ELb0ES3_jPKmPS6_PKS6_NS0_5tupleIJPmS6_EEENSE_IJSB_SB_EEENS0_18inequality_wrapperIN6hipcub16HIPCUB_304000_NS8EqualityEEEPlJS6_EEE10hipError_tPvRmT3_T4_T5_T6_T7_T9_mT8_P12ihipStream_tbDpT10_ENKUlT_T0_E_clISt17integral_constantIbLb0EES17_EEDaS12_S13_EUlS12_E_NS1_11comp_targetILNS1_3genE4ELNS1_11target_archE910ELNS1_3gpuE8ELNS1_3repE0EEENS1_30default_config_static_selectorELNS0_4arch9wavefront6targetE1EEEvT1_,"axG",@progbits,_ZN7rocprim17ROCPRIM_400000_NS6detail17trampoline_kernelINS0_14default_configENS1_25partition_config_selectorILNS1_17partition_subalgoE8EmNS0_10empty_typeEbEEZZNS1_14partition_implILS5_8ELb0ES3_jPKmPS6_PKS6_NS0_5tupleIJPmS6_EEENSE_IJSB_SB_EEENS0_18inequality_wrapperIN6hipcub16HIPCUB_304000_NS8EqualityEEEPlJS6_EEE10hipError_tPvRmT3_T4_T5_T6_T7_T9_mT8_P12ihipStream_tbDpT10_ENKUlT_T0_E_clISt17integral_constantIbLb0EES17_EEDaS12_S13_EUlS12_E_NS1_11comp_targetILNS1_3genE4ELNS1_11target_archE910ELNS1_3gpuE8ELNS1_3repE0EEENS1_30default_config_static_selectorELNS0_4arch9wavefront6targetE1EEEvT1_,comdat
.Lfunc_end688:
	.size	_ZN7rocprim17ROCPRIM_400000_NS6detail17trampoline_kernelINS0_14default_configENS1_25partition_config_selectorILNS1_17partition_subalgoE8EmNS0_10empty_typeEbEEZZNS1_14partition_implILS5_8ELb0ES3_jPKmPS6_PKS6_NS0_5tupleIJPmS6_EEENSE_IJSB_SB_EEENS0_18inequality_wrapperIN6hipcub16HIPCUB_304000_NS8EqualityEEEPlJS6_EEE10hipError_tPvRmT3_T4_T5_T6_T7_T9_mT8_P12ihipStream_tbDpT10_ENKUlT_T0_E_clISt17integral_constantIbLb0EES17_EEDaS12_S13_EUlS12_E_NS1_11comp_targetILNS1_3genE4ELNS1_11target_archE910ELNS1_3gpuE8ELNS1_3repE0EEENS1_30default_config_static_selectorELNS0_4arch9wavefront6targetE1EEEvT1_, .Lfunc_end688-_ZN7rocprim17ROCPRIM_400000_NS6detail17trampoline_kernelINS0_14default_configENS1_25partition_config_selectorILNS1_17partition_subalgoE8EmNS0_10empty_typeEbEEZZNS1_14partition_implILS5_8ELb0ES3_jPKmPS6_PKS6_NS0_5tupleIJPmS6_EEENSE_IJSB_SB_EEENS0_18inequality_wrapperIN6hipcub16HIPCUB_304000_NS8EqualityEEEPlJS6_EEE10hipError_tPvRmT3_T4_T5_T6_T7_T9_mT8_P12ihipStream_tbDpT10_ENKUlT_T0_E_clISt17integral_constantIbLb0EES17_EEDaS12_S13_EUlS12_E_NS1_11comp_targetILNS1_3genE4ELNS1_11target_archE910ELNS1_3gpuE8ELNS1_3repE0EEENS1_30default_config_static_selectorELNS0_4arch9wavefront6targetE1EEEvT1_
                                        ; -- End function
	.section	.AMDGPU.csdata,"",@progbits
; Kernel info:
; codeLenInByte = 4552
; NumSgprs: 44
; NumVgprs: 47
; NumAgprs: 0
; TotalNumVgprs: 47
; ScratchSize: 0
; MemoryBound: 0
; FloatMode: 240
; IeeeMode: 1
; LDSByteSize: 10248 bytes/workgroup (compile time only)
; SGPRBlocks: 5
; VGPRBlocks: 5
; NumSGPRsForWavesPerEU: 44
; NumVGPRsForWavesPerEU: 47
; AccumOffset: 48
; Occupancy: 6
; WaveLimiterHint : 1
; COMPUTE_PGM_RSRC2:SCRATCH_EN: 0
; COMPUTE_PGM_RSRC2:USER_SGPR: 6
; COMPUTE_PGM_RSRC2:TRAP_HANDLER: 0
; COMPUTE_PGM_RSRC2:TGID_X_EN: 1
; COMPUTE_PGM_RSRC2:TGID_Y_EN: 0
; COMPUTE_PGM_RSRC2:TGID_Z_EN: 0
; COMPUTE_PGM_RSRC2:TIDIG_COMP_CNT: 0
; COMPUTE_PGM_RSRC3_GFX90A:ACCUM_OFFSET: 11
; COMPUTE_PGM_RSRC3_GFX90A:TG_SPLIT: 0
	.section	.text._ZN7rocprim17ROCPRIM_400000_NS6detail17trampoline_kernelINS0_14default_configENS1_25partition_config_selectorILNS1_17partition_subalgoE8EmNS0_10empty_typeEbEEZZNS1_14partition_implILS5_8ELb0ES3_jPKmPS6_PKS6_NS0_5tupleIJPmS6_EEENSE_IJSB_SB_EEENS0_18inequality_wrapperIN6hipcub16HIPCUB_304000_NS8EqualityEEEPlJS6_EEE10hipError_tPvRmT3_T4_T5_T6_T7_T9_mT8_P12ihipStream_tbDpT10_ENKUlT_T0_E_clISt17integral_constantIbLb0EES17_EEDaS12_S13_EUlS12_E_NS1_11comp_targetILNS1_3genE3ELNS1_11target_archE908ELNS1_3gpuE7ELNS1_3repE0EEENS1_30default_config_static_selectorELNS0_4arch9wavefront6targetE1EEEvT1_,"axG",@progbits,_ZN7rocprim17ROCPRIM_400000_NS6detail17trampoline_kernelINS0_14default_configENS1_25partition_config_selectorILNS1_17partition_subalgoE8EmNS0_10empty_typeEbEEZZNS1_14partition_implILS5_8ELb0ES3_jPKmPS6_PKS6_NS0_5tupleIJPmS6_EEENSE_IJSB_SB_EEENS0_18inequality_wrapperIN6hipcub16HIPCUB_304000_NS8EqualityEEEPlJS6_EEE10hipError_tPvRmT3_T4_T5_T6_T7_T9_mT8_P12ihipStream_tbDpT10_ENKUlT_T0_E_clISt17integral_constantIbLb0EES17_EEDaS12_S13_EUlS12_E_NS1_11comp_targetILNS1_3genE3ELNS1_11target_archE908ELNS1_3gpuE7ELNS1_3repE0EEENS1_30default_config_static_selectorELNS0_4arch9wavefront6targetE1EEEvT1_,comdat
	.protected	_ZN7rocprim17ROCPRIM_400000_NS6detail17trampoline_kernelINS0_14default_configENS1_25partition_config_selectorILNS1_17partition_subalgoE8EmNS0_10empty_typeEbEEZZNS1_14partition_implILS5_8ELb0ES3_jPKmPS6_PKS6_NS0_5tupleIJPmS6_EEENSE_IJSB_SB_EEENS0_18inequality_wrapperIN6hipcub16HIPCUB_304000_NS8EqualityEEEPlJS6_EEE10hipError_tPvRmT3_T4_T5_T6_T7_T9_mT8_P12ihipStream_tbDpT10_ENKUlT_T0_E_clISt17integral_constantIbLb0EES17_EEDaS12_S13_EUlS12_E_NS1_11comp_targetILNS1_3genE3ELNS1_11target_archE908ELNS1_3gpuE7ELNS1_3repE0EEENS1_30default_config_static_selectorELNS0_4arch9wavefront6targetE1EEEvT1_ ; -- Begin function _ZN7rocprim17ROCPRIM_400000_NS6detail17trampoline_kernelINS0_14default_configENS1_25partition_config_selectorILNS1_17partition_subalgoE8EmNS0_10empty_typeEbEEZZNS1_14partition_implILS5_8ELb0ES3_jPKmPS6_PKS6_NS0_5tupleIJPmS6_EEENSE_IJSB_SB_EEENS0_18inequality_wrapperIN6hipcub16HIPCUB_304000_NS8EqualityEEEPlJS6_EEE10hipError_tPvRmT3_T4_T5_T6_T7_T9_mT8_P12ihipStream_tbDpT10_ENKUlT_T0_E_clISt17integral_constantIbLb0EES17_EEDaS12_S13_EUlS12_E_NS1_11comp_targetILNS1_3genE3ELNS1_11target_archE908ELNS1_3gpuE7ELNS1_3repE0EEENS1_30default_config_static_selectorELNS0_4arch9wavefront6targetE1EEEvT1_
	.globl	_ZN7rocprim17ROCPRIM_400000_NS6detail17trampoline_kernelINS0_14default_configENS1_25partition_config_selectorILNS1_17partition_subalgoE8EmNS0_10empty_typeEbEEZZNS1_14partition_implILS5_8ELb0ES3_jPKmPS6_PKS6_NS0_5tupleIJPmS6_EEENSE_IJSB_SB_EEENS0_18inequality_wrapperIN6hipcub16HIPCUB_304000_NS8EqualityEEEPlJS6_EEE10hipError_tPvRmT3_T4_T5_T6_T7_T9_mT8_P12ihipStream_tbDpT10_ENKUlT_T0_E_clISt17integral_constantIbLb0EES17_EEDaS12_S13_EUlS12_E_NS1_11comp_targetILNS1_3genE3ELNS1_11target_archE908ELNS1_3gpuE7ELNS1_3repE0EEENS1_30default_config_static_selectorELNS0_4arch9wavefront6targetE1EEEvT1_
	.p2align	8
	.type	_ZN7rocprim17ROCPRIM_400000_NS6detail17trampoline_kernelINS0_14default_configENS1_25partition_config_selectorILNS1_17partition_subalgoE8EmNS0_10empty_typeEbEEZZNS1_14partition_implILS5_8ELb0ES3_jPKmPS6_PKS6_NS0_5tupleIJPmS6_EEENSE_IJSB_SB_EEENS0_18inequality_wrapperIN6hipcub16HIPCUB_304000_NS8EqualityEEEPlJS6_EEE10hipError_tPvRmT3_T4_T5_T6_T7_T9_mT8_P12ihipStream_tbDpT10_ENKUlT_T0_E_clISt17integral_constantIbLb0EES17_EEDaS12_S13_EUlS12_E_NS1_11comp_targetILNS1_3genE3ELNS1_11target_archE908ELNS1_3gpuE7ELNS1_3repE0EEENS1_30default_config_static_selectorELNS0_4arch9wavefront6targetE1EEEvT1_,@function
_ZN7rocprim17ROCPRIM_400000_NS6detail17trampoline_kernelINS0_14default_configENS1_25partition_config_selectorILNS1_17partition_subalgoE8EmNS0_10empty_typeEbEEZZNS1_14partition_implILS5_8ELb0ES3_jPKmPS6_PKS6_NS0_5tupleIJPmS6_EEENSE_IJSB_SB_EEENS0_18inequality_wrapperIN6hipcub16HIPCUB_304000_NS8EqualityEEEPlJS6_EEE10hipError_tPvRmT3_T4_T5_T6_T7_T9_mT8_P12ihipStream_tbDpT10_ENKUlT_T0_E_clISt17integral_constantIbLb0EES17_EEDaS12_S13_EUlS12_E_NS1_11comp_targetILNS1_3genE3ELNS1_11target_archE908ELNS1_3gpuE7ELNS1_3repE0EEENS1_30default_config_static_selectorELNS0_4arch9wavefront6targetE1EEEvT1_: ; @_ZN7rocprim17ROCPRIM_400000_NS6detail17trampoline_kernelINS0_14default_configENS1_25partition_config_selectorILNS1_17partition_subalgoE8EmNS0_10empty_typeEbEEZZNS1_14partition_implILS5_8ELb0ES3_jPKmPS6_PKS6_NS0_5tupleIJPmS6_EEENSE_IJSB_SB_EEENS0_18inequality_wrapperIN6hipcub16HIPCUB_304000_NS8EqualityEEEPlJS6_EEE10hipError_tPvRmT3_T4_T5_T6_T7_T9_mT8_P12ihipStream_tbDpT10_ENKUlT_T0_E_clISt17integral_constantIbLb0EES17_EEDaS12_S13_EUlS12_E_NS1_11comp_targetILNS1_3genE3ELNS1_11target_archE908ELNS1_3gpuE7ELNS1_3repE0EEENS1_30default_config_static_selectorELNS0_4arch9wavefront6targetE1EEEvT1_
; %bb.0:
	.section	.rodata,"a",@progbits
	.p2align	6, 0x0
	.amdhsa_kernel _ZN7rocprim17ROCPRIM_400000_NS6detail17trampoline_kernelINS0_14default_configENS1_25partition_config_selectorILNS1_17partition_subalgoE8EmNS0_10empty_typeEbEEZZNS1_14partition_implILS5_8ELb0ES3_jPKmPS6_PKS6_NS0_5tupleIJPmS6_EEENSE_IJSB_SB_EEENS0_18inequality_wrapperIN6hipcub16HIPCUB_304000_NS8EqualityEEEPlJS6_EEE10hipError_tPvRmT3_T4_T5_T6_T7_T9_mT8_P12ihipStream_tbDpT10_ENKUlT_T0_E_clISt17integral_constantIbLb0EES17_EEDaS12_S13_EUlS12_E_NS1_11comp_targetILNS1_3genE3ELNS1_11target_archE908ELNS1_3gpuE7ELNS1_3repE0EEENS1_30default_config_static_selectorELNS0_4arch9wavefront6targetE1EEEvT1_
		.amdhsa_group_segment_fixed_size 0
		.amdhsa_private_segment_fixed_size 0
		.amdhsa_kernarg_size 112
		.amdhsa_user_sgpr_count 6
		.amdhsa_user_sgpr_private_segment_buffer 1
		.amdhsa_user_sgpr_dispatch_ptr 0
		.amdhsa_user_sgpr_queue_ptr 0
		.amdhsa_user_sgpr_kernarg_segment_ptr 1
		.amdhsa_user_sgpr_dispatch_id 0
		.amdhsa_user_sgpr_flat_scratch_init 0
		.amdhsa_user_sgpr_kernarg_preload_length 0
		.amdhsa_user_sgpr_kernarg_preload_offset 0
		.amdhsa_user_sgpr_private_segment_size 0
		.amdhsa_uses_dynamic_stack 0
		.amdhsa_system_sgpr_private_segment_wavefront_offset 0
		.amdhsa_system_sgpr_workgroup_id_x 1
		.amdhsa_system_sgpr_workgroup_id_y 0
		.amdhsa_system_sgpr_workgroup_id_z 0
		.amdhsa_system_sgpr_workgroup_info 0
		.amdhsa_system_vgpr_workitem_id 0
		.amdhsa_next_free_vgpr 1
		.amdhsa_next_free_sgpr 0
		.amdhsa_accum_offset 4
		.amdhsa_reserve_vcc 0
		.amdhsa_reserve_flat_scratch 0
		.amdhsa_float_round_mode_32 0
		.amdhsa_float_round_mode_16_64 0
		.amdhsa_float_denorm_mode_32 3
		.amdhsa_float_denorm_mode_16_64 3
		.amdhsa_dx10_clamp 1
		.amdhsa_ieee_mode 1
		.amdhsa_fp16_overflow 0
		.amdhsa_tg_split 0
		.amdhsa_exception_fp_ieee_invalid_op 0
		.amdhsa_exception_fp_denorm_src 0
		.amdhsa_exception_fp_ieee_div_zero 0
		.amdhsa_exception_fp_ieee_overflow 0
		.amdhsa_exception_fp_ieee_underflow 0
		.amdhsa_exception_fp_ieee_inexact 0
		.amdhsa_exception_int_div_zero 0
	.end_amdhsa_kernel
	.section	.text._ZN7rocprim17ROCPRIM_400000_NS6detail17trampoline_kernelINS0_14default_configENS1_25partition_config_selectorILNS1_17partition_subalgoE8EmNS0_10empty_typeEbEEZZNS1_14partition_implILS5_8ELb0ES3_jPKmPS6_PKS6_NS0_5tupleIJPmS6_EEENSE_IJSB_SB_EEENS0_18inequality_wrapperIN6hipcub16HIPCUB_304000_NS8EqualityEEEPlJS6_EEE10hipError_tPvRmT3_T4_T5_T6_T7_T9_mT8_P12ihipStream_tbDpT10_ENKUlT_T0_E_clISt17integral_constantIbLb0EES17_EEDaS12_S13_EUlS12_E_NS1_11comp_targetILNS1_3genE3ELNS1_11target_archE908ELNS1_3gpuE7ELNS1_3repE0EEENS1_30default_config_static_selectorELNS0_4arch9wavefront6targetE1EEEvT1_,"axG",@progbits,_ZN7rocprim17ROCPRIM_400000_NS6detail17trampoline_kernelINS0_14default_configENS1_25partition_config_selectorILNS1_17partition_subalgoE8EmNS0_10empty_typeEbEEZZNS1_14partition_implILS5_8ELb0ES3_jPKmPS6_PKS6_NS0_5tupleIJPmS6_EEENSE_IJSB_SB_EEENS0_18inequality_wrapperIN6hipcub16HIPCUB_304000_NS8EqualityEEEPlJS6_EEE10hipError_tPvRmT3_T4_T5_T6_T7_T9_mT8_P12ihipStream_tbDpT10_ENKUlT_T0_E_clISt17integral_constantIbLb0EES17_EEDaS12_S13_EUlS12_E_NS1_11comp_targetILNS1_3genE3ELNS1_11target_archE908ELNS1_3gpuE7ELNS1_3repE0EEENS1_30default_config_static_selectorELNS0_4arch9wavefront6targetE1EEEvT1_,comdat
.Lfunc_end689:
	.size	_ZN7rocprim17ROCPRIM_400000_NS6detail17trampoline_kernelINS0_14default_configENS1_25partition_config_selectorILNS1_17partition_subalgoE8EmNS0_10empty_typeEbEEZZNS1_14partition_implILS5_8ELb0ES3_jPKmPS6_PKS6_NS0_5tupleIJPmS6_EEENSE_IJSB_SB_EEENS0_18inequality_wrapperIN6hipcub16HIPCUB_304000_NS8EqualityEEEPlJS6_EEE10hipError_tPvRmT3_T4_T5_T6_T7_T9_mT8_P12ihipStream_tbDpT10_ENKUlT_T0_E_clISt17integral_constantIbLb0EES17_EEDaS12_S13_EUlS12_E_NS1_11comp_targetILNS1_3genE3ELNS1_11target_archE908ELNS1_3gpuE7ELNS1_3repE0EEENS1_30default_config_static_selectorELNS0_4arch9wavefront6targetE1EEEvT1_, .Lfunc_end689-_ZN7rocprim17ROCPRIM_400000_NS6detail17trampoline_kernelINS0_14default_configENS1_25partition_config_selectorILNS1_17partition_subalgoE8EmNS0_10empty_typeEbEEZZNS1_14partition_implILS5_8ELb0ES3_jPKmPS6_PKS6_NS0_5tupleIJPmS6_EEENSE_IJSB_SB_EEENS0_18inequality_wrapperIN6hipcub16HIPCUB_304000_NS8EqualityEEEPlJS6_EEE10hipError_tPvRmT3_T4_T5_T6_T7_T9_mT8_P12ihipStream_tbDpT10_ENKUlT_T0_E_clISt17integral_constantIbLb0EES17_EEDaS12_S13_EUlS12_E_NS1_11comp_targetILNS1_3genE3ELNS1_11target_archE908ELNS1_3gpuE7ELNS1_3repE0EEENS1_30default_config_static_selectorELNS0_4arch9wavefront6targetE1EEEvT1_
                                        ; -- End function
	.section	.AMDGPU.csdata,"",@progbits
; Kernel info:
; codeLenInByte = 0
; NumSgprs: 4
; NumVgprs: 0
; NumAgprs: 0
; TotalNumVgprs: 0
; ScratchSize: 0
; MemoryBound: 0
; FloatMode: 240
; IeeeMode: 1
; LDSByteSize: 0 bytes/workgroup (compile time only)
; SGPRBlocks: 0
; VGPRBlocks: 0
; NumSGPRsForWavesPerEU: 4
; NumVGPRsForWavesPerEU: 1
; AccumOffset: 4
; Occupancy: 8
; WaveLimiterHint : 0
; COMPUTE_PGM_RSRC2:SCRATCH_EN: 0
; COMPUTE_PGM_RSRC2:USER_SGPR: 6
; COMPUTE_PGM_RSRC2:TRAP_HANDLER: 0
; COMPUTE_PGM_RSRC2:TGID_X_EN: 1
; COMPUTE_PGM_RSRC2:TGID_Y_EN: 0
; COMPUTE_PGM_RSRC2:TGID_Z_EN: 0
; COMPUTE_PGM_RSRC2:TIDIG_COMP_CNT: 0
; COMPUTE_PGM_RSRC3_GFX90A:ACCUM_OFFSET: 0
; COMPUTE_PGM_RSRC3_GFX90A:TG_SPLIT: 0
	.section	.text._ZN7rocprim17ROCPRIM_400000_NS6detail17trampoline_kernelINS0_14default_configENS1_25partition_config_selectorILNS1_17partition_subalgoE8EmNS0_10empty_typeEbEEZZNS1_14partition_implILS5_8ELb0ES3_jPKmPS6_PKS6_NS0_5tupleIJPmS6_EEENSE_IJSB_SB_EEENS0_18inequality_wrapperIN6hipcub16HIPCUB_304000_NS8EqualityEEEPlJS6_EEE10hipError_tPvRmT3_T4_T5_T6_T7_T9_mT8_P12ihipStream_tbDpT10_ENKUlT_T0_E_clISt17integral_constantIbLb0EES17_EEDaS12_S13_EUlS12_E_NS1_11comp_targetILNS1_3genE2ELNS1_11target_archE906ELNS1_3gpuE6ELNS1_3repE0EEENS1_30default_config_static_selectorELNS0_4arch9wavefront6targetE1EEEvT1_,"axG",@progbits,_ZN7rocprim17ROCPRIM_400000_NS6detail17trampoline_kernelINS0_14default_configENS1_25partition_config_selectorILNS1_17partition_subalgoE8EmNS0_10empty_typeEbEEZZNS1_14partition_implILS5_8ELb0ES3_jPKmPS6_PKS6_NS0_5tupleIJPmS6_EEENSE_IJSB_SB_EEENS0_18inequality_wrapperIN6hipcub16HIPCUB_304000_NS8EqualityEEEPlJS6_EEE10hipError_tPvRmT3_T4_T5_T6_T7_T9_mT8_P12ihipStream_tbDpT10_ENKUlT_T0_E_clISt17integral_constantIbLb0EES17_EEDaS12_S13_EUlS12_E_NS1_11comp_targetILNS1_3genE2ELNS1_11target_archE906ELNS1_3gpuE6ELNS1_3repE0EEENS1_30default_config_static_selectorELNS0_4arch9wavefront6targetE1EEEvT1_,comdat
	.protected	_ZN7rocprim17ROCPRIM_400000_NS6detail17trampoline_kernelINS0_14default_configENS1_25partition_config_selectorILNS1_17partition_subalgoE8EmNS0_10empty_typeEbEEZZNS1_14partition_implILS5_8ELb0ES3_jPKmPS6_PKS6_NS0_5tupleIJPmS6_EEENSE_IJSB_SB_EEENS0_18inequality_wrapperIN6hipcub16HIPCUB_304000_NS8EqualityEEEPlJS6_EEE10hipError_tPvRmT3_T4_T5_T6_T7_T9_mT8_P12ihipStream_tbDpT10_ENKUlT_T0_E_clISt17integral_constantIbLb0EES17_EEDaS12_S13_EUlS12_E_NS1_11comp_targetILNS1_3genE2ELNS1_11target_archE906ELNS1_3gpuE6ELNS1_3repE0EEENS1_30default_config_static_selectorELNS0_4arch9wavefront6targetE1EEEvT1_ ; -- Begin function _ZN7rocprim17ROCPRIM_400000_NS6detail17trampoline_kernelINS0_14default_configENS1_25partition_config_selectorILNS1_17partition_subalgoE8EmNS0_10empty_typeEbEEZZNS1_14partition_implILS5_8ELb0ES3_jPKmPS6_PKS6_NS0_5tupleIJPmS6_EEENSE_IJSB_SB_EEENS0_18inequality_wrapperIN6hipcub16HIPCUB_304000_NS8EqualityEEEPlJS6_EEE10hipError_tPvRmT3_T4_T5_T6_T7_T9_mT8_P12ihipStream_tbDpT10_ENKUlT_T0_E_clISt17integral_constantIbLb0EES17_EEDaS12_S13_EUlS12_E_NS1_11comp_targetILNS1_3genE2ELNS1_11target_archE906ELNS1_3gpuE6ELNS1_3repE0EEENS1_30default_config_static_selectorELNS0_4arch9wavefront6targetE1EEEvT1_
	.globl	_ZN7rocprim17ROCPRIM_400000_NS6detail17trampoline_kernelINS0_14default_configENS1_25partition_config_selectorILNS1_17partition_subalgoE8EmNS0_10empty_typeEbEEZZNS1_14partition_implILS5_8ELb0ES3_jPKmPS6_PKS6_NS0_5tupleIJPmS6_EEENSE_IJSB_SB_EEENS0_18inequality_wrapperIN6hipcub16HIPCUB_304000_NS8EqualityEEEPlJS6_EEE10hipError_tPvRmT3_T4_T5_T6_T7_T9_mT8_P12ihipStream_tbDpT10_ENKUlT_T0_E_clISt17integral_constantIbLb0EES17_EEDaS12_S13_EUlS12_E_NS1_11comp_targetILNS1_3genE2ELNS1_11target_archE906ELNS1_3gpuE6ELNS1_3repE0EEENS1_30default_config_static_selectorELNS0_4arch9wavefront6targetE1EEEvT1_
	.p2align	8
	.type	_ZN7rocprim17ROCPRIM_400000_NS6detail17trampoline_kernelINS0_14default_configENS1_25partition_config_selectorILNS1_17partition_subalgoE8EmNS0_10empty_typeEbEEZZNS1_14partition_implILS5_8ELb0ES3_jPKmPS6_PKS6_NS0_5tupleIJPmS6_EEENSE_IJSB_SB_EEENS0_18inequality_wrapperIN6hipcub16HIPCUB_304000_NS8EqualityEEEPlJS6_EEE10hipError_tPvRmT3_T4_T5_T6_T7_T9_mT8_P12ihipStream_tbDpT10_ENKUlT_T0_E_clISt17integral_constantIbLb0EES17_EEDaS12_S13_EUlS12_E_NS1_11comp_targetILNS1_3genE2ELNS1_11target_archE906ELNS1_3gpuE6ELNS1_3repE0EEENS1_30default_config_static_selectorELNS0_4arch9wavefront6targetE1EEEvT1_,@function
_ZN7rocprim17ROCPRIM_400000_NS6detail17trampoline_kernelINS0_14default_configENS1_25partition_config_selectorILNS1_17partition_subalgoE8EmNS0_10empty_typeEbEEZZNS1_14partition_implILS5_8ELb0ES3_jPKmPS6_PKS6_NS0_5tupleIJPmS6_EEENSE_IJSB_SB_EEENS0_18inequality_wrapperIN6hipcub16HIPCUB_304000_NS8EqualityEEEPlJS6_EEE10hipError_tPvRmT3_T4_T5_T6_T7_T9_mT8_P12ihipStream_tbDpT10_ENKUlT_T0_E_clISt17integral_constantIbLb0EES17_EEDaS12_S13_EUlS12_E_NS1_11comp_targetILNS1_3genE2ELNS1_11target_archE906ELNS1_3gpuE6ELNS1_3repE0EEENS1_30default_config_static_selectorELNS0_4arch9wavefront6targetE1EEEvT1_: ; @_ZN7rocprim17ROCPRIM_400000_NS6detail17trampoline_kernelINS0_14default_configENS1_25partition_config_selectorILNS1_17partition_subalgoE8EmNS0_10empty_typeEbEEZZNS1_14partition_implILS5_8ELb0ES3_jPKmPS6_PKS6_NS0_5tupleIJPmS6_EEENSE_IJSB_SB_EEENS0_18inequality_wrapperIN6hipcub16HIPCUB_304000_NS8EqualityEEEPlJS6_EEE10hipError_tPvRmT3_T4_T5_T6_T7_T9_mT8_P12ihipStream_tbDpT10_ENKUlT_T0_E_clISt17integral_constantIbLb0EES17_EEDaS12_S13_EUlS12_E_NS1_11comp_targetILNS1_3genE2ELNS1_11target_archE906ELNS1_3gpuE6ELNS1_3repE0EEENS1_30default_config_static_selectorELNS0_4arch9wavefront6targetE1EEEvT1_
; %bb.0:
	.section	.rodata,"a",@progbits
	.p2align	6, 0x0
	.amdhsa_kernel _ZN7rocprim17ROCPRIM_400000_NS6detail17trampoline_kernelINS0_14default_configENS1_25partition_config_selectorILNS1_17partition_subalgoE8EmNS0_10empty_typeEbEEZZNS1_14partition_implILS5_8ELb0ES3_jPKmPS6_PKS6_NS0_5tupleIJPmS6_EEENSE_IJSB_SB_EEENS0_18inequality_wrapperIN6hipcub16HIPCUB_304000_NS8EqualityEEEPlJS6_EEE10hipError_tPvRmT3_T4_T5_T6_T7_T9_mT8_P12ihipStream_tbDpT10_ENKUlT_T0_E_clISt17integral_constantIbLb0EES17_EEDaS12_S13_EUlS12_E_NS1_11comp_targetILNS1_3genE2ELNS1_11target_archE906ELNS1_3gpuE6ELNS1_3repE0EEENS1_30default_config_static_selectorELNS0_4arch9wavefront6targetE1EEEvT1_
		.amdhsa_group_segment_fixed_size 0
		.amdhsa_private_segment_fixed_size 0
		.amdhsa_kernarg_size 112
		.amdhsa_user_sgpr_count 6
		.amdhsa_user_sgpr_private_segment_buffer 1
		.amdhsa_user_sgpr_dispatch_ptr 0
		.amdhsa_user_sgpr_queue_ptr 0
		.amdhsa_user_sgpr_kernarg_segment_ptr 1
		.amdhsa_user_sgpr_dispatch_id 0
		.amdhsa_user_sgpr_flat_scratch_init 0
		.amdhsa_user_sgpr_kernarg_preload_length 0
		.amdhsa_user_sgpr_kernarg_preload_offset 0
		.amdhsa_user_sgpr_private_segment_size 0
		.amdhsa_uses_dynamic_stack 0
		.amdhsa_system_sgpr_private_segment_wavefront_offset 0
		.amdhsa_system_sgpr_workgroup_id_x 1
		.amdhsa_system_sgpr_workgroup_id_y 0
		.amdhsa_system_sgpr_workgroup_id_z 0
		.amdhsa_system_sgpr_workgroup_info 0
		.amdhsa_system_vgpr_workitem_id 0
		.amdhsa_next_free_vgpr 1
		.amdhsa_next_free_sgpr 0
		.amdhsa_accum_offset 4
		.amdhsa_reserve_vcc 0
		.amdhsa_reserve_flat_scratch 0
		.amdhsa_float_round_mode_32 0
		.amdhsa_float_round_mode_16_64 0
		.amdhsa_float_denorm_mode_32 3
		.amdhsa_float_denorm_mode_16_64 3
		.amdhsa_dx10_clamp 1
		.amdhsa_ieee_mode 1
		.amdhsa_fp16_overflow 0
		.amdhsa_tg_split 0
		.amdhsa_exception_fp_ieee_invalid_op 0
		.amdhsa_exception_fp_denorm_src 0
		.amdhsa_exception_fp_ieee_div_zero 0
		.amdhsa_exception_fp_ieee_overflow 0
		.amdhsa_exception_fp_ieee_underflow 0
		.amdhsa_exception_fp_ieee_inexact 0
		.amdhsa_exception_int_div_zero 0
	.end_amdhsa_kernel
	.section	.text._ZN7rocprim17ROCPRIM_400000_NS6detail17trampoline_kernelINS0_14default_configENS1_25partition_config_selectorILNS1_17partition_subalgoE8EmNS0_10empty_typeEbEEZZNS1_14partition_implILS5_8ELb0ES3_jPKmPS6_PKS6_NS0_5tupleIJPmS6_EEENSE_IJSB_SB_EEENS0_18inequality_wrapperIN6hipcub16HIPCUB_304000_NS8EqualityEEEPlJS6_EEE10hipError_tPvRmT3_T4_T5_T6_T7_T9_mT8_P12ihipStream_tbDpT10_ENKUlT_T0_E_clISt17integral_constantIbLb0EES17_EEDaS12_S13_EUlS12_E_NS1_11comp_targetILNS1_3genE2ELNS1_11target_archE906ELNS1_3gpuE6ELNS1_3repE0EEENS1_30default_config_static_selectorELNS0_4arch9wavefront6targetE1EEEvT1_,"axG",@progbits,_ZN7rocprim17ROCPRIM_400000_NS6detail17trampoline_kernelINS0_14default_configENS1_25partition_config_selectorILNS1_17partition_subalgoE8EmNS0_10empty_typeEbEEZZNS1_14partition_implILS5_8ELb0ES3_jPKmPS6_PKS6_NS0_5tupleIJPmS6_EEENSE_IJSB_SB_EEENS0_18inequality_wrapperIN6hipcub16HIPCUB_304000_NS8EqualityEEEPlJS6_EEE10hipError_tPvRmT3_T4_T5_T6_T7_T9_mT8_P12ihipStream_tbDpT10_ENKUlT_T0_E_clISt17integral_constantIbLb0EES17_EEDaS12_S13_EUlS12_E_NS1_11comp_targetILNS1_3genE2ELNS1_11target_archE906ELNS1_3gpuE6ELNS1_3repE0EEENS1_30default_config_static_selectorELNS0_4arch9wavefront6targetE1EEEvT1_,comdat
.Lfunc_end690:
	.size	_ZN7rocprim17ROCPRIM_400000_NS6detail17trampoline_kernelINS0_14default_configENS1_25partition_config_selectorILNS1_17partition_subalgoE8EmNS0_10empty_typeEbEEZZNS1_14partition_implILS5_8ELb0ES3_jPKmPS6_PKS6_NS0_5tupleIJPmS6_EEENSE_IJSB_SB_EEENS0_18inequality_wrapperIN6hipcub16HIPCUB_304000_NS8EqualityEEEPlJS6_EEE10hipError_tPvRmT3_T4_T5_T6_T7_T9_mT8_P12ihipStream_tbDpT10_ENKUlT_T0_E_clISt17integral_constantIbLb0EES17_EEDaS12_S13_EUlS12_E_NS1_11comp_targetILNS1_3genE2ELNS1_11target_archE906ELNS1_3gpuE6ELNS1_3repE0EEENS1_30default_config_static_selectorELNS0_4arch9wavefront6targetE1EEEvT1_, .Lfunc_end690-_ZN7rocprim17ROCPRIM_400000_NS6detail17trampoline_kernelINS0_14default_configENS1_25partition_config_selectorILNS1_17partition_subalgoE8EmNS0_10empty_typeEbEEZZNS1_14partition_implILS5_8ELb0ES3_jPKmPS6_PKS6_NS0_5tupleIJPmS6_EEENSE_IJSB_SB_EEENS0_18inequality_wrapperIN6hipcub16HIPCUB_304000_NS8EqualityEEEPlJS6_EEE10hipError_tPvRmT3_T4_T5_T6_T7_T9_mT8_P12ihipStream_tbDpT10_ENKUlT_T0_E_clISt17integral_constantIbLb0EES17_EEDaS12_S13_EUlS12_E_NS1_11comp_targetILNS1_3genE2ELNS1_11target_archE906ELNS1_3gpuE6ELNS1_3repE0EEENS1_30default_config_static_selectorELNS0_4arch9wavefront6targetE1EEEvT1_
                                        ; -- End function
	.section	.AMDGPU.csdata,"",@progbits
; Kernel info:
; codeLenInByte = 0
; NumSgprs: 4
; NumVgprs: 0
; NumAgprs: 0
; TotalNumVgprs: 0
; ScratchSize: 0
; MemoryBound: 0
; FloatMode: 240
; IeeeMode: 1
; LDSByteSize: 0 bytes/workgroup (compile time only)
; SGPRBlocks: 0
; VGPRBlocks: 0
; NumSGPRsForWavesPerEU: 4
; NumVGPRsForWavesPerEU: 1
; AccumOffset: 4
; Occupancy: 8
; WaveLimiterHint : 0
; COMPUTE_PGM_RSRC2:SCRATCH_EN: 0
; COMPUTE_PGM_RSRC2:USER_SGPR: 6
; COMPUTE_PGM_RSRC2:TRAP_HANDLER: 0
; COMPUTE_PGM_RSRC2:TGID_X_EN: 1
; COMPUTE_PGM_RSRC2:TGID_Y_EN: 0
; COMPUTE_PGM_RSRC2:TGID_Z_EN: 0
; COMPUTE_PGM_RSRC2:TIDIG_COMP_CNT: 0
; COMPUTE_PGM_RSRC3_GFX90A:ACCUM_OFFSET: 0
; COMPUTE_PGM_RSRC3_GFX90A:TG_SPLIT: 0
	.section	.text._ZN7rocprim17ROCPRIM_400000_NS6detail17trampoline_kernelINS0_14default_configENS1_25partition_config_selectorILNS1_17partition_subalgoE8EmNS0_10empty_typeEbEEZZNS1_14partition_implILS5_8ELb0ES3_jPKmPS6_PKS6_NS0_5tupleIJPmS6_EEENSE_IJSB_SB_EEENS0_18inequality_wrapperIN6hipcub16HIPCUB_304000_NS8EqualityEEEPlJS6_EEE10hipError_tPvRmT3_T4_T5_T6_T7_T9_mT8_P12ihipStream_tbDpT10_ENKUlT_T0_E_clISt17integral_constantIbLb0EES17_EEDaS12_S13_EUlS12_E_NS1_11comp_targetILNS1_3genE10ELNS1_11target_archE1200ELNS1_3gpuE4ELNS1_3repE0EEENS1_30default_config_static_selectorELNS0_4arch9wavefront6targetE1EEEvT1_,"axG",@progbits,_ZN7rocprim17ROCPRIM_400000_NS6detail17trampoline_kernelINS0_14default_configENS1_25partition_config_selectorILNS1_17partition_subalgoE8EmNS0_10empty_typeEbEEZZNS1_14partition_implILS5_8ELb0ES3_jPKmPS6_PKS6_NS0_5tupleIJPmS6_EEENSE_IJSB_SB_EEENS0_18inequality_wrapperIN6hipcub16HIPCUB_304000_NS8EqualityEEEPlJS6_EEE10hipError_tPvRmT3_T4_T5_T6_T7_T9_mT8_P12ihipStream_tbDpT10_ENKUlT_T0_E_clISt17integral_constantIbLb0EES17_EEDaS12_S13_EUlS12_E_NS1_11comp_targetILNS1_3genE10ELNS1_11target_archE1200ELNS1_3gpuE4ELNS1_3repE0EEENS1_30default_config_static_selectorELNS0_4arch9wavefront6targetE1EEEvT1_,comdat
	.protected	_ZN7rocprim17ROCPRIM_400000_NS6detail17trampoline_kernelINS0_14default_configENS1_25partition_config_selectorILNS1_17partition_subalgoE8EmNS0_10empty_typeEbEEZZNS1_14partition_implILS5_8ELb0ES3_jPKmPS6_PKS6_NS0_5tupleIJPmS6_EEENSE_IJSB_SB_EEENS0_18inequality_wrapperIN6hipcub16HIPCUB_304000_NS8EqualityEEEPlJS6_EEE10hipError_tPvRmT3_T4_T5_T6_T7_T9_mT8_P12ihipStream_tbDpT10_ENKUlT_T0_E_clISt17integral_constantIbLb0EES17_EEDaS12_S13_EUlS12_E_NS1_11comp_targetILNS1_3genE10ELNS1_11target_archE1200ELNS1_3gpuE4ELNS1_3repE0EEENS1_30default_config_static_selectorELNS0_4arch9wavefront6targetE1EEEvT1_ ; -- Begin function _ZN7rocprim17ROCPRIM_400000_NS6detail17trampoline_kernelINS0_14default_configENS1_25partition_config_selectorILNS1_17partition_subalgoE8EmNS0_10empty_typeEbEEZZNS1_14partition_implILS5_8ELb0ES3_jPKmPS6_PKS6_NS0_5tupleIJPmS6_EEENSE_IJSB_SB_EEENS0_18inequality_wrapperIN6hipcub16HIPCUB_304000_NS8EqualityEEEPlJS6_EEE10hipError_tPvRmT3_T4_T5_T6_T7_T9_mT8_P12ihipStream_tbDpT10_ENKUlT_T0_E_clISt17integral_constantIbLb0EES17_EEDaS12_S13_EUlS12_E_NS1_11comp_targetILNS1_3genE10ELNS1_11target_archE1200ELNS1_3gpuE4ELNS1_3repE0EEENS1_30default_config_static_selectorELNS0_4arch9wavefront6targetE1EEEvT1_
	.globl	_ZN7rocprim17ROCPRIM_400000_NS6detail17trampoline_kernelINS0_14default_configENS1_25partition_config_selectorILNS1_17partition_subalgoE8EmNS0_10empty_typeEbEEZZNS1_14partition_implILS5_8ELb0ES3_jPKmPS6_PKS6_NS0_5tupleIJPmS6_EEENSE_IJSB_SB_EEENS0_18inequality_wrapperIN6hipcub16HIPCUB_304000_NS8EqualityEEEPlJS6_EEE10hipError_tPvRmT3_T4_T5_T6_T7_T9_mT8_P12ihipStream_tbDpT10_ENKUlT_T0_E_clISt17integral_constantIbLb0EES17_EEDaS12_S13_EUlS12_E_NS1_11comp_targetILNS1_3genE10ELNS1_11target_archE1200ELNS1_3gpuE4ELNS1_3repE0EEENS1_30default_config_static_selectorELNS0_4arch9wavefront6targetE1EEEvT1_
	.p2align	8
	.type	_ZN7rocprim17ROCPRIM_400000_NS6detail17trampoline_kernelINS0_14default_configENS1_25partition_config_selectorILNS1_17partition_subalgoE8EmNS0_10empty_typeEbEEZZNS1_14partition_implILS5_8ELb0ES3_jPKmPS6_PKS6_NS0_5tupleIJPmS6_EEENSE_IJSB_SB_EEENS0_18inequality_wrapperIN6hipcub16HIPCUB_304000_NS8EqualityEEEPlJS6_EEE10hipError_tPvRmT3_T4_T5_T6_T7_T9_mT8_P12ihipStream_tbDpT10_ENKUlT_T0_E_clISt17integral_constantIbLb0EES17_EEDaS12_S13_EUlS12_E_NS1_11comp_targetILNS1_3genE10ELNS1_11target_archE1200ELNS1_3gpuE4ELNS1_3repE0EEENS1_30default_config_static_selectorELNS0_4arch9wavefront6targetE1EEEvT1_,@function
_ZN7rocprim17ROCPRIM_400000_NS6detail17trampoline_kernelINS0_14default_configENS1_25partition_config_selectorILNS1_17partition_subalgoE8EmNS0_10empty_typeEbEEZZNS1_14partition_implILS5_8ELb0ES3_jPKmPS6_PKS6_NS0_5tupleIJPmS6_EEENSE_IJSB_SB_EEENS0_18inequality_wrapperIN6hipcub16HIPCUB_304000_NS8EqualityEEEPlJS6_EEE10hipError_tPvRmT3_T4_T5_T6_T7_T9_mT8_P12ihipStream_tbDpT10_ENKUlT_T0_E_clISt17integral_constantIbLb0EES17_EEDaS12_S13_EUlS12_E_NS1_11comp_targetILNS1_3genE10ELNS1_11target_archE1200ELNS1_3gpuE4ELNS1_3repE0EEENS1_30default_config_static_selectorELNS0_4arch9wavefront6targetE1EEEvT1_: ; @_ZN7rocprim17ROCPRIM_400000_NS6detail17trampoline_kernelINS0_14default_configENS1_25partition_config_selectorILNS1_17partition_subalgoE8EmNS0_10empty_typeEbEEZZNS1_14partition_implILS5_8ELb0ES3_jPKmPS6_PKS6_NS0_5tupleIJPmS6_EEENSE_IJSB_SB_EEENS0_18inequality_wrapperIN6hipcub16HIPCUB_304000_NS8EqualityEEEPlJS6_EEE10hipError_tPvRmT3_T4_T5_T6_T7_T9_mT8_P12ihipStream_tbDpT10_ENKUlT_T0_E_clISt17integral_constantIbLb0EES17_EEDaS12_S13_EUlS12_E_NS1_11comp_targetILNS1_3genE10ELNS1_11target_archE1200ELNS1_3gpuE4ELNS1_3repE0EEENS1_30default_config_static_selectorELNS0_4arch9wavefront6targetE1EEEvT1_
; %bb.0:
	.section	.rodata,"a",@progbits
	.p2align	6, 0x0
	.amdhsa_kernel _ZN7rocprim17ROCPRIM_400000_NS6detail17trampoline_kernelINS0_14default_configENS1_25partition_config_selectorILNS1_17partition_subalgoE8EmNS0_10empty_typeEbEEZZNS1_14partition_implILS5_8ELb0ES3_jPKmPS6_PKS6_NS0_5tupleIJPmS6_EEENSE_IJSB_SB_EEENS0_18inequality_wrapperIN6hipcub16HIPCUB_304000_NS8EqualityEEEPlJS6_EEE10hipError_tPvRmT3_T4_T5_T6_T7_T9_mT8_P12ihipStream_tbDpT10_ENKUlT_T0_E_clISt17integral_constantIbLb0EES17_EEDaS12_S13_EUlS12_E_NS1_11comp_targetILNS1_3genE10ELNS1_11target_archE1200ELNS1_3gpuE4ELNS1_3repE0EEENS1_30default_config_static_selectorELNS0_4arch9wavefront6targetE1EEEvT1_
		.amdhsa_group_segment_fixed_size 0
		.amdhsa_private_segment_fixed_size 0
		.amdhsa_kernarg_size 112
		.amdhsa_user_sgpr_count 6
		.amdhsa_user_sgpr_private_segment_buffer 1
		.amdhsa_user_sgpr_dispatch_ptr 0
		.amdhsa_user_sgpr_queue_ptr 0
		.amdhsa_user_sgpr_kernarg_segment_ptr 1
		.amdhsa_user_sgpr_dispatch_id 0
		.amdhsa_user_sgpr_flat_scratch_init 0
		.amdhsa_user_sgpr_kernarg_preload_length 0
		.amdhsa_user_sgpr_kernarg_preload_offset 0
		.amdhsa_user_sgpr_private_segment_size 0
		.amdhsa_uses_dynamic_stack 0
		.amdhsa_system_sgpr_private_segment_wavefront_offset 0
		.amdhsa_system_sgpr_workgroup_id_x 1
		.amdhsa_system_sgpr_workgroup_id_y 0
		.amdhsa_system_sgpr_workgroup_id_z 0
		.amdhsa_system_sgpr_workgroup_info 0
		.amdhsa_system_vgpr_workitem_id 0
		.amdhsa_next_free_vgpr 1
		.amdhsa_next_free_sgpr 0
		.amdhsa_accum_offset 4
		.amdhsa_reserve_vcc 0
		.amdhsa_reserve_flat_scratch 0
		.amdhsa_float_round_mode_32 0
		.amdhsa_float_round_mode_16_64 0
		.amdhsa_float_denorm_mode_32 3
		.amdhsa_float_denorm_mode_16_64 3
		.amdhsa_dx10_clamp 1
		.amdhsa_ieee_mode 1
		.amdhsa_fp16_overflow 0
		.amdhsa_tg_split 0
		.amdhsa_exception_fp_ieee_invalid_op 0
		.amdhsa_exception_fp_denorm_src 0
		.amdhsa_exception_fp_ieee_div_zero 0
		.amdhsa_exception_fp_ieee_overflow 0
		.amdhsa_exception_fp_ieee_underflow 0
		.amdhsa_exception_fp_ieee_inexact 0
		.amdhsa_exception_int_div_zero 0
	.end_amdhsa_kernel
	.section	.text._ZN7rocprim17ROCPRIM_400000_NS6detail17trampoline_kernelINS0_14default_configENS1_25partition_config_selectorILNS1_17partition_subalgoE8EmNS0_10empty_typeEbEEZZNS1_14partition_implILS5_8ELb0ES3_jPKmPS6_PKS6_NS0_5tupleIJPmS6_EEENSE_IJSB_SB_EEENS0_18inequality_wrapperIN6hipcub16HIPCUB_304000_NS8EqualityEEEPlJS6_EEE10hipError_tPvRmT3_T4_T5_T6_T7_T9_mT8_P12ihipStream_tbDpT10_ENKUlT_T0_E_clISt17integral_constantIbLb0EES17_EEDaS12_S13_EUlS12_E_NS1_11comp_targetILNS1_3genE10ELNS1_11target_archE1200ELNS1_3gpuE4ELNS1_3repE0EEENS1_30default_config_static_selectorELNS0_4arch9wavefront6targetE1EEEvT1_,"axG",@progbits,_ZN7rocprim17ROCPRIM_400000_NS6detail17trampoline_kernelINS0_14default_configENS1_25partition_config_selectorILNS1_17partition_subalgoE8EmNS0_10empty_typeEbEEZZNS1_14partition_implILS5_8ELb0ES3_jPKmPS6_PKS6_NS0_5tupleIJPmS6_EEENSE_IJSB_SB_EEENS0_18inequality_wrapperIN6hipcub16HIPCUB_304000_NS8EqualityEEEPlJS6_EEE10hipError_tPvRmT3_T4_T5_T6_T7_T9_mT8_P12ihipStream_tbDpT10_ENKUlT_T0_E_clISt17integral_constantIbLb0EES17_EEDaS12_S13_EUlS12_E_NS1_11comp_targetILNS1_3genE10ELNS1_11target_archE1200ELNS1_3gpuE4ELNS1_3repE0EEENS1_30default_config_static_selectorELNS0_4arch9wavefront6targetE1EEEvT1_,comdat
.Lfunc_end691:
	.size	_ZN7rocprim17ROCPRIM_400000_NS6detail17trampoline_kernelINS0_14default_configENS1_25partition_config_selectorILNS1_17partition_subalgoE8EmNS0_10empty_typeEbEEZZNS1_14partition_implILS5_8ELb0ES3_jPKmPS6_PKS6_NS0_5tupleIJPmS6_EEENSE_IJSB_SB_EEENS0_18inequality_wrapperIN6hipcub16HIPCUB_304000_NS8EqualityEEEPlJS6_EEE10hipError_tPvRmT3_T4_T5_T6_T7_T9_mT8_P12ihipStream_tbDpT10_ENKUlT_T0_E_clISt17integral_constantIbLb0EES17_EEDaS12_S13_EUlS12_E_NS1_11comp_targetILNS1_3genE10ELNS1_11target_archE1200ELNS1_3gpuE4ELNS1_3repE0EEENS1_30default_config_static_selectorELNS0_4arch9wavefront6targetE1EEEvT1_, .Lfunc_end691-_ZN7rocprim17ROCPRIM_400000_NS6detail17trampoline_kernelINS0_14default_configENS1_25partition_config_selectorILNS1_17partition_subalgoE8EmNS0_10empty_typeEbEEZZNS1_14partition_implILS5_8ELb0ES3_jPKmPS6_PKS6_NS0_5tupleIJPmS6_EEENSE_IJSB_SB_EEENS0_18inequality_wrapperIN6hipcub16HIPCUB_304000_NS8EqualityEEEPlJS6_EEE10hipError_tPvRmT3_T4_T5_T6_T7_T9_mT8_P12ihipStream_tbDpT10_ENKUlT_T0_E_clISt17integral_constantIbLb0EES17_EEDaS12_S13_EUlS12_E_NS1_11comp_targetILNS1_3genE10ELNS1_11target_archE1200ELNS1_3gpuE4ELNS1_3repE0EEENS1_30default_config_static_selectorELNS0_4arch9wavefront6targetE1EEEvT1_
                                        ; -- End function
	.section	.AMDGPU.csdata,"",@progbits
; Kernel info:
; codeLenInByte = 0
; NumSgprs: 4
; NumVgprs: 0
; NumAgprs: 0
; TotalNumVgprs: 0
; ScratchSize: 0
; MemoryBound: 0
; FloatMode: 240
; IeeeMode: 1
; LDSByteSize: 0 bytes/workgroup (compile time only)
; SGPRBlocks: 0
; VGPRBlocks: 0
; NumSGPRsForWavesPerEU: 4
; NumVGPRsForWavesPerEU: 1
; AccumOffset: 4
; Occupancy: 8
; WaveLimiterHint : 0
; COMPUTE_PGM_RSRC2:SCRATCH_EN: 0
; COMPUTE_PGM_RSRC2:USER_SGPR: 6
; COMPUTE_PGM_RSRC2:TRAP_HANDLER: 0
; COMPUTE_PGM_RSRC2:TGID_X_EN: 1
; COMPUTE_PGM_RSRC2:TGID_Y_EN: 0
; COMPUTE_PGM_RSRC2:TGID_Z_EN: 0
; COMPUTE_PGM_RSRC2:TIDIG_COMP_CNT: 0
; COMPUTE_PGM_RSRC3_GFX90A:ACCUM_OFFSET: 0
; COMPUTE_PGM_RSRC3_GFX90A:TG_SPLIT: 0
	.section	.text._ZN7rocprim17ROCPRIM_400000_NS6detail17trampoline_kernelINS0_14default_configENS1_25partition_config_selectorILNS1_17partition_subalgoE8EmNS0_10empty_typeEbEEZZNS1_14partition_implILS5_8ELb0ES3_jPKmPS6_PKS6_NS0_5tupleIJPmS6_EEENSE_IJSB_SB_EEENS0_18inequality_wrapperIN6hipcub16HIPCUB_304000_NS8EqualityEEEPlJS6_EEE10hipError_tPvRmT3_T4_T5_T6_T7_T9_mT8_P12ihipStream_tbDpT10_ENKUlT_T0_E_clISt17integral_constantIbLb0EES17_EEDaS12_S13_EUlS12_E_NS1_11comp_targetILNS1_3genE9ELNS1_11target_archE1100ELNS1_3gpuE3ELNS1_3repE0EEENS1_30default_config_static_selectorELNS0_4arch9wavefront6targetE1EEEvT1_,"axG",@progbits,_ZN7rocprim17ROCPRIM_400000_NS6detail17trampoline_kernelINS0_14default_configENS1_25partition_config_selectorILNS1_17partition_subalgoE8EmNS0_10empty_typeEbEEZZNS1_14partition_implILS5_8ELb0ES3_jPKmPS6_PKS6_NS0_5tupleIJPmS6_EEENSE_IJSB_SB_EEENS0_18inequality_wrapperIN6hipcub16HIPCUB_304000_NS8EqualityEEEPlJS6_EEE10hipError_tPvRmT3_T4_T5_T6_T7_T9_mT8_P12ihipStream_tbDpT10_ENKUlT_T0_E_clISt17integral_constantIbLb0EES17_EEDaS12_S13_EUlS12_E_NS1_11comp_targetILNS1_3genE9ELNS1_11target_archE1100ELNS1_3gpuE3ELNS1_3repE0EEENS1_30default_config_static_selectorELNS0_4arch9wavefront6targetE1EEEvT1_,comdat
	.protected	_ZN7rocprim17ROCPRIM_400000_NS6detail17trampoline_kernelINS0_14default_configENS1_25partition_config_selectorILNS1_17partition_subalgoE8EmNS0_10empty_typeEbEEZZNS1_14partition_implILS5_8ELb0ES3_jPKmPS6_PKS6_NS0_5tupleIJPmS6_EEENSE_IJSB_SB_EEENS0_18inequality_wrapperIN6hipcub16HIPCUB_304000_NS8EqualityEEEPlJS6_EEE10hipError_tPvRmT3_T4_T5_T6_T7_T9_mT8_P12ihipStream_tbDpT10_ENKUlT_T0_E_clISt17integral_constantIbLb0EES17_EEDaS12_S13_EUlS12_E_NS1_11comp_targetILNS1_3genE9ELNS1_11target_archE1100ELNS1_3gpuE3ELNS1_3repE0EEENS1_30default_config_static_selectorELNS0_4arch9wavefront6targetE1EEEvT1_ ; -- Begin function _ZN7rocprim17ROCPRIM_400000_NS6detail17trampoline_kernelINS0_14default_configENS1_25partition_config_selectorILNS1_17partition_subalgoE8EmNS0_10empty_typeEbEEZZNS1_14partition_implILS5_8ELb0ES3_jPKmPS6_PKS6_NS0_5tupleIJPmS6_EEENSE_IJSB_SB_EEENS0_18inequality_wrapperIN6hipcub16HIPCUB_304000_NS8EqualityEEEPlJS6_EEE10hipError_tPvRmT3_T4_T5_T6_T7_T9_mT8_P12ihipStream_tbDpT10_ENKUlT_T0_E_clISt17integral_constantIbLb0EES17_EEDaS12_S13_EUlS12_E_NS1_11comp_targetILNS1_3genE9ELNS1_11target_archE1100ELNS1_3gpuE3ELNS1_3repE0EEENS1_30default_config_static_selectorELNS0_4arch9wavefront6targetE1EEEvT1_
	.globl	_ZN7rocprim17ROCPRIM_400000_NS6detail17trampoline_kernelINS0_14default_configENS1_25partition_config_selectorILNS1_17partition_subalgoE8EmNS0_10empty_typeEbEEZZNS1_14partition_implILS5_8ELb0ES3_jPKmPS6_PKS6_NS0_5tupleIJPmS6_EEENSE_IJSB_SB_EEENS0_18inequality_wrapperIN6hipcub16HIPCUB_304000_NS8EqualityEEEPlJS6_EEE10hipError_tPvRmT3_T4_T5_T6_T7_T9_mT8_P12ihipStream_tbDpT10_ENKUlT_T0_E_clISt17integral_constantIbLb0EES17_EEDaS12_S13_EUlS12_E_NS1_11comp_targetILNS1_3genE9ELNS1_11target_archE1100ELNS1_3gpuE3ELNS1_3repE0EEENS1_30default_config_static_selectorELNS0_4arch9wavefront6targetE1EEEvT1_
	.p2align	8
	.type	_ZN7rocprim17ROCPRIM_400000_NS6detail17trampoline_kernelINS0_14default_configENS1_25partition_config_selectorILNS1_17partition_subalgoE8EmNS0_10empty_typeEbEEZZNS1_14partition_implILS5_8ELb0ES3_jPKmPS6_PKS6_NS0_5tupleIJPmS6_EEENSE_IJSB_SB_EEENS0_18inequality_wrapperIN6hipcub16HIPCUB_304000_NS8EqualityEEEPlJS6_EEE10hipError_tPvRmT3_T4_T5_T6_T7_T9_mT8_P12ihipStream_tbDpT10_ENKUlT_T0_E_clISt17integral_constantIbLb0EES17_EEDaS12_S13_EUlS12_E_NS1_11comp_targetILNS1_3genE9ELNS1_11target_archE1100ELNS1_3gpuE3ELNS1_3repE0EEENS1_30default_config_static_selectorELNS0_4arch9wavefront6targetE1EEEvT1_,@function
_ZN7rocprim17ROCPRIM_400000_NS6detail17trampoline_kernelINS0_14default_configENS1_25partition_config_selectorILNS1_17partition_subalgoE8EmNS0_10empty_typeEbEEZZNS1_14partition_implILS5_8ELb0ES3_jPKmPS6_PKS6_NS0_5tupleIJPmS6_EEENSE_IJSB_SB_EEENS0_18inequality_wrapperIN6hipcub16HIPCUB_304000_NS8EqualityEEEPlJS6_EEE10hipError_tPvRmT3_T4_T5_T6_T7_T9_mT8_P12ihipStream_tbDpT10_ENKUlT_T0_E_clISt17integral_constantIbLb0EES17_EEDaS12_S13_EUlS12_E_NS1_11comp_targetILNS1_3genE9ELNS1_11target_archE1100ELNS1_3gpuE3ELNS1_3repE0EEENS1_30default_config_static_selectorELNS0_4arch9wavefront6targetE1EEEvT1_: ; @_ZN7rocprim17ROCPRIM_400000_NS6detail17trampoline_kernelINS0_14default_configENS1_25partition_config_selectorILNS1_17partition_subalgoE8EmNS0_10empty_typeEbEEZZNS1_14partition_implILS5_8ELb0ES3_jPKmPS6_PKS6_NS0_5tupleIJPmS6_EEENSE_IJSB_SB_EEENS0_18inequality_wrapperIN6hipcub16HIPCUB_304000_NS8EqualityEEEPlJS6_EEE10hipError_tPvRmT3_T4_T5_T6_T7_T9_mT8_P12ihipStream_tbDpT10_ENKUlT_T0_E_clISt17integral_constantIbLb0EES17_EEDaS12_S13_EUlS12_E_NS1_11comp_targetILNS1_3genE9ELNS1_11target_archE1100ELNS1_3gpuE3ELNS1_3repE0EEENS1_30default_config_static_selectorELNS0_4arch9wavefront6targetE1EEEvT1_
; %bb.0:
	.section	.rodata,"a",@progbits
	.p2align	6, 0x0
	.amdhsa_kernel _ZN7rocprim17ROCPRIM_400000_NS6detail17trampoline_kernelINS0_14default_configENS1_25partition_config_selectorILNS1_17partition_subalgoE8EmNS0_10empty_typeEbEEZZNS1_14partition_implILS5_8ELb0ES3_jPKmPS6_PKS6_NS0_5tupleIJPmS6_EEENSE_IJSB_SB_EEENS0_18inequality_wrapperIN6hipcub16HIPCUB_304000_NS8EqualityEEEPlJS6_EEE10hipError_tPvRmT3_T4_T5_T6_T7_T9_mT8_P12ihipStream_tbDpT10_ENKUlT_T0_E_clISt17integral_constantIbLb0EES17_EEDaS12_S13_EUlS12_E_NS1_11comp_targetILNS1_3genE9ELNS1_11target_archE1100ELNS1_3gpuE3ELNS1_3repE0EEENS1_30default_config_static_selectorELNS0_4arch9wavefront6targetE1EEEvT1_
		.amdhsa_group_segment_fixed_size 0
		.amdhsa_private_segment_fixed_size 0
		.amdhsa_kernarg_size 112
		.amdhsa_user_sgpr_count 6
		.amdhsa_user_sgpr_private_segment_buffer 1
		.amdhsa_user_sgpr_dispatch_ptr 0
		.amdhsa_user_sgpr_queue_ptr 0
		.amdhsa_user_sgpr_kernarg_segment_ptr 1
		.amdhsa_user_sgpr_dispatch_id 0
		.amdhsa_user_sgpr_flat_scratch_init 0
		.amdhsa_user_sgpr_kernarg_preload_length 0
		.amdhsa_user_sgpr_kernarg_preload_offset 0
		.amdhsa_user_sgpr_private_segment_size 0
		.amdhsa_uses_dynamic_stack 0
		.amdhsa_system_sgpr_private_segment_wavefront_offset 0
		.amdhsa_system_sgpr_workgroup_id_x 1
		.amdhsa_system_sgpr_workgroup_id_y 0
		.amdhsa_system_sgpr_workgroup_id_z 0
		.amdhsa_system_sgpr_workgroup_info 0
		.amdhsa_system_vgpr_workitem_id 0
		.amdhsa_next_free_vgpr 1
		.amdhsa_next_free_sgpr 0
		.amdhsa_accum_offset 4
		.amdhsa_reserve_vcc 0
		.amdhsa_reserve_flat_scratch 0
		.amdhsa_float_round_mode_32 0
		.amdhsa_float_round_mode_16_64 0
		.amdhsa_float_denorm_mode_32 3
		.amdhsa_float_denorm_mode_16_64 3
		.amdhsa_dx10_clamp 1
		.amdhsa_ieee_mode 1
		.amdhsa_fp16_overflow 0
		.amdhsa_tg_split 0
		.amdhsa_exception_fp_ieee_invalid_op 0
		.amdhsa_exception_fp_denorm_src 0
		.amdhsa_exception_fp_ieee_div_zero 0
		.amdhsa_exception_fp_ieee_overflow 0
		.amdhsa_exception_fp_ieee_underflow 0
		.amdhsa_exception_fp_ieee_inexact 0
		.amdhsa_exception_int_div_zero 0
	.end_amdhsa_kernel
	.section	.text._ZN7rocprim17ROCPRIM_400000_NS6detail17trampoline_kernelINS0_14default_configENS1_25partition_config_selectorILNS1_17partition_subalgoE8EmNS0_10empty_typeEbEEZZNS1_14partition_implILS5_8ELb0ES3_jPKmPS6_PKS6_NS0_5tupleIJPmS6_EEENSE_IJSB_SB_EEENS0_18inequality_wrapperIN6hipcub16HIPCUB_304000_NS8EqualityEEEPlJS6_EEE10hipError_tPvRmT3_T4_T5_T6_T7_T9_mT8_P12ihipStream_tbDpT10_ENKUlT_T0_E_clISt17integral_constantIbLb0EES17_EEDaS12_S13_EUlS12_E_NS1_11comp_targetILNS1_3genE9ELNS1_11target_archE1100ELNS1_3gpuE3ELNS1_3repE0EEENS1_30default_config_static_selectorELNS0_4arch9wavefront6targetE1EEEvT1_,"axG",@progbits,_ZN7rocprim17ROCPRIM_400000_NS6detail17trampoline_kernelINS0_14default_configENS1_25partition_config_selectorILNS1_17partition_subalgoE8EmNS0_10empty_typeEbEEZZNS1_14partition_implILS5_8ELb0ES3_jPKmPS6_PKS6_NS0_5tupleIJPmS6_EEENSE_IJSB_SB_EEENS0_18inequality_wrapperIN6hipcub16HIPCUB_304000_NS8EqualityEEEPlJS6_EEE10hipError_tPvRmT3_T4_T5_T6_T7_T9_mT8_P12ihipStream_tbDpT10_ENKUlT_T0_E_clISt17integral_constantIbLb0EES17_EEDaS12_S13_EUlS12_E_NS1_11comp_targetILNS1_3genE9ELNS1_11target_archE1100ELNS1_3gpuE3ELNS1_3repE0EEENS1_30default_config_static_selectorELNS0_4arch9wavefront6targetE1EEEvT1_,comdat
.Lfunc_end692:
	.size	_ZN7rocprim17ROCPRIM_400000_NS6detail17trampoline_kernelINS0_14default_configENS1_25partition_config_selectorILNS1_17partition_subalgoE8EmNS0_10empty_typeEbEEZZNS1_14partition_implILS5_8ELb0ES3_jPKmPS6_PKS6_NS0_5tupleIJPmS6_EEENSE_IJSB_SB_EEENS0_18inequality_wrapperIN6hipcub16HIPCUB_304000_NS8EqualityEEEPlJS6_EEE10hipError_tPvRmT3_T4_T5_T6_T7_T9_mT8_P12ihipStream_tbDpT10_ENKUlT_T0_E_clISt17integral_constantIbLb0EES17_EEDaS12_S13_EUlS12_E_NS1_11comp_targetILNS1_3genE9ELNS1_11target_archE1100ELNS1_3gpuE3ELNS1_3repE0EEENS1_30default_config_static_selectorELNS0_4arch9wavefront6targetE1EEEvT1_, .Lfunc_end692-_ZN7rocprim17ROCPRIM_400000_NS6detail17trampoline_kernelINS0_14default_configENS1_25partition_config_selectorILNS1_17partition_subalgoE8EmNS0_10empty_typeEbEEZZNS1_14partition_implILS5_8ELb0ES3_jPKmPS6_PKS6_NS0_5tupleIJPmS6_EEENSE_IJSB_SB_EEENS0_18inequality_wrapperIN6hipcub16HIPCUB_304000_NS8EqualityEEEPlJS6_EEE10hipError_tPvRmT3_T4_T5_T6_T7_T9_mT8_P12ihipStream_tbDpT10_ENKUlT_T0_E_clISt17integral_constantIbLb0EES17_EEDaS12_S13_EUlS12_E_NS1_11comp_targetILNS1_3genE9ELNS1_11target_archE1100ELNS1_3gpuE3ELNS1_3repE0EEENS1_30default_config_static_selectorELNS0_4arch9wavefront6targetE1EEEvT1_
                                        ; -- End function
	.section	.AMDGPU.csdata,"",@progbits
; Kernel info:
; codeLenInByte = 0
; NumSgprs: 4
; NumVgprs: 0
; NumAgprs: 0
; TotalNumVgprs: 0
; ScratchSize: 0
; MemoryBound: 0
; FloatMode: 240
; IeeeMode: 1
; LDSByteSize: 0 bytes/workgroup (compile time only)
; SGPRBlocks: 0
; VGPRBlocks: 0
; NumSGPRsForWavesPerEU: 4
; NumVGPRsForWavesPerEU: 1
; AccumOffset: 4
; Occupancy: 8
; WaveLimiterHint : 0
; COMPUTE_PGM_RSRC2:SCRATCH_EN: 0
; COMPUTE_PGM_RSRC2:USER_SGPR: 6
; COMPUTE_PGM_RSRC2:TRAP_HANDLER: 0
; COMPUTE_PGM_RSRC2:TGID_X_EN: 1
; COMPUTE_PGM_RSRC2:TGID_Y_EN: 0
; COMPUTE_PGM_RSRC2:TGID_Z_EN: 0
; COMPUTE_PGM_RSRC2:TIDIG_COMP_CNT: 0
; COMPUTE_PGM_RSRC3_GFX90A:ACCUM_OFFSET: 0
; COMPUTE_PGM_RSRC3_GFX90A:TG_SPLIT: 0
	.section	.text._ZN7rocprim17ROCPRIM_400000_NS6detail17trampoline_kernelINS0_14default_configENS1_25partition_config_selectorILNS1_17partition_subalgoE8EmNS0_10empty_typeEbEEZZNS1_14partition_implILS5_8ELb0ES3_jPKmPS6_PKS6_NS0_5tupleIJPmS6_EEENSE_IJSB_SB_EEENS0_18inequality_wrapperIN6hipcub16HIPCUB_304000_NS8EqualityEEEPlJS6_EEE10hipError_tPvRmT3_T4_T5_T6_T7_T9_mT8_P12ihipStream_tbDpT10_ENKUlT_T0_E_clISt17integral_constantIbLb0EES17_EEDaS12_S13_EUlS12_E_NS1_11comp_targetILNS1_3genE8ELNS1_11target_archE1030ELNS1_3gpuE2ELNS1_3repE0EEENS1_30default_config_static_selectorELNS0_4arch9wavefront6targetE1EEEvT1_,"axG",@progbits,_ZN7rocprim17ROCPRIM_400000_NS6detail17trampoline_kernelINS0_14default_configENS1_25partition_config_selectorILNS1_17partition_subalgoE8EmNS0_10empty_typeEbEEZZNS1_14partition_implILS5_8ELb0ES3_jPKmPS6_PKS6_NS0_5tupleIJPmS6_EEENSE_IJSB_SB_EEENS0_18inequality_wrapperIN6hipcub16HIPCUB_304000_NS8EqualityEEEPlJS6_EEE10hipError_tPvRmT3_T4_T5_T6_T7_T9_mT8_P12ihipStream_tbDpT10_ENKUlT_T0_E_clISt17integral_constantIbLb0EES17_EEDaS12_S13_EUlS12_E_NS1_11comp_targetILNS1_3genE8ELNS1_11target_archE1030ELNS1_3gpuE2ELNS1_3repE0EEENS1_30default_config_static_selectorELNS0_4arch9wavefront6targetE1EEEvT1_,comdat
	.protected	_ZN7rocprim17ROCPRIM_400000_NS6detail17trampoline_kernelINS0_14default_configENS1_25partition_config_selectorILNS1_17partition_subalgoE8EmNS0_10empty_typeEbEEZZNS1_14partition_implILS5_8ELb0ES3_jPKmPS6_PKS6_NS0_5tupleIJPmS6_EEENSE_IJSB_SB_EEENS0_18inequality_wrapperIN6hipcub16HIPCUB_304000_NS8EqualityEEEPlJS6_EEE10hipError_tPvRmT3_T4_T5_T6_T7_T9_mT8_P12ihipStream_tbDpT10_ENKUlT_T0_E_clISt17integral_constantIbLb0EES17_EEDaS12_S13_EUlS12_E_NS1_11comp_targetILNS1_3genE8ELNS1_11target_archE1030ELNS1_3gpuE2ELNS1_3repE0EEENS1_30default_config_static_selectorELNS0_4arch9wavefront6targetE1EEEvT1_ ; -- Begin function _ZN7rocprim17ROCPRIM_400000_NS6detail17trampoline_kernelINS0_14default_configENS1_25partition_config_selectorILNS1_17partition_subalgoE8EmNS0_10empty_typeEbEEZZNS1_14partition_implILS5_8ELb0ES3_jPKmPS6_PKS6_NS0_5tupleIJPmS6_EEENSE_IJSB_SB_EEENS0_18inequality_wrapperIN6hipcub16HIPCUB_304000_NS8EqualityEEEPlJS6_EEE10hipError_tPvRmT3_T4_T5_T6_T7_T9_mT8_P12ihipStream_tbDpT10_ENKUlT_T0_E_clISt17integral_constantIbLb0EES17_EEDaS12_S13_EUlS12_E_NS1_11comp_targetILNS1_3genE8ELNS1_11target_archE1030ELNS1_3gpuE2ELNS1_3repE0EEENS1_30default_config_static_selectorELNS0_4arch9wavefront6targetE1EEEvT1_
	.globl	_ZN7rocprim17ROCPRIM_400000_NS6detail17trampoline_kernelINS0_14default_configENS1_25partition_config_selectorILNS1_17partition_subalgoE8EmNS0_10empty_typeEbEEZZNS1_14partition_implILS5_8ELb0ES3_jPKmPS6_PKS6_NS0_5tupleIJPmS6_EEENSE_IJSB_SB_EEENS0_18inequality_wrapperIN6hipcub16HIPCUB_304000_NS8EqualityEEEPlJS6_EEE10hipError_tPvRmT3_T4_T5_T6_T7_T9_mT8_P12ihipStream_tbDpT10_ENKUlT_T0_E_clISt17integral_constantIbLb0EES17_EEDaS12_S13_EUlS12_E_NS1_11comp_targetILNS1_3genE8ELNS1_11target_archE1030ELNS1_3gpuE2ELNS1_3repE0EEENS1_30default_config_static_selectorELNS0_4arch9wavefront6targetE1EEEvT1_
	.p2align	8
	.type	_ZN7rocprim17ROCPRIM_400000_NS6detail17trampoline_kernelINS0_14default_configENS1_25partition_config_selectorILNS1_17partition_subalgoE8EmNS0_10empty_typeEbEEZZNS1_14partition_implILS5_8ELb0ES3_jPKmPS6_PKS6_NS0_5tupleIJPmS6_EEENSE_IJSB_SB_EEENS0_18inequality_wrapperIN6hipcub16HIPCUB_304000_NS8EqualityEEEPlJS6_EEE10hipError_tPvRmT3_T4_T5_T6_T7_T9_mT8_P12ihipStream_tbDpT10_ENKUlT_T0_E_clISt17integral_constantIbLb0EES17_EEDaS12_S13_EUlS12_E_NS1_11comp_targetILNS1_3genE8ELNS1_11target_archE1030ELNS1_3gpuE2ELNS1_3repE0EEENS1_30default_config_static_selectorELNS0_4arch9wavefront6targetE1EEEvT1_,@function
_ZN7rocprim17ROCPRIM_400000_NS6detail17trampoline_kernelINS0_14default_configENS1_25partition_config_selectorILNS1_17partition_subalgoE8EmNS0_10empty_typeEbEEZZNS1_14partition_implILS5_8ELb0ES3_jPKmPS6_PKS6_NS0_5tupleIJPmS6_EEENSE_IJSB_SB_EEENS0_18inequality_wrapperIN6hipcub16HIPCUB_304000_NS8EqualityEEEPlJS6_EEE10hipError_tPvRmT3_T4_T5_T6_T7_T9_mT8_P12ihipStream_tbDpT10_ENKUlT_T0_E_clISt17integral_constantIbLb0EES17_EEDaS12_S13_EUlS12_E_NS1_11comp_targetILNS1_3genE8ELNS1_11target_archE1030ELNS1_3gpuE2ELNS1_3repE0EEENS1_30default_config_static_selectorELNS0_4arch9wavefront6targetE1EEEvT1_: ; @_ZN7rocprim17ROCPRIM_400000_NS6detail17trampoline_kernelINS0_14default_configENS1_25partition_config_selectorILNS1_17partition_subalgoE8EmNS0_10empty_typeEbEEZZNS1_14partition_implILS5_8ELb0ES3_jPKmPS6_PKS6_NS0_5tupleIJPmS6_EEENSE_IJSB_SB_EEENS0_18inequality_wrapperIN6hipcub16HIPCUB_304000_NS8EqualityEEEPlJS6_EEE10hipError_tPvRmT3_T4_T5_T6_T7_T9_mT8_P12ihipStream_tbDpT10_ENKUlT_T0_E_clISt17integral_constantIbLb0EES17_EEDaS12_S13_EUlS12_E_NS1_11comp_targetILNS1_3genE8ELNS1_11target_archE1030ELNS1_3gpuE2ELNS1_3repE0EEENS1_30default_config_static_selectorELNS0_4arch9wavefront6targetE1EEEvT1_
; %bb.0:
	.section	.rodata,"a",@progbits
	.p2align	6, 0x0
	.amdhsa_kernel _ZN7rocprim17ROCPRIM_400000_NS6detail17trampoline_kernelINS0_14default_configENS1_25partition_config_selectorILNS1_17partition_subalgoE8EmNS0_10empty_typeEbEEZZNS1_14partition_implILS5_8ELb0ES3_jPKmPS6_PKS6_NS0_5tupleIJPmS6_EEENSE_IJSB_SB_EEENS0_18inequality_wrapperIN6hipcub16HIPCUB_304000_NS8EqualityEEEPlJS6_EEE10hipError_tPvRmT3_T4_T5_T6_T7_T9_mT8_P12ihipStream_tbDpT10_ENKUlT_T0_E_clISt17integral_constantIbLb0EES17_EEDaS12_S13_EUlS12_E_NS1_11comp_targetILNS1_3genE8ELNS1_11target_archE1030ELNS1_3gpuE2ELNS1_3repE0EEENS1_30default_config_static_selectorELNS0_4arch9wavefront6targetE1EEEvT1_
		.amdhsa_group_segment_fixed_size 0
		.amdhsa_private_segment_fixed_size 0
		.amdhsa_kernarg_size 112
		.amdhsa_user_sgpr_count 6
		.amdhsa_user_sgpr_private_segment_buffer 1
		.amdhsa_user_sgpr_dispatch_ptr 0
		.amdhsa_user_sgpr_queue_ptr 0
		.amdhsa_user_sgpr_kernarg_segment_ptr 1
		.amdhsa_user_sgpr_dispatch_id 0
		.amdhsa_user_sgpr_flat_scratch_init 0
		.amdhsa_user_sgpr_kernarg_preload_length 0
		.amdhsa_user_sgpr_kernarg_preload_offset 0
		.amdhsa_user_sgpr_private_segment_size 0
		.amdhsa_uses_dynamic_stack 0
		.amdhsa_system_sgpr_private_segment_wavefront_offset 0
		.amdhsa_system_sgpr_workgroup_id_x 1
		.amdhsa_system_sgpr_workgroup_id_y 0
		.amdhsa_system_sgpr_workgroup_id_z 0
		.amdhsa_system_sgpr_workgroup_info 0
		.amdhsa_system_vgpr_workitem_id 0
		.amdhsa_next_free_vgpr 1
		.amdhsa_next_free_sgpr 0
		.amdhsa_accum_offset 4
		.amdhsa_reserve_vcc 0
		.amdhsa_reserve_flat_scratch 0
		.amdhsa_float_round_mode_32 0
		.amdhsa_float_round_mode_16_64 0
		.amdhsa_float_denorm_mode_32 3
		.amdhsa_float_denorm_mode_16_64 3
		.amdhsa_dx10_clamp 1
		.amdhsa_ieee_mode 1
		.amdhsa_fp16_overflow 0
		.amdhsa_tg_split 0
		.amdhsa_exception_fp_ieee_invalid_op 0
		.amdhsa_exception_fp_denorm_src 0
		.amdhsa_exception_fp_ieee_div_zero 0
		.amdhsa_exception_fp_ieee_overflow 0
		.amdhsa_exception_fp_ieee_underflow 0
		.amdhsa_exception_fp_ieee_inexact 0
		.amdhsa_exception_int_div_zero 0
	.end_amdhsa_kernel
	.section	.text._ZN7rocprim17ROCPRIM_400000_NS6detail17trampoline_kernelINS0_14default_configENS1_25partition_config_selectorILNS1_17partition_subalgoE8EmNS0_10empty_typeEbEEZZNS1_14partition_implILS5_8ELb0ES3_jPKmPS6_PKS6_NS0_5tupleIJPmS6_EEENSE_IJSB_SB_EEENS0_18inequality_wrapperIN6hipcub16HIPCUB_304000_NS8EqualityEEEPlJS6_EEE10hipError_tPvRmT3_T4_T5_T6_T7_T9_mT8_P12ihipStream_tbDpT10_ENKUlT_T0_E_clISt17integral_constantIbLb0EES17_EEDaS12_S13_EUlS12_E_NS1_11comp_targetILNS1_3genE8ELNS1_11target_archE1030ELNS1_3gpuE2ELNS1_3repE0EEENS1_30default_config_static_selectorELNS0_4arch9wavefront6targetE1EEEvT1_,"axG",@progbits,_ZN7rocprim17ROCPRIM_400000_NS6detail17trampoline_kernelINS0_14default_configENS1_25partition_config_selectorILNS1_17partition_subalgoE8EmNS0_10empty_typeEbEEZZNS1_14partition_implILS5_8ELb0ES3_jPKmPS6_PKS6_NS0_5tupleIJPmS6_EEENSE_IJSB_SB_EEENS0_18inequality_wrapperIN6hipcub16HIPCUB_304000_NS8EqualityEEEPlJS6_EEE10hipError_tPvRmT3_T4_T5_T6_T7_T9_mT8_P12ihipStream_tbDpT10_ENKUlT_T0_E_clISt17integral_constantIbLb0EES17_EEDaS12_S13_EUlS12_E_NS1_11comp_targetILNS1_3genE8ELNS1_11target_archE1030ELNS1_3gpuE2ELNS1_3repE0EEENS1_30default_config_static_selectorELNS0_4arch9wavefront6targetE1EEEvT1_,comdat
.Lfunc_end693:
	.size	_ZN7rocprim17ROCPRIM_400000_NS6detail17trampoline_kernelINS0_14default_configENS1_25partition_config_selectorILNS1_17partition_subalgoE8EmNS0_10empty_typeEbEEZZNS1_14partition_implILS5_8ELb0ES3_jPKmPS6_PKS6_NS0_5tupleIJPmS6_EEENSE_IJSB_SB_EEENS0_18inequality_wrapperIN6hipcub16HIPCUB_304000_NS8EqualityEEEPlJS6_EEE10hipError_tPvRmT3_T4_T5_T6_T7_T9_mT8_P12ihipStream_tbDpT10_ENKUlT_T0_E_clISt17integral_constantIbLb0EES17_EEDaS12_S13_EUlS12_E_NS1_11comp_targetILNS1_3genE8ELNS1_11target_archE1030ELNS1_3gpuE2ELNS1_3repE0EEENS1_30default_config_static_selectorELNS0_4arch9wavefront6targetE1EEEvT1_, .Lfunc_end693-_ZN7rocprim17ROCPRIM_400000_NS6detail17trampoline_kernelINS0_14default_configENS1_25partition_config_selectorILNS1_17partition_subalgoE8EmNS0_10empty_typeEbEEZZNS1_14partition_implILS5_8ELb0ES3_jPKmPS6_PKS6_NS0_5tupleIJPmS6_EEENSE_IJSB_SB_EEENS0_18inequality_wrapperIN6hipcub16HIPCUB_304000_NS8EqualityEEEPlJS6_EEE10hipError_tPvRmT3_T4_T5_T6_T7_T9_mT8_P12ihipStream_tbDpT10_ENKUlT_T0_E_clISt17integral_constantIbLb0EES17_EEDaS12_S13_EUlS12_E_NS1_11comp_targetILNS1_3genE8ELNS1_11target_archE1030ELNS1_3gpuE2ELNS1_3repE0EEENS1_30default_config_static_selectorELNS0_4arch9wavefront6targetE1EEEvT1_
                                        ; -- End function
	.section	.AMDGPU.csdata,"",@progbits
; Kernel info:
; codeLenInByte = 0
; NumSgprs: 4
; NumVgprs: 0
; NumAgprs: 0
; TotalNumVgprs: 0
; ScratchSize: 0
; MemoryBound: 0
; FloatMode: 240
; IeeeMode: 1
; LDSByteSize: 0 bytes/workgroup (compile time only)
; SGPRBlocks: 0
; VGPRBlocks: 0
; NumSGPRsForWavesPerEU: 4
; NumVGPRsForWavesPerEU: 1
; AccumOffset: 4
; Occupancy: 8
; WaveLimiterHint : 0
; COMPUTE_PGM_RSRC2:SCRATCH_EN: 0
; COMPUTE_PGM_RSRC2:USER_SGPR: 6
; COMPUTE_PGM_RSRC2:TRAP_HANDLER: 0
; COMPUTE_PGM_RSRC2:TGID_X_EN: 1
; COMPUTE_PGM_RSRC2:TGID_Y_EN: 0
; COMPUTE_PGM_RSRC2:TGID_Z_EN: 0
; COMPUTE_PGM_RSRC2:TIDIG_COMP_CNT: 0
; COMPUTE_PGM_RSRC3_GFX90A:ACCUM_OFFSET: 0
; COMPUTE_PGM_RSRC3_GFX90A:TG_SPLIT: 0
	.section	.text._ZN7rocprim17ROCPRIM_400000_NS6detail17trampoline_kernelINS0_14default_configENS1_25partition_config_selectorILNS1_17partition_subalgoE8EmNS0_10empty_typeEbEEZZNS1_14partition_implILS5_8ELb0ES3_jPKmPS6_PKS6_NS0_5tupleIJPmS6_EEENSE_IJSB_SB_EEENS0_18inequality_wrapperIN6hipcub16HIPCUB_304000_NS8EqualityEEEPlJS6_EEE10hipError_tPvRmT3_T4_T5_T6_T7_T9_mT8_P12ihipStream_tbDpT10_ENKUlT_T0_E_clISt17integral_constantIbLb1EES17_EEDaS12_S13_EUlS12_E_NS1_11comp_targetILNS1_3genE0ELNS1_11target_archE4294967295ELNS1_3gpuE0ELNS1_3repE0EEENS1_30default_config_static_selectorELNS0_4arch9wavefront6targetE1EEEvT1_,"axG",@progbits,_ZN7rocprim17ROCPRIM_400000_NS6detail17trampoline_kernelINS0_14default_configENS1_25partition_config_selectorILNS1_17partition_subalgoE8EmNS0_10empty_typeEbEEZZNS1_14partition_implILS5_8ELb0ES3_jPKmPS6_PKS6_NS0_5tupleIJPmS6_EEENSE_IJSB_SB_EEENS0_18inequality_wrapperIN6hipcub16HIPCUB_304000_NS8EqualityEEEPlJS6_EEE10hipError_tPvRmT3_T4_T5_T6_T7_T9_mT8_P12ihipStream_tbDpT10_ENKUlT_T0_E_clISt17integral_constantIbLb1EES17_EEDaS12_S13_EUlS12_E_NS1_11comp_targetILNS1_3genE0ELNS1_11target_archE4294967295ELNS1_3gpuE0ELNS1_3repE0EEENS1_30default_config_static_selectorELNS0_4arch9wavefront6targetE1EEEvT1_,comdat
	.protected	_ZN7rocprim17ROCPRIM_400000_NS6detail17trampoline_kernelINS0_14default_configENS1_25partition_config_selectorILNS1_17partition_subalgoE8EmNS0_10empty_typeEbEEZZNS1_14partition_implILS5_8ELb0ES3_jPKmPS6_PKS6_NS0_5tupleIJPmS6_EEENSE_IJSB_SB_EEENS0_18inequality_wrapperIN6hipcub16HIPCUB_304000_NS8EqualityEEEPlJS6_EEE10hipError_tPvRmT3_T4_T5_T6_T7_T9_mT8_P12ihipStream_tbDpT10_ENKUlT_T0_E_clISt17integral_constantIbLb1EES17_EEDaS12_S13_EUlS12_E_NS1_11comp_targetILNS1_3genE0ELNS1_11target_archE4294967295ELNS1_3gpuE0ELNS1_3repE0EEENS1_30default_config_static_selectorELNS0_4arch9wavefront6targetE1EEEvT1_ ; -- Begin function _ZN7rocprim17ROCPRIM_400000_NS6detail17trampoline_kernelINS0_14default_configENS1_25partition_config_selectorILNS1_17partition_subalgoE8EmNS0_10empty_typeEbEEZZNS1_14partition_implILS5_8ELb0ES3_jPKmPS6_PKS6_NS0_5tupleIJPmS6_EEENSE_IJSB_SB_EEENS0_18inequality_wrapperIN6hipcub16HIPCUB_304000_NS8EqualityEEEPlJS6_EEE10hipError_tPvRmT3_T4_T5_T6_T7_T9_mT8_P12ihipStream_tbDpT10_ENKUlT_T0_E_clISt17integral_constantIbLb1EES17_EEDaS12_S13_EUlS12_E_NS1_11comp_targetILNS1_3genE0ELNS1_11target_archE4294967295ELNS1_3gpuE0ELNS1_3repE0EEENS1_30default_config_static_selectorELNS0_4arch9wavefront6targetE1EEEvT1_
	.globl	_ZN7rocprim17ROCPRIM_400000_NS6detail17trampoline_kernelINS0_14default_configENS1_25partition_config_selectorILNS1_17partition_subalgoE8EmNS0_10empty_typeEbEEZZNS1_14partition_implILS5_8ELb0ES3_jPKmPS6_PKS6_NS0_5tupleIJPmS6_EEENSE_IJSB_SB_EEENS0_18inequality_wrapperIN6hipcub16HIPCUB_304000_NS8EqualityEEEPlJS6_EEE10hipError_tPvRmT3_T4_T5_T6_T7_T9_mT8_P12ihipStream_tbDpT10_ENKUlT_T0_E_clISt17integral_constantIbLb1EES17_EEDaS12_S13_EUlS12_E_NS1_11comp_targetILNS1_3genE0ELNS1_11target_archE4294967295ELNS1_3gpuE0ELNS1_3repE0EEENS1_30default_config_static_selectorELNS0_4arch9wavefront6targetE1EEEvT1_
	.p2align	8
	.type	_ZN7rocprim17ROCPRIM_400000_NS6detail17trampoline_kernelINS0_14default_configENS1_25partition_config_selectorILNS1_17partition_subalgoE8EmNS0_10empty_typeEbEEZZNS1_14partition_implILS5_8ELb0ES3_jPKmPS6_PKS6_NS0_5tupleIJPmS6_EEENSE_IJSB_SB_EEENS0_18inequality_wrapperIN6hipcub16HIPCUB_304000_NS8EqualityEEEPlJS6_EEE10hipError_tPvRmT3_T4_T5_T6_T7_T9_mT8_P12ihipStream_tbDpT10_ENKUlT_T0_E_clISt17integral_constantIbLb1EES17_EEDaS12_S13_EUlS12_E_NS1_11comp_targetILNS1_3genE0ELNS1_11target_archE4294967295ELNS1_3gpuE0ELNS1_3repE0EEENS1_30default_config_static_selectorELNS0_4arch9wavefront6targetE1EEEvT1_,@function
_ZN7rocprim17ROCPRIM_400000_NS6detail17trampoline_kernelINS0_14default_configENS1_25partition_config_selectorILNS1_17partition_subalgoE8EmNS0_10empty_typeEbEEZZNS1_14partition_implILS5_8ELb0ES3_jPKmPS6_PKS6_NS0_5tupleIJPmS6_EEENSE_IJSB_SB_EEENS0_18inequality_wrapperIN6hipcub16HIPCUB_304000_NS8EqualityEEEPlJS6_EEE10hipError_tPvRmT3_T4_T5_T6_T7_T9_mT8_P12ihipStream_tbDpT10_ENKUlT_T0_E_clISt17integral_constantIbLb1EES17_EEDaS12_S13_EUlS12_E_NS1_11comp_targetILNS1_3genE0ELNS1_11target_archE4294967295ELNS1_3gpuE0ELNS1_3repE0EEENS1_30default_config_static_selectorELNS0_4arch9wavefront6targetE1EEEvT1_: ; @_ZN7rocprim17ROCPRIM_400000_NS6detail17trampoline_kernelINS0_14default_configENS1_25partition_config_selectorILNS1_17partition_subalgoE8EmNS0_10empty_typeEbEEZZNS1_14partition_implILS5_8ELb0ES3_jPKmPS6_PKS6_NS0_5tupleIJPmS6_EEENSE_IJSB_SB_EEENS0_18inequality_wrapperIN6hipcub16HIPCUB_304000_NS8EqualityEEEPlJS6_EEE10hipError_tPvRmT3_T4_T5_T6_T7_T9_mT8_P12ihipStream_tbDpT10_ENKUlT_T0_E_clISt17integral_constantIbLb1EES17_EEDaS12_S13_EUlS12_E_NS1_11comp_targetILNS1_3genE0ELNS1_11target_archE4294967295ELNS1_3gpuE0ELNS1_3repE0EEENS1_30default_config_static_selectorELNS0_4arch9wavefront6targetE1EEEvT1_
; %bb.0:
	.section	.rodata,"a",@progbits
	.p2align	6, 0x0
	.amdhsa_kernel _ZN7rocprim17ROCPRIM_400000_NS6detail17trampoline_kernelINS0_14default_configENS1_25partition_config_selectorILNS1_17partition_subalgoE8EmNS0_10empty_typeEbEEZZNS1_14partition_implILS5_8ELb0ES3_jPKmPS6_PKS6_NS0_5tupleIJPmS6_EEENSE_IJSB_SB_EEENS0_18inequality_wrapperIN6hipcub16HIPCUB_304000_NS8EqualityEEEPlJS6_EEE10hipError_tPvRmT3_T4_T5_T6_T7_T9_mT8_P12ihipStream_tbDpT10_ENKUlT_T0_E_clISt17integral_constantIbLb1EES17_EEDaS12_S13_EUlS12_E_NS1_11comp_targetILNS1_3genE0ELNS1_11target_archE4294967295ELNS1_3gpuE0ELNS1_3repE0EEENS1_30default_config_static_selectorELNS0_4arch9wavefront6targetE1EEEvT1_
		.amdhsa_group_segment_fixed_size 0
		.amdhsa_private_segment_fixed_size 0
		.amdhsa_kernarg_size 128
		.amdhsa_user_sgpr_count 6
		.amdhsa_user_sgpr_private_segment_buffer 1
		.amdhsa_user_sgpr_dispatch_ptr 0
		.amdhsa_user_sgpr_queue_ptr 0
		.amdhsa_user_sgpr_kernarg_segment_ptr 1
		.amdhsa_user_sgpr_dispatch_id 0
		.amdhsa_user_sgpr_flat_scratch_init 0
		.amdhsa_user_sgpr_kernarg_preload_length 0
		.amdhsa_user_sgpr_kernarg_preload_offset 0
		.amdhsa_user_sgpr_private_segment_size 0
		.amdhsa_uses_dynamic_stack 0
		.amdhsa_system_sgpr_private_segment_wavefront_offset 0
		.amdhsa_system_sgpr_workgroup_id_x 1
		.amdhsa_system_sgpr_workgroup_id_y 0
		.amdhsa_system_sgpr_workgroup_id_z 0
		.amdhsa_system_sgpr_workgroup_info 0
		.amdhsa_system_vgpr_workitem_id 0
		.amdhsa_next_free_vgpr 1
		.amdhsa_next_free_sgpr 0
		.amdhsa_accum_offset 4
		.amdhsa_reserve_vcc 0
		.amdhsa_reserve_flat_scratch 0
		.amdhsa_float_round_mode_32 0
		.amdhsa_float_round_mode_16_64 0
		.amdhsa_float_denorm_mode_32 3
		.amdhsa_float_denorm_mode_16_64 3
		.amdhsa_dx10_clamp 1
		.amdhsa_ieee_mode 1
		.amdhsa_fp16_overflow 0
		.amdhsa_tg_split 0
		.amdhsa_exception_fp_ieee_invalid_op 0
		.amdhsa_exception_fp_denorm_src 0
		.amdhsa_exception_fp_ieee_div_zero 0
		.amdhsa_exception_fp_ieee_overflow 0
		.amdhsa_exception_fp_ieee_underflow 0
		.amdhsa_exception_fp_ieee_inexact 0
		.amdhsa_exception_int_div_zero 0
	.end_amdhsa_kernel
	.section	.text._ZN7rocprim17ROCPRIM_400000_NS6detail17trampoline_kernelINS0_14default_configENS1_25partition_config_selectorILNS1_17partition_subalgoE8EmNS0_10empty_typeEbEEZZNS1_14partition_implILS5_8ELb0ES3_jPKmPS6_PKS6_NS0_5tupleIJPmS6_EEENSE_IJSB_SB_EEENS0_18inequality_wrapperIN6hipcub16HIPCUB_304000_NS8EqualityEEEPlJS6_EEE10hipError_tPvRmT3_T4_T5_T6_T7_T9_mT8_P12ihipStream_tbDpT10_ENKUlT_T0_E_clISt17integral_constantIbLb1EES17_EEDaS12_S13_EUlS12_E_NS1_11comp_targetILNS1_3genE0ELNS1_11target_archE4294967295ELNS1_3gpuE0ELNS1_3repE0EEENS1_30default_config_static_selectorELNS0_4arch9wavefront6targetE1EEEvT1_,"axG",@progbits,_ZN7rocprim17ROCPRIM_400000_NS6detail17trampoline_kernelINS0_14default_configENS1_25partition_config_selectorILNS1_17partition_subalgoE8EmNS0_10empty_typeEbEEZZNS1_14partition_implILS5_8ELb0ES3_jPKmPS6_PKS6_NS0_5tupleIJPmS6_EEENSE_IJSB_SB_EEENS0_18inequality_wrapperIN6hipcub16HIPCUB_304000_NS8EqualityEEEPlJS6_EEE10hipError_tPvRmT3_T4_T5_T6_T7_T9_mT8_P12ihipStream_tbDpT10_ENKUlT_T0_E_clISt17integral_constantIbLb1EES17_EEDaS12_S13_EUlS12_E_NS1_11comp_targetILNS1_3genE0ELNS1_11target_archE4294967295ELNS1_3gpuE0ELNS1_3repE0EEENS1_30default_config_static_selectorELNS0_4arch9wavefront6targetE1EEEvT1_,comdat
.Lfunc_end694:
	.size	_ZN7rocprim17ROCPRIM_400000_NS6detail17trampoline_kernelINS0_14default_configENS1_25partition_config_selectorILNS1_17partition_subalgoE8EmNS0_10empty_typeEbEEZZNS1_14partition_implILS5_8ELb0ES3_jPKmPS6_PKS6_NS0_5tupleIJPmS6_EEENSE_IJSB_SB_EEENS0_18inequality_wrapperIN6hipcub16HIPCUB_304000_NS8EqualityEEEPlJS6_EEE10hipError_tPvRmT3_T4_T5_T6_T7_T9_mT8_P12ihipStream_tbDpT10_ENKUlT_T0_E_clISt17integral_constantIbLb1EES17_EEDaS12_S13_EUlS12_E_NS1_11comp_targetILNS1_3genE0ELNS1_11target_archE4294967295ELNS1_3gpuE0ELNS1_3repE0EEENS1_30default_config_static_selectorELNS0_4arch9wavefront6targetE1EEEvT1_, .Lfunc_end694-_ZN7rocprim17ROCPRIM_400000_NS6detail17trampoline_kernelINS0_14default_configENS1_25partition_config_selectorILNS1_17partition_subalgoE8EmNS0_10empty_typeEbEEZZNS1_14partition_implILS5_8ELb0ES3_jPKmPS6_PKS6_NS0_5tupleIJPmS6_EEENSE_IJSB_SB_EEENS0_18inequality_wrapperIN6hipcub16HIPCUB_304000_NS8EqualityEEEPlJS6_EEE10hipError_tPvRmT3_T4_T5_T6_T7_T9_mT8_P12ihipStream_tbDpT10_ENKUlT_T0_E_clISt17integral_constantIbLb1EES17_EEDaS12_S13_EUlS12_E_NS1_11comp_targetILNS1_3genE0ELNS1_11target_archE4294967295ELNS1_3gpuE0ELNS1_3repE0EEENS1_30default_config_static_selectorELNS0_4arch9wavefront6targetE1EEEvT1_
                                        ; -- End function
	.section	.AMDGPU.csdata,"",@progbits
; Kernel info:
; codeLenInByte = 0
; NumSgprs: 4
; NumVgprs: 0
; NumAgprs: 0
; TotalNumVgprs: 0
; ScratchSize: 0
; MemoryBound: 0
; FloatMode: 240
; IeeeMode: 1
; LDSByteSize: 0 bytes/workgroup (compile time only)
; SGPRBlocks: 0
; VGPRBlocks: 0
; NumSGPRsForWavesPerEU: 4
; NumVGPRsForWavesPerEU: 1
; AccumOffset: 4
; Occupancy: 8
; WaveLimiterHint : 0
; COMPUTE_PGM_RSRC2:SCRATCH_EN: 0
; COMPUTE_PGM_RSRC2:USER_SGPR: 6
; COMPUTE_PGM_RSRC2:TRAP_HANDLER: 0
; COMPUTE_PGM_RSRC2:TGID_X_EN: 1
; COMPUTE_PGM_RSRC2:TGID_Y_EN: 0
; COMPUTE_PGM_RSRC2:TGID_Z_EN: 0
; COMPUTE_PGM_RSRC2:TIDIG_COMP_CNT: 0
; COMPUTE_PGM_RSRC3_GFX90A:ACCUM_OFFSET: 0
; COMPUTE_PGM_RSRC3_GFX90A:TG_SPLIT: 0
	.section	.text._ZN7rocprim17ROCPRIM_400000_NS6detail17trampoline_kernelINS0_14default_configENS1_25partition_config_selectorILNS1_17partition_subalgoE8EmNS0_10empty_typeEbEEZZNS1_14partition_implILS5_8ELb0ES3_jPKmPS6_PKS6_NS0_5tupleIJPmS6_EEENSE_IJSB_SB_EEENS0_18inequality_wrapperIN6hipcub16HIPCUB_304000_NS8EqualityEEEPlJS6_EEE10hipError_tPvRmT3_T4_T5_T6_T7_T9_mT8_P12ihipStream_tbDpT10_ENKUlT_T0_E_clISt17integral_constantIbLb1EES17_EEDaS12_S13_EUlS12_E_NS1_11comp_targetILNS1_3genE5ELNS1_11target_archE942ELNS1_3gpuE9ELNS1_3repE0EEENS1_30default_config_static_selectorELNS0_4arch9wavefront6targetE1EEEvT1_,"axG",@progbits,_ZN7rocprim17ROCPRIM_400000_NS6detail17trampoline_kernelINS0_14default_configENS1_25partition_config_selectorILNS1_17partition_subalgoE8EmNS0_10empty_typeEbEEZZNS1_14partition_implILS5_8ELb0ES3_jPKmPS6_PKS6_NS0_5tupleIJPmS6_EEENSE_IJSB_SB_EEENS0_18inequality_wrapperIN6hipcub16HIPCUB_304000_NS8EqualityEEEPlJS6_EEE10hipError_tPvRmT3_T4_T5_T6_T7_T9_mT8_P12ihipStream_tbDpT10_ENKUlT_T0_E_clISt17integral_constantIbLb1EES17_EEDaS12_S13_EUlS12_E_NS1_11comp_targetILNS1_3genE5ELNS1_11target_archE942ELNS1_3gpuE9ELNS1_3repE0EEENS1_30default_config_static_selectorELNS0_4arch9wavefront6targetE1EEEvT1_,comdat
	.protected	_ZN7rocprim17ROCPRIM_400000_NS6detail17trampoline_kernelINS0_14default_configENS1_25partition_config_selectorILNS1_17partition_subalgoE8EmNS0_10empty_typeEbEEZZNS1_14partition_implILS5_8ELb0ES3_jPKmPS6_PKS6_NS0_5tupleIJPmS6_EEENSE_IJSB_SB_EEENS0_18inequality_wrapperIN6hipcub16HIPCUB_304000_NS8EqualityEEEPlJS6_EEE10hipError_tPvRmT3_T4_T5_T6_T7_T9_mT8_P12ihipStream_tbDpT10_ENKUlT_T0_E_clISt17integral_constantIbLb1EES17_EEDaS12_S13_EUlS12_E_NS1_11comp_targetILNS1_3genE5ELNS1_11target_archE942ELNS1_3gpuE9ELNS1_3repE0EEENS1_30default_config_static_selectorELNS0_4arch9wavefront6targetE1EEEvT1_ ; -- Begin function _ZN7rocprim17ROCPRIM_400000_NS6detail17trampoline_kernelINS0_14default_configENS1_25partition_config_selectorILNS1_17partition_subalgoE8EmNS0_10empty_typeEbEEZZNS1_14partition_implILS5_8ELb0ES3_jPKmPS6_PKS6_NS0_5tupleIJPmS6_EEENSE_IJSB_SB_EEENS0_18inequality_wrapperIN6hipcub16HIPCUB_304000_NS8EqualityEEEPlJS6_EEE10hipError_tPvRmT3_T4_T5_T6_T7_T9_mT8_P12ihipStream_tbDpT10_ENKUlT_T0_E_clISt17integral_constantIbLb1EES17_EEDaS12_S13_EUlS12_E_NS1_11comp_targetILNS1_3genE5ELNS1_11target_archE942ELNS1_3gpuE9ELNS1_3repE0EEENS1_30default_config_static_selectorELNS0_4arch9wavefront6targetE1EEEvT1_
	.globl	_ZN7rocprim17ROCPRIM_400000_NS6detail17trampoline_kernelINS0_14default_configENS1_25partition_config_selectorILNS1_17partition_subalgoE8EmNS0_10empty_typeEbEEZZNS1_14partition_implILS5_8ELb0ES3_jPKmPS6_PKS6_NS0_5tupleIJPmS6_EEENSE_IJSB_SB_EEENS0_18inequality_wrapperIN6hipcub16HIPCUB_304000_NS8EqualityEEEPlJS6_EEE10hipError_tPvRmT3_T4_T5_T6_T7_T9_mT8_P12ihipStream_tbDpT10_ENKUlT_T0_E_clISt17integral_constantIbLb1EES17_EEDaS12_S13_EUlS12_E_NS1_11comp_targetILNS1_3genE5ELNS1_11target_archE942ELNS1_3gpuE9ELNS1_3repE0EEENS1_30default_config_static_selectorELNS0_4arch9wavefront6targetE1EEEvT1_
	.p2align	8
	.type	_ZN7rocprim17ROCPRIM_400000_NS6detail17trampoline_kernelINS0_14default_configENS1_25partition_config_selectorILNS1_17partition_subalgoE8EmNS0_10empty_typeEbEEZZNS1_14partition_implILS5_8ELb0ES3_jPKmPS6_PKS6_NS0_5tupleIJPmS6_EEENSE_IJSB_SB_EEENS0_18inequality_wrapperIN6hipcub16HIPCUB_304000_NS8EqualityEEEPlJS6_EEE10hipError_tPvRmT3_T4_T5_T6_T7_T9_mT8_P12ihipStream_tbDpT10_ENKUlT_T0_E_clISt17integral_constantIbLb1EES17_EEDaS12_S13_EUlS12_E_NS1_11comp_targetILNS1_3genE5ELNS1_11target_archE942ELNS1_3gpuE9ELNS1_3repE0EEENS1_30default_config_static_selectorELNS0_4arch9wavefront6targetE1EEEvT1_,@function
_ZN7rocprim17ROCPRIM_400000_NS6detail17trampoline_kernelINS0_14default_configENS1_25partition_config_selectorILNS1_17partition_subalgoE8EmNS0_10empty_typeEbEEZZNS1_14partition_implILS5_8ELb0ES3_jPKmPS6_PKS6_NS0_5tupleIJPmS6_EEENSE_IJSB_SB_EEENS0_18inequality_wrapperIN6hipcub16HIPCUB_304000_NS8EqualityEEEPlJS6_EEE10hipError_tPvRmT3_T4_T5_T6_T7_T9_mT8_P12ihipStream_tbDpT10_ENKUlT_T0_E_clISt17integral_constantIbLb1EES17_EEDaS12_S13_EUlS12_E_NS1_11comp_targetILNS1_3genE5ELNS1_11target_archE942ELNS1_3gpuE9ELNS1_3repE0EEENS1_30default_config_static_selectorELNS0_4arch9wavefront6targetE1EEEvT1_: ; @_ZN7rocprim17ROCPRIM_400000_NS6detail17trampoline_kernelINS0_14default_configENS1_25partition_config_selectorILNS1_17partition_subalgoE8EmNS0_10empty_typeEbEEZZNS1_14partition_implILS5_8ELb0ES3_jPKmPS6_PKS6_NS0_5tupleIJPmS6_EEENSE_IJSB_SB_EEENS0_18inequality_wrapperIN6hipcub16HIPCUB_304000_NS8EqualityEEEPlJS6_EEE10hipError_tPvRmT3_T4_T5_T6_T7_T9_mT8_P12ihipStream_tbDpT10_ENKUlT_T0_E_clISt17integral_constantIbLb1EES17_EEDaS12_S13_EUlS12_E_NS1_11comp_targetILNS1_3genE5ELNS1_11target_archE942ELNS1_3gpuE9ELNS1_3repE0EEENS1_30default_config_static_selectorELNS0_4arch9wavefront6targetE1EEEvT1_
; %bb.0:
	.section	.rodata,"a",@progbits
	.p2align	6, 0x0
	.amdhsa_kernel _ZN7rocprim17ROCPRIM_400000_NS6detail17trampoline_kernelINS0_14default_configENS1_25partition_config_selectorILNS1_17partition_subalgoE8EmNS0_10empty_typeEbEEZZNS1_14partition_implILS5_8ELb0ES3_jPKmPS6_PKS6_NS0_5tupleIJPmS6_EEENSE_IJSB_SB_EEENS0_18inequality_wrapperIN6hipcub16HIPCUB_304000_NS8EqualityEEEPlJS6_EEE10hipError_tPvRmT3_T4_T5_T6_T7_T9_mT8_P12ihipStream_tbDpT10_ENKUlT_T0_E_clISt17integral_constantIbLb1EES17_EEDaS12_S13_EUlS12_E_NS1_11comp_targetILNS1_3genE5ELNS1_11target_archE942ELNS1_3gpuE9ELNS1_3repE0EEENS1_30default_config_static_selectorELNS0_4arch9wavefront6targetE1EEEvT1_
		.amdhsa_group_segment_fixed_size 0
		.amdhsa_private_segment_fixed_size 0
		.amdhsa_kernarg_size 128
		.amdhsa_user_sgpr_count 6
		.amdhsa_user_sgpr_private_segment_buffer 1
		.amdhsa_user_sgpr_dispatch_ptr 0
		.amdhsa_user_sgpr_queue_ptr 0
		.amdhsa_user_sgpr_kernarg_segment_ptr 1
		.amdhsa_user_sgpr_dispatch_id 0
		.amdhsa_user_sgpr_flat_scratch_init 0
		.amdhsa_user_sgpr_kernarg_preload_length 0
		.amdhsa_user_sgpr_kernarg_preload_offset 0
		.amdhsa_user_sgpr_private_segment_size 0
		.amdhsa_uses_dynamic_stack 0
		.amdhsa_system_sgpr_private_segment_wavefront_offset 0
		.amdhsa_system_sgpr_workgroup_id_x 1
		.amdhsa_system_sgpr_workgroup_id_y 0
		.amdhsa_system_sgpr_workgroup_id_z 0
		.amdhsa_system_sgpr_workgroup_info 0
		.amdhsa_system_vgpr_workitem_id 0
		.amdhsa_next_free_vgpr 1
		.amdhsa_next_free_sgpr 0
		.amdhsa_accum_offset 4
		.amdhsa_reserve_vcc 0
		.amdhsa_reserve_flat_scratch 0
		.amdhsa_float_round_mode_32 0
		.amdhsa_float_round_mode_16_64 0
		.amdhsa_float_denorm_mode_32 3
		.amdhsa_float_denorm_mode_16_64 3
		.amdhsa_dx10_clamp 1
		.amdhsa_ieee_mode 1
		.amdhsa_fp16_overflow 0
		.amdhsa_tg_split 0
		.amdhsa_exception_fp_ieee_invalid_op 0
		.amdhsa_exception_fp_denorm_src 0
		.amdhsa_exception_fp_ieee_div_zero 0
		.amdhsa_exception_fp_ieee_overflow 0
		.amdhsa_exception_fp_ieee_underflow 0
		.amdhsa_exception_fp_ieee_inexact 0
		.amdhsa_exception_int_div_zero 0
	.end_amdhsa_kernel
	.section	.text._ZN7rocprim17ROCPRIM_400000_NS6detail17trampoline_kernelINS0_14default_configENS1_25partition_config_selectorILNS1_17partition_subalgoE8EmNS0_10empty_typeEbEEZZNS1_14partition_implILS5_8ELb0ES3_jPKmPS6_PKS6_NS0_5tupleIJPmS6_EEENSE_IJSB_SB_EEENS0_18inequality_wrapperIN6hipcub16HIPCUB_304000_NS8EqualityEEEPlJS6_EEE10hipError_tPvRmT3_T4_T5_T6_T7_T9_mT8_P12ihipStream_tbDpT10_ENKUlT_T0_E_clISt17integral_constantIbLb1EES17_EEDaS12_S13_EUlS12_E_NS1_11comp_targetILNS1_3genE5ELNS1_11target_archE942ELNS1_3gpuE9ELNS1_3repE0EEENS1_30default_config_static_selectorELNS0_4arch9wavefront6targetE1EEEvT1_,"axG",@progbits,_ZN7rocprim17ROCPRIM_400000_NS6detail17trampoline_kernelINS0_14default_configENS1_25partition_config_selectorILNS1_17partition_subalgoE8EmNS0_10empty_typeEbEEZZNS1_14partition_implILS5_8ELb0ES3_jPKmPS6_PKS6_NS0_5tupleIJPmS6_EEENSE_IJSB_SB_EEENS0_18inequality_wrapperIN6hipcub16HIPCUB_304000_NS8EqualityEEEPlJS6_EEE10hipError_tPvRmT3_T4_T5_T6_T7_T9_mT8_P12ihipStream_tbDpT10_ENKUlT_T0_E_clISt17integral_constantIbLb1EES17_EEDaS12_S13_EUlS12_E_NS1_11comp_targetILNS1_3genE5ELNS1_11target_archE942ELNS1_3gpuE9ELNS1_3repE0EEENS1_30default_config_static_selectorELNS0_4arch9wavefront6targetE1EEEvT1_,comdat
.Lfunc_end695:
	.size	_ZN7rocprim17ROCPRIM_400000_NS6detail17trampoline_kernelINS0_14default_configENS1_25partition_config_selectorILNS1_17partition_subalgoE8EmNS0_10empty_typeEbEEZZNS1_14partition_implILS5_8ELb0ES3_jPKmPS6_PKS6_NS0_5tupleIJPmS6_EEENSE_IJSB_SB_EEENS0_18inequality_wrapperIN6hipcub16HIPCUB_304000_NS8EqualityEEEPlJS6_EEE10hipError_tPvRmT3_T4_T5_T6_T7_T9_mT8_P12ihipStream_tbDpT10_ENKUlT_T0_E_clISt17integral_constantIbLb1EES17_EEDaS12_S13_EUlS12_E_NS1_11comp_targetILNS1_3genE5ELNS1_11target_archE942ELNS1_3gpuE9ELNS1_3repE0EEENS1_30default_config_static_selectorELNS0_4arch9wavefront6targetE1EEEvT1_, .Lfunc_end695-_ZN7rocprim17ROCPRIM_400000_NS6detail17trampoline_kernelINS0_14default_configENS1_25partition_config_selectorILNS1_17partition_subalgoE8EmNS0_10empty_typeEbEEZZNS1_14partition_implILS5_8ELb0ES3_jPKmPS6_PKS6_NS0_5tupleIJPmS6_EEENSE_IJSB_SB_EEENS0_18inequality_wrapperIN6hipcub16HIPCUB_304000_NS8EqualityEEEPlJS6_EEE10hipError_tPvRmT3_T4_T5_T6_T7_T9_mT8_P12ihipStream_tbDpT10_ENKUlT_T0_E_clISt17integral_constantIbLb1EES17_EEDaS12_S13_EUlS12_E_NS1_11comp_targetILNS1_3genE5ELNS1_11target_archE942ELNS1_3gpuE9ELNS1_3repE0EEENS1_30default_config_static_selectorELNS0_4arch9wavefront6targetE1EEEvT1_
                                        ; -- End function
	.section	.AMDGPU.csdata,"",@progbits
; Kernel info:
; codeLenInByte = 0
; NumSgprs: 4
; NumVgprs: 0
; NumAgprs: 0
; TotalNumVgprs: 0
; ScratchSize: 0
; MemoryBound: 0
; FloatMode: 240
; IeeeMode: 1
; LDSByteSize: 0 bytes/workgroup (compile time only)
; SGPRBlocks: 0
; VGPRBlocks: 0
; NumSGPRsForWavesPerEU: 4
; NumVGPRsForWavesPerEU: 1
; AccumOffset: 4
; Occupancy: 8
; WaveLimiterHint : 0
; COMPUTE_PGM_RSRC2:SCRATCH_EN: 0
; COMPUTE_PGM_RSRC2:USER_SGPR: 6
; COMPUTE_PGM_RSRC2:TRAP_HANDLER: 0
; COMPUTE_PGM_RSRC2:TGID_X_EN: 1
; COMPUTE_PGM_RSRC2:TGID_Y_EN: 0
; COMPUTE_PGM_RSRC2:TGID_Z_EN: 0
; COMPUTE_PGM_RSRC2:TIDIG_COMP_CNT: 0
; COMPUTE_PGM_RSRC3_GFX90A:ACCUM_OFFSET: 0
; COMPUTE_PGM_RSRC3_GFX90A:TG_SPLIT: 0
	.section	.text._ZN7rocprim17ROCPRIM_400000_NS6detail17trampoline_kernelINS0_14default_configENS1_25partition_config_selectorILNS1_17partition_subalgoE8EmNS0_10empty_typeEbEEZZNS1_14partition_implILS5_8ELb0ES3_jPKmPS6_PKS6_NS0_5tupleIJPmS6_EEENSE_IJSB_SB_EEENS0_18inequality_wrapperIN6hipcub16HIPCUB_304000_NS8EqualityEEEPlJS6_EEE10hipError_tPvRmT3_T4_T5_T6_T7_T9_mT8_P12ihipStream_tbDpT10_ENKUlT_T0_E_clISt17integral_constantIbLb1EES17_EEDaS12_S13_EUlS12_E_NS1_11comp_targetILNS1_3genE4ELNS1_11target_archE910ELNS1_3gpuE8ELNS1_3repE0EEENS1_30default_config_static_selectorELNS0_4arch9wavefront6targetE1EEEvT1_,"axG",@progbits,_ZN7rocprim17ROCPRIM_400000_NS6detail17trampoline_kernelINS0_14default_configENS1_25partition_config_selectorILNS1_17partition_subalgoE8EmNS0_10empty_typeEbEEZZNS1_14partition_implILS5_8ELb0ES3_jPKmPS6_PKS6_NS0_5tupleIJPmS6_EEENSE_IJSB_SB_EEENS0_18inequality_wrapperIN6hipcub16HIPCUB_304000_NS8EqualityEEEPlJS6_EEE10hipError_tPvRmT3_T4_T5_T6_T7_T9_mT8_P12ihipStream_tbDpT10_ENKUlT_T0_E_clISt17integral_constantIbLb1EES17_EEDaS12_S13_EUlS12_E_NS1_11comp_targetILNS1_3genE4ELNS1_11target_archE910ELNS1_3gpuE8ELNS1_3repE0EEENS1_30default_config_static_selectorELNS0_4arch9wavefront6targetE1EEEvT1_,comdat
	.protected	_ZN7rocprim17ROCPRIM_400000_NS6detail17trampoline_kernelINS0_14default_configENS1_25partition_config_selectorILNS1_17partition_subalgoE8EmNS0_10empty_typeEbEEZZNS1_14partition_implILS5_8ELb0ES3_jPKmPS6_PKS6_NS0_5tupleIJPmS6_EEENSE_IJSB_SB_EEENS0_18inequality_wrapperIN6hipcub16HIPCUB_304000_NS8EqualityEEEPlJS6_EEE10hipError_tPvRmT3_T4_T5_T6_T7_T9_mT8_P12ihipStream_tbDpT10_ENKUlT_T0_E_clISt17integral_constantIbLb1EES17_EEDaS12_S13_EUlS12_E_NS1_11comp_targetILNS1_3genE4ELNS1_11target_archE910ELNS1_3gpuE8ELNS1_3repE0EEENS1_30default_config_static_selectorELNS0_4arch9wavefront6targetE1EEEvT1_ ; -- Begin function _ZN7rocprim17ROCPRIM_400000_NS6detail17trampoline_kernelINS0_14default_configENS1_25partition_config_selectorILNS1_17partition_subalgoE8EmNS0_10empty_typeEbEEZZNS1_14partition_implILS5_8ELb0ES3_jPKmPS6_PKS6_NS0_5tupleIJPmS6_EEENSE_IJSB_SB_EEENS0_18inequality_wrapperIN6hipcub16HIPCUB_304000_NS8EqualityEEEPlJS6_EEE10hipError_tPvRmT3_T4_T5_T6_T7_T9_mT8_P12ihipStream_tbDpT10_ENKUlT_T0_E_clISt17integral_constantIbLb1EES17_EEDaS12_S13_EUlS12_E_NS1_11comp_targetILNS1_3genE4ELNS1_11target_archE910ELNS1_3gpuE8ELNS1_3repE0EEENS1_30default_config_static_selectorELNS0_4arch9wavefront6targetE1EEEvT1_
	.globl	_ZN7rocprim17ROCPRIM_400000_NS6detail17trampoline_kernelINS0_14default_configENS1_25partition_config_selectorILNS1_17partition_subalgoE8EmNS0_10empty_typeEbEEZZNS1_14partition_implILS5_8ELb0ES3_jPKmPS6_PKS6_NS0_5tupleIJPmS6_EEENSE_IJSB_SB_EEENS0_18inequality_wrapperIN6hipcub16HIPCUB_304000_NS8EqualityEEEPlJS6_EEE10hipError_tPvRmT3_T4_T5_T6_T7_T9_mT8_P12ihipStream_tbDpT10_ENKUlT_T0_E_clISt17integral_constantIbLb1EES17_EEDaS12_S13_EUlS12_E_NS1_11comp_targetILNS1_3genE4ELNS1_11target_archE910ELNS1_3gpuE8ELNS1_3repE0EEENS1_30default_config_static_selectorELNS0_4arch9wavefront6targetE1EEEvT1_
	.p2align	8
	.type	_ZN7rocprim17ROCPRIM_400000_NS6detail17trampoline_kernelINS0_14default_configENS1_25partition_config_selectorILNS1_17partition_subalgoE8EmNS0_10empty_typeEbEEZZNS1_14partition_implILS5_8ELb0ES3_jPKmPS6_PKS6_NS0_5tupleIJPmS6_EEENSE_IJSB_SB_EEENS0_18inequality_wrapperIN6hipcub16HIPCUB_304000_NS8EqualityEEEPlJS6_EEE10hipError_tPvRmT3_T4_T5_T6_T7_T9_mT8_P12ihipStream_tbDpT10_ENKUlT_T0_E_clISt17integral_constantIbLb1EES17_EEDaS12_S13_EUlS12_E_NS1_11comp_targetILNS1_3genE4ELNS1_11target_archE910ELNS1_3gpuE8ELNS1_3repE0EEENS1_30default_config_static_selectorELNS0_4arch9wavefront6targetE1EEEvT1_,@function
_ZN7rocprim17ROCPRIM_400000_NS6detail17trampoline_kernelINS0_14default_configENS1_25partition_config_selectorILNS1_17partition_subalgoE8EmNS0_10empty_typeEbEEZZNS1_14partition_implILS5_8ELb0ES3_jPKmPS6_PKS6_NS0_5tupleIJPmS6_EEENSE_IJSB_SB_EEENS0_18inequality_wrapperIN6hipcub16HIPCUB_304000_NS8EqualityEEEPlJS6_EEE10hipError_tPvRmT3_T4_T5_T6_T7_T9_mT8_P12ihipStream_tbDpT10_ENKUlT_T0_E_clISt17integral_constantIbLb1EES17_EEDaS12_S13_EUlS12_E_NS1_11comp_targetILNS1_3genE4ELNS1_11target_archE910ELNS1_3gpuE8ELNS1_3repE0EEENS1_30default_config_static_selectorELNS0_4arch9wavefront6targetE1EEEvT1_: ; @_ZN7rocprim17ROCPRIM_400000_NS6detail17trampoline_kernelINS0_14default_configENS1_25partition_config_selectorILNS1_17partition_subalgoE8EmNS0_10empty_typeEbEEZZNS1_14partition_implILS5_8ELb0ES3_jPKmPS6_PKS6_NS0_5tupleIJPmS6_EEENSE_IJSB_SB_EEENS0_18inequality_wrapperIN6hipcub16HIPCUB_304000_NS8EqualityEEEPlJS6_EEE10hipError_tPvRmT3_T4_T5_T6_T7_T9_mT8_P12ihipStream_tbDpT10_ENKUlT_T0_E_clISt17integral_constantIbLb1EES17_EEDaS12_S13_EUlS12_E_NS1_11comp_targetILNS1_3genE4ELNS1_11target_archE910ELNS1_3gpuE8ELNS1_3repE0EEENS1_30default_config_static_selectorELNS0_4arch9wavefront6targetE1EEEvT1_
; %bb.0:
	s_load_dwordx2 s[18:19], s[4:5], 0x28
	s_load_dwordx4 s[20:23], s[4:5], 0x40
	s_load_dwordx2 s[6:7], s[4:5], 0x50
	s_load_dwordx2 s[28:29], s[4:5], 0x60
	v_cmp_ne_u32_e64 s[2:3], 0, v0
	v_cmp_eq_u32_e64 s[0:1], 0, v0
	s_and_saveexec_b64 s[8:9], s[0:1]
	s_cbranch_execz .LBB696_4
; %bb.1:
	s_mov_b64 s[12:13], exec
	v_mbcnt_lo_u32_b32 v1, s12, 0
	v_mbcnt_hi_u32_b32 v1, s13, v1
	v_cmp_eq_u32_e32 vcc, 0, v1
                                        ; implicit-def: $vgpr2
	s_and_saveexec_b64 s[10:11], vcc
	s_cbranch_execz .LBB696_3
; %bb.2:
	s_load_dwordx2 s[14:15], s[4:5], 0x70
	s_bcnt1_i32_b64 s12, s[12:13]
	v_mov_b32_e32 v2, 0
	v_mov_b32_e32 v3, s12
	s_waitcnt lgkmcnt(0)
	global_atomic_add v2, v2, v3, s[14:15] glc
.LBB696_3:
	s_or_b64 exec, exec, s[10:11]
	s_waitcnt vmcnt(0)
	v_readfirstlane_b32 s10, v2
	v_add_u32_e32 v1, s10, v1
	v_mov_b32_e32 v2, 0
	ds_write_b32 v2, v1
.LBB696_4:
	s_or_b64 exec, exec, s[8:9]
	v_mov_b32_e32 v3, 0
	s_load_dwordx4 s[8:11], s[4:5], 0x8
	s_load_dword s12, s[4:5], 0x68
	s_waitcnt lgkmcnt(0)
	s_barrier
	ds_read_b32 v1, v3
	s_waitcnt lgkmcnt(0)
	s_barrier
	global_load_dwordx2 v[4:5], v3, s[22:23]
	s_lshl_b64 s[4:5], s[10:11], 3
	s_mul_i32 s13, s12, 0x500
	s_add_u32 s8, s8, s4
	s_addc_u32 s4, s9, s5
	s_add_i32 s5, s13, s10
	s_add_i32 s12, s12, -1
	s_sub_i32 s30, s6, s5
	v_mov_b32_e32 v8, s4
	s_add_u32 s4, s10, s13
	s_addc_u32 s5, s11, 0
	v_readfirstlane_b32 s33, v1
	v_mov_b32_e32 v6, s6
	v_mov_b32_e32 v7, s7
	s_movk_i32 s7, 0x500
	s_cmp_eq_u32 s33, s12
	v_mul_lo_u32 v2, v1, s7
	v_cmp_ge_u64_e32 vcc, s[4:5], v[6:7]
	s_cselect_b64 s[24:25], -1, 0
	v_lshlrev_b64 v[2:3], 3, v[2:3]
	s_and_b64 s[12:13], vcc, s[24:25]
	v_add_co_u32_e64 v18, s[4:5], s8, v2
	s_xor_b64 s[26:27], s[12:13], -1
	s_mov_b64 s[14:15], -1
	v_addc_co_u32_e64 v19, s[4:5], v8, v3, s[4:5]
	s_and_b64 vcc, exec, s[26:27]
	s_waitcnt vmcnt(0)
	v_readfirstlane_b32 s22, v4
	v_readfirstlane_b32 s23, v5
	s_cbranch_vccz .LBB696_6
; %bb.5:
	v_lshlrev_b32_e32 v1, 3, v0
	v_add_co_u32_e32 v12, vcc, v18, v1
	v_addc_co_u32_e32 v13, vcc, 0, v19, vcc
	v_add_co_u32_e32 v2, vcc, 0x1000, v12
	v_readfirstlane_b32 s4, v18
	v_readfirstlane_b32 s5, v19
	v_addc_co_u32_e32 v3, vcc, 0, v13, vcc
	s_nop 3
	global_load_dwordx2 v[4:5], v1, s[4:5]
	global_load_dwordx2 v[6:7], v1, s[4:5] offset:2048
	global_load_dwordx2 v[8:9], v[2:3], off
	global_load_dwordx2 v[10:11], v[2:3], off offset:2048
	v_add_co_u32_e32 v2, vcc, 0x2000, v12
	v_addc_co_u32_e32 v3, vcc, 0, v13, vcc
	global_load_dwordx2 v[2:3], v[2:3], off
	s_mov_b64 s[14:15], 0
	s_waitcnt vmcnt(3)
	ds_write2st64_b64 v1, v[4:5], v[6:7] offset1:4
	s_waitcnt vmcnt(1)
	ds_write2st64_b64 v1, v[8:9], v[10:11] offset0:8 offset1:12
	s_waitcnt vmcnt(0)
	ds_write_b64 v1, v[2:3] offset:8192
	s_waitcnt lgkmcnt(0)
	s_barrier
.LBB696_6:
	s_andn2_b64 vcc, exec, s[14:15]
	s_addk_i32 s30, 0x500
	s_cbranch_vccnz .LBB696_18
; %bb.7:
	v_cmp_gt_u32_e32 vcc, s30, v0
                                        ; implicit-def: $vgpr2_vgpr3_vgpr4_vgpr5_vgpr6_vgpr7_vgpr8_vgpr9_vgpr10_vgpr11_vgpr12_vgpr13_vgpr14_vgpr15_vgpr16_vgpr17
	s_and_saveexec_b64 s[4:5], vcc
	s_cbranch_execz .LBB696_9
; %bb.8:
	v_lshlrev_b32_e32 v1, 3, v0
	v_readfirstlane_b32 s6, v18
	v_readfirstlane_b32 s7, v19
	s_nop 4
	global_load_dwordx2 v[2:3], v1, s[6:7]
.LBB696_9:
	s_or_b64 exec, exec, s[4:5]
	v_or_b32_e32 v1, 0x100, v0
	v_cmp_gt_u32_e32 vcc, s30, v1
	s_and_saveexec_b64 s[4:5], vcc
	s_cbranch_execz .LBB696_11
; %bb.10:
	v_lshlrev_b32_e32 v1, 3, v0
	v_readfirstlane_b32 s6, v18
	v_readfirstlane_b32 s7, v19
	s_nop 4
	global_load_dwordx2 v[4:5], v1, s[6:7] offset:2048
.LBB696_11:
	s_or_b64 exec, exec, s[4:5]
	v_or_b32_e32 v1, 0x200, v0
	v_cmp_gt_u32_e32 vcc, s30, v1
	s_and_saveexec_b64 s[4:5], vcc
	s_cbranch_execz .LBB696_13
; %bb.12:
	v_lshlrev_b32_e32 v1, 3, v1
	v_readfirstlane_b32 s6, v18
	v_readfirstlane_b32 s7, v19
	s_nop 4
	global_load_dwordx2 v[6:7], v1, s[6:7]
.LBB696_13:
	s_or_b64 exec, exec, s[4:5]
	v_or_b32_e32 v1, 0x300, v0
	v_cmp_gt_u32_e32 vcc, s30, v1
	s_and_saveexec_b64 s[4:5], vcc
	s_cbranch_execz .LBB696_15
; %bb.14:
	v_lshlrev_b32_e32 v1, 3, v1
	v_readfirstlane_b32 s6, v18
	v_readfirstlane_b32 s7, v19
	s_nop 4
	global_load_dwordx2 v[8:9], v1, s[6:7]
.LBB696_15:
	;; [unrolled: 12-line block ×3, first 2 shown]
	s_or_b64 exec, exec, s[4:5]
	v_lshlrev_b32_e32 v1, 3, v0
	s_waitcnt vmcnt(0)
	ds_write2st64_b64 v1, v[2:3], v[4:5] offset1:4
	ds_write2st64_b64 v1, v[6:7], v[8:9] offset0:8 offset1:12
	ds_write_b64 v1, v[10:11] offset:8192
	s_waitcnt lgkmcnt(0)
	s_barrier
.LBB696_18:
	v_mul_u32_u24_e32 v20, 5, v0
	v_lshlrev_b32_e32 v1, 3, v20
	ds_read2_b64 v[6:9], v1 offset1:1
	ds_read2_b64 v[2:5], v1 offset0:2 offset1:3
	ds_read_b64 v[10:11], v1 offset:32
	s_cmp_lg_u32 s33, 0
	s_cselect_b64 s[16:17], -1, 0
	s_cmp_lg_u64 s[10:11], 0
	s_cselect_b64 s[4:5], -1, 0
	s_or_b64 s[4:5], s[4:5], s[16:17]
	v_mad_u32_u24 v23, v0, 5, 1
	v_mad_u32_u24 v21, v0, 5, 2
	;; [unrolled: 1-line block ×4, first 2 shown]
	s_mov_b64 s[14:15], 0
	s_and_b64 vcc, exec, s[4:5]
	s_waitcnt lgkmcnt(0)
	s_barrier
	s_cbranch_vccz .LBB696_23
; %bb.19:
	global_load_dwordx2 v[14:15], v[18:19], off offset:-8
	v_lshlrev_b32_e32 v12, 3, v0
	s_and_b64 vcc, exec, s[26:27]
	ds_write_b64 v12, v[10:11]
	s_cbranch_vccz .LBB696_24
; %bb.20:
	s_waitcnt vmcnt(0)
	v_pk_mov_b32 v[16:17], v[14:15], v[14:15] op_sel:[0,1]
	s_waitcnt lgkmcnt(0)
	s_barrier
	s_and_saveexec_b64 s[4:5], s[2:3]
	s_cbranch_execz .LBB696_22
; %bb.21:
	v_add_u32_e32 v13, -8, v12
	ds_read_b64 v[16:17], v13
.LBB696_22:
	s_or_b64 exec, exec, s[4:5]
	v_cmp_ne_u64_e32 vcc, v[4:5], v[10:11]
	v_cndmask_b32_e64 v13, 0, 1, vcc
	v_cmp_ne_u64_e32 vcc, v[2:3], v[4:5]
	v_cndmask_b32_e64 v18, 0, 1, vcc
	;; [unrolled: 2-line block ×4, first 2 shown]
	s_waitcnt lgkmcnt(0)
	v_cmp_ne_u64_e64 s[4:5], v[16:17], v[6:7]
	v_lshlrev_b16_e32 v16, 8, v18
	v_or_b32_sdwa v16, v19, v16 dst_sel:WORD_1 dst_unused:UNUSED_PAD src0_sel:DWORD src1_sel:DWORD
	v_lshlrev_b16_e32 v17, 8, v25
	v_or_b32_e32 v16, v17, v16
	s_branch .LBB696_28
.LBB696_23:
                                        ; implicit-def: $sgpr4_sgpr5
                                        ; implicit-def: $vgpr13
                                        ; implicit-def: $vgpr16
	s_branch .LBB696_29
.LBB696_24:
                                        ; implicit-def: $sgpr4_sgpr5
                                        ; implicit-def: $vgpr13
                                        ; implicit-def: $vgpr16
	s_cbranch_execz .LBB696_28
; %bb.25:
	s_waitcnt lgkmcnt(0)
	s_barrier
	s_and_saveexec_b64 s[4:5], s[2:3]
	s_cbranch_execz .LBB696_27
; %bb.26:
	v_add_u32_e32 v12, -8, v12
	s_waitcnt vmcnt(0)
	ds_read_b64 v[14:15], v12
.LBB696_27:
	s_or_b64 exec, exec, s[4:5]
	v_cmp_gt_u32_e32 vcc, s30, v22
	v_cmp_ne_u64_e64 s[4:5], v[4:5], v[10:11]
	s_and_b64 s[4:5], vcc, s[4:5]
	v_cndmask_b32_e64 v13, 0, 1, s[4:5]
	v_cmp_gt_u32_e32 vcc, s30, v24
	v_cmp_ne_u64_e64 s[4:5], v[2:3], v[4:5]
	s_and_b64 s[4:5], vcc, s[4:5]
	v_cndmask_b32_e64 v12, 0, 1, s[4:5]
	;; [unrolled: 4-line block ×4, first 2 shown]
	v_lshlrev_b16_e32 v12, 8, v12
	v_cmp_gt_u32_e32 vcc, s30, v20
	s_waitcnt vmcnt(0) lgkmcnt(0)
	v_cmp_ne_u64_e64 s[4:5], v[14:15], v[6:7]
	v_or_b32_sdwa v12, v16, v12 dst_sel:WORD_1 dst_unused:UNUSED_PAD src0_sel:DWORD src1_sel:DWORD
	v_lshlrev_b16_e32 v14, 8, v17
	s_and_b64 s[4:5], vcc, s[4:5]
	v_or_b32_e32 v16, v14, v12
.LBB696_28:
	s_mov_b64 s[14:15], -1
	s_cbranch_execnz .LBB696_37
.LBB696_29:
	v_lshlrev_b32_e32 v12, 5, v0
	s_waitcnt vmcnt(0)
	v_sub_u32_e32 v14, v1, v12
	s_and_b64 vcc, exec, s[26:27]
	v_cmp_ne_u64_e64 s[4:5], v[4:5], v[10:11]
	v_cmp_ne_u64_e64 s[6:7], v[2:3], v[4:5]
	;; [unrolled: 1-line block ×4, first 2 shown]
	ds_write_b64 v14, v[10:11]
	s_cbranch_vccz .LBB696_33
; %bb.30:
	v_cndmask_b32_e64 v12, 0, 1, s[6:7]
	v_cndmask_b32_e64 v13, 0, 1, s[8:9]
	;; [unrolled: 1-line block ×3, first 2 shown]
	v_lshlrev_b16_e32 v12, 8, v12
	v_or_b32_sdwa v12, v13, v12 dst_sel:WORD_1 dst_unused:UNUSED_PAD src0_sel:DWORD src1_sel:DWORD
	v_lshlrev_b16_e32 v13, 8, v15
	v_or_b32_e32 v13, 1, v13
	v_or_b32_sdwa v12, v13, v12 dst_sel:DWORD dst_unused:UNUSED_PAD src0_sel:WORD_0 src1_sel:DWORD
	v_cndmask_b32_e64 v13, 0, 1, s[4:5]
	s_waitcnt lgkmcnt(0)
	s_barrier
	s_waitcnt lgkmcnt(0)
                                        ; implicit-def: $sgpr4_sgpr5
                                        ; implicit-def: $vgpr16
	s_and_saveexec_b64 s[6:7], s[2:3]
	s_xor_b64 s[6:7], exec, s[6:7]
	s_cbranch_execz .LBB696_32
; %bb.31:
	v_add_u32_e32 v15, -8, v14
	ds_read_b64 v[18:19], v15
	s_mov_b32 s4, 0x3020104
	v_perm_b32 v16, v12, v12, s4
	s_or_b64 s[14:15], s[14:15], exec
	s_waitcnt lgkmcnt(0)
	v_cmp_ne_u64_e32 vcc, v[18:19], v[6:7]
	s_and_b64 s[4:5], vcc, exec
.LBB696_32:
	s_or_b64 exec, exec, s[6:7]
	s_branch .LBB696_37
.LBB696_33:
                                        ; implicit-def: $sgpr4_sgpr5
                                        ; implicit-def: $vgpr13
                                        ; implicit-def: $vgpr16
	s_cbranch_execz .LBB696_37
; %bb.34:
	v_cmp_gt_u32_e64 s[6:7], s30, v24
	v_cmp_ne_u64_e64 s[8:9], v[2:3], v[4:5]
	s_and_b64 s[6:7], s[6:7], s[8:9]
	v_cndmask_b32_e64 v12, 0, 1, s[6:7]
	v_cmp_gt_u32_e64 s[6:7], s30, v21
	v_cmp_ne_u64_e64 s[8:9], v[8:9], v[2:3]
	s_and_b64 s[6:7], s[6:7], s[8:9]
	v_cndmask_b32_e64 v13, 0, 1, s[6:7]
	;; [unrolled: 4-line block ×3, first 2 shown]
	v_lshlrev_b16_e32 v12, 8, v12
	v_cmp_gt_u32_e32 vcc, s30, v22
	v_cmp_ne_u64_e64 s[4:5], v[4:5], v[10:11]
	v_or_b32_sdwa v12, v13, v12 dst_sel:WORD_1 dst_unused:UNUSED_PAD src0_sel:DWORD src1_sel:DWORD
	v_lshlrev_b16_e32 v13, 8, v15
	v_or_b32_e32 v13, 1, v13
	s_and_b64 s[4:5], vcc, s[4:5]
	v_or_b32_sdwa v12, v13, v12 dst_sel:DWORD dst_unused:UNUSED_PAD src0_sel:WORD_0 src1_sel:DWORD
	v_cndmask_b32_e64 v13, 0, 1, s[4:5]
	s_waitcnt lgkmcnt(0)
	s_barrier
	s_waitcnt lgkmcnt(0)
                                        ; implicit-def: $sgpr4_sgpr5
                                        ; implicit-def: $vgpr16
	s_and_saveexec_b64 s[6:7], s[2:3]
	s_cbranch_execz .LBB696_36
; %bb.35:
	v_add_u32_e32 v14, -8, v14
	ds_read_b64 v[14:15], v14
	s_mov_b32 s2, 0x3020104
	v_cmp_gt_u32_e32 vcc, s30, v20
	v_perm_b32 v16, v12, v12, s2
	s_or_b64 s[14:15], s[14:15], exec
	s_waitcnt lgkmcnt(0)
	v_cmp_ne_u64_e64 s[2:3], v[14:15], v[6:7]
	s_and_b64 s[2:3], vcc, s[2:3]
	s_and_b64 s[4:5], s[2:3], exec
.LBB696_36:
	s_or_b64 exec, exec, s[6:7]
.LBB696_37:
	s_and_saveexec_b64 s[2:3], s[14:15]
	s_cbranch_execz .LBB696_39
; %bb.38:
	v_cndmask_b32_e64 v12, 0, 1, s[4:5]
	s_waitcnt vmcnt(0)
	v_lshrrev_b32_e32 v14, 24, v16
	s_movk_i32 s4, 0xff
	v_lshlrev_b16_e32 v14, 8, v14
	v_and_b32_sdwa v15, v16, s4 dst_sel:DWORD dst_unused:UNUSED_PAD src0_sel:WORD_1 src1_sel:DWORD
	v_or_b32_sdwa v14, v15, v14 dst_sel:WORD_1 dst_unused:UNUSED_PAD src0_sel:DWORD src1_sel:DWORD
	v_mov_b32_e32 v15, 8
	v_lshrrev_b32_sdwa v15, v15, v16 dst_sel:BYTE_1 dst_unused:UNUSED_PAD src0_sel:DWORD src1_sel:DWORD
	v_or_b32_e32 v12, v12, v15
	s_mov_b32 s4, 0xffff
	v_or_b32_sdwa v12, v12, v14 dst_sel:DWORD dst_unused:UNUSED_PAD src0_sel:WORD_0 src1_sel:DWORD
	v_and_b32_sdwa v13, s4, v13 dst_sel:DWORD dst_unused:UNUSED_PAD src0_sel:DWORD src1_sel:BYTE_0
.LBB696_39:
	s_or_b64 exec, exec, s[2:3]
	s_andn2_b64 vcc, exec, s[12:13]
	s_cbranch_vccnz .LBB696_41
; %bb.40:
	v_cmp_gt_u32_e32 vcc, s30, v20
	s_waitcnt vmcnt(0)
	v_cndmask_b32_e32 v14, 0, v12, vcc
	v_and_b32_e32 v14, 0xffff00ff, v14
	v_cmp_gt_u32_e64 s[2:3], s30, v23
	v_cndmask_b32_e64 v14, v14, v12, s[2:3]
	v_lshrrev_b32_e32 v15, 24, v14
	s_mov_b32 s4, 0x40c0100
	v_perm_b32 v14, v15, v14, s4
	v_cmp_gt_u32_e64 s[4:5], s30, v21
	v_cmp_gt_u32_e64 s[6:7], s30, v24
	v_cndmask_b32_e64 v14, v14, v12, s[4:5]
	s_or_b64 s[4:5], s[6:7], s[4:5]
	s_or_b64 s[2:3], s[4:5], s[2:3]
	s_or_b64 vcc, s[2:3], vcc
	v_and_b32_e32 v14, 0xffffff, v14
	v_cndmask_b32_e32 v15, 0, v13, vcc
	v_cndmask_b32_e64 v14, v14, v12, s[6:7]
	v_and_b32_e32 v15, 0xffffff00, v15
	v_cmp_gt_u32_e32 vcc, s30, v22
	v_cndmask_b32_e32 v12, v14, v12, vcc
	v_cndmask_b32_e32 v13, v15, v13, vcc
	s_mov_b32 s2, 0x3020104
	v_and_b32_e32 v13, 0xff, v13
	v_perm_b32 v12, v12, v12, s2
.LBB696_41:
	v_and_b32_e32 v25, 0xff, v12
	v_bfe_u32 v27, v12, 8, 8
	v_bfe_u32 v28, v12, 16, 8
	s_waitcnt vmcnt(0)
	v_alignbit_b32 v14, v13, v12, 24
	v_and_b32_e32 v29, 0xff, v14
	v_and_b32_e32 v14, 0xff, v13
	v_add3_u32 v15, v27, v25, v28
	v_add3_u32 v32, v15, v29, v14
	v_mbcnt_lo_u32_b32 v14, -1, 0
	v_mbcnt_hi_u32_b32 v30, -1, v14
	v_and_b32_e32 v14, 15, v30
	v_cmp_eq_u32_e64 s[14:15], 0, v14
	v_cmp_lt_u32_e64 s[12:13], 1, v14
	v_cmp_lt_u32_e64 s[10:11], 3, v14
	;; [unrolled: 1-line block ×3, first 2 shown]
	v_and_b32_e32 v14, 16, v30
	v_cmp_eq_u32_e64 s[6:7], 0, v14
	v_or_b32_e32 v14, 63, v0
	v_cmp_lt_u32_e64 s[2:3], 31, v30
	v_lshrrev_b32_e32 v31, 6, v0
	v_cmp_eq_u32_e64 s[4:5], v14, v0
	s_and_b64 vcc, exec, s[16:17]
	s_waitcnt lgkmcnt(0)
	s_barrier
	s_cbranch_vccz .LBB696_72
; %bb.42:
	v_mov_b32_dpp v14, v32 row_shr:1 row_mask:0xf bank_mask:0xf
	v_cndmask_b32_e64 v14, v14, 0, s[14:15]
	v_add_u32_e32 v14, v14, v32
	s_nop 1
	v_mov_b32_dpp v15, v14 row_shr:2 row_mask:0xf bank_mask:0xf
	v_cndmask_b32_e64 v15, 0, v15, s[12:13]
	v_add_u32_e32 v14, v14, v15
	s_nop 1
	v_mov_b32_dpp v15, v14 row_shr:4 row_mask:0xf bank_mask:0xf
	v_cndmask_b32_e64 v15, 0, v15, s[10:11]
	v_add_u32_e32 v14, v14, v15
	s_nop 1
	v_mov_b32_dpp v15, v14 row_shr:8 row_mask:0xf bank_mask:0xf
	v_cndmask_b32_e64 v15, 0, v15, s[8:9]
	v_add_u32_e32 v14, v14, v15
	s_nop 1
	v_mov_b32_dpp v15, v14 row_bcast:15 row_mask:0xf bank_mask:0xf
	v_cndmask_b32_e64 v15, v15, 0, s[6:7]
	v_add_u32_e32 v14, v14, v15
	s_nop 1
	v_mov_b32_dpp v15, v14 row_bcast:31 row_mask:0xf bank_mask:0xf
	v_cndmask_b32_e64 v15, 0, v15, s[2:3]
	v_add_u32_e32 v14, v14, v15
	s_and_saveexec_b64 s[16:17], s[4:5]
	s_cbranch_execz .LBB696_44
; %bb.43:
	v_lshlrev_b32_e32 v15, 2, v31
	ds_write_b32 v15, v14
.LBB696_44:
	s_or_b64 exec, exec, s[16:17]
	v_cmp_gt_u32_e32 vcc, 4, v0
	s_waitcnt lgkmcnt(0)
	s_barrier
	s_and_saveexec_b64 s[16:17], vcc
	s_cbranch_execz .LBB696_46
; %bb.45:
	v_lshlrev_b32_e32 v15, 2, v0
	ds_read_b32 v16, v15
	v_and_b32_e32 v17, 3, v30
	v_cmp_ne_u32_e32 vcc, 0, v17
	s_waitcnt lgkmcnt(0)
	v_mov_b32_dpp v18, v16 row_shr:1 row_mask:0xf bank_mask:0xf
	v_cndmask_b32_e32 v18, 0, v18, vcc
	v_add_u32_e32 v16, v18, v16
	v_cmp_lt_u32_e32 vcc, 1, v17
	s_nop 0
	v_mov_b32_dpp v18, v16 row_shr:2 row_mask:0xf bank_mask:0xf
	v_cndmask_b32_e32 v17, 0, v18, vcc
	v_add_u32_e32 v16, v16, v17
	ds_write_b32 v15, v16
.LBB696_46:
	s_or_b64 exec, exec, s[16:17]
	v_cmp_gt_u32_e32 vcc, 64, v0
	v_cmp_lt_u32_e64 s[16:17], 63, v0
	s_waitcnt lgkmcnt(0)
	s_barrier
	s_waitcnt lgkmcnt(0)
                                        ; implicit-def: $vgpr24
	s_and_saveexec_b64 s[30:31], s[16:17]
	s_cbranch_execz .LBB696_48
; %bb.47:
	v_lshl_add_u32 v15, v31, 2, -4
	ds_read_b32 v24, v15
	s_waitcnt lgkmcnt(0)
	v_add_u32_e32 v14, v24, v14
.LBB696_48:
	s_or_b64 exec, exec, s[30:31]
	v_add_u32_e32 v15, -1, v30
	v_and_b32_e32 v16, 64, v30
	v_cmp_lt_i32_e64 s[16:17], v15, v16
	v_cndmask_b32_e64 v15, v15, v30, s[16:17]
	v_lshlrev_b32_e32 v15, 2, v15
	ds_bpermute_b32 v26, v15, v14
	v_cmp_eq_u32_e64 s[16:17], 0, v30
	s_and_saveexec_b64 s[30:31], vcc
	s_cbranch_execz .LBB696_71
; %bb.49:
	v_mov_b32_e32 v23, 0
	ds_read_b32 v14, v23 offset:12
	s_and_saveexec_b64 s[34:35], s[16:17]
	s_cbranch_execz .LBB696_51
; %bb.50:
	s_add_i32 s36, s33, 64
	s_mov_b32 s37, 0
	s_lshl_b64 s[36:37], s[36:37], 3
	s_add_u32 s36, s28, s36
	v_mov_b32_e32 v15, 1
	s_addc_u32 s37, s29, s37
	s_waitcnt lgkmcnt(0)
	global_store_dwordx2 v23, v[14:15], s[36:37]
.LBB696_51:
	s_or_b64 exec, exec, s[34:35]
	v_xad_u32 v16, v30, -1, s33
	v_add_u32_e32 v22, 64, v16
	v_lshlrev_b64 v[18:19], 3, v[22:23]
	v_mov_b32_e32 v15, s29
	v_add_co_u32_e32 v18, vcc, s28, v18
	v_addc_co_u32_e32 v19, vcc, v15, v19, vcc
	global_load_dwordx2 v[20:21], v[18:19], off glc
	s_waitcnt vmcnt(0)
	v_cmp_eq_u16_sdwa s[36:37], v21, v23 src0_sel:BYTE_0 src1_sel:DWORD
	s_and_saveexec_b64 s[34:35], s[36:37]
	s_cbranch_execz .LBB696_57
; %bb.52:
	s_mov_b32 s38, 1
	s_mov_b64 s[36:37], 0
	v_mov_b32_e32 v15, 0
.LBB696_53:                             ; =>This Loop Header: Depth=1
                                        ;     Child Loop BB696_54 Depth 2
	s_max_u32 s39, s38, 1
.LBB696_54:                             ;   Parent Loop BB696_53 Depth=1
                                        ; =>  This Inner Loop Header: Depth=2
	s_add_i32 s39, s39, -1
	s_cmp_eq_u32 s39, 0
	s_sleep 1
	s_cbranch_scc0 .LBB696_54
; %bb.55:                               ;   in Loop: Header=BB696_53 Depth=1
	global_load_dwordx2 v[20:21], v[18:19], off glc
	s_cmp_lt_u32 s38, 32
	s_cselect_b64 s[40:41], -1, 0
	s_cmp_lg_u64 s[40:41], 0
	s_addc_u32 s38, s38, 0
	s_waitcnt vmcnt(0)
	v_cmp_ne_u16_sdwa s[40:41], v21, v15 src0_sel:BYTE_0 src1_sel:DWORD
	s_or_b64 s[36:37], s[40:41], s[36:37]
	s_andn2_b64 exec, exec, s[36:37]
	s_cbranch_execnz .LBB696_53
; %bb.56:
	s_or_b64 exec, exec, s[36:37]
.LBB696_57:
	s_or_b64 exec, exec, s[34:35]
	v_and_b32_e32 v34, 63, v30
	v_mov_b32_e32 v33, 2
	v_cmp_ne_u32_e32 vcc, 63, v34
	v_cmp_eq_u16_sdwa s[34:35], v21, v33 src0_sel:BYTE_0 src1_sel:DWORD
	v_lshlrev_b64 v[18:19], v30, -1
	v_addc_co_u32_e32 v22, vcc, 0, v30, vcc
	v_and_b32_e32 v15, s35, v19
	v_lshlrev_b32_e32 v35, 2, v22
	v_or_b32_e32 v15, 0x80000000, v15
	ds_bpermute_b32 v22, v35, v20
	v_and_b32_e32 v17, s34, v18
	v_ffbl_b32_e32 v15, v15
	v_add_u32_e32 v15, 32, v15
	v_ffbl_b32_e32 v17, v17
	v_min_u32_e32 v15, v17, v15
	v_cmp_lt_u32_e32 vcc, v34, v15
	s_waitcnt lgkmcnt(0)
	v_cndmask_b32_e32 v17, 0, v22, vcc
	v_cmp_gt_u32_e32 vcc, 62, v34
	v_add_u32_e32 v17, v17, v20
	v_cndmask_b32_e64 v20, 0, 1, vcc
	v_lshlrev_b32_e32 v20, 1, v20
	v_add_lshl_u32 v36, v20, v30, 2
	ds_bpermute_b32 v20, v36, v17
	v_add_u32_e32 v37, 2, v34
	v_cmp_le_u32_e32 vcc, v37, v15
	v_add_u32_e32 v39, 4, v34
	v_add_u32_e32 v41, 8, v34
	s_waitcnt lgkmcnt(0)
	v_cndmask_b32_e32 v20, 0, v20, vcc
	v_cmp_gt_u32_e32 vcc, 60, v34
	v_add_u32_e32 v17, v17, v20
	v_cndmask_b32_e64 v20, 0, 1, vcc
	v_lshlrev_b32_e32 v20, 2, v20
	v_add_lshl_u32 v38, v20, v30, 2
	ds_bpermute_b32 v20, v38, v17
	v_cmp_le_u32_e32 vcc, v39, v15
	v_add_u32_e32 v43, 16, v34
	v_add_u32_e32 v45, 32, v34
	s_waitcnt lgkmcnt(0)
	v_cndmask_b32_e32 v20, 0, v20, vcc
	v_cmp_gt_u32_e32 vcc, 56, v34
	v_add_u32_e32 v17, v17, v20
	v_cndmask_b32_e64 v20, 0, 1, vcc
	v_lshlrev_b32_e32 v20, 3, v20
	v_add_lshl_u32 v40, v20, v30, 2
	ds_bpermute_b32 v20, v40, v17
	v_cmp_le_u32_e32 vcc, v41, v15
	s_waitcnt lgkmcnt(0)
	v_cndmask_b32_e32 v20, 0, v20, vcc
	v_cmp_gt_u32_e32 vcc, 48, v34
	v_add_u32_e32 v17, v17, v20
	v_cndmask_b32_e64 v20, 0, 1, vcc
	v_lshlrev_b32_e32 v20, 4, v20
	v_add_lshl_u32 v42, v20, v30, 2
	ds_bpermute_b32 v20, v42, v17
	v_cmp_le_u32_e32 vcc, v43, v15
	;; [unrolled: 9-line block ×3, first 2 shown]
	s_waitcnt lgkmcnt(0)
	v_cndmask_b32_e32 v15, 0, v20, vcc
	v_add_u32_e32 v20, v17, v15
	v_mov_b32_e32 v17, 0
	s_branch .LBB696_59
.LBB696_58:                             ;   in Loop: Header=BB696_59 Depth=1
	s_or_b64 exec, exec, s[34:35]
	v_cmp_eq_u16_sdwa s[34:35], v21, v33 src0_sel:BYTE_0 src1_sel:DWORD
	v_and_b32_e32 v22, s35, v19
	v_or_b32_e32 v22, 0x80000000, v22
	ds_bpermute_b32 v46, v35, v20
	v_and_b32_e32 v23, s34, v18
	v_ffbl_b32_e32 v22, v22
	v_add_u32_e32 v22, 32, v22
	v_ffbl_b32_e32 v23, v23
	v_min_u32_e32 v22, v23, v22
	v_cmp_lt_u32_e32 vcc, v34, v22
	s_waitcnt lgkmcnt(0)
	v_cndmask_b32_e32 v23, 0, v46, vcc
	v_add_u32_e32 v20, v23, v20
	ds_bpermute_b32 v23, v36, v20
	v_cmp_le_u32_e32 vcc, v37, v22
	v_subrev_u32_e32 v16, 64, v16
	s_waitcnt lgkmcnt(0)
	v_cndmask_b32_e32 v23, 0, v23, vcc
	v_add_u32_e32 v20, v20, v23
	ds_bpermute_b32 v23, v38, v20
	v_cmp_le_u32_e32 vcc, v39, v22
	s_waitcnt lgkmcnt(0)
	v_cndmask_b32_e32 v23, 0, v23, vcc
	v_add_u32_e32 v20, v20, v23
	ds_bpermute_b32 v23, v40, v20
	v_cmp_le_u32_e32 vcc, v41, v22
	;; [unrolled: 5-line block ×4, first 2 shown]
	s_waitcnt lgkmcnt(0)
	v_cndmask_b32_e32 v22, 0, v23, vcc
	v_add3_u32 v20, v22, v15, v20
.LBB696_59:                             ; =>This Loop Header: Depth=1
                                        ;     Child Loop BB696_62 Depth 2
                                        ;       Child Loop BB696_63 Depth 3
	v_cmp_ne_u16_sdwa s[34:35], v21, v33 src0_sel:BYTE_0 src1_sel:DWORD
	v_cndmask_b32_e64 v15, 0, 1, s[34:35]
	;;#ASMSTART
	;;#ASMEND
	v_cmp_ne_u32_e32 vcc, 0, v15
	s_cmp_lg_u64 vcc, exec
	v_mov_b32_e32 v15, v20
	s_cbranch_scc1 .LBB696_66
; %bb.60:                               ;   in Loop: Header=BB696_59 Depth=1
	v_lshlrev_b64 v[20:21], 3, v[16:17]
	v_mov_b32_e32 v23, s29
	v_add_co_u32_e32 v22, vcc, s28, v20
	v_addc_co_u32_e32 v23, vcc, v23, v21, vcc
	global_load_dwordx2 v[20:21], v[22:23], off glc
	s_waitcnt vmcnt(0)
	v_cmp_eq_u16_sdwa s[36:37], v21, v17 src0_sel:BYTE_0 src1_sel:DWORD
	s_and_saveexec_b64 s[34:35], s[36:37]
	s_cbranch_execz .LBB696_58
; %bb.61:                               ;   in Loop: Header=BB696_59 Depth=1
	s_mov_b32 s38, 1
	s_mov_b64 s[36:37], 0
.LBB696_62:                             ;   Parent Loop BB696_59 Depth=1
                                        ; =>  This Loop Header: Depth=2
                                        ;       Child Loop BB696_63 Depth 3
	s_max_u32 s39, s38, 1
.LBB696_63:                             ;   Parent Loop BB696_59 Depth=1
                                        ;     Parent Loop BB696_62 Depth=2
                                        ; =>    This Inner Loop Header: Depth=3
	s_add_i32 s39, s39, -1
	s_cmp_eq_u32 s39, 0
	s_sleep 1
	s_cbranch_scc0 .LBB696_63
; %bb.64:                               ;   in Loop: Header=BB696_62 Depth=2
	global_load_dwordx2 v[20:21], v[22:23], off glc
	s_cmp_lt_u32 s38, 32
	s_cselect_b64 s[40:41], -1, 0
	s_cmp_lg_u64 s[40:41], 0
	s_addc_u32 s38, s38, 0
	s_waitcnt vmcnt(0)
	v_cmp_ne_u16_sdwa s[40:41], v21, v17 src0_sel:BYTE_0 src1_sel:DWORD
	s_or_b64 s[36:37], s[40:41], s[36:37]
	s_andn2_b64 exec, exec, s[36:37]
	s_cbranch_execnz .LBB696_62
; %bb.65:                               ;   in Loop: Header=BB696_59 Depth=1
	s_or_b64 exec, exec, s[36:37]
	s_branch .LBB696_58
.LBB696_66:                             ;   in Loop: Header=BB696_59 Depth=1
                                        ; implicit-def: $vgpr20
                                        ; implicit-def: $vgpr21
	s_cbranch_execz .LBB696_59
; %bb.67:
	s_and_saveexec_b64 s[34:35], s[16:17]
	s_cbranch_execz .LBB696_69
; %bb.68:
	s_add_i32 s36, s33, 64
	s_mov_b32 s37, 0
	s_lshl_b64 s[36:37], s[36:37], 3
	s_add_u32 s36, s28, s36
	v_add_u32_e32 v16, v15, v14
	v_mov_b32_e32 v17, 2
	s_addc_u32 s37, s29, s37
	v_mov_b32_e32 v18, 0
	global_store_dwordx2 v18, v[16:17], s[36:37]
	ds_write_b64 v18, v[14:15] offset:10240
.LBB696_69:
	s_or_b64 exec, exec, s[34:35]
	s_and_b64 exec, exec, s[0:1]
	s_cbranch_execz .LBB696_71
; %bb.70:
	v_mov_b32_e32 v14, 0
	ds_write_b32 v14, v15 offset:12
.LBB696_71:
	s_or_b64 exec, exec, s[30:31]
	v_mov_b32_e32 v14, 0
	s_waitcnt lgkmcnt(0)
	s_barrier
	ds_read_b32 v15, v14 offset:12
	v_cndmask_b32_e64 v16, v26, v24, s[16:17]
	v_cndmask_b32_e64 v16, v16, 0, s[0:1]
	s_waitcnt lgkmcnt(0)
	s_barrier
	v_add_u32_e32 v26, v15, v16
	ds_read_b64 v[14:15], v14 offset:10240
	v_add_u32_e32 v24, v26, v25
	v_add_u32_e32 v22, v24, v27
	;; [unrolled: 1-line block ×4, first 2 shown]
	v_lshrrev_b64 v[16:17], 24, v[12:13]
	s_branch .LBB696_82
.LBB696_72:
                                        ; implicit-def: $vgpr15
                                        ; implicit-def: $vgpr18
                                        ; implicit-def: $vgpr20
                                        ; implicit-def: $vgpr22
                                        ; implicit-def: $vgpr24
                                        ; implicit-def: $vgpr26
	v_lshrrev_b64 v[16:17], 24, v[12:13]
	s_cbranch_execz .LBB696_82
; %bb.73:
	s_waitcnt lgkmcnt(0)
	v_mov_b32_dpp v14, v32 row_shr:1 row_mask:0xf bank_mask:0xf
	v_cndmask_b32_e64 v14, v14, 0, s[14:15]
	v_add_u32_e32 v14, v14, v32
	s_nop 1
	v_mov_b32_dpp v15, v14 row_shr:2 row_mask:0xf bank_mask:0xf
	v_cndmask_b32_e64 v15, 0, v15, s[12:13]
	v_add_u32_e32 v14, v14, v15
	s_nop 1
	;; [unrolled: 4-line block ×4, first 2 shown]
	v_mov_b32_dpp v15, v14 row_bcast:15 row_mask:0xf bank_mask:0xf
	v_cndmask_b32_e64 v15, v15, 0, s[6:7]
	v_add_u32_e32 v14, v14, v15
	s_nop 1
	v_mov_b32_dpp v15, v14 row_bcast:31 row_mask:0xf bank_mask:0xf
	v_cndmask_b32_e64 v15, 0, v15, s[2:3]
	v_add_u32_e32 v14, v14, v15
	s_and_saveexec_b64 s[2:3], s[4:5]
	s_cbranch_execz .LBB696_75
; %bb.74:
	v_lshlrev_b32_e32 v15, 2, v31
	ds_write_b32 v15, v14
.LBB696_75:
	s_or_b64 exec, exec, s[2:3]
	v_cmp_gt_u32_e32 vcc, 4, v0
	s_waitcnt lgkmcnt(0)
	s_barrier
	s_and_saveexec_b64 s[2:3], vcc
	s_cbranch_execz .LBB696_77
; %bb.76:
	s_movk_i32 s4, 0xffdc
	v_mad_i32_i24 v1, v0, s4, v1
	ds_read_b32 v15, v1
	v_and_b32_e32 v17, 3, v30
	v_cmp_ne_u32_e32 vcc, 0, v17
	s_waitcnt lgkmcnt(0)
	v_mov_b32_dpp v18, v15 row_shr:1 row_mask:0xf bank_mask:0xf
	v_cndmask_b32_e32 v18, 0, v18, vcc
	v_add_u32_e32 v15, v18, v15
	v_cmp_lt_u32_e32 vcc, 1, v17
	s_nop 0
	v_mov_b32_dpp v18, v15 row_shr:2 row_mask:0xf bank_mask:0xf
	v_cndmask_b32_e32 v17, 0, v18, vcc
	v_add_u32_e32 v15, v15, v17
	ds_write_b32 v1, v15
.LBB696_77:
	s_or_b64 exec, exec, s[2:3]
	v_cmp_lt_u32_e32 vcc, 63, v0
	v_mov_b32_e32 v15, 0
	v_mov_b32_e32 v1, 0
	s_waitcnt lgkmcnt(0)
	s_barrier
	s_and_saveexec_b64 s[2:3], vcc
	s_cbranch_execz .LBB696_79
; %bb.78:
	v_lshl_add_u32 v1, v31, 2, -4
	ds_read_b32 v1, v1
.LBB696_79:
	s_or_b64 exec, exec, s[2:3]
	v_add_u32_e32 v17, -1, v30
	v_and_b32_e32 v18, 64, v30
	v_cmp_lt_i32_e32 vcc, v17, v18
	v_cndmask_b32_e32 v17, v17, v30, vcc
	s_waitcnt lgkmcnt(0)
	v_add_u32_e32 v14, v1, v14
	v_lshlrev_b32_e32 v17, 2, v17
	ds_bpermute_b32 v17, v17, v14
	ds_read_b32 v14, v15 offset:12
	s_and_saveexec_b64 s[2:3], s[0:1]
	s_cbranch_execz .LBB696_81
; %bb.80:
	v_mov_b32_e32 v18, 0
	v_mov_b32_e32 v15, 2
	s_waitcnt lgkmcnt(0)
	global_store_dwordx2 v18, v[14:15], s[28:29] offset:512
.LBB696_81:
	s_or_b64 exec, exec, s[2:3]
	v_cmp_eq_u32_e32 vcc, 0, v30
	s_waitcnt lgkmcnt(1)
	v_cndmask_b32_e32 v1, v17, v1, vcc
	v_cndmask_b32_e64 v26, v1, 0, s[0:1]
	v_add_u32_e32 v24, v26, v25
	v_add_u32_e32 v22, v24, v27
	;; [unrolled: 1-line block ×3, first 2 shown]
	v_mov_b32_e32 v15, 0
	v_add_u32_e32 v18, v20, v29
	s_waitcnt lgkmcnt(0)
	s_barrier
.LBB696_82:
	s_movk_i32 s2, 0x101
	s_waitcnt lgkmcnt(0)
	v_cmp_gt_u32_e32 vcc, s2, v14
	v_lshrrev_b32_e32 v1, 8, v12
	s_mov_b64 s[2:3], -1
	s_cbranch_vccnz .LBB696_86
; %bb.83:
	s_and_b64 vcc, exec, s[2:3]
	s_cbranch_vccnz .LBB696_102
.LBB696_84:
	s_and_b64 s[0:1], s[0:1], s[24:25]
	s_and_saveexec_b64 s[2:3], s[0:1]
	s_cbranch_execnz .LBB696_116
.LBB696_85:
	s_endpgm
.LBB696_86:
	v_add_u32_e32 v17, v15, v14
	v_cmp_lt_u32_e32 vcc, v26, v17
	s_or_b64 s[4:5], s[26:27], vcc
	s_and_saveexec_b64 s[2:3], s[4:5]
	s_cbranch_execz .LBB696_89
; %bb.87:
	v_and_b32_e32 v19, 1, v12
	v_cmp_eq_u32_e32 vcc, 1, v19
	s_and_b64 exec, exec, vcc
	s_cbranch_execz .LBB696_89
; %bb.88:
	s_lshl_b64 s[4:5], s[22:23], 3
	s_add_u32 s4, s18, s4
	v_mov_b32_e32 v27, 0
	s_addc_u32 s5, s19, s5
	v_lshlrev_b64 v[28:29], 3, v[26:27]
	v_mov_b32_e32 v19, s5
	v_add_co_u32_e32 v28, vcc, s4, v28
	v_addc_co_u32_e32 v29, vcc, v19, v29, vcc
	global_store_dwordx2 v[28:29], v[6:7], off
.LBB696_89:
	s_or_b64 exec, exec, s[2:3]
	v_cmp_lt_u32_e32 vcc, v24, v17
	s_or_b64 s[4:5], s[26:27], vcc
	s_and_saveexec_b64 s[2:3], s[4:5]
	s_cbranch_execz .LBB696_92
; %bb.90:
	v_and_b32_e32 v19, 1, v1
	v_cmp_eq_u32_e32 vcc, 1, v19
	s_and_b64 exec, exec, vcc
	s_cbranch_execz .LBB696_92
; %bb.91:
	s_lshl_b64 s[4:5], s[22:23], 3
	s_add_u32 s4, s18, s4
	v_mov_b32_e32 v25, 0
	s_addc_u32 s5, s19, s5
	v_lshlrev_b64 v[28:29], 3, v[24:25]
	v_mov_b32_e32 v19, s5
	v_add_co_u32_e32 v28, vcc, s4, v28
	v_addc_co_u32_e32 v29, vcc, v19, v29, vcc
	global_store_dwordx2 v[28:29], v[8:9], off
.LBB696_92:
	s_or_b64 exec, exec, s[2:3]
	v_cmp_lt_u32_e32 vcc, v22, v17
	s_or_b64 s[4:5], s[26:27], vcc
	s_and_saveexec_b64 s[2:3], s[4:5]
	s_cbranch_execz .LBB696_95
; %bb.93:
	v_mov_b32_e32 v19, 1
	v_and_b32_sdwa v19, v19, v12 dst_sel:DWORD dst_unused:UNUSED_PAD src0_sel:DWORD src1_sel:WORD_1
	v_cmp_eq_u32_e32 vcc, 1, v19
	s_and_b64 exec, exec, vcc
	s_cbranch_execz .LBB696_95
; %bb.94:
	s_lshl_b64 s[4:5], s[22:23], 3
	s_add_u32 s4, s18, s4
	v_mov_b32_e32 v23, 0
	s_addc_u32 s5, s19, s5
	v_lshlrev_b64 v[28:29], 3, v[22:23]
	v_mov_b32_e32 v19, s5
	v_add_co_u32_e32 v28, vcc, s4, v28
	v_addc_co_u32_e32 v29, vcc, v19, v29, vcc
	global_store_dwordx2 v[28:29], v[2:3], off
.LBB696_95:
	s_or_b64 exec, exec, s[2:3]
	v_cmp_lt_u32_e32 vcc, v20, v17
	s_or_b64 s[4:5], s[26:27], vcc
	s_and_saveexec_b64 s[2:3], s[4:5]
	s_cbranch_execz .LBB696_98
; %bb.96:
	v_and_b32_e32 v19, 1, v16
	v_cmp_eq_u32_e32 vcc, 1, v19
	s_and_b64 exec, exec, vcc
	s_cbranch_execz .LBB696_98
; %bb.97:
	s_lshl_b64 s[4:5], s[22:23], 3
	s_add_u32 s4, s18, s4
	v_mov_b32_e32 v21, 0
	s_addc_u32 s5, s19, s5
	v_lshlrev_b64 v[28:29], 3, v[20:21]
	v_mov_b32_e32 v19, s5
	v_add_co_u32_e32 v28, vcc, s4, v28
	v_addc_co_u32_e32 v29, vcc, v19, v29, vcc
	global_store_dwordx2 v[28:29], v[4:5], off
.LBB696_98:
	s_or_b64 exec, exec, s[2:3]
	v_cmp_lt_u32_e32 vcc, v18, v17
	s_or_b64 s[4:5], s[26:27], vcc
	s_and_saveexec_b64 s[2:3], s[4:5]
	s_cbranch_execz .LBB696_101
; %bb.99:
	v_and_b32_e32 v17, 1, v13
	v_cmp_eq_u32_e32 vcc, 1, v17
	s_and_b64 exec, exec, vcc
	s_cbranch_execz .LBB696_101
; %bb.100:
	s_lshl_b64 s[4:5], s[22:23], 3
	s_add_u32 s4, s18, s4
	v_mov_b32_e32 v19, 0
	s_addc_u32 s5, s19, s5
	v_lshlrev_b64 v[28:29], 3, v[18:19]
	v_mov_b32_e32 v17, s5
	v_add_co_u32_e32 v28, vcc, s4, v28
	v_addc_co_u32_e32 v29, vcc, v17, v29, vcc
	global_store_dwordx2 v[28:29], v[10:11], off
.LBB696_101:
	s_or_b64 exec, exec, s[2:3]
	s_branch .LBB696_84
.LBB696_102:
	v_and_b32_e32 v17, 1, v12
	v_cmp_eq_u32_e32 vcc, 1, v17
	s_and_saveexec_b64 s[2:3], vcc
	s_cbranch_execz .LBB696_104
; %bb.103:
	v_sub_u32_e32 v17, v26, v15
	v_lshlrev_b32_e32 v17, 3, v17
	ds_write_b64 v17, v[6:7]
.LBB696_104:
	s_or_b64 exec, exec, s[2:3]
	v_and_b32_e32 v1, 1, v1
	v_cmp_eq_u32_e32 vcc, 1, v1
	s_and_saveexec_b64 s[2:3], vcc
	s_cbranch_execz .LBB696_106
; %bb.105:
	v_sub_u32_e32 v1, v24, v15
	v_lshlrev_b32_e32 v1, 3, v1
	ds_write_b64 v1, v[8:9]
.LBB696_106:
	s_or_b64 exec, exec, s[2:3]
	v_mov_b32_e32 v1, 1
	v_and_b32_sdwa v1, v1, v12 dst_sel:DWORD dst_unused:UNUSED_PAD src0_sel:DWORD src1_sel:WORD_1
	v_cmp_eq_u32_e32 vcc, 1, v1
	s_and_saveexec_b64 s[2:3], vcc
	s_cbranch_execz .LBB696_108
; %bb.107:
	v_sub_u32_e32 v1, v22, v15
	v_lshlrev_b32_e32 v1, 3, v1
	ds_write_b64 v1, v[2:3]
.LBB696_108:
	s_or_b64 exec, exec, s[2:3]
	v_and_b32_e32 v1, 1, v16
	v_cmp_eq_u32_e32 vcc, 1, v1
	s_and_saveexec_b64 s[2:3], vcc
	s_cbranch_execz .LBB696_110
; %bb.109:
	v_sub_u32_e32 v1, v20, v15
	v_lshlrev_b32_e32 v1, 3, v1
	ds_write_b64 v1, v[4:5]
.LBB696_110:
	s_or_b64 exec, exec, s[2:3]
	v_and_b32_e32 v1, 1, v13
	v_cmp_eq_u32_e32 vcc, 1, v1
	s_and_saveexec_b64 s[2:3], vcc
	s_cbranch_execz .LBB696_112
; %bb.111:
	v_sub_u32_e32 v1, v18, v15
	v_lshlrev_b32_e32 v1, 3, v1
	ds_write_b64 v1, v[10:11]
.LBB696_112:
	s_or_b64 exec, exec, s[2:3]
	v_cmp_lt_u32_e32 vcc, v0, v14
	s_waitcnt lgkmcnt(0)
	s_barrier
	s_and_saveexec_b64 s[2:3], vcc
	s_cbranch_execz .LBB696_115
; %bb.113:
	v_mov_b32_e32 v1, 0
	v_mov_b32_e32 v2, v15
	v_mov_b32_e32 v3, v1
	v_lshlrev_b64 v[2:3], 3, v[2:3]
	v_mov_b32_e32 v4, s19
	v_add_co_u32_e32 v2, vcc, s18, v2
	v_addc_co_u32_e32 v3, vcc, v4, v3, vcc
	s_lshl_b64 s[4:5], s[22:23], 3
	v_mov_b32_e32 v4, s5
	v_add_co_u32_e32 v2, vcc, s4, v2
	v_addc_co_u32_e32 v3, vcc, v3, v4, vcc
	v_lshlrev_b32_e32 v4, 3, v0
	s_mov_b64 s[4:5], 0
.LBB696_114:                            ; =>This Inner Loop Header: Depth=1
	ds_read_b64 v[6:7], v4
	v_lshlrev_b64 v[8:9], 3, v[0:1]
	v_add_co_u32_e32 v8, vcc, v2, v8
	v_add_u32_e32 v0, 0x100, v0
	v_addc_co_u32_e32 v9, vcc, v3, v9, vcc
	v_cmp_ge_u32_e32 vcc, v0, v14
	v_add_u32_e32 v4, 0x800, v4
	s_or_b64 s[4:5], vcc, s[4:5]
	s_waitcnt lgkmcnt(0)
	global_store_dwordx2 v[8:9], v[6:7], off
	s_andn2_b64 exec, exec, s[4:5]
	s_cbranch_execnz .LBB696_114
.LBB696_115:
	s_or_b64 exec, exec, s[2:3]
	s_and_b64 s[0:1], s[0:1], s[24:25]
	s_and_saveexec_b64 s[2:3], s[0:1]
	s_cbranch_execz .LBB696_85
.LBB696_116:
	v_mov_b32_e32 v0, s23
	v_add_co_u32_e32 v1, vcc, s22, v14
	v_addc_co_u32_e32 v3, vcc, 0, v0, vcc
	v_add_co_u32_e32 v0, vcc, v1, v15
	v_mov_b32_e32 v2, 0
	v_addc_co_u32_e32 v1, vcc, 0, v3, vcc
	global_store_dwordx2 v2, v[0:1], s[20:21]
	s_endpgm
	.section	.rodata,"a",@progbits
	.p2align	6, 0x0
	.amdhsa_kernel _ZN7rocprim17ROCPRIM_400000_NS6detail17trampoline_kernelINS0_14default_configENS1_25partition_config_selectorILNS1_17partition_subalgoE8EmNS0_10empty_typeEbEEZZNS1_14partition_implILS5_8ELb0ES3_jPKmPS6_PKS6_NS0_5tupleIJPmS6_EEENSE_IJSB_SB_EEENS0_18inequality_wrapperIN6hipcub16HIPCUB_304000_NS8EqualityEEEPlJS6_EEE10hipError_tPvRmT3_T4_T5_T6_T7_T9_mT8_P12ihipStream_tbDpT10_ENKUlT_T0_E_clISt17integral_constantIbLb1EES17_EEDaS12_S13_EUlS12_E_NS1_11comp_targetILNS1_3genE4ELNS1_11target_archE910ELNS1_3gpuE8ELNS1_3repE0EEENS1_30default_config_static_selectorELNS0_4arch9wavefront6targetE1EEEvT1_
		.amdhsa_group_segment_fixed_size 10248
		.amdhsa_private_segment_fixed_size 0
		.amdhsa_kernarg_size 128
		.amdhsa_user_sgpr_count 6
		.amdhsa_user_sgpr_private_segment_buffer 1
		.amdhsa_user_sgpr_dispatch_ptr 0
		.amdhsa_user_sgpr_queue_ptr 0
		.amdhsa_user_sgpr_kernarg_segment_ptr 1
		.amdhsa_user_sgpr_dispatch_id 0
		.amdhsa_user_sgpr_flat_scratch_init 0
		.amdhsa_user_sgpr_kernarg_preload_length 0
		.amdhsa_user_sgpr_kernarg_preload_offset 0
		.amdhsa_user_sgpr_private_segment_size 0
		.amdhsa_uses_dynamic_stack 0
		.amdhsa_system_sgpr_private_segment_wavefront_offset 0
		.amdhsa_system_sgpr_workgroup_id_x 1
		.amdhsa_system_sgpr_workgroup_id_y 0
		.amdhsa_system_sgpr_workgroup_id_z 0
		.amdhsa_system_sgpr_workgroup_info 0
		.amdhsa_system_vgpr_workitem_id 0
		.amdhsa_next_free_vgpr 47
		.amdhsa_next_free_sgpr 42
		.amdhsa_accum_offset 48
		.amdhsa_reserve_vcc 1
		.amdhsa_reserve_flat_scratch 0
		.amdhsa_float_round_mode_32 0
		.amdhsa_float_round_mode_16_64 0
		.amdhsa_float_denorm_mode_32 3
		.amdhsa_float_denorm_mode_16_64 3
		.amdhsa_dx10_clamp 1
		.amdhsa_ieee_mode 1
		.amdhsa_fp16_overflow 0
		.amdhsa_tg_split 0
		.amdhsa_exception_fp_ieee_invalid_op 0
		.amdhsa_exception_fp_denorm_src 0
		.amdhsa_exception_fp_ieee_div_zero 0
		.amdhsa_exception_fp_ieee_overflow 0
		.amdhsa_exception_fp_ieee_underflow 0
		.amdhsa_exception_fp_ieee_inexact 0
		.amdhsa_exception_int_div_zero 0
	.end_amdhsa_kernel
	.section	.text._ZN7rocprim17ROCPRIM_400000_NS6detail17trampoline_kernelINS0_14default_configENS1_25partition_config_selectorILNS1_17partition_subalgoE8EmNS0_10empty_typeEbEEZZNS1_14partition_implILS5_8ELb0ES3_jPKmPS6_PKS6_NS0_5tupleIJPmS6_EEENSE_IJSB_SB_EEENS0_18inequality_wrapperIN6hipcub16HIPCUB_304000_NS8EqualityEEEPlJS6_EEE10hipError_tPvRmT3_T4_T5_T6_T7_T9_mT8_P12ihipStream_tbDpT10_ENKUlT_T0_E_clISt17integral_constantIbLb1EES17_EEDaS12_S13_EUlS12_E_NS1_11comp_targetILNS1_3genE4ELNS1_11target_archE910ELNS1_3gpuE8ELNS1_3repE0EEENS1_30default_config_static_selectorELNS0_4arch9wavefront6targetE1EEEvT1_,"axG",@progbits,_ZN7rocprim17ROCPRIM_400000_NS6detail17trampoline_kernelINS0_14default_configENS1_25partition_config_selectorILNS1_17partition_subalgoE8EmNS0_10empty_typeEbEEZZNS1_14partition_implILS5_8ELb0ES3_jPKmPS6_PKS6_NS0_5tupleIJPmS6_EEENSE_IJSB_SB_EEENS0_18inequality_wrapperIN6hipcub16HIPCUB_304000_NS8EqualityEEEPlJS6_EEE10hipError_tPvRmT3_T4_T5_T6_T7_T9_mT8_P12ihipStream_tbDpT10_ENKUlT_T0_E_clISt17integral_constantIbLb1EES17_EEDaS12_S13_EUlS12_E_NS1_11comp_targetILNS1_3genE4ELNS1_11target_archE910ELNS1_3gpuE8ELNS1_3repE0EEENS1_30default_config_static_selectorELNS0_4arch9wavefront6targetE1EEEvT1_,comdat
.Lfunc_end696:
	.size	_ZN7rocprim17ROCPRIM_400000_NS6detail17trampoline_kernelINS0_14default_configENS1_25partition_config_selectorILNS1_17partition_subalgoE8EmNS0_10empty_typeEbEEZZNS1_14partition_implILS5_8ELb0ES3_jPKmPS6_PKS6_NS0_5tupleIJPmS6_EEENSE_IJSB_SB_EEENS0_18inequality_wrapperIN6hipcub16HIPCUB_304000_NS8EqualityEEEPlJS6_EEE10hipError_tPvRmT3_T4_T5_T6_T7_T9_mT8_P12ihipStream_tbDpT10_ENKUlT_T0_E_clISt17integral_constantIbLb1EES17_EEDaS12_S13_EUlS12_E_NS1_11comp_targetILNS1_3genE4ELNS1_11target_archE910ELNS1_3gpuE8ELNS1_3repE0EEENS1_30default_config_static_selectorELNS0_4arch9wavefront6targetE1EEEvT1_, .Lfunc_end696-_ZN7rocprim17ROCPRIM_400000_NS6detail17trampoline_kernelINS0_14default_configENS1_25partition_config_selectorILNS1_17partition_subalgoE8EmNS0_10empty_typeEbEEZZNS1_14partition_implILS5_8ELb0ES3_jPKmPS6_PKS6_NS0_5tupleIJPmS6_EEENSE_IJSB_SB_EEENS0_18inequality_wrapperIN6hipcub16HIPCUB_304000_NS8EqualityEEEPlJS6_EEE10hipError_tPvRmT3_T4_T5_T6_T7_T9_mT8_P12ihipStream_tbDpT10_ENKUlT_T0_E_clISt17integral_constantIbLb1EES17_EEDaS12_S13_EUlS12_E_NS1_11comp_targetILNS1_3genE4ELNS1_11target_archE910ELNS1_3gpuE8ELNS1_3repE0EEENS1_30default_config_static_selectorELNS0_4arch9wavefront6targetE1EEEvT1_
                                        ; -- End function
	.section	.AMDGPU.csdata,"",@progbits
; Kernel info:
; codeLenInByte = 4828
; NumSgprs: 46
; NumVgprs: 47
; NumAgprs: 0
; TotalNumVgprs: 47
; ScratchSize: 0
; MemoryBound: 0
; FloatMode: 240
; IeeeMode: 1
; LDSByteSize: 10248 bytes/workgroup (compile time only)
; SGPRBlocks: 5
; VGPRBlocks: 5
; NumSGPRsForWavesPerEU: 46
; NumVGPRsForWavesPerEU: 47
; AccumOffset: 48
; Occupancy: 6
; WaveLimiterHint : 1
; COMPUTE_PGM_RSRC2:SCRATCH_EN: 0
; COMPUTE_PGM_RSRC2:USER_SGPR: 6
; COMPUTE_PGM_RSRC2:TRAP_HANDLER: 0
; COMPUTE_PGM_RSRC2:TGID_X_EN: 1
; COMPUTE_PGM_RSRC2:TGID_Y_EN: 0
; COMPUTE_PGM_RSRC2:TGID_Z_EN: 0
; COMPUTE_PGM_RSRC2:TIDIG_COMP_CNT: 0
; COMPUTE_PGM_RSRC3_GFX90A:ACCUM_OFFSET: 11
; COMPUTE_PGM_RSRC3_GFX90A:TG_SPLIT: 0
	.section	.text._ZN7rocprim17ROCPRIM_400000_NS6detail17trampoline_kernelINS0_14default_configENS1_25partition_config_selectorILNS1_17partition_subalgoE8EmNS0_10empty_typeEbEEZZNS1_14partition_implILS5_8ELb0ES3_jPKmPS6_PKS6_NS0_5tupleIJPmS6_EEENSE_IJSB_SB_EEENS0_18inequality_wrapperIN6hipcub16HIPCUB_304000_NS8EqualityEEEPlJS6_EEE10hipError_tPvRmT3_T4_T5_T6_T7_T9_mT8_P12ihipStream_tbDpT10_ENKUlT_T0_E_clISt17integral_constantIbLb1EES17_EEDaS12_S13_EUlS12_E_NS1_11comp_targetILNS1_3genE3ELNS1_11target_archE908ELNS1_3gpuE7ELNS1_3repE0EEENS1_30default_config_static_selectorELNS0_4arch9wavefront6targetE1EEEvT1_,"axG",@progbits,_ZN7rocprim17ROCPRIM_400000_NS6detail17trampoline_kernelINS0_14default_configENS1_25partition_config_selectorILNS1_17partition_subalgoE8EmNS0_10empty_typeEbEEZZNS1_14partition_implILS5_8ELb0ES3_jPKmPS6_PKS6_NS0_5tupleIJPmS6_EEENSE_IJSB_SB_EEENS0_18inequality_wrapperIN6hipcub16HIPCUB_304000_NS8EqualityEEEPlJS6_EEE10hipError_tPvRmT3_T4_T5_T6_T7_T9_mT8_P12ihipStream_tbDpT10_ENKUlT_T0_E_clISt17integral_constantIbLb1EES17_EEDaS12_S13_EUlS12_E_NS1_11comp_targetILNS1_3genE3ELNS1_11target_archE908ELNS1_3gpuE7ELNS1_3repE0EEENS1_30default_config_static_selectorELNS0_4arch9wavefront6targetE1EEEvT1_,comdat
	.protected	_ZN7rocprim17ROCPRIM_400000_NS6detail17trampoline_kernelINS0_14default_configENS1_25partition_config_selectorILNS1_17partition_subalgoE8EmNS0_10empty_typeEbEEZZNS1_14partition_implILS5_8ELb0ES3_jPKmPS6_PKS6_NS0_5tupleIJPmS6_EEENSE_IJSB_SB_EEENS0_18inequality_wrapperIN6hipcub16HIPCUB_304000_NS8EqualityEEEPlJS6_EEE10hipError_tPvRmT3_T4_T5_T6_T7_T9_mT8_P12ihipStream_tbDpT10_ENKUlT_T0_E_clISt17integral_constantIbLb1EES17_EEDaS12_S13_EUlS12_E_NS1_11comp_targetILNS1_3genE3ELNS1_11target_archE908ELNS1_3gpuE7ELNS1_3repE0EEENS1_30default_config_static_selectorELNS0_4arch9wavefront6targetE1EEEvT1_ ; -- Begin function _ZN7rocprim17ROCPRIM_400000_NS6detail17trampoline_kernelINS0_14default_configENS1_25partition_config_selectorILNS1_17partition_subalgoE8EmNS0_10empty_typeEbEEZZNS1_14partition_implILS5_8ELb0ES3_jPKmPS6_PKS6_NS0_5tupleIJPmS6_EEENSE_IJSB_SB_EEENS0_18inequality_wrapperIN6hipcub16HIPCUB_304000_NS8EqualityEEEPlJS6_EEE10hipError_tPvRmT3_T4_T5_T6_T7_T9_mT8_P12ihipStream_tbDpT10_ENKUlT_T0_E_clISt17integral_constantIbLb1EES17_EEDaS12_S13_EUlS12_E_NS1_11comp_targetILNS1_3genE3ELNS1_11target_archE908ELNS1_3gpuE7ELNS1_3repE0EEENS1_30default_config_static_selectorELNS0_4arch9wavefront6targetE1EEEvT1_
	.globl	_ZN7rocprim17ROCPRIM_400000_NS6detail17trampoline_kernelINS0_14default_configENS1_25partition_config_selectorILNS1_17partition_subalgoE8EmNS0_10empty_typeEbEEZZNS1_14partition_implILS5_8ELb0ES3_jPKmPS6_PKS6_NS0_5tupleIJPmS6_EEENSE_IJSB_SB_EEENS0_18inequality_wrapperIN6hipcub16HIPCUB_304000_NS8EqualityEEEPlJS6_EEE10hipError_tPvRmT3_T4_T5_T6_T7_T9_mT8_P12ihipStream_tbDpT10_ENKUlT_T0_E_clISt17integral_constantIbLb1EES17_EEDaS12_S13_EUlS12_E_NS1_11comp_targetILNS1_3genE3ELNS1_11target_archE908ELNS1_3gpuE7ELNS1_3repE0EEENS1_30default_config_static_selectorELNS0_4arch9wavefront6targetE1EEEvT1_
	.p2align	8
	.type	_ZN7rocprim17ROCPRIM_400000_NS6detail17trampoline_kernelINS0_14default_configENS1_25partition_config_selectorILNS1_17partition_subalgoE8EmNS0_10empty_typeEbEEZZNS1_14partition_implILS5_8ELb0ES3_jPKmPS6_PKS6_NS0_5tupleIJPmS6_EEENSE_IJSB_SB_EEENS0_18inequality_wrapperIN6hipcub16HIPCUB_304000_NS8EqualityEEEPlJS6_EEE10hipError_tPvRmT3_T4_T5_T6_T7_T9_mT8_P12ihipStream_tbDpT10_ENKUlT_T0_E_clISt17integral_constantIbLb1EES17_EEDaS12_S13_EUlS12_E_NS1_11comp_targetILNS1_3genE3ELNS1_11target_archE908ELNS1_3gpuE7ELNS1_3repE0EEENS1_30default_config_static_selectorELNS0_4arch9wavefront6targetE1EEEvT1_,@function
_ZN7rocprim17ROCPRIM_400000_NS6detail17trampoline_kernelINS0_14default_configENS1_25partition_config_selectorILNS1_17partition_subalgoE8EmNS0_10empty_typeEbEEZZNS1_14partition_implILS5_8ELb0ES3_jPKmPS6_PKS6_NS0_5tupleIJPmS6_EEENSE_IJSB_SB_EEENS0_18inequality_wrapperIN6hipcub16HIPCUB_304000_NS8EqualityEEEPlJS6_EEE10hipError_tPvRmT3_T4_T5_T6_T7_T9_mT8_P12ihipStream_tbDpT10_ENKUlT_T0_E_clISt17integral_constantIbLb1EES17_EEDaS12_S13_EUlS12_E_NS1_11comp_targetILNS1_3genE3ELNS1_11target_archE908ELNS1_3gpuE7ELNS1_3repE0EEENS1_30default_config_static_selectorELNS0_4arch9wavefront6targetE1EEEvT1_: ; @_ZN7rocprim17ROCPRIM_400000_NS6detail17trampoline_kernelINS0_14default_configENS1_25partition_config_selectorILNS1_17partition_subalgoE8EmNS0_10empty_typeEbEEZZNS1_14partition_implILS5_8ELb0ES3_jPKmPS6_PKS6_NS0_5tupleIJPmS6_EEENSE_IJSB_SB_EEENS0_18inequality_wrapperIN6hipcub16HIPCUB_304000_NS8EqualityEEEPlJS6_EEE10hipError_tPvRmT3_T4_T5_T6_T7_T9_mT8_P12ihipStream_tbDpT10_ENKUlT_T0_E_clISt17integral_constantIbLb1EES17_EEDaS12_S13_EUlS12_E_NS1_11comp_targetILNS1_3genE3ELNS1_11target_archE908ELNS1_3gpuE7ELNS1_3repE0EEENS1_30default_config_static_selectorELNS0_4arch9wavefront6targetE1EEEvT1_
; %bb.0:
	.section	.rodata,"a",@progbits
	.p2align	6, 0x0
	.amdhsa_kernel _ZN7rocprim17ROCPRIM_400000_NS6detail17trampoline_kernelINS0_14default_configENS1_25partition_config_selectorILNS1_17partition_subalgoE8EmNS0_10empty_typeEbEEZZNS1_14partition_implILS5_8ELb0ES3_jPKmPS6_PKS6_NS0_5tupleIJPmS6_EEENSE_IJSB_SB_EEENS0_18inequality_wrapperIN6hipcub16HIPCUB_304000_NS8EqualityEEEPlJS6_EEE10hipError_tPvRmT3_T4_T5_T6_T7_T9_mT8_P12ihipStream_tbDpT10_ENKUlT_T0_E_clISt17integral_constantIbLb1EES17_EEDaS12_S13_EUlS12_E_NS1_11comp_targetILNS1_3genE3ELNS1_11target_archE908ELNS1_3gpuE7ELNS1_3repE0EEENS1_30default_config_static_selectorELNS0_4arch9wavefront6targetE1EEEvT1_
		.amdhsa_group_segment_fixed_size 0
		.amdhsa_private_segment_fixed_size 0
		.amdhsa_kernarg_size 128
		.amdhsa_user_sgpr_count 6
		.amdhsa_user_sgpr_private_segment_buffer 1
		.amdhsa_user_sgpr_dispatch_ptr 0
		.amdhsa_user_sgpr_queue_ptr 0
		.amdhsa_user_sgpr_kernarg_segment_ptr 1
		.amdhsa_user_sgpr_dispatch_id 0
		.amdhsa_user_sgpr_flat_scratch_init 0
		.amdhsa_user_sgpr_kernarg_preload_length 0
		.amdhsa_user_sgpr_kernarg_preload_offset 0
		.amdhsa_user_sgpr_private_segment_size 0
		.amdhsa_uses_dynamic_stack 0
		.amdhsa_system_sgpr_private_segment_wavefront_offset 0
		.amdhsa_system_sgpr_workgroup_id_x 1
		.amdhsa_system_sgpr_workgroup_id_y 0
		.amdhsa_system_sgpr_workgroup_id_z 0
		.amdhsa_system_sgpr_workgroup_info 0
		.amdhsa_system_vgpr_workitem_id 0
		.amdhsa_next_free_vgpr 1
		.amdhsa_next_free_sgpr 0
		.amdhsa_accum_offset 4
		.amdhsa_reserve_vcc 0
		.amdhsa_reserve_flat_scratch 0
		.amdhsa_float_round_mode_32 0
		.amdhsa_float_round_mode_16_64 0
		.amdhsa_float_denorm_mode_32 3
		.amdhsa_float_denorm_mode_16_64 3
		.amdhsa_dx10_clamp 1
		.amdhsa_ieee_mode 1
		.amdhsa_fp16_overflow 0
		.amdhsa_tg_split 0
		.amdhsa_exception_fp_ieee_invalid_op 0
		.amdhsa_exception_fp_denorm_src 0
		.amdhsa_exception_fp_ieee_div_zero 0
		.amdhsa_exception_fp_ieee_overflow 0
		.amdhsa_exception_fp_ieee_underflow 0
		.amdhsa_exception_fp_ieee_inexact 0
		.amdhsa_exception_int_div_zero 0
	.end_amdhsa_kernel
	.section	.text._ZN7rocprim17ROCPRIM_400000_NS6detail17trampoline_kernelINS0_14default_configENS1_25partition_config_selectorILNS1_17partition_subalgoE8EmNS0_10empty_typeEbEEZZNS1_14partition_implILS5_8ELb0ES3_jPKmPS6_PKS6_NS0_5tupleIJPmS6_EEENSE_IJSB_SB_EEENS0_18inequality_wrapperIN6hipcub16HIPCUB_304000_NS8EqualityEEEPlJS6_EEE10hipError_tPvRmT3_T4_T5_T6_T7_T9_mT8_P12ihipStream_tbDpT10_ENKUlT_T0_E_clISt17integral_constantIbLb1EES17_EEDaS12_S13_EUlS12_E_NS1_11comp_targetILNS1_3genE3ELNS1_11target_archE908ELNS1_3gpuE7ELNS1_3repE0EEENS1_30default_config_static_selectorELNS0_4arch9wavefront6targetE1EEEvT1_,"axG",@progbits,_ZN7rocprim17ROCPRIM_400000_NS6detail17trampoline_kernelINS0_14default_configENS1_25partition_config_selectorILNS1_17partition_subalgoE8EmNS0_10empty_typeEbEEZZNS1_14partition_implILS5_8ELb0ES3_jPKmPS6_PKS6_NS0_5tupleIJPmS6_EEENSE_IJSB_SB_EEENS0_18inequality_wrapperIN6hipcub16HIPCUB_304000_NS8EqualityEEEPlJS6_EEE10hipError_tPvRmT3_T4_T5_T6_T7_T9_mT8_P12ihipStream_tbDpT10_ENKUlT_T0_E_clISt17integral_constantIbLb1EES17_EEDaS12_S13_EUlS12_E_NS1_11comp_targetILNS1_3genE3ELNS1_11target_archE908ELNS1_3gpuE7ELNS1_3repE0EEENS1_30default_config_static_selectorELNS0_4arch9wavefront6targetE1EEEvT1_,comdat
.Lfunc_end697:
	.size	_ZN7rocprim17ROCPRIM_400000_NS6detail17trampoline_kernelINS0_14default_configENS1_25partition_config_selectorILNS1_17partition_subalgoE8EmNS0_10empty_typeEbEEZZNS1_14partition_implILS5_8ELb0ES3_jPKmPS6_PKS6_NS0_5tupleIJPmS6_EEENSE_IJSB_SB_EEENS0_18inequality_wrapperIN6hipcub16HIPCUB_304000_NS8EqualityEEEPlJS6_EEE10hipError_tPvRmT3_T4_T5_T6_T7_T9_mT8_P12ihipStream_tbDpT10_ENKUlT_T0_E_clISt17integral_constantIbLb1EES17_EEDaS12_S13_EUlS12_E_NS1_11comp_targetILNS1_3genE3ELNS1_11target_archE908ELNS1_3gpuE7ELNS1_3repE0EEENS1_30default_config_static_selectorELNS0_4arch9wavefront6targetE1EEEvT1_, .Lfunc_end697-_ZN7rocprim17ROCPRIM_400000_NS6detail17trampoline_kernelINS0_14default_configENS1_25partition_config_selectorILNS1_17partition_subalgoE8EmNS0_10empty_typeEbEEZZNS1_14partition_implILS5_8ELb0ES3_jPKmPS6_PKS6_NS0_5tupleIJPmS6_EEENSE_IJSB_SB_EEENS0_18inequality_wrapperIN6hipcub16HIPCUB_304000_NS8EqualityEEEPlJS6_EEE10hipError_tPvRmT3_T4_T5_T6_T7_T9_mT8_P12ihipStream_tbDpT10_ENKUlT_T0_E_clISt17integral_constantIbLb1EES17_EEDaS12_S13_EUlS12_E_NS1_11comp_targetILNS1_3genE3ELNS1_11target_archE908ELNS1_3gpuE7ELNS1_3repE0EEENS1_30default_config_static_selectorELNS0_4arch9wavefront6targetE1EEEvT1_
                                        ; -- End function
	.section	.AMDGPU.csdata,"",@progbits
; Kernel info:
; codeLenInByte = 0
; NumSgprs: 4
; NumVgprs: 0
; NumAgprs: 0
; TotalNumVgprs: 0
; ScratchSize: 0
; MemoryBound: 0
; FloatMode: 240
; IeeeMode: 1
; LDSByteSize: 0 bytes/workgroup (compile time only)
; SGPRBlocks: 0
; VGPRBlocks: 0
; NumSGPRsForWavesPerEU: 4
; NumVGPRsForWavesPerEU: 1
; AccumOffset: 4
; Occupancy: 8
; WaveLimiterHint : 0
; COMPUTE_PGM_RSRC2:SCRATCH_EN: 0
; COMPUTE_PGM_RSRC2:USER_SGPR: 6
; COMPUTE_PGM_RSRC2:TRAP_HANDLER: 0
; COMPUTE_PGM_RSRC2:TGID_X_EN: 1
; COMPUTE_PGM_RSRC2:TGID_Y_EN: 0
; COMPUTE_PGM_RSRC2:TGID_Z_EN: 0
; COMPUTE_PGM_RSRC2:TIDIG_COMP_CNT: 0
; COMPUTE_PGM_RSRC3_GFX90A:ACCUM_OFFSET: 0
; COMPUTE_PGM_RSRC3_GFX90A:TG_SPLIT: 0
	.section	.text._ZN7rocprim17ROCPRIM_400000_NS6detail17trampoline_kernelINS0_14default_configENS1_25partition_config_selectorILNS1_17partition_subalgoE8EmNS0_10empty_typeEbEEZZNS1_14partition_implILS5_8ELb0ES3_jPKmPS6_PKS6_NS0_5tupleIJPmS6_EEENSE_IJSB_SB_EEENS0_18inequality_wrapperIN6hipcub16HIPCUB_304000_NS8EqualityEEEPlJS6_EEE10hipError_tPvRmT3_T4_T5_T6_T7_T9_mT8_P12ihipStream_tbDpT10_ENKUlT_T0_E_clISt17integral_constantIbLb1EES17_EEDaS12_S13_EUlS12_E_NS1_11comp_targetILNS1_3genE2ELNS1_11target_archE906ELNS1_3gpuE6ELNS1_3repE0EEENS1_30default_config_static_selectorELNS0_4arch9wavefront6targetE1EEEvT1_,"axG",@progbits,_ZN7rocprim17ROCPRIM_400000_NS6detail17trampoline_kernelINS0_14default_configENS1_25partition_config_selectorILNS1_17partition_subalgoE8EmNS0_10empty_typeEbEEZZNS1_14partition_implILS5_8ELb0ES3_jPKmPS6_PKS6_NS0_5tupleIJPmS6_EEENSE_IJSB_SB_EEENS0_18inequality_wrapperIN6hipcub16HIPCUB_304000_NS8EqualityEEEPlJS6_EEE10hipError_tPvRmT3_T4_T5_T6_T7_T9_mT8_P12ihipStream_tbDpT10_ENKUlT_T0_E_clISt17integral_constantIbLb1EES17_EEDaS12_S13_EUlS12_E_NS1_11comp_targetILNS1_3genE2ELNS1_11target_archE906ELNS1_3gpuE6ELNS1_3repE0EEENS1_30default_config_static_selectorELNS0_4arch9wavefront6targetE1EEEvT1_,comdat
	.protected	_ZN7rocprim17ROCPRIM_400000_NS6detail17trampoline_kernelINS0_14default_configENS1_25partition_config_selectorILNS1_17partition_subalgoE8EmNS0_10empty_typeEbEEZZNS1_14partition_implILS5_8ELb0ES3_jPKmPS6_PKS6_NS0_5tupleIJPmS6_EEENSE_IJSB_SB_EEENS0_18inequality_wrapperIN6hipcub16HIPCUB_304000_NS8EqualityEEEPlJS6_EEE10hipError_tPvRmT3_T4_T5_T6_T7_T9_mT8_P12ihipStream_tbDpT10_ENKUlT_T0_E_clISt17integral_constantIbLb1EES17_EEDaS12_S13_EUlS12_E_NS1_11comp_targetILNS1_3genE2ELNS1_11target_archE906ELNS1_3gpuE6ELNS1_3repE0EEENS1_30default_config_static_selectorELNS0_4arch9wavefront6targetE1EEEvT1_ ; -- Begin function _ZN7rocprim17ROCPRIM_400000_NS6detail17trampoline_kernelINS0_14default_configENS1_25partition_config_selectorILNS1_17partition_subalgoE8EmNS0_10empty_typeEbEEZZNS1_14partition_implILS5_8ELb0ES3_jPKmPS6_PKS6_NS0_5tupleIJPmS6_EEENSE_IJSB_SB_EEENS0_18inequality_wrapperIN6hipcub16HIPCUB_304000_NS8EqualityEEEPlJS6_EEE10hipError_tPvRmT3_T4_T5_T6_T7_T9_mT8_P12ihipStream_tbDpT10_ENKUlT_T0_E_clISt17integral_constantIbLb1EES17_EEDaS12_S13_EUlS12_E_NS1_11comp_targetILNS1_3genE2ELNS1_11target_archE906ELNS1_3gpuE6ELNS1_3repE0EEENS1_30default_config_static_selectorELNS0_4arch9wavefront6targetE1EEEvT1_
	.globl	_ZN7rocprim17ROCPRIM_400000_NS6detail17trampoline_kernelINS0_14default_configENS1_25partition_config_selectorILNS1_17partition_subalgoE8EmNS0_10empty_typeEbEEZZNS1_14partition_implILS5_8ELb0ES3_jPKmPS6_PKS6_NS0_5tupleIJPmS6_EEENSE_IJSB_SB_EEENS0_18inequality_wrapperIN6hipcub16HIPCUB_304000_NS8EqualityEEEPlJS6_EEE10hipError_tPvRmT3_T4_T5_T6_T7_T9_mT8_P12ihipStream_tbDpT10_ENKUlT_T0_E_clISt17integral_constantIbLb1EES17_EEDaS12_S13_EUlS12_E_NS1_11comp_targetILNS1_3genE2ELNS1_11target_archE906ELNS1_3gpuE6ELNS1_3repE0EEENS1_30default_config_static_selectorELNS0_4arch9wavefront6targetE1EEEvT1_
	.p2align	8
	.type	_ZN7rocprim17ROCPRIM_400000_NS6detail17trampoline_kernelINS0_14default_configENS1_25partition_config_selectorILNS1_17partition_subalgoE8EmNS0_10empty_typeEbEEZZNS1_14partition_implILS5_8ELb0ES3_jPKmPS6_PKS6_NS0_5tupleIJPmS6_EEENSE_IJSB_SB_EEENS0_18inequality_wrapperIN6hipcub16HIPCUB_304000_NS8EqualityEEEPlJS6_EEE10hipError_tPvRmT3_T4_T5_T6_T7_T9_mT8_P12ihipStream_tbDpT10_ENKUlT_T0_E_clISt17integral_constantIbLb1EES17_EEDaS12_S13_EUlS12_E_NS1_11comp_targetILNS1_3genE2ELNS1_11target_archE906ELNS1_3gpuE6ELNS1_3repE0EEENS1_30default_config_static_selectorELNS0_4arch9wavefront6targetE1EEEvT1_,@function
_ZN7rocprim17ROCPRIM_400000_NS6detail17trampoline_kernelINS0_14default_configENS1_25partition_config_selectorILNS1_17partition_subalgoE8EmNS0_10empty_typeEbEEZZNS1_14partition_implILS5_8ELb0ES3_jPKmPS6_PKS6_NS0_5tupleIJPmS6_EEENSE_IJSB_SB_EEENS0_18inequality_wrapperIN6hipcub16HIPCUB_304000_NS8EqualityEEEPlJS6_EEE10hipError_tPvRmT3_T4_T5_T6_T7_T9_mT8_P12ihipStream_tbDpT10_ENKUlT_T0_E_clISt17integral_constantIbLb1EES17_EEDaS12_S13_EUlS12_E_NS1_11comp_targetILNS1_3genE2ELNS1_11target_archE906ELNS1_3gpuE6ELNS1_3repE0EEENS1_30default_config_static_selectorELNS0_4arch9wavefront6targetE1EEEvT1_: ; @_ZN7rocprim17ROCPRIM_400000_NS6detail17trampoline_kernelINS0_14default_configENS1_25partition_config_selectorILNS1_17partition_subalgoE8EmNS0_10empty_typeEbEEZZNS1_14partition_implILS5_8ELb0ES3_jPKmPS6_PKS6_NS0_5tupleIJPmS6_EEENSE_IJSB_SB_EEENS0_18inequality_wrapperIN6hipcub16HIPCUB_304000_NS8EqualityEEEPlJS6_EEE10hipError_tPvRmT3_T4_T5_T6_T7_T9_mT8_P12ihipStream_tbDpT10_ENKUlT_T0_E_clISt17integral_constantIbLb1EES17_EEDaS12_S13_EUlS12_E_NS1_11comp_targetILNS1_3genE2ELNS1_11target_archE906ELNS1_3gpuE6ELNS1_3repE0EEENS1_30default_config_static_selectorELNS0_4arch9wavefront6targetE1EEEvT1_
; %bb.0:
	.section	.rodata,"a",@progbits
	.p2align	6, 0x0
	.amdhsa_kernel _ZN7rocprim17ROCPRIM_400000_NS6detail17trampoline_kernelINS0_14default_configENS1_25partition_config_selectorILNS1_17partition_subalgoE8EmNS0_10empty_typeEbEEZZNS1_14partition_implILS5_8ELb0ES3_jPKmPS6_PKS6_NS0_5tupleIJPmS6_EEENSE_IJSB_SB_EEENS0_18inequality_wrapperIN6hipcub16HIPCUB_304000_NS8EqualityEEEPlJS6_EEE10hipError_tPvRmT3_T4_T5_T6_T7_T9_mT8_P12ihipStream_tbDpT10_ENKUlT_T0_E_clISt17integral_constantIbLb1EES17_EEDaS12_S13_EUlS12_E_NS1_11comp_targetILNS1_3genE2ELNS1_11target_archE906ELNS1_3gpuE6ELNS1_3repE0EEENS1_30default_config_static_selectorELNS0_4arch9wavefront6targetE1EEEvT1_
		.amdhsa_group_segment_fixed_size 0
		.amdhsa_private_segment_fixed_size 0
		.amdhsa_kernarg_size 128
		.amdhsa_user_sgpr_count 6
		.amdhsa_user_sgpr_private_segment_buffer 1
		.amdhsa_user_sgpr_dispatch_ptr 0
		.amdhsa_user_sgpr_queue_ptr 0
		.amdhsa_user_sgpr_kernarg_segment_ptr 1
		.amdhsa_user_sgpr_dispatch_id 0
		.amdhsa_user_sgpr_flat_scratch_init 0
		.amdhsa_user_sgpr_kernarg_preload_length 0
		.amdhsa_user_sgpr_kernarg_preload_offset 0
		.amdhsa_user_sgpr_private_segment_size 0
		.amdhsa_uses_dynamic_stack 0
		.amdhsa_system_sgpr_private_segment_wavefront_offset 0
		.amdhsa_system_sgpr_workgroup_id_x 1
		.amdhsa_system_sgpr_workgroup_id_y 0
		.amdhsa_system_sgpr_workgroup_id_z 0
		.amdhsa_system_sgpr_workgroup_info 0
		.amdhsa_system_vgpr_workitem_id 0
		.amdhsa_next_free_vgpr 1
		.amdhsa_next_free_sgpr 0
		.amdhsa_accum_offset 4
		.amdhsa_reserve_vcc 0
		.amdhsa_reserve_flat_scratch 0
		.amdhsa_float_round_mode_32 0
		.amdhsa_float_round_mode_16_64 0
		.amdhsa_float_denorm_mode_32 3
		.amdhsa_float_denorm_mode_16_64 3
		.amdhsa_dx10_clamp 1
		.amdhsa_ieee_mode 1
		.amdhsa_fp16_overflow 0
		.amdhsa_tg_split 0
		.amdhsa_exception_fp_ieee_invalid_op 0
		.amdhsa_exception_fp_denorm_src 0
		.amdhsa_exception_fp_ieee_div_zero 0
		.amdhsa_exception_fp_ieee_overflow 0
		.amdhsa_exception_fp_ieee_underflow 0
		.amdhsa_exception_fp_ieee_inexact 0
		.amdhsa_exception_int_div_zero 0
	.end_amdhsa_kernel
	.section	.text._ZN7rocprim17ROCPRIM_400000_NS6detail17trampoline_kernelINS0_14default_configENS1_25partition_config_selectorILNS1_17partition_subalgoE8EmNS0_10empty_typeEbEEZZNS1_14partition_implILS5_8ELb0ES3_jPKmPS6_PKS6_NS0_5tupleIJPmS6_EEENSE_IJSB_SB_EEENS0_18inequality_wrapperIN6hipcub16HIPCUB_304000_NS8EqualityEEEPlJS6_EEE10hipError_tPvRmT3_T4_T5_T6_T7_T9_mT8_P12ihipStream_tbDpT10_ENKUlT_T0_E_clISt17integral_constantIbLb1EES17_EEDaS12_S13_EUlS12_E_NS1_11comp_targetILNS1_3genE2ELNS1_11target_archE906ELNS1_3gpuE6ELNS1_3repE0EEENS1_30default_config_static_selectorELNS0_4arch9wavefront6targetE1EEEvT1_,"axG",@progbits,_ZN7rocprim17ROCPRIM_400000_NS6detail17trampoline_kernelINS0_14default_configENS1_25partition_config_selectorILNS1_17partition_subalgoE8EmNS0_10empty_typeEbEEZZNS1_14partition_implILS5_8ELb0ES3_jPKmPS6_PKS6_NS0_5tupleIJPmS6_EEENSE_IJSB_SB_EEENS0_18inequality_wrapperIN6hipcub16HIPCUB_304000_NS8EqualityEEEPlJS6_EEE10hipError_tPvRmT3_T4_T5_T6_T7_T9_mT8_P12ihipStream_tbDpT10_ENKUlT_T0_E_clISt17integral_constantIbLb1EES17_EEDaS12_S13_EUlS12_E_NS1_11comp_targetILNS1_3genE2ELNS1_11target_archE906ELNS1_3gpuE6ELNS1_3repE0EEENS1_30default_config_static_selectorELNS0_4arch9wavefront6targetE1EEEvT1_,comdat
.Lfunc_end698:
	.size	_ZN7rocprim17ROCPRIM_400000_NS6detail17trampoline_kernelINS0_14default_configENS1_25partition_config_selectorILNS1_17partition_subalgoE8EmNS0_10empty_typeEbEEZZNS1_14partition_implILS5_8ELb0ES3_jPKmPS6_PKS6_NS0_5tupleIJPmS6_EEENSE_IJSB_SB_EEENS0_18inequality_wrapperIN6hipcub16HIPCUB_304000_NS8EqualityEEEPlJS6_EEE10hipError_tPvRmT3_T4_T5_T6_T7_T9_mT8_P12ihipStream_tbDpT10_ENKUlT_T0_E_clISt17integral_constantIbLb1EES17_EEDaS12_S13_EUlS12_E_NS1_11comp_targetILNS1_3genE2ELNS1_11target_archE906ELNS1_3gpuE6ELNS1_3repE0EEENS1_30default_config_static_selectorELNS0_4arch9wavefront6targetE1EEEvT1_, .Lfunc_end698-_ZN7rocprim17ROCPRIM_400000_NS6detail17trampoline_kernelINS0_14default_configENS1_25partition_config_selectorILNS1_17partition_subalgoE8EmNS0_10empty_typeEbEEZZNS1_14partition_implILS5_8ELb0ES3_jPKmPS6_PKS6_NS0_5tupleIJPmS6_EEENSE_IJSB_SB_EEENS0_18inequality_wrapperIN6hipcub16HIPCUB_304000_NS8EqualityEEEPlJS6_EEE10hipError_tPvRmT3_T4_T5_T6_T7_T9_mT8_P12ihipStream_tbDpT10_ENKUlT_T0_E_clISt17integral_constantIbLb1EES17_EEDaS12_S13_EUlS12_E_NS1_11comp_targetILNS1_3genE2ELNS1_11target_archE906ELNS1_3gpuE6ELNS1_3repE0EEENS1_30default_config_static_selectorELNS0_4arch9wavefront6targetE1EEEvT1_
                                        ; -- End function
	.section	.AMDGPU.csdata,"",@progbits
; Kernel info:
; codeLenInByte = 0
; NumSgprs: 4
; NumVgprs: 0
; NumAgprs: 0
; TotalNumVgprs: 0
; ScratchSize: 0
; MemoryBound: 0
; FloatMode: 240
; IeeeMode: 1
; LDSByteSize: 0 bytes/workgroup (compile time only)
; SGPRBlocks: 0
; VGPRBlocks: 0
; NumSGPRsForWavesPerEU: 4
; NumVGPRsForWavesPerEU: 1
; AccumOffset: 4
; Occupancy: 8
; WaveLimiterHint : 0
; COMPUTE_PGM_RSRC2:SCRATCH_EN: 0
; COMPUTE_PGM_RSRC2:USER_SGPR: 6
; COMPUTE_PGM_RSRC2:TRAP_HANDLER: 0
; COMPUTE_PGM_RSRC2:TGID_X_EN: 1
; COMPUTE_PGM_RSRC2:TGID_Y_EN: 0
; COMPUTE_PGM_RSRC2:TGID_Z_EN: 0
; COMPUTE_PGM_RSRC2:TIDIG_COMP_CNT: 0
; COMPUTE_PGM_RSRC3_GFX90A:ACCUM_OFFSET: 0
; COMPUTE_PGM_RSRC3_GFX90A:TG_SPLIT: 0
	.section	.text._ZN7rocprim17ROCPRIM_400000_NS6detail17trampoline_kernelINS0_14default_configENS1_25partition_config_selectorILNS1_17partition_subalgoE8EmNS0_10empty_typeEbEEZZNS1_14partition_implILS5_8ELb0ES3_jPKmPS6_PKS6_NS0_5tupleIJPmS6_EEENSE_IJSB_SB_EEENS0_18inequality_wrapperIN6hipcub16HIPCUB_304000_NS8EqualityEEEPlJS6_EEE10hipError_tPvRmT3_T4_T5_T6_T7_T9_mT8_P12ihipStream_tbDpT10_ENKUlT_T0_E_clISt17integral_constantIbLb1EES17_EEDaS12_S13_EUlS12_E_NS1_11comp_targetILNS1_3genE10ELNS1_11target_archE1200ELNS1_3gpuE4ELNS1_3repE0EEENS1_30default_config_static_selectorELNS0_4arch9wavefront6targetE1EEEvT1_,"axG",@progbits,_ZN7rocprim17ROCPRIM_400000_NS6detail17trampoline_kernelINS0_14default_configENS1_25partition_config_selectorILNS1_17partition_subalgoE8EmNS0_10empty_typeEbEEZZNS1_14partition_implILS5_8ELb0ES3_jPKmPS6_PKS6_NS0_5tupleIJPmS6_EEENSE_IJSB_SB_EEENS0_18inequality_wrapperIN6hipcub16HIPCUB_304000_NS8EqualityEEEPlJS6_EEE10hipError_tPvRmT3_T4_T5_T6_T7_T9_mT8_P12ihipStream_tbDpT10_ENKUlT_T0_E_clISt17integral_constantIbLb1EES17_EEDaS12_S13_EUlS12_E_NS1_11comp_targetILNS1_3genE10ELNS1_11target_archE1200ELNS1_3gpuE4ELNS1_3repE0EEENS1_30default_config_static_selectorELNS0_4arch9wavefront6targetE1EEEvT1_,comdat
	.protected	_ZN7rocprim17ROCPRIM_400000_NS6detail17trampoline_kernelINS0_14default_configENS1_25partition_config_selectorILNS1_17partition_subalgoE8EmNS0_10empty_typeEbEEZZNS1_14partition_implILS5_8ELb0ES3_jPKmPS6_PKS6_NS0_5tupleIJPmS6_EEENSE_IJSB_SB_EEENS0_18inequality_wrapperIN6hipcub16HIPCUB_304000_NS8EqualityEEEPlJS6_EEE10hipError_tPvRmT3_T4_T5_T6_T7_T9_mT8_P12ihipStream_tbDpT10_ENKUlT_T0_E_clISt17integral_constantIbLb1EES17_EEDaS12_S13_EUlS12_E_NS1_11comp_targetILNS1_3genE10ELNS1_11target_archE1200ELNS1_3gpuE4ELNS1_3repE0EEENS1_30default_config_static_selectorELNS0_4arch9wavefront6targetE1EEEvT1_ ; -- Begin function _ZN7rocprim17ROCPRIM_400000_NS6detail17trampoline_kernelINS0_14default_configENS1_25partition_config_selectorILNS1_17partition_subalgoE8EmNS0_10empty_typeEbEEZZNS1_14partition_implILS5_8ELb0ES3_jPKmPS6_PKS6_NS0_5tupleIJPmS6_EEENSE_IJSB_SB_EEENS0_18inequality_wrapperIN6hipcub16HIPCUB_304000_NS8EqualityEEEPlJS6_EEE10hipError_tPvRmT3_T4_T5_T6_T7_T9_mT8_P12ihipStream_tbDpT10_ENKUlT_T0_E_clISt17integral_constantIbLb1EES17_EEDaS12_S13_EUlS12_E_NS1_11comp_targetILNS1_3genE10ELNS1_11target_archE1200ELNS1_3gpuE4ELNS1_3repE0EEENS1_30default_config_static_selectorELNS0_4arch9wavefront6targetE1EEEvT1_
	.globl	_ZN7rocprim17ROCPRIM_400000_NS6detail17trampoline_kernelINS0_14default_configENS1_25partition_config_selectorILNS1_17partition_subalgoE8EmNS0_10empty_typeEbEEZZNS1_14partition_implILS5_8ELb0ES3_jPKmPS6_PKS6_NS0_5tupleIJPmS6_EEENSE_IJSB_SB_EEENS0_18inequality_wrapperIN6hipcub16HIPCUB_304000_NS8EqualityEEEPlJS6_EEE10hipError_tPvRmT3_T4_T5_T6_T7_T9_mT8_P12ihipStream_tbDpT10_ENKUlT_T0_E_clISt17integral_constantIbLb1EES17_EEDaS12_S13_EUlS12_E_NS1_11comp_targetILNS1_3genE10ELNS1_11target_archE1200ELNS1_3gpuE4ELNS1_3repE0EEENS1_30default_config_static_selectorELNS0_4arch9wavefront6targetE1EEEvT1_
	.p2align	8
	.type	_ZN7rocprim17ROCPRIM_400000_NS6detail17trampoline_kernelINS0_14default_configENS1_25partition_config_selectorILNS1_17partition_subalgoE8EmNS0_10empty_typeEbEEZZNS1_14partition_implILS5_8ELb0ES3_jPKmPS6_PKS6_NS0_5tupleIJPmS6_EEENSE_IJSB_SB_EEENS0_18inequality_wrapperIN6hipcub16HIPCUB_304000_NS8EqualityEEEPlJS6_EEE10hipError_tPvRmT3_T4_T5_T6_T7_T9_mT8_P12ihipStream_tbDpT10_ENKUlT_T0_E_clISt17integral_constantIbLb1EES17_EEDaS12_S13_EUlS12_E_NS1_11comp_targetILNS1_3genE10ELNS1_11target_archE1200ELNS1_3gpuE4ELNS1_3repE0EEENS1_30default_config_static_selectorELNS0_4arch9wavefront6targetE1EEEvT1_,@function
_ZN7rocprim17ROCPRIM_400000_NS6detail17trampoline_kernelINS0_14default_configENS1_25partition_config_selectorILNS1_17partition_subalgoE8EmNS0_10empty_typeEbEEZZNS1_14partition_implILS5_8ELb0ES3_jPKmPS6_PKS6_NS0_5tupleIJPmS6_EEENSE_IJSB_SB_EEENS0_18inequality_wrapperIN6hipcub16HIPCUB_304000_NS8EqualityEEEPlJS6_EEE10hipError_tPvRmT3_T4_T5_T6_T7_T9_mT8_P12ihipStream_tbDpT10_ENKUlT_T0_E_clISt17integral_constantIbLb1EES17_EEDaS12_S13_EUlS12_E_NS1_11comp_targetILNS1_3genE10ELNS1_11target_archE1200ELNS1_3gpuE4ELNS1_3repE0EEENS1_30default_config_static_selectorELNS0_4arch9wavefront6targetE1EEEvT1_: ; @_ZN7rocprim17ROCPRIM_400000_NS6detail17trampoline_kernelINS0_14default_configENS1_25partition_config_selectorILNS1_17partition_subalgoE8EmNS0_10empty_typeEbEEZZNS1_14partition_implILS5_8ELb0ES3_jPKmPS6_PKS6_NS0_5tupleIJPmS6_EEENSE_IJSB_SB_EEENS0_18inequality_wrapperIN6hipcub16HIPCUB_304000_NS8EqualityEEEPlJS6_EEE10hipError_tPvRmT3_T4_T5_T6_T7_T9_mT8_P12ihipStream_tbDpT10_ENKUlT_T0_E_clISt17integral_constantIbLb1EES17_EEDaS12_S13_EUlS12_E_NS1_11comp_targetILNS1_3genE10ELNS1_11target_archE1200ELNS1_3gpuE4ELNS1_3repE0EEENS1_30default_config_static_selectorELNS0_4arch9wavefront6targetE1EEEvT1_
; %bb.0:
	.section	.rodata,"a",@progbits
	.p2align	6, 0x0
	.amdhsa_kernel _ZN7rocprim17ROCPRIM_400000_NS6detail17trampoline_kernelINS0_14default_configENS1_25partition_config_selectorILNS1_17partition_subalgoE8EmNS0_10empty_typeEbEEZZNS1_14partition_implILS5_8ELb0ES3_jPKmPS6_PKS6_NS0_5tupleIJPmS6_EEENSE_IJSB_SB_EEENS0_18inequality_wrapperIN6hipcub16HIPCUB_304000_NS8EqualityEEEPlJS6_EEE10hipError_tPvRmT3_T4_T5_T6_T7_T9_mT8_P12ihipStream_tbDpT10_ENKUlT_T0_E_clISt17integral_constantIbLb1EES17_EEDaS12_S13_EUlS12_E_NS1_11comp_targetILNS1_3genE10ELNS1_11target_archE1200ELNS1_3gpuE4ELNS1_3repE0EEENS1_30default_config_static_selectorELNS0_4arch9wavefront6targetE1EEEvT1_
		.amdhsa_group_segment_fixed_size 0
		.amdhsa_private_segment_fixed_size 0
		.amdhsa_kernarg_size 128
		.amdhsa_user_sgpr_count 6
		.amdhsa_user_sgpr_private_segment_buffer 1
		.amdhsa_user_sgpr_dispatch_ptr 0
		.amdhsa_user_sgpr_queue_ptr 0
		.amdhsa_user_sgpr_kernarg_segment_ptr 1
		.amdhsa_user_sgpr_dispatch_id 0
		.amdhsa_user_sgpr_flat_scratch_init 0
		.amdhsa_user_sgpr_kernarg_preload_length 0
		.amdhsa_user_sgpr_kernarg_preload_offset 0
		.amdhsa_user_sgpr_private_segment_size 0
		.amdhsa_uses_dynamic_stack 0
		.amdhsa_system_sgpr_private_segment_wavefront_offset 0
		.amdhsa_system_sgpr_workgroup_id_x 1
		.amdhsa_system_sgpr_workgroup_id_y 0
		.amdhsa_system_sgpr_workgroup_id_z 0
		.amdhsa_system_sgpr_workgroup_info 0
		.amdhsa_system_vgpr_workitem_id 0
		.amdhsa_next_free_vgpr 1
		.amdhsa_next_free_sgpr 0
		.amdhsa_accum_offset 4
		.amdhsa_reserve_vcc 0
		.amdhsa_reserve_flat_scratch 0
		.amdhsa_float_round_mode_32 0
		.amdhsa_float_round_mode_16_64 0
		.amdhsa_float_denorm_mode_32 3
		.amdhsa_float_denorm_mode_16_64 3
		.amdhsa_dx10_clamp 1
		.amdhsa_ieee_mode 1
		.amdhsa_fp16_overflow 0
		.amdhsa_tg_split 0
		.amdhsa_exception_fp_ieee_invalid_op 0
		.amdhsa_exception_fp_denorm_src 0
		.amdhsa_exception_fp_ieee_div_zero 0
		.amdhsa_exception_fp_ieee_overflow 0
		.amdhsa_exception_fp_ieee_underflow 0
		.amdhsa_exception_fp_ieee_inexact 0
		.amdhsa_exception_int_div_zero 0
	.end_amdhsa_kernel
	.section	.text._ZN7rocprim17ROCPRIM_400000_NS6detail17trampoline_kernelINS0_14default_configENS1_25partition_config_selectorILNS1_17partition_subalgoE8EmNS0_10empty_typeEbEEZZNS1_14partition_implILS5_8ELb0ES3_jPKmPS6_PKS6_NS0_5tupleIJPmS6_EEENSE_IJSB_SB_EEENS0_18inequality_wrapperIN6hipcub16HIPCUB_304000_NS8EqualityEEEPlJS6_EEE10hipError_tPvRmT3_T4_T5_T6_T7_T9_mT8_P12ihipStream_tbDpT10_ENKUlT_T0_E_clISt17integral_constantIbLb1EES17_EEDaS12_S13_EUlS12_E_NS1_11comp_targetILNS1_3genE10ELNS1_11target_archE1200ELNS1_3gpuE4ELNS1_3repE0EEENS1_30default_config_static_selectorELNS0_4arch9wavefront6targetE1EEEvT1_,"axG",@progbits,_ZN7rocprim17ROCPRIM_400000_NS6detail17trampoline_kernelINS0_14default_configENS1_25partition_config_selectorILNS1_17partition_subalgoE8EmNS0_10empty_typeEbEEZZNS1_14partition_implILS5_8ELb0ES3_jPKmPS6_PKS6_NS0_5tupleIJPmS6_EEENSE_IJSB_SB_EEENS0_18inequality_wrapperIN6hipcub16HIPCUB_304000_NS8EqualityEEEPlJS6_EEE10hipError_tPvRmT3_T4_T5_T6_T7_T9_mT8_P12ihipStream_tbDpT10_ENKUlT_T0_E_clISt17integral_constantIbLb1EES17_EEDaS12_S13_EUlS12_E_NS1_11comp_targetILNS1_3genE10ELNS1_11target_archE1200ELNS1_3gpuE4ELNS1_3repE0EEENS1_30default_config_static_selectorELNS0_4arch9wavefront6targetE1EEEvT1_,comdat
.Lfunc_end699:
	.size	_ZN7rocprim17ROCPRIM_400000_NS6detail17trampoline_kernelINS0_14default_configENS1_25partition_config_selectorILNS1_17partition_subalgoE8EmNS0_10empty_typeEbEEZZNS1_14partition_implILS5_8ELb0ES3_jPKmPS6_PKS6_NS0_5tupleIJPmS6_EEENSE_IJSB_SB_EEENS0_18inequality_wrapperIN6hipcub16HIPCUB_304000_NS8EqualityEEEPlJS6_EEE10hipError_tPvRmT3_T4_T5_T6_T7_T9_mT8_P12ihipStream_tbDpT10_ENKUlT_T0_E_clISt17integral_constantIbLb1EES17_EEDaS12_S13_EUlS12_E_NS1_11comp_targetILNS1_3genE10ELNS1_11target_archE1200ELNS1_3gpuE4ELNS1_3repE0EEENS1_30default_config_static_selectorELNS0_4arch9wavefront6targetE1EEEvT1_, .Lfunc_end699-_ZN7rocprim17ROCPRIM_400000_NS6detail17trampoline_kernelINS0_14default_configENS1_25partition_config_selectorILNS1_17partition_subalgoE8EmNS0_10empty_typeEbEEZZNS1_14partition_implILS5_8ELb0ES3_jPKmPS6_PKS6_NS0_5tupleIJPmS6_EEENSE_IJSB_SB_EEENS0_18inequality_wrapperIN6hipcub16HIPCUB_304000_NS8EqualityEEEPlJS6_EEE10hipError_tPvRmT3_T4_T5_T6_T7_T9_mT8_P12ihipStream_tbDpT10_ENKUlT_T0_E_clISt17integral_constantIbLb1EES17_EEDaS12_S13_EUlS12_E_NS1_11comp_targetILNS1_3genE10ELNS1_11target_archE1200ELNS1_3gpuE4ELNS1_3repE0EEENS1_30default_config_static_selectorELNS0_4arch9wavefront6targetE1EEEvT1_
                                        ; -- End function
	.section	.AMDGPU.csdata,"",@progbits
; Kernel info:
; codeLenInByte = 0
; NumSgprs: 4
; NumVgprs: 0
; NumAgprs: 0
; TotalNumVgprs: 0
; ScratchSize: 0
; MemoryBound: 0
; FloatMode: 240
; IeeeMode: 1
; LDSByteSize: 0 bytes/workgroup (compile time only)
; SGPRBlocks: 0
; VGPRBlocks: 0
; NumSGPRsForWavesPerEU: 4
; NumVGPRsForWavesPerEU: 1
; AccumOffset: 4
; Occupancy: 8
; WaveLimiterHint : 0
; COMPUTE_PGM_RSRC2:SCRATCH_EN: 0
; COMPUTE_PGM_RSRC2:USER_SGPR: 6
; COMPUTE_PGM_RSRC2:TRAP_HANDLER: 0
; COMPUTE_PGM_RSRC2:TGID_X_EN: 1
; COMPUTE_PGM_RSRC2:TGID_Y_EN: 0
; COMPUTE_PGM_RSRC2:TGID_Z_EN: 0
; COMPUTE_PGM_RSRC2:TIDIG_COMP_CNT: 0
; COMPUTE_PGM_RSRC3_GFX90A:ACCUM_OFFSET: 0
; COMPUTE_PGM_RSRC3_GFX90A:TG_SPLIT: 0
	.section	.text._ZN7rocprim17ROCPRIM_400000_NS6detail17trampoline_kernelINS0_14default_configENS1_25partition_config_selectorILNS1_17partition_subalgoE8EmNS0_10empty_typeEbEEZZNS1_14partition_implILS5_8ELb0ES3_jPKmPS6_PKS6_NS0_5tupleIJPmS6_EEENSE_IJSB_SB_EEENS0_18inequality_wrapperIN6hipcub16HIPCUB_304000_NS8EqualityEEEPlJS6_EEE10hipError_tPvRmT3_T4_T5_T6_T7_T9_mT8_P12ihipStream_tbDpT10_ENKUlT_T0_E_clISt17integral_constantIbLb1EES17_EEDaS12_S13_EUlS12_E_NS1_11comp_targetILNS1_3genE9ELNS1_11target_archE1100ELNS1_3gpuE3ELNS1_3repE0EEENS1_30default_config_static_selectorELNS0_4arch9wavefront6targetE1EEEvT1_,"axG",@progbits,_ZN7rocprim17ROCPRIM_400000_NS6detail17trampoline_kernelINS0_14default_configENS1_25partition_config_selectorILNS1_17partition_subalgoE8EmNS0_10empty_typeEbEEZZNS1_14partition_implILS5_8ELb0ES3_jPKmPS6_PKS6_NS0_5tupleIJPmS6_EEENSE_IJSB_SB_EEENS0_18inequality_wrapperIN6hipcub16HIPCUB_304000_NS8EqualityEEEPlJS6_EEE10hipError_tPvRmT3_T4_T5_T6_T7_T9_mT8_P12ihipStream_tbDpT10_ENKUlT_T0_E_clISt17integral_constantIbLb1EES17_EEDaS12_S13_EUlS12_E_NS1_11comp_targetILNS1_3genE9ELNS1_11target_archE1100ELNS1_3gpuE3ELNS1_3repE0EEENS1_30default_config_static_selectorELNS0_4arch9wavefront6targetE1EEEvT1_,comdat
	.protected	_ZN7rocprim17ROCPRIM_400000_NS6detail17trampoline_kernelINS0_14default_configENS1_25partition_config_selectorILNS1_17partition_subalgoE8EmNS0_10empty_typeEbEEZZNS1_14partition_implILS5_8ELb0ES3_jPKmPS6_PKS6_NS0_5tupleIJPmS6_EEENSE_IJSB_SB_EEENS0_18inequality_wrapperIN6hipcub16HIPCUB_304000_NS8EqualityEEEPlJS6_EEE10hipError_tPvRmT3_T4_T5_T6_T7_T9_mT8_P12ihipStream_tbDpT10_ENKUlT_T0_E_clISt17integral_constantIbLb1EES17_EEDaS12_S13_EUlS12_E_NS1_11comp_targetILNS1_3genE9ELNS1_11target_archE1100ELNS1_3gpuE3ELNS1_3repE0EEENS1_30default_config_static_selectorELNS0_4arch9wavefront6targetE1EEEvT1_ ; -- Begin function _ZN7rocprim17ROCPRIM_400000_NS6detail17trampoline_kernelINS0_14default_configENS1_25partition_config_selectorILNS1_17partition_subalgoE8EmNS0_10empty_typeEbEEZZNS1_14partition_implILS5_8ELb0ES3_jPKmPS6_PKS6_NS0_5tupleIJPmS6_EEENSE_IJSB_SB_EEENS0_18inequality_wrapperIN6hipcub16HIPCUB_304000_NS8EqualityEEEPlJS6_EEE10hipError_tPvRmT3_T4_T5_T6_T7_T9_mT8_P12ihipStream_tbDpT10_ENKUlT_T0_E_clISt17integral_constantIbLb1EES17_EEDaS12_S13_EUlS12_E_NS1_11comp_targetILNS1_3genE9ELNS1_11target_archE1100ELNS1_3gpuE3ELNS1_3repE0EEENS1_30default_config_static_selectorELNS0_4arch9wavefront6targetE1EEEvT1_
	.globl	_ZN7rocprim17ROCPRIM_400000_NS6detail17trampoline_kernelINS0_14default_configENS1_25partition_config_selectorILNS1_17partition_subalgoE8EmNS0_10empty_typeEbEEZZNS1_14partition_implILS5_8ELb0ES3_jPKmPS6_PKS6_NS0_5tupleIJPmS6_EEENSE_IJSB_SB_EEENS0_18inequality_wrapperIN6hipcub16HIPCUB_304000_NS8EqualityEEEPlJS6_EEE10hipError_tPvRmT3_T4_T5_T6_T7_T9_mT8_P12ihipStream_tbDpT10_ENKUlT_T0_E_clISt17integral_constantIbLb1EES17_EEDaS12_S13_EUlS12_E_NS1_11comp_targetILNS1_3genE9ELNS1_11target_archE1100ELNS1_3gpuE3ELNS1_3repE0EEENS1_30default_config_static_selectorELNS0_4arch9wavefront6targetE1EEEvT1_
	.p2align	8
	.type	_ZN7rocprim17ROCPRIM_400000_NS6detail17trampoline_kernelINS0_14default_configENS1_25partition_config_selectorILNS1_17partition_subalgoE8EmNS0_10empty_typeEbEEZZNS1_14partition_implILS5_8ELb0ES3_jPKmPS6_PKS6_NS0_5tupleIJPmS6_EEENSE_IJSB_SB_EEENS0_18inequality_wrapperIN6hipcub16HIPCUB_304000_NS8EqualityEEEPlJS6_EEE10hipError_tPvRmT3_T4_T5_T6_T7_T9_mT8_P12ihipStream_tbDpT10_ENKUlT_T0_E_clISt17integral_constantIbLb1EES17_EEDaS12_S13_EUlS12_E_NS1_11comp_targetILNS1_3genE9ELNS1_11target_archE1100ELNS1_3gpuE3ELNS1_3repE0EEENS1_30default_config_static_selectorELNS0_4arch9wavefront6targetE1EEEvT1_,@function
_ZN7rocprim17ROCPRIM_400000_NS6detail17trampoline_kernelINS0_14default_configENS1_25partition_config_selectorILNS1_17partition_subalgoE8EmNS0_10empty_typeEbEEZZNS1_14partition_implILS5_8ELb0ES3_jPKmPS6_PKS6_NS0_5tupleIJPmS6_EEENSE_IJSB_SB_EEENS0_18inequality_wrapperIN6hipcub16HIPCUB_304000_NS8EqualityEEEPlJS6_EEE10hipError_tPvRmT3_T4_T5_T6_T7_T9_mT8_P12ihipStream_tbDpT10_ENKUlT_T0_E_clISt17integral_constantIbLb1EES17_EEDaS12_S13_EUlS12_E_NS1_11comp_targetILNS1_3genE9ELNS1_11target_archE1100ELNS1_3gpuE3ELNS1_3repE0EEENS1_30default_config_static_selectorELNS0_4arch9wavefront6targetE1EEEvT1_: ; @_ZN7rocprim17ROCPRIM_400000_NS6detail17trampoline_kernelINS0_14default_configENS1_25partition_config_selectorILNS1_17partition_subalgoE8EmNS0_10empty_typeEbEEZZNS1_14partition_implILS5_8ELb0ES3_jPKmPS6_PKS6_NS0_5tupleIJPmS6_EEENSE_IJSB_SB_EEENS0_18inequality_wrapperIN6hipcub16HIPCUB_304000_NS8EqualityEEEPlJS6_EEE10hipError_tPvRmT3_T4_T5_T6_T7_T9_mT8_P12ihipStream_tbDpT10_ENKUlT_T0_E_clISt17integral_constantIbLb1EES17_EEDaS12_S13_EUlS12_E_NS1_11comp_targetILNS1_3genE9ELNS1_11target_archE1100ELNS1_3gpuE3ELNS1_3repE0EEENS1_30default_config_static_selectorELNS0_4arch9wavefront6targetE1EEEvT1_
; %bb.0:
	.section	.rodata,"a",@progbits
	.p2align	6, 0x0
	.amdhsa_kernel _ZN7rocprim17ROCPRIM_400000_NS6detail17trampoline_kernelINS0_14default_configENS1_25partition_config_selectorILNS1_17partition_subalgoE8EmNS0_10empty_typeEbEEZZNS1_14partition_implILS5_8ELb0ES3_jPKmPS6_PKS6_NS0_5tupleIJPmS6_EEENSE_IJSB_SB_EEENS0_18inequality_wrapperIN6hipcub16HIPCUB_304000_NS8EqualityEEEPlJS6_EEE10hipError_tPvRmT3_T4_T5_T6_T7_T9_mT8_P12ihipStream_tbDpT10_ENKUlT_T0_E_clISt17integral_constantIbLb1EES17_EEDaS12_S13_EUlS12_E_NS1_11comp_targetILNS1_3genE9ELNS1_11target_archE1100ELNS1_3gpuE3ELNS1_3repE0EEENS1_30default_config_static_selectorELNS0_4arch9wavefront6targetE1EEEvT1_
		.amdhsa_group_segment_fixed_size 0
		.amdhsa_private_segment_fixed_size 0
		.amdhsa_kernarg_size 128
		.amdhsa_user_sgpr_count 6
		.amdhsa_user_sgpr_private_segment_buffer 1
		.amdhsa_user_sgpr_dispatch_ptr 0
		.amdhsa_user_sgpr_queue_ptr 0
		.amdhsa_user_sgpr_kernarg_segment_ptr 1
		.amdhsa_user_sgpr_dispatch_id 0
		.amdhsa_user_sgpr_flat_scratch_init 0
		.amdhsa_user_sgpr_kernarg_preload_length 0
		.amdhsa_user_sgpr_kernarg_preload_offset 0
		.amdhsa_user_sgpr_private_segment_size 0
		.amdhsa_uses_dynamic_stack 0
		.amdhsa_system_sgpr_private_segment_wavefront_offset 0
		.amdhsa_system_sgpr_workgroup_id_x 1
		.amdhsa_system_sgpr_workgroup_id_y 0
		.amdhsa_system_sgpr_workgroup_id_z 0
		.amdhsa_system_sgpr_workgroup_info 0
		.amdhsa_system_vgpr_workitem_id 0
		.amdhsa_next_free_vgpr 1
		.amdhsa_next_free_sgpr 0
		.amdhsa_accum_offset 4
		.amdhsa_reserve_vcc 0
		.amdhsa_reserve_flat_scratch 0
		.amdhsa_float_round_mode_32 0
		.amdhsa_float_round_mode_16_64 0
		.amdhsa_float_denorm_mode_32 3
		.amdhsa_float_denorm_mode_16_64 3
		.amdhsa_dx10_clamp 1
		.amdhsa_ieee_mode 1
		.amdhsa_fp16_overflow 0
		.amdhsa_tg_split 0
		.amdhsa_exception_fp_ieee_invalid_op 0
		.amdhsa_exception_fp_denorm_src 0
		.amdhsa_exception_fp_ieee_div_zero 0
		.amdhsa_exception_fp_ieee_overflow 0
		.amdhsa_exception_fp_ieee_underflow 0
		.amdhsa_exception_fp_ieee_inexact 0
		.amdhsa_exception_int_div_zero 0
	.end_amdhsa_kernel
	.section	.text._ZN7rocprim17ROCPRIM_400000_NS6detail17trampoline_kernelINS0_14default_configENS1_25partition_config_selectorILNS1_17partition_subalgoE8EmNS0_10empty_typeEbEEZZNS1_14partition_implILS5_8ELb0ES3_jPKmPS6_PKS6_NS0_5tupleIJPmS6_EEENSE_IJSB_SB_EEENS0_18inequality_wrapperIN6hipcub16HIPCUB_304000_NS8EqualityEEEPlJS6_EEE10hipError_tPvRmT3_T4_T5_T6_T7_T9_mT8_P12ihipStream_tbDpT10_ENKUlT_T0_E_clISt17integral_constantIbLb1EES17_EEDaS12_S13_EUlS12_E_NS1_11comp_targetILNS1_3genE9ELNS1_11target_archE1100ELNS1_3gpuE3ELNS1_3repE0EEENS1_30default_config_static_selectorELNS0_4arch9wavefront6targetE1EEEvT1_,"axG",@progbits,_ZN7rocprim17ROCPRIM_400000_NS6detail17trampoline_kernelINS0_14default_configENS1_25partition_config_selectorILNS1_17partition_subalgoE8EmNS0_10empty_typeEbEEZZNS1_14partition_implILS5_8ELb0ES3_jPKmPS6_PKS6_NS0_5tupleIJPmS6_EEENSE_IJSB_SB_EEENS0_18inequality_wrapperIN6hipcub16HIPCUB_304000_NS8EqualityEEEPlJS6_EEE10hipError_tPvRmT3_T4_T5_T6_T7_T9_mT8_P12ihipStream_tbDpT10_ENKUlT_T0_E_clISt17integral_constantIbLb1EES17_EEDaS12_S13_EUlS12_E_NS1_11comp_targetILNS1_3genE9ELNS1_11target_archE1100ELNS1_3gpuE3ELNS1_3repE0EEENS1_30default_config_static_selectorELNS0_4arch9wavefront6targetE1EEEvT1_,comdat
.Lfunc_end700:
	.size	_ZN7rocprim17ROCPRIM_400000_NS6detail17trampoline_kernelINS0_14default_configENS1_25partition_config_selectorILNS1_17partition_subalgoE8EmNS0_10empty_typeEbEEZZNS1_14partition_implILS5_8ELb0ES3_jPKmPS6_PKS6_NS0_5tupleIJPmS6_EEENSE_IJSB_SB_EEENS0_18inequality_wrapperIN6hipcub16HIPCUB_304000_NS8EqualityEEEPlJS6_EEE10hipError_tPvRmT3_T4_T5_T6_T7_T9_mT8_P12ihipStream_tbDpT10_ENKUlT_T0_E_clISt17integral_constantIbLb1EES17_EEDaS12_S13_EUlS12_E_NS1_11comp_targetILNS1_3genE9ELNS1_11target_archE1100ELNS1_3gpuE3ELNS1_3repE0EEENS1_30default_config_static_selectorELNS0_4arch9wavefront6targetE1EEEvT1_, .Lfunc_end700-_ZN7rocprim17ROCPRIM_400000_NS6detail17trampoline_kernelINS0_14default_configENS1_25partition_config_selectorILNS1_17partition_subalgoE8EmNS0_10empty_typeEbEEZZNS1_14partition_implILS5_8ELb0ES3_jPKmPS6_PKS6_NS0_5tupleIJPmS6_EEENSE_IJSB_SB_EEENS0_18inequality_wrapperIN6hipcub16HIPCUB_304000_NS8EqualityEEEPlJS6_EEE10hipError_tPvRmT3_T4_T5_T6_T7_T9_mT8_P12ihipStream_tbDpT10_ENKUlT_T0_E_clISt17integral_constantIbLb1EES17_EEDaS12_S13_EUlS12_E_NS1_11comp_targetILNS1_3genE9ELNS1_11target_archE1100ELNS1_3gpuE3ELNS1_3repE0EEENS1_30default_config_static_selectorELNS0_4arch9wavefront6targetE1EEEvT1_
                                        ; -- End function
	.section	.AMDGPU.csdata,"",@progbits
; Kernel info:
; codeLenInByte = 0
; NumSgprs: 4
; NumVgprs: 0
; NumAgprs: 0
; TotalNumVgprs: 0
; ScratchSize: 0
; MemoryBound: 0
; FloatMode: 240
; IeeeMode: 1
; LDSByteSize: 0 bytes/workgroup (compile time only)
; SGPRBlocks: 0
; VGPRBlocks: 0
; NumSGPRsForWavesPerEU: 4
; NumVGPRsForWavesPerEU: 1
; AccumOffset: 4
; Occupancy: 8
; WaveLimiterHint : 0
; COMPUTE_PGM_RSRC2:SCRATCH_EN: 0
; COMPUTE_PGM_RSRC2:USER_SGPR: 6
; COMPUTE_PGM_RSRC2:TRAP_HANDLER: 0
; COMPUTE_PGM_RSRC2:TGID_X_EN: 1
; COMPUTE_PGM_RSRC2:TGID_Y_EN: 0
; COMPUTE_PGM_RSRC2:TGID_Z_EN: 0
; COMPUTE_PGM_RSRC2:TIDIG_COMP_CNT: 0
; COMPUTE_PGM_RSRC3_GFX90A:ACCUM_OFFSET: 0
; COMPUTE_PGM_RSRC3_GFX90A:TG_SPLIT: 0
	.section	.text._ZN7rocprim17ROCPRIM_400000_NS6detail17trampoline_kernelINS0_14default_configENS1_25partition_config_selectorILNS1_17partition_subalgoE8EmNS0_10empty_typeEbEEZZNS1_14partition_implILS5_8ELb0ES3_jPKmPS6_PKS6_NS0_5tupleIJPmS6_EEENSE_IJSB_SB_EEENS0_18inequality_wrapperIN6hipcub16HIPCUB_304000_NS8EqualityEEEPlJS6_EEE10hipError_tPvRmT3_T4_T5_T6_T7_T9_mT8_P12ihipStream_tbDpT10_ENKUlT_T0_E_clISt17integral_constantIbLb1EES17_EEDaS12_S13_EUlS12_E_NS1_11comp_targetILNS1_3genE8ELNS1_11target_archE1030ELNS1_3gpuE2ELNS1_3repE0EEENS1_30default_config_static_selectorELNS0_4arch9wavefront6targetE1EEEvT1_,"axG",@progbits,_ZN7rocprim17ROCPRIM_400000_NS6detail17trampoline_kernelINS0_14default_configENS1_25partition_config_selectorILNS1_17partition_subalgoE8EmNS0_10empty_typeEbEEZZNS1_14partition_implILS5_8ELb0ES3_jPKmPS6_PKS6_NS0_5tupleIJPmS6_EEENSE_IJSB_SB_EEENS0_18inequality_wrapperIN6hipcub16HIPCUB_304000_NS8EqualityEEEPlJS6_EEE10hipError_tPvRmT3_T4_T5_T6_T7_T9_mT8_P12ihipStream_tbDpT10_ENKUlT_T0_E_clISt17integral_constantIbLb1EES17_EEDaS12_S13_EUlS12_E_NS1_11comp_targetILNS1_3genE8ELNS1_11target_archE1030ELNS1_3gpuE2ELNS1_3repE0EEENS1_30default_config_static_selectorELNS0_4arch9wavefront6targetE1EEEvT1_,comdat
	.protected	_ZN7rocprim17ROCPRIM_400000_NS6detail17trampoline_kernelINS0_14default_configENS1_25partition_config_selectorILNS1_17partition_subalgoE8EmNS0_10empty_typeEbEEZZNS1_14partition_implILS5_8ELb0ES3_jPKmPS6_PKS6_NS0_5tupleIJPmS6_EEENSE_IJSB_SB_EEENS0_18inequality_wrapperIN6hipcub16HIPCUB_304000_NS8EqualityEEEPlJS6_EEE10hipError_tPvRmT3_T4_T5_T6_T7_T9_mT8_P12ihipStream_tbDpT10_ENKUlT_T0_E_clISt17integral_constantIbLb1EES17_EEDaS12_S13_EUlS12_E_NS1_11comp_targetILNS1_3genE8ELNS1_11target_archE1030ELNS1_3gpuE2ELNS1_3repE0EEENS1_30default_config_static_selectorELNS0_4arch9wavefront6targetE1EEEvT1_ ; -- Begin function _ZN7rocprim17ROCPRIM_400000_NS6detail17trampoline_kernelINS0_14default_configENS1_25partition_config_selectorILNS1_17partition_subalgoE8EmNS0_10empty_typeEbEEZZNS1_14partition_implILS5_8ELb0ES3_jPKmPS6_PKS6_NS0_5tupleIJPmS6_EEENSE_IJSB_SB_EEENS0_18inequality_wrapperIN6hipcub16HIPCUB_304000_NS8EqualityEEEPlJS6_EEE10hipError_tPvRmT3_T4_T5_T6_T7_T9_mT8_P12ihipStream_tbDpT10_ENKUlT_T0_E_clISt17integral_constantIbLb1EES17_EEDaS12_S13_EUlS12_E_NS1_11comp_targetILNS1_3genE8ELNS1_11target_archE1030ELNS1_3gpuE2ELNS1_3repE0EEENS1_30default_config_static_selectorELNS0_4arch9wavefront6targetE1EEEvT1_
	.globl	_ZN7rocprim17ROCPRIM_400000_NS6detail17trampoline_kernelINS0_14default_configENS1_25partition_config_selectorILNS1_17partition_subalgoE8EmNS0_10empty_typeEbEEZZNS1_14partition_implILS5_8ELb0ES3_jPKmPS6_PKS6_NS0_5tupleIJPmS6_EEENSE_IJSB_SB_EEENS0_18inequality_wrapperIN6hipcub16HIPCUB_304000_NS8EqualityEEEPlJS6_EEE10hipError_tPvRmT3_T4_T5_T6_T7_T9_mT8_P12ihipStream_tbDpT10_ENKUlT_T0_E_clISt17integral_constantIbLb1EES17_EEDaS12_S13_EUlS12_E_NS1_11comp_targetILNS1_3genE8ELNS1_11target_archE1030ELNS1_3gpuE2ELNS1_3repE0EEENS1_30default_config_static_selectorELNS0_4arch9wavefront6targetE1EEEvT1_
	.p2align	8
	.type	_ZN7rocprim17ROCPRIM_400000_NS6detail17trampoline_kernelINS0_14default_configENS1_25partition_config_selectorILNS1_17partition_subalgoE8EmNS0_10empty_typeEbEEZZNS1_14partition_implILS5_8ELb0ES3_jPKmPS6_PKS6_NS0_5tupleIJPmS6_EEENSE_IJSB_SB_EEENS0_18inequality_wrapperIN6hipcub16HIPCUB_304000_NS8EqualityEEEPlJS6_EEE10hipError_tPvRmT3_T4_T5_T6_T7_T9_mT8_P12ihipStream_tbDpT10_ENKUlT_T0_E_clISt17integral_constantIbLb1EES17_EEDaS12_S13_EUlS12_E_NS1_11comp_targetILNS1_3genE8ELNS1_11target_archE1030ELNS1_3gpuE2ELNS1_3repE0EEENS1_30default_config_static_selectorELNS0_4arch9wavefront6targetE1EEEvT1_,@function
_ZN7rocprim17ROCPRIM_400000_NS6detail17trampoline_kernelINS0_14default_configENS1_25partition_config_selectorILNS1_17partition_subalgoE8EmNS0_10empty_typeEbEEZZNS1_14partition_implILS5_8ELb0ES3_jPKmPS6_PKS6_NS0_5tupleIJPmS6_EEENSE_IJSB_SB_EEENS0_18inequality_wrapperIN6hipcub16HIPCUB_304000_NS8EqualityEEEPlJS6_EEE10hipError_tPvRmT3_T4_T5_T6_T7_T9_mT8_P12ihipStream_tbDpT10_ENKUlT_T0_E_clISt17integral_constantIbLb1EES17_EEDaS12_S13_EUlS12_E_NS1_11comp_targetILNS1_3genE8ELNS1_11target_archE1030ELNS1_3gpuE2ELNS1_3repE0EEENS1_30default_config_static_selectorELNS0_4arch9wavefront6targetE1EEEvT1_: ; @_ZN7rocprim17ROCPRIM_400000_NS6detail17trampoline_kernelINS0_14default_configENS1_25partition_config_selectorILNS1_17partition_subalgoE8EmNS0_10empty_typeEbEEZZNS1_14partition_implILS5_8ELb0ES3_jPKmPS6_PKS6_NS0_5tupleIJPmS6_EEENSE_IJSB_SB_EEENS0_18inequality_wrapperIN6hipcub16HIPCUB_304000_NS8EqualityEEEPlJS6_EEE10hipError_tPvRmT3_T4_T5_T6_T7_T9_mT8_P12ihipStream_tbDpT10_ENKUlT_T0_E_clISt17integral_constantIbLb1EES17_EEDaS12_S13_EUlS12_E_NS1_11comp_targetILNS1_3genE8ELNS1_11target_archE1030ELNS1_3gpuE2ELNS1_3repE0EEENS1_30default_config_static_selectorELNS0_4arch9wavefront6targetE1EEEvT1_
; %bb.0:
	.section	.rodata,"a",@progbits
	.p2align	6, 0x0
	.amdhsa_kernel _ZN7rocprim17ROCPRIM_400000_NS6detail17trampoline_kernelINS0_14default_configENS1_25partition_config_selectorILNS1_17partition_subalgoE8EmNS0_10empty_typeEbEEZZNS1_14partition_implILS5_8ELb0ES3_jPKmPS6_PKS6_NS0_5tupleIJPmS6_EEENSE_IJSB_SB_EEENS0_18inequality_wrapperIN6hipcub16HIPCUB_304000_NS8EqualityEEEPlJS6_EEE10hipError_tPvRmT3_T4_T5_T6_T7_T9_mT8_P12ihipStream_tbDpT10_ENKUlT_T0_E_clISt17integral_constantIbLb1EES17_EEDaS12_S13_EUlS12_E_NS1_11comp_targetILNS1_3genE8ELNS1_11target_archE1030ELNS1_3gpuE2ELNS1_3repE0EEENS1_30default_config_static_selectorELNS0_4arch9wavefront6targetE1EEEvT1_
		.amdhsa_group_segment_fixed_size 0
		.amdhsa_private_segment_fixed_size 0
		.amdhsa_kernarg_size 128
		.amdhsa_user_sgpr_count 6
		.amdhsa_user_sgpr_private_segment_buffer 1
		.amdhsa_user_sgpr_dispatch_ptr 0
		.amdhsa_user_sgpr_queue_ptr 0
		.amdhsa_user_sgpr_kernarg_segment_ptr 1
		.amdhsa_user_sgpr_dispatch_id 0
		.amdhsa_user_sgpr_flat_scratch_init 0
		.amdhsa_user_sgpr_kernarg_preload_length 0
		.amdhsa_user_sgpr_kernarg_preload_offset 0
		.amdhsa_user_sgpr_private_segment_size 0
		.amdhsa_uses_dynamic_stack 0
		.amdhsa_system_sgpr_private_segment_wavefront_offset 0
		.amdhsa_system_sgpr_workgroup_id_x 1
		.amdhsa_system_sgpr_workgroup_id_y 0
		.amdhsa_system_sgpr_workgroup_id_z 0
		.amdhsa_system_sgpr_workgroup_info 0
		.amdhsa_system_vgpr_workitem_id 0
		.amdhsa_next_free_vgpr 1
		.amdhsa_next_free_sgpr 0
		.amdhsa_accum_offset 4
		.amdhsa_reserve_vcc 0
		.amdhsa_reserve_flat_scratch 0
		.amdhsa_float_round_mode_32 0
		.amdhsa_float_round_mode_16_64 0
		.amdhsa_float_denorm_mode_32 3
		.amdhsa_float_denorm_mode_16_64 3
		.amdhsa_dx10_clamp 1
		.amdhsa_ieee_mode 1
		.amdhsa_fp16_overflow 0
		.amdhsa_tg_split 0
		.amdhsa_exception_fp_ieee_invalid_op 0
		.amdhsa_exception_fp_denorm_src 0
		.amdhsa_exception_fp_ieee_div_zero 0
		.amdhsa_exception_fp_ieee_overflow 0
		.amdhsa_exception_fp_ieee_underflow 0
		.amdhsa_exception_fp_ieee_inexact 0
		.amdhsa_exception_int_div_zero 0
	.end_amdhsa_kernel
	.section	.text._ZN7rocprim17ROCPRIM_400000_NS6detail17trampoline_kernelINS0_14default_configENS1_25partition_config_selectorILNS1_17partition_subalgoE8EmNS0_10empty_typeEbEEZZNS1_14partition_implILS5_8ELb0ES3_jPKmPS6_PKS6_NS0_5tupleIJPmS6_EEENSE_IJSB_SB_EEENS0_18inequality_wrapperIN6hipcub16HIPCUB_304000_NS8EqualityEEEPlJS6_EEE10hipError_tPvRmT3_T4_T5_T6_T7_T9_mT8_P12ihipStream_tbDpT10_ENKUlT_T0_E_clISt17integral_constantIbLb1EES17_EEDaS12_S13_EUlS12_E_NS1_11comp_targetILNS1_3genE8ELNS1_11target_archE1030ELNS1_3gpuE2ELNS1_3repE0EEENS1_30default_config_static_selectorELNS0_4arch9wavefront6targetE1EEEvT1_,"axG",@progbits,_ZN7rocprim17ROCPRIM_400000_NS6detail17trampoline_kernelINS0_14default_configENS1_25partition_config_selectorILNS1_17partition_subalgoE8EmNS0_10empty_typeEbEEZZNS1_14partition_implILS5_8ELb0ES3_jPKmPS6_PKS6_NS0_5tupleIJPmS6_EEENSE_IJSB_SB_EEENS0_18inequality_wrapperIN6hipcub16HIPCUB_304000_NS8EqualityEEEPlJS6_EEE10hipError_tPvRmT3_T4_T5_T6_T7_T9_mT8_P12ihipStream_tbDpT10_ENKUlT_T0_E_clISt17integral_constantIbLb1EES17_EEDaS12_S13_EUlS12_E_NS1_11comp_targetILNS1_3genE8ELNS1_11target_archE1030ELNS1_3gpuE2ELNS1_3repE0EEENS1_30default_config_static_selectorELNS0_4arch9wavefront6targetE1EEEvT1_,comdat
.Lfunc_end701:
	.size	_ZN7rocprim17ROCPRIM_400000_NS6detail17trampoline_kernelINS0_14default_configENS1_25partition_config_selectorILNS1_17partition_subalgoE8EmNS0_10empty_typeEbEEZZNS1_14partition_implILS5_8ELb0ES3_jPKmPS6_PKS6_NS0_5tupleIJPmS6_EEENSE_IJSB_SB_EEENS0_18inequality_wrapperIN6hipcub16HIPCUB_304000_NS8EqualityEEEPlJS6_EEE10hipError_tPvRmT3_T4_T5_T6_T7_T9_mT8_P12ihipStream_tbDpT10_ENKUlT_T0_E_clISt17integral_constantIbLb1EES17_EEDaS12_S13_EUlS12_E_NS1_11comp_targetILNS1_3genE8ELNS1_11target_archE1030ELNS1_3gpuE2ELNS1_3repE0EEENS1_30default_config_static_selectorELNS0_4arch9wavefront6targetE1EEEvT1_, .Lfunc_end701-_ZN7rocprim17ROCPRIM_400000_NS6detail17trampoline_kernelINS0_14default_configENS1_25partition_config_selectorILNS1_17partition_subalgoE8EmNS0_10empty_typeEbEEZZNS1_14partition_implILS5_8ELb0ES3_jPKmPS6_PKS6_NS0_5tupleIJPmS6_EEENSE_IJSB_SB_EEENS0_18inequality_wrapperIN6hipcub16HIPCUB_304000_NS8EqualityEEEPlJS6_EEE10hipError_tPvRmT3_T4_T5_T6_T7_T9_mT8_P12ihipStream_tbDpT10_ENKUlT_T0_E_clISt17integral_constantIbLb1EES17_EEDaS12_S13_EUlS12_E_NS1_11comp_targetILNS1_3genE8ELNS1_11target_archE1030ELNS1_3gpuE2ELNS1_3repE0EEENS1_30default_config_static_selectorELNS0_4arch9wavefront6targetE1EEEvT1_
                                        ; -- End function
	.section	.AMDGPU.csdata,"",@progbits
; Kernel info:
; codeLenInByte = 0
; NumSgprs: 4
; NumVgprs: 0
; NumAgprs: 0
; TotalNumVgprs: 0
; ScratchSize: 0
; MemoryBound: 0
; FloatMode: 240
; IeeeMode: 1
; LDSByteSize: 0 bytes/workgroup (compile time only)
; SGPRBlocks: 0
; VGPRBlocks: 0
; NumSGPRsForWavesPerEU: 4
; NumVGPRsForWavesPerEU: 1
; AccumOffset: 4
; Occupancy: 8
; WaveLimiterHint : 0
; COMPUTE_PGM_RSRC2:SCRATCH_EN: 0
; COMPUTE_PGM_RSRC2:USER_SGPR: 6
; COMPUTE_PGM_RSRC2:TRAP_HANDLER: 0
; COMPUTE_PGM_RSRC2:TGID_X_EN: 1
; COMPUTE_PGM_RSRC2:TGID_Y_EN: 0
; COMPUTE_PGM_RSRC2:TGID_Z_EN: 0
; COMPUTE_PGM_RSRC2:TIDIG_COMP_CNT: 0
; COMPUTE_PGM_RSRC3_GFX90A:ACCUM_OFFSET: 0
; COMPUTE_PGM_RSRC3_GFX90A:TG_SPLIT: 0
	.section	.text._ZN7rocprim17ROCPRIM_400000_NS6detail17trampoline_kernelINS0_14default_configENS1_25partition_config_selectorILNS1_17partition_subalgoE8EmNS0_10empty_typeEbEEZZNS1_14partition_implILS5_8ELb0ES3_jPKmPS6_PKS6_NS0_5tupleIJPmS6_EEENSE_IJSB_SB_EEENS0_18inequality_wrapperIN6hipcub16HIPCUB_304000_NS8EqualityEEEPlJS6_EEE10hipError_tPvRmT3_T4_T5_T6_T7_T9_mT8_P12ihipStream_tbDpT10_ENKUlT_T0_E_clISt17integral_constantIbLb1EES16_IbLb0EEEEDaS12_S13_EUlS12_E_NS1_11comp_targetILNS1_3genE0ELNS1_11target_archE4294967295ELNS1_3gpuE0ELNS1_3repE0EEENS1_30default_config_static_selectorELNS0_4arch9wavefront6targetE1EEEvT1_,"axG",@progbits,_ZN7rocprim17ROCPRIM_400000_NS6detail17trampoline_kernelINS0_14default_configENS1_25partition_config_selectorILNS1_17partition_subalgoE8EmNS0_10empty_typeEbEEZZNS1_14partition_implILS5_8ELb0ES3_jPKmPS6_PKS6_NS0_5tupleIJPmS6_EEENSE_IJSB_SB_EEENS0_18inequality_wrapperIN6hipcub16HIPCUB_304000_NS8EqualityEEEPlJS6_EEE10hipError_tPvRmT3_T4_T5_T6_T7_T9_mT8_P12ihipStream_tbDpT10_ENKUlT_T0_E_clISt17integral_constantIbLb1EES16_IbLb0EEEEDaS12_S13_EUlS12_E_NS1_11comp_targetILNS1_3genE0ELNS1_11target_archE4294967295ELNS1_3gpuE0ELNS1_3repE0EEENS1_30default_config_static_selectorELNS0_4arch9wavefront6targetE1EEEvT1_,comdat
	.protected	_ZN7rocprim17ROCPRIM_400000_NS6detail17trampoline_kernelINS0_14default_configENS1_25partition_config_selectorILNS1_17partition_subalgoE8EmNS0_10empty_typeEbEEZZNS1_14partition_implILS5_8ELb0ES3_jPKmPS6_PKS6_NS0_5tupleIJPmS6_EEENSE_IJSB_SB_EEENS0_18inequality_wrapperIN6hipcub16HIPCUB_304000_NS8EqualityEEEPlJS6_EEE10hipError_tPvRmT3_T4_T5_T6_T7_T9_mT8_P12ihipStream_tbDpT10_ENKUlT_T0_E_clISt17integral_constantIbLb1EES16_IbLb0EEEEDaS12_S13_EUlS12_E_NS1_11comp_targetILNS1_3genE0ELNS1_11target_archE4294967295ELNS1_3gpuE0ELNS1_3repE0EEENS1_30default_config_static_selectorELNS0_4arch9wavefront6targetE1EEEvT1_ ; -- Begin function _ZN7rocprim17ROCPRIM_400000_NS6detail17trampoline_kernelINS0_14default_configENS1_25partition_config_selectorILNS1_17partition_subalgoE8EmNS0_10empty_typeEbEEZZNS1_14partition_implILS5_8ELb0ES3_jPKmPS6_PKS6_NS0_5tupleIJPmS6_EEENSE_IJSB_SB_EEENS0_18inequality_wrapperIN6hipcub16HIPCUB_304000_NS8EqualityEEEPlJS6_EEE10hipError_tPvRmT3_T4_T5_T6_T7_T9_mT8_P12ihipStream_tbDpT10_ENKUlT_T0_E_clISt17integral_constantIbLb1EES16_IbLb0EEEEDaS12_S13_EUlS12_E_NS1_11comp_targetILNS1_3genE0ELNS1_11target_archE4294967295ELNS1_3gpuE0ELNS1_3repE0EEENS1_30default_config_static_selectorELNS0_4arch9wavefront6targetE1EEEvT1_
	.globl	_ZN7rocprim17ROCPRIM_400000_NS6detail17trampoline_kernelINS0_14default_configENS1_25partition_config_selectorILNS1_17partition_subalgoE8EmNS0_10empty_typeEbEEZZNS1_14partition_implILS5_8ELb0ES3_jPKmPS6_PKS6_NS0_5tupleIJPmS6_EEENSE_IJSB_SB_EEENS0_18inequality_wrapperIN6hipcub16HIPCUB_304000_NS8EqualityEEEPlJS6_EEE10hipError_tPvRmT3_T4_T5_T6_T7_T9_mT8_P12ihipStream_tbDpT10_ENKUlT_T0_E_clISt17integral_constantIbLb1EES16_IbLb0EEEEDaS12_S13_EUlS12_E_NS1_11comp_targetILNS1_3genE0ELNS1_11target_archE4294967295ELNS1_3gpuE0ELNS1_3repE0EEENS1_30default_config_static_selectorELNS0_4arch9wavefront6targetE1EEEvT1_
	.p2align	8
	.type	_ZN7rocprim17ROCPRIM_400000_NS6detail17trampoline_kernelINS0_14default_configENS1_25partition_config_selectorILNS1_17partition_subalgoE8EmNS0_10empty_typeEbEEZZNS1_14partition_implILS5_8ELb0ES3_jPKmPS6_PKS6_NS0_5tupleIJPmS6_EEENSE_IJSB_SB_EEENS0_18inequality_wrapperIN6hipcub16HIPCUB_304000_NS8EqualityEEEPlJS6_EEE10hipError_tPvRmT3_T4_T5_T6_T7_T9_mT8_P12ihipStream_tbDpT10_ENKUlT_T0_E_clISt17integral_constantIbLb1EES16_IbLb0EEEEDaS12_S13_EUlS12_E_NS1_11comp_targetILNS1_3genE0ELNS1_11target_archE4294967295ELNS1_3gpuE0ELNS1_3repE0EEENS1_30default_config_static_selectorELNS0_4arch9wavefront6targetE1EEEvT1_,@function
_ZN7rocprim17ROCPRIM_400000_NS6detail17trampoline_kernelINS0_14default_configENS1_25partition_config_selectorILNS1_17partition_subalgoE8EmNS0_10empty_typeEbEEZZNS1_14partition_implILS5_8ELb0ES3_jPKmPS6_PKS6_NS0_5tupleIJPmS6_EEENSE_IJSB_SB_EEENS0_18inequality_wrapperIN6hipcub16HIPCUB_304000_NS8EqualityEEEPlJS6_EEE10hipError_tPvRmT3_T4_T5_T6_T7_T9_mT8_P12ihipStream_tbDpT10_ENKUlT_T0_E_clISt17integral_constantIbLb1EES16_IbLb0EEEEDaS12_S13_EUlS12_E_NS1_11comp_targetILNS1_3genE0ELNS1_11target_archE4294967295ELNS1_3gpuE0ELNS1_3repE0EEENS1_30default_config_static_selectorELNS0_4arch9wavefront6targetE1EEEvT1_: ; @_ZN7rocprim17ROCPRIM_400000_NS6detail17trampoline_kernelINS0_14default_configENS1_25partition_config_selectorILNS1_17partition_subalgoE8EmNS0_10empty_typeEbEEZZNS1_14partition_implILS5_8ELb0ES3_jPKmPS6_PKS6_NS0_5tupleIJPmS6_EEENSE_IJSB_SB_EEENS0_18inequality_wrapperIN6hipcub16HIPCUB_304000_NS8EqualityEEEPlJS6_EEE10hipError_tPvRmT3_T4_T5_T6_T7_T9_mT8_P12ihipStream_tbDpT10_ENKUlT_T0_E_clISt17integral_constantIbLb1EES16_IbLb0EEEEDaS12_S13_EUlS12_E_NS1_11comp_targetILNS1_3genE0ELNS1_11target_archE4294967295ELNS1_3gpuE0ELNS1_3repE0EEENS1_30default_config_static_selectorELNS0_4arch9wavefront6targetE1EEEvT1_
; %bb.0:
	.section	.rodata,"a",@progbits
	.p2align	6, 0x0
	.amdhsa_kernel _ZN7rocprim17ROCPRIM_400000_NS6detail17trampoline_kernelINS0_14default_configENS1_25partition_config_selectorILNS1_17partition_subalgoE8EmNS0_10empty_typeEbEEZZNS1_14partition_implILS5_8ELb0ES3_jPKmPS6_PKS6_NS0_5tupleIJPmS6_EEENSE_IJSB_SB_EEENS0_18inequality_wrapperIN6hipcub16HIPCUB_304000_NS8EqualityEEEPlJS6_EEE10hipError_tPvRmT3_T4_T5_T6_T7_T9_mT8_P12ihipStream_tbDpT10_ENKUlT_T0_E_clISt17integral_constantIbLb1EES16_IbLb0EEEEDaS12_S13_EUlS12_E_NS1_11comp_targetILNS1_3genE0ELNS1_11target_archE4294967295ELNS1_3gpuE0ELNS1_3repE0EEENS1_30default_config_static_selectorELNS0_4arch9wavefront6targetE1EEEvT1_
		.amdhsa_group_segment_fixed_size 0
		.amdhsa_private_segment_fixed_size 0
		.amdhsa_kernarg_size 112
		.amdhsa_user_sgpr_count 6
		.amdhsa_user_sgpr_private_segment_buffer 1
		.amdhsa_user_sgpr_dispatch_ptr 0
		.amdhsa_user_sgpr_queue_ptr 0
		.amdhsa_user_sgpr_kernarg_segment_ptr 1
		.amdhsa_user_sgpr_dispatch_id 0
		.amdhsa_user_sgpr_flat_scratch_init 0
		.amdhsa_user_sgpr_kernarg_preload_length 0
		.amdhsa_user_sgpr_kernarg_preload_offset 0
		.amdhsa_user_sgpr_private_segment_size 0
		.amdhsa_uses_dynamic_stack 0
		.amdhsa_system_sgpr_private_segment_wavefront_offset 0
		.amdhsa_system_sgpr_workgroup_id_x 1
		.amdhsa_system_sgpr_workgroup_id_y 0
		.amdhsa_system_sgpr_workgroup_id_z 0
		.amdhsa_system_sgpr_workgroup_info 0
		.amdhsa_system_vgpr_workitem_id 0
		.amdhsa_next_free_vgpr 1
		.amdhsa_next_free_sgpr 0
		.amdhsa_accum_offset 4
		.amdhsa_reserve_vcc 0
		.amdhsa_reserve_flat_scratch 0
		.amdhsa_float_round_mode_32 0
		.amdhsa_float_round_mode_16_64 0
		.amdhsa_float_denorm_mode_32 3
		.amdhsa_float_denorm_mode_16_64 3
		.amdhsa_dx10_clamp 1
		.amdhsa_ieee_mode 1
		.amdhsa_fp16_overflow 0
		.amdhsa_tg_split 0
		.amdhsa_exception_fp_ieee_invalid_op 0
		.amdhsa_exception_fp_denorm_src 0
		.amdhsa_exception_fp_ieee_div_zero 0
		.amdhsa_exception_fp_ieee_overflow 0
		.amdhsa_exception_fp_ieee_underflow 0
		.amdhsa_exception_fp_ieee_inexact 0
		.amdhsa_exception_int_div_zero 0
	.end_amdhsa_kernel
	.section	.text._ZN7rocprim17ROCPRIM_400000_NS6detail17trampoline_kernelINS0_14default_configENS1_25partition_config_selectorILNS1_17partition_subalgoE8EmNS0_10empty_typeEbEEZZNS1_14partition_implILS5_8ELb0ES3_jPKmPS6_PKS6_NS0_5tupleIJPmS6_EEENSE_IJSB_SB_EEENS0_18inequality_wrapperIN6hipcub16HIPCUB_304000_NS8EqualityEEEPlJS6_EEE10hipError_tPvRmT3_T4_T5_T6_T7_T9_mT8_P12ihipStream_tbDpT10_ENKUlT_T0_E_clISt17integral_constantIbLb1EES16_IbLb0EEEEDaS12_S13_EUlS12_E_NS1_11comp_targetILNS1_3genE0ELNS1_11target_archE4294967295ELNS1_3gpuE0ELNS1_3repE0EEENS1_30default_config_static_selectorELNS0_4arch9wavefront6targetE1EEEvT1_,"axG",@progbits,_ZN7rocprim17ROCPRIM_400000_NS6detail17trampoline_kernelINS0_14default_configENS1_25partition_config_selectorILNS1_17partition_subalgoE8EmNS0_10empty_typeEbEEZZNS1_14partition_implILS5_8ELb0ES3_jPKmPS6_PKS6_NS0_5tupleIJPmS6_EEENSE_IJSB_SB_EEENS0_18inequality_wrapperIN6hipcub16HIPCUB_304000_NS8EqualityEEEPlJS6_EEE10hipError_tPvRmT3_T4_T5_T6_T7_T9_mT8_P12ihipStream_tbDpT10_ENKUlT_T0_E_clISt17integral_constantIbLb1EES16_IbLb0EEEEDaS12_S13_EUlS12_E_NS1_11comp_targetILNS1_3genE0ELNS1_11target_archE4294967295ELNS1_3gpuE0ELNS1_3repE0EEENS1_30default_config_static_selectorELNS0_4arch9wavefront6targetE1EEEvT1_,comdat
.Lfunc_end702:
	.size	_ZN7rocprim17ROCPRIM_400000_NS6detail17trampoline_kernelINS0_14default_configENS1_25partition_config_selectorILNS1_17partition_subalgoE8EmNS0_10empty_typeEbEEZZNS1_14partition_implILS5_8ELb0ES3_jPKmPS6_PKS6_NS0_5tupleIJPmS6_EEENSE_IJSB_SB_EEENS0_18inequality_wrapperIN6hipcub16HIPCUB_304000_NS8EqualityEEEPlJS6_EEE10hipError_tPvRmT3_T4_T5_T6_T7_T9_mT8_P12ihipStream_tbDpT10_ENKUlT_T0_E_clISt17integral_constantIbLb1EES16_IbLb0EEEEDaS12_S13_EUlS12_E_NS1_11comp_targetILNS1_3genE0ELNS1_11target_archE4294967295ELNS1_3gpuE0ELNS1_3repE0EEENS1_30default_config_static_selectorELNS0_4arch9wavefront6targetE1EEEvT1_, .Lfunc_end702-_ZN7rocprim17ROCPRIM_400000_NS6detail17trampoline_kernelINS0_14default_configENS1_25partition_config_selectorILNS1_17partition_subalgoE8EmNS0_10empty_typeEbEEZZNS1_14partition_implILS5_8ELb0ES3_jPKmPS6_PKS6_NS0_5tupleIJPmS6_EEENSE_IJSB_SB_EEENS0_18inequality_wrapperIN6hipcub16HIPCUB_304000_NS8EqualityEEEPlJS6_EEE10hipError_tPvRmT3_T4_T5_T6_T7_T9_mT8_P12ihipStream_tbDpT10_ENKUlT_T0_E_clISt17integral_constantIbLb1EES16_IbLb0EEEEDaS12_S13_EUlS12_E_NS1_11comp_targetILNS1_3genE0ELNS1_11target_archE4294967295ELNS1_3gpuE0ELNS1_3repE0EEENS1_30default_config_static_selectorELNS0_4arch9wavefront6targetE1EEEvT1_
                                        ; -- End function
	.section	.AMDGPU.csdata,"",@progbits
; Kernel info:
; codeLenInByte = 0
; NumSgprs: 4
; NumVgprs: 0
; NumAgprs: 0
; TotalNumVgprs: 0
; ScratchSize: 0
; MemoryBound: 0
; FloatMode: 240
; IeeeMode: 1
; LDSByteSize: 0 bytes/workgroup (compile time only)
; SGPRBlocks: 0
; VGPRBlocks: 0
; NumSGPRsForWavesPerEU: 4
; NumVGPRsForWavesPerEU: 1
; AccumOffset: 4
; Occupancy: 8
; WaveLimiterHint : 0
; COMPUTE_PGM_RSRC2:SCRATCH_EN: 0
; COMPUTE_PGM_RSRC2:USER_SGPR: 6
; COMPUTE_PGM_RSRC2:TRAP_HANDLER: 0
; COMPUTE_PGM_RSRC2:TGID_X_EN: 1
; COMPUTE_PGM_RSRC2:TGID_Y_EN: 0
; COMPUTE_PGM_RSRC2:TGID_Z_EN: 0
; COMPUTE_PGM_RSRC2:TIDIG_COMP_CNT: 0
; COMPUTE_PGM_RSRC3_GFX90A:ACCUM_OFFSET: 0
; COMPUTE_PGM_RSRC3_GFX90A:TG_SPLIT: 0
	.section	.text._ZN7rocprim17ROCPRIM_400000_NS6detail17trampoline_kernelINS0_14default_configENS1_25partition_config_selectorILNS1_17partition_subalgoE8EmNS0_10empty_typeEbEEZZNS1_14partition_implILS5_8ELb0ES3_jPKmPS6_PKS6_NS0_5tupleIJPmS6_EEENSE_IJSB_SB_EEENS0_18inequality_wrapperIN6hipcub16HIPCUB_304000_NS8EqualityEEEPlJS6_EEE10hipError_tPvRmT3_T4_T5_T6_T7_T9_mT8_P12ihipStream_tbDpT10_ENKUlT_T0_E_clISt17integral_constantIbLb1EES16_IbLb0EEEEDaS12_S13_EUlS12_E_NS1_11comp_targetILNS1_3genE5ELNS1_11target_archE942ELNS1_3gpuE9ELNS1_3repE0EEENS1_30default_config_static_selectorELNS0_4arch9wavefront6targetE1EEEvT1_,"axG",@progbits,_ZN7rocprim17ROCPRIM_400000_NS6detail17trampoline_kernelINS0_14default_configENS1_25partition_config_selectorILNS1_17partition_subalgoE8EmNS0_10empty_typeEbEEZZNS1_14partition_implILS5_8ELb0ES3_jPKmPS6_PKS6_NS0_5tupleIJPmS6_EEENSE_IJSB_SB_EEENS0_18inequality_wrapperIN6hipcub16HIPCUB_304000_NS8EqualityEEEPlJS6_EEE10hipError_tPvRmT3_T4_T5_T6_T7_T9_mT8_P12ihipStream_tbDpT10_ENKUlT_T0_E_clISt17integral_constantIbLb1EES16_IbLb0EEEEDaS12_S13_EUlS12_E_NS1_11comp_targetILNS1_3genE5ELNS1_11target_archE942ELNS1_3gpuE9ELNS1_3repE0EEENS1_30default_config_static_selectorELNS0_4arch9wavefront6targetE1EEEvT1_,comdat
	.protected	_ZN7rocprim17ROCPRIM_400000_NS6detail17trampoline_kernelINS0_14default_configENS1_25partition_config_selectorILNS1_17partition_subalgoE8EmNS0_10empty_typeEbEEZZNS1_14partition_implILS5_8ELb0ES3_jPKmPS6_PKS6_NS0_5tupleIJPmS6_EEENSE_IJSB_SB_EEENS0_18inequality_wrapperIN6hipcub16HIPCUB_304000_NS8EqualityEEEPlJS6_EEE10hipError_tPvRmT3_T4_T5_T6_T7_T9_mT8_P12ihipStream_tbDpT10_ENKUlT_T0_E_clISt17integral_constantIbLb1EES16_IbLb0EEEEDaS12_S13_EUlS12_E_NS1_11comp_targetILNS1_3genE5ELNS1_11target_archE942ELNS1_3gpuE9ELNS1_3repE0EEENS1_30default_config_static_selectorELNS0_4arch9wavefront6targetE1EEEvT1_ ; -- Begin function _ZN7rocprim17ROCPRIM_400000_NS6detail17trampoline_kernelINS0_14default_configENS1_25partition_config_selectorILNS1_17partition_subalgoE8EmNS0_10empty_typeEbEEZZNS1_14partition_implILS5_8ELb0ES3_jPKmPS6_PKS6_NS0_5tupleIJPmS6_EEENSE_IJSB_SB_EEENS0_18inequality_wrapperIN6hipcub16HIPCUB_304000_NS8EqualityEEEPlJS6_EEE10hipError_tPvRmT3_T4_T5_T6_T7_T9_mT8_P12ihipStream_tbDpT10_ENKUlT_T0_E_clISt17integral_constantIbLb1EES16_IbLb0EEEEDaS12_S13_EUlS12_E_NS1_11comp_targetILNS1_3genE5ELNS1_11target_archE942ELNS1_3gpuE9ELNS1_3repE0EEENS1_30default_config_static_selectorELNS0_4arch9wavefront6targetE1EEEvT1_
	.globl	_ZN7rocprim17ROCPRIM_400000_NS6detail17trampoline_kernelINS0_14default_configENS1_25partition_config_selectorILNS1_17partition_subalgoE8EmNS0_10empty_typeEbEEZZNS1_14partition_implILS5_8ELb0ES3_jPKmPS6_PKS6_NS0_5tupleIJPmS6_EEENSE_IJSB_SB_EEENS0_18inequality_wrapperIN6hipcub16HIPCUB_304000_NS8EqualityEEEPlJS6_EEE10hipError_tPvRmT3_T4_T5_T6_T7_T9_mT8_P12ihipStream_tbDpT10_ENKUlT_T0_E_clISt17integral_constantIbLb1EES16_IbLb0EEEEDaS12_S13_EUlS12_E_NS1_11comp_targetILNS1_3genE5ELNS1_11target_archE942ELNS1_3gpuE9ELNS1_3repE0EEENS1_30default_config_static_selectorELNS0_4arch9wavefront6targetE1EEEvT1_
	.p2align	8
	.type	_ZN7rocprim17ROCPRIM_400000_NS6detail17trampoline_kernelINS0_14default_configENS1_25partition_config_selectorILNS1_17partition_subalgoE8EmNS0_10empty_typeEbEEZZNS1_14partition_implILS5_8ELb0ES3_jPKmPS6_PKS6_NS0_5tupleIJPmS6_EEENSE_IJSB_SB_EEENS0_18inequality_wrapperIN6hipcub16HIPCUB_304000_NS8EqualityEEEPlJS6_EEE10hipError_tPvRmT3_T4_T5_T6_T7_T9_mT8_P12ihipStream_tbDpT10_ENKUlT_T0_E_clISt17integral_constantIbLb1EES16_IbLb0EEEEDaS12_S13_EUlS12_E_NS1_11comp_targetILNS1_3genE5ELNS1_11target_archE942ELNS1_3gpuE9ELNS1_3repE0EEENS1_30default_config_static_selectorELNS0_4arch9wavefront6targetE1EEEvT1_,@function
_ZN7rocprim17ROCPRIM_400000_NS6detail17trampoline_kernelINS0_14default_configENS1_25partition_config_selectorILNS1_17partition_subalgoE8EmNS0_10empty_typeEbEEZZNS1_14partition_implILS5_8ELb0ES3_jPKmPS6_PKS6_NS0_5tupleIJPmS6_EEENSE_IJSB_SB_EEENS0_18inequality_wrapperIN6hipcub16HIPCUB_304000_NS8EqualityEEEPlJS6_EEE10hipError_tPvRmT3_T4_T5_T6_T7_T9_mT8_P12ihipStream_tbDpT10_ENKUlT_T0_E_clISt17integral_constantIbLb1EES16_IbLb0EEEEDaS12_S13_EUlS12_E_NS1_11comp_targetILNS1_3genE5ELNS1_11target_archE942ELNS1_3gpuE9ELNS1_3repE0EEENS1_30default_config_static_selectorELNS0_4arch9wavefront6targetE1EEEvT1_: ; @_ZN7rocprim17ROCPRIM_400000_NS6detail17trampoline_kernelINS0_14default_configENS1_25partition_config_selectorILNS1_17partition_subalgoE8EmNS0_10empty_typeEbEEZZNS1_14partition_implILS5_8ELb0ES3_jPKmPS6_PKS6_NS0_5tupleIJPmS6_EEENSE_IJSB_SB_EEENS0_18inequality_wrapperIN6hipcub16HIPCUB_304000_NS8EqualityEEEPlJS6_EEE10hipError_tPvRmT3_T4_T5_T6_T7_T9_mT8_P12ihipStream_tbDpT10_ENKUlT_T0_E_clISt17integral_constantIbLb1EES16_IbLb0EEEEDaS12_S13_EUlS12_E_NS1_11comp_targetILNS1_3genE5ELNS1_11target_archE942ELNS1_3gpuE9ELNS1_3repE0EEENS1_30default_config_static_selectorELNS0_4arch9wavefront6targetE1EEEvT1_
; %bb.0:
	.section	.rodata,"a",@progbits
	.p2align	6, 0x0
	.amdhsa_kernel _ZN7rocprim17ROCPRIM_400000_NS6detail17trampoline_kernelINS0_14default_configENS1_25partition_config_selectorILNS1_17partition_subalgoE8EmNS0_10empty_typeEbEEZZNS1_14partition_implILS5_8ELb0ES3_jPKmPS6_PKS6_NS0_5tupleIJPmS6_EEENSE_IJSB_SB_EEENS0_18inequality_wrapperIN6hipcub16HIPCUB_304000_NS8EqualityEEEPlJS6_EEE10hipError_tPvRmT3_T4_T5_T6_T7_T9_mT8_P12ihipStream_tbDpT10_ENKUlT_T0_E_clISt17integral_constantIbLb1EES16_IbLb0EEEEDaS12_S13_EUlS12_E_NS1_11comp_targetILNS1_3genE5ELNS1_11target_archE942ELNS1_3gpuE9ELNS1_3repE0EEENS1_30default_config_static_selectorELNS0_4arch9wavefront6targetE1EEEvT1_
		.amdhsa_group_segment_fixed_size 0
		.amdhsa_private_segment_fixed_size 0
		.amdhsa_kernarg_size 112
		.amdhsa_user_sgpr_count 6
		.amdhsa_user_sgpr_private_segment_buffer 1
		.amdhsa_user_sgpr_dispatch_ptr 0
		.amdhsa_user_sgpr_queue_ptr 0
		.amdhsa_user_sgpr_kernarg_segment_ptr 1
		.amdhsa_user_sgpr_dispatch_id 0
		.amdhsa_user_sgpr_flat_scratch_init 0
		.amdhsa_user_sgpr_kernarg_preload_length 0
		.amdhsa_user_sgpr_kernarg_preload_offset 0
		.amdhsa_user_sgpr_private_segment_size 0
		.amdhsa_uses_dynamic_stack 0
		.amdhsa_system_sgpr_private_segment_wavefront_offset 0
		.amdhsa_system_sgpr_workgroup_id_x 1
		.amdhsa_system_sgpr_workgroup_id_y 0
		.amdhsa_system_sgpr_workgroup_id_z 0
		.amdhsa_system_sgpr_workgroup_info 0
		.amdhsa_system_vgpr_workitem_id 0
		.amdhsa_next_free_vgpr 1
		.amdhsa_next_free_sgpr 0
		.amdhsa_accum_offset 4
		.amdhsa_reserve_vcc 0
		.amdhsa_reserve_flat_scratch 0
		.amdhsa_float_round_mode_32 0
		.amdhsa_float_round_mode_16_64 0
		.amdhsa_float_denorm_mode_32 3
		.amdhsa_float_denorm_mode_16_64 3
		.amdhsa_dx10_clamp 1
		.amdhsa_ieee_mode 1
		.amdhsa_fp16_overflow 0
		.amdhsa_tg_split 0
		.amdhsa_exception_fp_ieee_invalid_op 0
		.amdhsa_exception_fp_denorm_src 0
		.amdhsa_exception_fp_ieee_div_zero 0
		.amdhsa_exception_fp_ieee_overflow 0
		.amdhsa_exception_fp_ieee_underflow 0
		.amdhsa_exception_fp_ieee_inexact 0
		.amdhsa_exception_int_div_zero 0
	.end_amdhsa_kernel
	.section	.text._ZN7rocprim17ROCPRIM_400000_NS6detail17trampoline_kernelINS0_14default_configENS1_25partition_config_selectorILNS1_17partition_subalgoE8EmNS0_10empty_typeEbEEZZNS1_14partition_implILS5_8ELb0ES3_jPKmPS6_PKS6_NS0_5tupleIJPmS6_EEENSE_IJSB_SB_EEENS0_18inequality_wrapperIN6hipcub16HIPCUB_304000_NS8EqualityEEEPlJS6_EEE10hipError_tPvRmT3_T4_T5_T6_T7_T9_mT8_P12ihipStream_tbDpT10_ENKUlT_T0_E_clISt17integral_constantIbLb1EES16_IbLb0EEEEDaS12_S13_EUlS12_E_NS1_11comp_targetILNS1_3genE5ELNS1_11target_archE942ELNS1_3gpuE9ELNS1_3repE0EEENS1_30default_config_static_selectorELNS0_4arch9wavefront6targetE1EEEvT1_,"axG",@progbits,_ZN7rocprim17ROCPRIM_400000_NS6detail17trampoline_kernelINS0_14default_configENS1_25partition_config_selectorILNS1_17partition_subalgoE8EmNS0_10empty_typeEbEEZZNS1_14partition_implILS5_8ELb0ES3_jPKmPS6_PKS6_NS0_5tupleIJPmS6_EEENSE_IJSB_SB_EEENS0_18inequality_wrapperIN6hipcub16HIPCUB_304000_NS8EqualityEEEPlJS6_EEE10hipError_tPvRmT3_T4_T5_T6_T7_T9_mT8_P12ihipStream_tbDpT10_ENKUlT_T0_E_clISt17integral_constantIbLb1EES16_IbLb0EEEEDaS12_S13_EUlS12_E_NS1_11comp_targetILNS1_3genE5ELNS1_11target_archE942ELNS1_3gpuE9ELNS1_3repE0EEENS1_30default_config_static_selectorELNS0_4arch9wavefront6targetE1EEEvT1_,comdat
.Lfunc_end703:
	.size	_ZN7rocprim17ROCPRIM_400000_NS6detail17trampoline_kernelINS0_14default_configENS1_25partition_config_selectorILNS1_17partition_subalgoE8EmNS0_10empty_typeEbEEZZNS1_14partition_implILS5_8ELb0ES3_jPKmPS6_PKS6_NS0_5tupleIJPmS6_EEENSE_IJSB_SB_EEENS0_18inequality_wrapperIN6hipcub16HIPCUB_304000_NS8EqualityEEEPlJS6_EEE10hipError_tPvRmT3_T4_T5_T6_T7_T9_mT8_P12ihipStream_tbDpT10_ENKUlT_T0_E_clISt17integral_constantIbLb1EES16_IbLb0EEEEDaS12_S13_EUlS12_E_NS1_11comp_targetILNS1_3genE5ELNS1_11target_archE942ELNS1_3gpuE9ELNS1_3repE0EEENS1_30default_config_static_selectorELNS0_4arch9wavefront6targetE1EEEvT1_, .Lfunc_end703-_ZN7rocprim17ROCPRIM_400000_NS6detail17trampoline_kernelINS0_14default_configENS1_25partition_config_selectorILNS1_17partition_subalgoE8EmNS0_10empty_typeEbEEZZNS1_14partition_implILS5_8ELb0ES3_jPKmPS6_PKS6_NS0_5tupleIJPmS6_EEENSE_IJSB_SB_EEENS0_18inequality_wrapperIN6hipcub16HIPCUB_304000_NS8EqualityEEEPlJS6_EEE10hipError_tPvRmT3_T4_T5_T6_T7_T9_mT8_P12ihipStream_tbDpT10_ENKUlT_T0_E_clISt17integral_constantIbLb1EES16_IbLb0EEEEDaS12_S13_EUlS12_E_NS1_11comp_targetILNS1_3genE5ELNS1_11target_archE942ELNS1_3gpuE9ELNS1_3repE0EEENS1_30default_config_static_selectorELNS0_4arch9wavefront6targetE1EEEvT1_
                                        ; -- End function
	.section	.AMDGPU.csdata,"",@progbits
; Kernel info:
; codeLenInByte = 0
; NumSgprs: 4
; NumVgprs: 0
; NumAgprs: 0
; TotalNumVgprs: 0
; ScratchSize: 0
; MemoryBound: 0
; FloatMode: 240
; IeeeMode: 1
; LDSByteSize: 0 bytes/workgroup (compile time only)
; SGPRBlocks: 0
; VGPRBlocks: 0
; NumSGPRsForWavesPerEU: 4
; NumVGPRsForWavesPerEU: 1
; AccumOffset: 4
; Occupancy: 8
; WaveLimiterHint : 0
; COMPUTE_PGM_RSRC2:SCRATCH_EN: 0
; COMPUTE_PGM_RSRC2:USER_SGPR: 6
; COMPUTE_PGM_RSRC2:TRAP_HANDLER: 0
; COMPUTE_PGM_RSRC2:TGID_X_EN: 1
; COMPUTE_PGM_RSRC2:TGID_Y_EN: 0
; COMPUTE_PGM_RSRC2:TGID_Z_EN: 0
; COMPUTE_PGM_RSRC2:TIDIG_COMP_CNT: 0
; COMPUTE_PGM_RSRC3_GFX90A:ACCUM_OFFSET: 0
; COMPUTE_PGM_RSRC3_GFX90A:TG_SPLIT: 0
	.section	.text._ZN7rocprim17ROCPRIM_400000_NS6detail17trampoline_kernelINS0_14default_configENS1_25partition_config_selectorILNS1_17partition_subalgoE8EmNS0_10empty_typeEbEEZZNS1_14partition_implILS5_8ELb0ES3_jPKmPS6_PKS6_NS0_5tupleIJPmS6_EEENSE_IJSB_SB_EEENS0_18inequality_wrapperIN6hipcub16HIPCUB_304000_NS8EqualityEEEPlJS6_EEE10hipError_tPvRmT3_T4_T5_T6_T7_T9_mT8_P12ihipStream_tbDpT10_ENKUlT_T0_E_clISt17integral_constantIbLb1EES16_IbLb0EEEEDaS12_S13_EUlS12_E_NS1_11comp_targetILNS1_3genE4ELNS1_11target_archE910ELNS1_3gpuE8ELNS1_3repE0EEENS1_30default_config_static_selectorELNS0_4arch9wavefront6targetE1EEEvT1_,"axG",@progbits,_ZN7rocprim17ROCPRIM_400000_NS6detail17trampoline_kernelINS0_14default_configENS1_25partition_config_selectorILNS1_17partition_subalgoE8EmNS0_10empty_typeEbEEZZNS1_14partition_implILS5_8ELb0ES3_jPKmPS6_PKS6_NS0_5tupleIJPmS6_EEENSE_IJSB_SB_EEENS0_18inequality_wrapperIN6hipcub16HIPCUB_304000_NS8EqualityEEEPlJS6_EEE10hipError_tPvRmT3_T4_T5_T6_T7_T9_mT8_P12ihipStream_tbDpT10_ENKUlT_T0_E_clISt17integral_constantIbLb1EES16_IbLb0EEEEDaS12_S13_EUlS12_E_NS1_11comp_targetILNS1_3genE4ELNS1_11target_archE910ELNS1_3gpuE8ELNS1_3repE0EEENS1_30default_config_static_selectorELNS0_4arch9wavefront6targetE1EEEvT1_,comdat
	.protected	_ZN7rocprim17ROCPRIM_400000_NS6detail17trampoline_kernelINS0_14default_configENS1_25partition_config_selectorILNS1_17partition_subalgoE8EmNS0_10empty_typeEbEEZZNS1_14partition_implILS5_8ELb0ES3_jPKmPS6_PKS6_NS0_5tupleIJPmS6_EEENSE_IJSB_SB_EEENS0_18inequality_wrapperIN6hipcub16HIPCUB_304000_NS8EqualityEEEPlJS6_EEE10hipError_tPvRmT3_T4_T5_T6_T7_T9_mT8_P12ihipStream_tbDpT10_ENKUlT_T0_E_clISt17integral_constantIbLb1EES16_IbLb0EEEEDaS12_S13_EUlS12_E_NS1_11comp_targetILNS1_3genE4ELNS1_11target_archE910ELNS1_3gpuE8ELNS1_3repE0EEENS1_30default_config_static_selectorELNS0_4arch9wavefront6targetE1EEEvT1_ ; -- Begin function _ZN7rocprim17ROCPRIM_400000_NS6detail17trampoline_kernelINS0_14default_configENS1_25partition_config_selectorILNS1_17partition_subalgoE8EmNS0_10empty_typeEbEEZZNS1_14partition_implILS5_8ELb0ES3_jPKmPS6_PKS6_NS0_5tupleIJPmS6_EEENSE_IJSB_SB_EEENS0_18inequality_wrapperIN6hipcub16HIPCUB_304000_NS8EqualityEEEPlJS6_EEE10hipError_tPvRmT3_T4_T5_T6_T7_T9_mT8_P12ihipStream_tbDpT10_ENKUlT_T0_E_clISt17integral_constantIbLb1EES16_IbLb0EEEEDaS12_S13_EUlS12_E_NS1_11comp_targetILNS1_3genE4ELNS1_11target_archE910ELNS1_3gpuE8ELNS1_3repE0EEENS1_30default_config_static_selectorELNS0_4arch9wavefront6targetE1EEEvT1_
	.globl	_ZN7rocprim17ROCPRIM_400000_NS6detail17trampoline_kernelINS0_14default_configENS1_25partition_config_selectorILNS1_17partition_subalgoE8EmNS0_10empty_typeEbEEZZNS1_14partition_implILS5_8ELb0ES3_jPKmPS6_PKS6_NS0_5tupleIJPmS6_EEENSE_IJSB_SB_EEENS0_18inequality_wrapperIN6hipcub16HIPCUB_304000_NS8EqualityEEEPlJS6_EEE10hipError_tPvRmT3_T4_T5_T6_T7_T9_mT8_P12ihipStream_tbDpT10_ENKUlT_T0_E_clISt17integral_constantIbLb1EES16_IbLb0EEEEDaS12_S13_EUlS12_E_NS1_11comp_targetILNS1_3genE4ELNS1_11target_archE910ELNS1_3gpuE8ELNS1_3repE0EEENS1_30default_config_static_selectorELNS0_4arch9wavefront6targetE1EEEvT1_
	.p2align	8
	.type	_ZN7rocprim17ROCPRIM_400000_NS6detail17trampoline_kernelINS0_14default_configENS1_25partition_config_selectorILNS1_17partition_subalgoE8EmNS0_10empty_typeEbEEZZNS1_14partition_implILS5_8ELb0ES3_jPKmPS6_PKS6_NS0_5tupleIJPmS6_EEENSE_IJSB_SB_EEENS0_18inequality_wrapperIN6hipcub16HIPCUB_304000_NS8EqualityEEEPlJS6_EEE10hipError_tPvRmT3_T4_T5_T6_T7_T9_mT8_P12ihipStream_tbDpT10_ENKUlT_T0_E_clISt17integral_constantIbLb1EES16_IbLb0EEEEDaS12_S13_EUlS12_E_NS1_11comp_targetILNS1_3genE4ELNS1_11target_archE910ELNS1_3gpuE8ELNS1_3repE0EEENS1_30default_config_static_selectorELNS0_4arch9wavefront6targetE1EEEvT1_,@function
_ZN7rocprim17ROCPRIM_400000_NS6detail17trampoline_kernelINS0_14default_configENS1_25partition_config_selectorILNS1_17partition_subalgoE8EmNS0_10empty_typeEbEEZZNS1_14partition_implILS5_8ELb0ES3_jPKmPS6_PKS6_NS0_5tupleIJPmS6_EEENSE_IJSB_SB_EEENS0_18inequality_wrapperIN6hipcub16HIPCUB_304000_NS8EqualityEEEPlJS6_EEE10hipError_tPvRmT3_T4_T5_T6_T7_T9_mT8_P12ihipStream_tbDpT10_ENKUlT_T0_E_clISt17integral_constantIbLb1EES16_IbLb0EEEEDaS12_S13_EUlS12_E_NS1_11comp_targetILNS1_3genE4ELNS1_11target_archE910ELNS1_3gpuE8ELNS1_3repE0EEENS1_30default_config_static_selectorELNS0_4arch9wavefront6targetE1EEEvT1_: ; @_ZN7rocprim17ROCPRIM_400000_NS6detail17trampoline_kernelINS0_14default_configENS1_25partition_config_selectorILNS1_17partition_subalgoE8EmNS0_10empty_typeEbEEZZNS1_14partition_implILS5_8ELb0ES3_jPKmPS6_PKS6_NS0_5tupleIJPmS6_EEENSE_IJSB_SB_EEENS0_18inequality_wrapperIN6hipcub16HIPCUB_304000_NS8EqualityEEEPlJS6_EEE10hipError_tPvRmT3_T4_T5_T6_T7_T9_mT8_P12ihipStream_tbDpT10_ENKUlT_T0_E_clISt17integral_constantIbLb1EES16_IbLb0EEEEDaS12_S13_EUlS12_E_NS1_11comp_targetILNS1_3genE4ELNS1_11target_archE910ELNS1_3gpuE8ELNS1_3repE0EEENS1_30default_config_static_selectorELNS0_4arch9wavefront6targetE1EEEvT1_
; %bb.0:
	s_load_dwordx2 s[8:9], s[4:5], 0x50
	s_load_dwordx4 s[0:3], s[4:5], 0x8
	s_load_dwordx4 s[20:23], s[4:5], 0x40
	s_load_dword s7, s[4:5], 0x68
	s_waitcnt lgkmcnt(0)
	v_mov_b32_e32 v3, s9
	s_lshl_b64 s[10:11], s[2:3], 3
	s_add_u32 s10, s0, s10
	s_mul_i32 s9, s7, 0x500
	s_addc_u32 s11, s1, s11
	s_add_i32 s1, s9, s2
	s_add_i32 s12, s7, -1
	s_sub_i32 s7, s8, s1
	v_mov_b32_e32 v2, s8
	s_add_u32 s8, s2, s9
	s_addc_u32 s9, s3, 0
	s_cmp_eq_u32 s6, s12
	s_load_dwordx2 s[22:23], s[22:23], 0x0
	v_cmp_ge_u64_e32 vcc, s[8:9], v[2:3]
	s_cselect_b64 s[24:25], -1, 0
	s_mul_i32 s0, s6, 0x500
	s_mov_b32 s1, 0
	s_and_b64 s[12:13], s[24:25], vcc
	s_xor_b64 s[26:27], s[12:13], -1
	s_lshl_b64 s[0:1], s[0:1], 3
	s_add_u32 s0, s10, s0
	s_mov_b64 s[8:9], -1
	s_addc_u32 s1, s11, s1
	s_and_b64 vcc, exec, s[26:27]
	s_cbranch_vccz .LBB704_2
; %bb.1:
	v_lshlrev_b32_e32 v1, 3, v0
	v_mov_b32_e32 v2, s1
	v_add_co_u32_e32 v12, vcc, s0, v1
	v_addc_co_u32_e32 v13, vcc, 0, v2, vcc
	v_add_co_u32_e32 v2, vcc, 0x1000, v12
	v_addc_co_u32_e32 v3, vcc, 0, v13, vcc
	global_load_dwordx2 v[4:5], v1, s[0:1]
	global_load_dwordx2 v[6:7], v1, s[0:1] offset:2048
	global_load_dwordx2 v[8:9], v[2:3], off
	global_load_dwordx2 v[10:11], v[2:3], off offset:2048
	v_add_co_u32_e32 v2, vcc, 0x2000, v12
	v_addc_co_u32_e32 v3, vcc, 0, v13, vcc
	global_load_dwordx2 v[2:3], v[2:3], off
	s_mov_b64 s[8:9], 0
	s_waitcnt vmcnt(3)
	ds_write2st64_b64 v1, v[4:5], v[6:7] offset1:4
	s_waitcnt vmcnt(1)
	ds_write2st64_b64 v1, v[8:9], v[10:11] offset0:8 offset1:12
	s_waitcnt vmcnt(0)
	ds_write_b64 v1, v[2:3] offset:8192
	s_waitcnt lgkmcnt(0)
	s_barrier
.LBB704_2:
	s_andn2_b64 vcc, exec, s[8:9]
	s_addk_i32 s7, 0x500
	s_cbranch_vccnz .LBB704_14
; %bb.3:
	v_cmp_gt_u32_e32 vcc, s7, v0
                                        ; implicit-def: $vgpr2_vgpr3_vgpr4_vgpr5_vgpr6_vgpr7_vgpr8_vgpr9_vgpr10_vgpr11_vgpr12_vgpr13_vgpr14_vgpr15_vgpr16_vgpr17
	s_and_saveexec_b64 s[8:9], vcc
	s_cbranch_execz .LBB704_5
; %bb.4:
	v_lshlrev_b32_e32 v1, 3, v0
	global_load_dwordx2 v[2:3], v1, s[0:1]
.LBB704_5:
	s_or_b64 exec, exec, s[8:9]
	v_or_b32_e32 v1, 0x100, v0
	v_cmp_gt_u32_e32 vcc, s7, v1
	s_and_saveexec_b64 s[8:9], vcc
	s_cbranch_execz .LBB704_7
; %bb.6:
	v_lshlrev_b32_e32 v1, 3, v0
	global_load_dwordx2 v[4:5], v1, s[0:1] offset:2048
.LBB704_7:
	s_or_b64 exec, exec, s[8:9]
	v_or_b32_e32 v1, 0x200, v0
	v_cmp_gt_u32_e32 vcc, s7, v1
	s_and_saveexec_b64 s[8:9], vcc
	s_cbranch_execz .LBB704_9
; %bb.8:
	v_lshlrev_b32_e32 v1, 3, v1
	global_load_dwordx2 v[6:7], v1, s[0:1]
.LBB704_9:
	s_or_b64 exec, exec, s[8:9]
	v_or_b32_e32 v1, 0x300, v0
	v_cmp_gt_u32_e32 vcc, s7, v1
	s_and_saveexec_b64 s[8:9], vcc
	s_cbranch_execz .LBB704_11
; %bb.10:
	v_lshlrev_b32_e32 v1, 3, v1
	global_load_dwordx2 v[8:9], v1, s[0:1]
.LBB704_11:
	;; [unrolled: 9-line block ×3, first 2 shown]
	s_or_b64 exec, exec, s[8:9]
	v_lshlrev_b32_e32 v1, 3, v0
	s_waitcnt vmcnt(0)
	ds_write2st64_b64 v1, v[2:3], v[4:5] offset1:4
	ds_write2st64_b64 v1, v[6:7], v[8:9] offset0:8 offset1:12
	ds_write_b64 v1, v[10:11] offset:8192
	s_waitcnt lgkmcnt(0)
	s_barrier
.LBB704_14:
	v_mul_u32_u24_e32 v16, 5, v0
	v_lshlrev_b32_e32 v1, 3, v16
	s_waitcnt lgkmcnt(0)
	ds_read2_b64 v[6:9], v1 offset1:1
	ds_read2_b64 v[2:5], v1 offset0:2 offset1:3
	ds_read_b64 v[10:11], v1 offset:32
	s_cmp_lg_u32 s6, 0
	s_cselect_b64 s[16:17], -1, 0
	s_cmp_lg_u64 s[2:3], 0
	s_cselect_b64 s[2:3], -1, 0
	s_or_b64 s[2:3], s[16:17], s[2:3]
	v_mad_u32_u24 v19, v0, 5, 1
	v_mad_u32_u24 v17, v0, 5, 2
	;; [unrolled: 1-line block ×4, first 2 shown]
	s_mov_b64 s[14:15], 0
	s_and_b64 vcc, exec, s[2:3]
	s_waitcnt lgkmcnt(0)
	s_barrier
	s_cbranch_vccz .LBB704_19
; %bb.15:
	s_add_u32 s0, s0, -8
	s_addc_u32 s1, s1, -1
	s_load_dwordx2 s[2:3], s[0:1], 0x0
	v_lshlrev_b32_e32 v12, 3, v0
	s_and_b64 vcc, exec, s[26:27]
	ds_write_b64 v12, v[10:11]
	s_cbranch_vccz .LBB704_20
; %bb.16:
	v_cmp_ne_u32_e32 vcc, 0, v0
	s_waitcnt lgkmcnt(0)
	v_pk_mov_b32 v[14:15], s[2:3], s[2:3] op_sel:[0,1]
	s_barrier
	s_and_saveexec_b64 s[0:1], vcc
	s_cbranch_execz .LBB704_18
; %bb.17:
	v_add_u32_e32 v13, -8, v12
	ds_read_b64 v[14:15], v13
.LBB704_18:
	s_or_b64 exec, exec, s[0:1]
	v_cmp_ne_u64_e32 vcc, v[4:5], v[10:11]
	v_cndmask_b32_e64 v13, 0, 1, vcc
	v_cmp_ne_u64_e32 vcc, v[2:3], v[4:5]
	v_cndmask_b32_e64 v21, 0, 1, vcc
	;; [unrolled: 2-line block ×4, first 2 shown]
	s_waitcnt lgkmcnt(0)
	v_cmp_ne_u64_e64 s[0:1], v[14:15], v[6:7]
	v_lshlrev_b16_e32 v14, 8, v21
	v_or_b32_sdwa v14, v22, v14 dst_sel:WORD_1 dst_unused:UNUSED_PAD src0_sel:DWORD src1_sel:DWORD
	v_lshlrev_b16_e32 v15, 8, v23
	v_or_b32_e32 v14, v15, v14
	s_branch .LBB704_24
.LBB704_19:
                                        ; implicit-def: $sgpr0_sgpr1
                                        ; implicit-def: $vgpr13
                                        ; implicit-def: $vgpr14
	s_branch .LBB704_25
.LBB704_20:
                                        ; implicit-def: $sgpr0_sgpr1
                                        ; implicit-def: $vgpr13
                                        ; implicit-def: $vgpr14
	s_cbranch_execz .LBB704_24
; %bb.21:
	v_cmp_ne_u32_e32 vcc, 0, v0
	s_waitcnt lgkmcnt(0)
	v_pk_mov_b32 v[14:15], s[2:3], s[2:3] op_sel:[0,1]
	s_barrier
	s_and_saveexec_b64 s[0:1], vcc
	s_cbranch_execz .LBB704_23
; %bb.22:
	v_add_u32_e32 v12, -8, v12
	ds_read_b64 v[14:15], v12
.LBB704_23:
	s_or_b64 exec, exec, s[0:1]
	v_cmp_gt_u32_e32 vcc, s7, v18
	v_cmp_ne_u64_e64 s[0:1], v[4:5], v[10:11]
	s_and_b64 s[0:1], vcc, s[0:1]
	v_cndmask_b32_e64 v13, 0, 1, s[0:1]
	v_cmp_gt_u32_e32 vcc, s7, v20
	v_cmp_ne_u64_e64 s[0:1], v[2:3], v[4:5]
	s_and_b64 s[0:1], vcc, s[0:1]
	v_cndmask_b32_e64 v12, 0, 1, s[0:1]
	;; [unrolled: 4-line block ×4, first 2 shown]
	v_lshlrev_b16_e32 v12, 8, v12
	v_cmp_gt_u32_e32 vcc, s7, v16
	s_waitcnt lgkmcnt(0)
	v_cmp_ne_u64_e64 s[0:1], v[14:15], v[6:7]
	v_or_b32_sdwa v12, v21, v12 dst_sel:WORD_1 dst_unused:UNUSED_PAD src0_sel:DWORD src1_sel:DWORD
	v_lshlrev_b16_e32 v14, 8, v22
	s_and_b64 s[0:1], vcc, s[0:1]
	v_or_b32_e32 v14, v14, v12
.LBB704_24:
	s_waitcnt lgkmcnt(0)
	s_mov_b64 s[14:15], -1
	s_cbranch_execnz .LBB704_33
.LBB704_25:
	v_lshlrev_b32_e32 v12, 5, v0
	v_sub_u32_e32 v15, v1, v12
	s_and_b64 vcc, exec, s[26:27]
	v_cmp_ne_u64_e64 s[0:1], v[4:5], v[10:11]
	v_cmp_ne_u64_e64 s[2:3], v[2:3], v[4:5]
	;; [unrolled: 1-line block ×4, first 2 shown]
	ds_write_b64 v15, v[10:11]
	s_cbranch_vccz .LBB704_29
; %bb.26:
	v_cndmask_b32_e64 v12, 0, 1, s[2:3]
	v_cndmask_b32_e64 v13, 0, 1, s[10:11]
	;; [unrolled: 1-line block ×3, first 2 shown]
	v_lshlrev_b16_e32 v12, 8, v12
	v_or_b32_sdwa v12, v13, v12 dst_sel:WORD_1 dst_unused:UNUSED_PAD src0_sel:DWORD src1_sel:DWORD
	v_lshlrev_b16_e32 v13, 8, v14
	v_or_b32_e32 v13, 1, v13
	v_or_b32_sdwa v12, v13, v12 dst_sel:DWORD dst_unused:UNUSED_PAD src0_sel:WORD_0 src1_sel:DWORD
	v_cndmask_b32_e64 v13, 0, 1, s[0:1]
	v_cmp_ne_u32_e32 vcc, 0, v0
	s_waitcnt lgkmcnt(0)
	s_barrier
	s_waitcnt lgkmcnt(0)
                                        ; implicit-def: $sgpr0_sgpr1
                                        ; implicit-def: $vgpr14
	s_and_saveexec_b64 s[2:3], vcc
	s_xor_b64 s[2:3], exec, s[2:3]
	s_cbranch_execz .LBB704_28
; %bb.27:
	v_add_u32_e32 v14, -8, v15
	ds_read_b64 v[22:23], v14
	s_mov_b32 s0, 0x3020104
	v_perm_b32 v14, v12, v12, s0
	s_or_b64 s[14:15], s[14:15], exec
	s_waitcnt lgkmcnt(0)
	v_cmp_ne_u64_e32 vcc, v[22:23], v[6:7]
	s_and_b64 s[0:1], vcc, exec
.LBB704_28:
	s_or_b64 exec, exec, s[2:3]
	s_branch .LBB704_33
.LBB704_29:
                                        ; implicit-def: $sgpr0_sgpr1
                                        ; implicit-def: $vgpr13
                                        ; implicit-def: $vgpr14
	s_cbranch_execz .LBB704_33
; %bb.30:
	v_cmp_gt_u32_e64 s[2:3], s7, v20
	v_cmp_ne_u64_e64 s[8:9], v[2:3], v[4:5]
	s_and_b64 s[2:3], s[2:3], s[8:9]
	v_cndmask_b32_e64 v12, 0, 1, s[2:3]
	v_cmp_gt_u32_e64 s[2:3], s7, v17
	v_cmp_ne_u64_e64 s[8:9], v[8:9], v[2:3]
	s_and_b64 s[2:3], s[2:3], s[8:9]
	v_cndmask_b32_e64 v13, 0, 1, s[2:3]
	;; [unrolled: 4-line block ×3, first 2 shown]
	v_lshlrev_b16_e32 v12, 8, v12
	v_cmp_gt_u32_e32 vcc, s7, v18
	v_cmp_ne_u64_e64 s[0:1], v[4:5], v[10:11]
	v_or_b32_sdwa v12, v13, v12 dst_sel:WORD_1 dst_unused:UNUSED_PAD src0_sel:DWORD src1_sel:DWORD
	v_lshlrev_b16_e32 v13, 8, v14
	v_or_b32_e32 v13, 1, v13
	s_and_b64 s[0:1], vcc, s[0:1]
	v_or_b32_sdwa v12, v13, v12 dst_sel:DWORD dst_unused:UNUSED_PAD src0_sel:WORD_0 src1_sel:DWORD
	v_cndmask_b32_e64 v13, 0, 1, s[0:1]
	v_cmp_ne_u32_e32 vcc, 0, v0
	s_waitcnt lgkmcnt(0)
	s_barrier
	s_waitcnt lgkmcnt(0)
                                        ; implicit-def: $sgpr0_sgpr1
                                        ; implicit-def: $vgpr14
	s_and_saveexec_b64 s[2:3], vcc
	s_cbranch_execz .LBB704_32
; %bb.31:
	v_add_u32_e32 v14, -8, v15
	ds_read_b64 v[22:23], v14
	s_mov_b32 s0, 0x3020104
	v_cmp_gt_u32_e32 vcc, s7, v16
	v_perm_b32 v14, v12, v12, s0
	s_or_b64 s[14:15], s[14:15], exec
	s_waitcnt lgkmcnt(0)
	v_cmp_ne_u64_e64 s[0:1], v[22:23], v[6:7]
	s_and_b64 s[0:1], vcc, s[0:1]
	s_and_b64 s[0:1], s[0:1], exec
.LBB704_32:
	s_or_b64 exec, exec, s[2:3]
.LBB704_33:
	s_and_saveexec_b64 s[2:3], s[14:15]
	s_cbranch_execz .LBB704_35
; %bb.34:
	v_cndmask_b32_e64 v12, 0, 1, s[0:1]
	v_lshrrev_b32_e32 v15, 24, v14
	s_movk_i32 s0, 0xff
	v_lshlrev_b16_e32 v15, 8, v15
	v_and_b32_sdwa v21, v14, s0 dst_sel:DWORD dst_unused:UNUSED_PAD src0_sel:WORD_1 src1_sel:DWORD
	v_or_b32_sdwa v15, v21, v15 dst_sel:WORD_1 dst_unused:UNUSED_PAD src0_sel:DWORD src1_sel:DWORD
	v_mov_b32_e32 v21, 8
	v_lshrrev_b32_sdwa v14, v21, v14 dst_sel:BYTE_1 dst_unused:UNUSED_PAD src0_sel:DWORD src1_sel:DWORD
	v_or_b32_e32 v12, v12, v14
	s_mov_b32 s0, 0xffff
	v_or_b32_sdwa v12, v12, v15 dst_sel:DWORD dst_unused:UNUSED_PAD src0_sel:WORD_0 src1_sel:DWORD
	v_and_b32_sdwa v13, s0, v13 dst_sel:DWORD dst_unused:UNUSED_PAD src0_sel:DWORD src1_sel:BYTE_0
.LBB704_35:
	s_or_b64 exec, exec, s[2:3]
	s_load_dwordx2 s[28:29], s[4:5], 0x60
	s_andn2_b64 vcc, exec, s[12:13]
	s_cbranch_vccnz .LBB704_37
; %bb.36:
	v_cmp_gt_u32_e32 vcc, s7, v16
	v_cndmask_b32_e32 v14, 0, v12, vcc
	v_and_b32_e32 v14, 0xffff00ff, v14
	v_cmp_gt_u32_e64 s[0:1], s7, v19
	v_cndmask_b32_e64 v14, v14, v12, s[0:1]
	v_lshrrev_b32_e32 v15, 24, v14
	s_mov_b32 s2, 0x40c0100
	v_perm_b32 v14, v15, v14, s2
	v_cmp_gt_u32_e64 s[2:3], s7, v17
	v_cmp_gt_u32_e64 s[8:9], s7, v20
	v_cndmask_b32_e64 v14, v14, v12, s[2:3]
	s_or_b64 s[2:3], s[8:9], s[2:3]
	s_or_b64 s[0:1], s[2:3], s[0:1]
	s_or_b64 vcc, s[0:1], vcc
	v_and_b32_e32 v14, 0xffffff, v14
	v_cndmask_b32_e32 v15, 0, v13, vcc
	v_cndmask_b32_e64 v14, v14, v12, s[8:9]
	v_and_b32_e32 v15, 0xffffff00, v15
	v_cmp_gt_u32_e32 vcc, s7, v18
	v_cndmask_b32_e32 v12, v14, v12, vcc
	v_cndmask_b32_e32 v13, v15, v13, vcc
	s_mov_b32 s0, 0x3020104
	v_and_b32_e32 v13, 0xff, v13
	v_perm_b32 v12, v12, v12, s0
.LBB704_37:
	v_and_b32_e32 v25, 0xff, v12
	v_bfe_u32 v27, v12, 8, 8
	v_bfe_u32 v28, v12, 16, 8
	v_alignbit_b32 v14, v13, v12, 24
	v_and_b32_e32 v29, 0xff, v14
	v_and_b32_e32 v14, 0xff, v13
	v_add3_u32 v15, v27, v25, v28
	v_add3_u32 v32, v15, v29, v14
	v_mbcnt_lo_u32_b32 v14, -1, 0
	v_mbcnt_hi_u32_b32 v30, -1, v14
	v_and_b32_e32 v14, 15, v30
	v_cmp_eq_u32_e64 s[14:15], 0, v14
	v_cmp_lt_u32_e64 s[12:13], 1, v14
	v_cmp_lt_u32_e64 s[10:11], 3, v14
	;; [unrolled: 1-line block ×3, first 2 shown]
	v_and_b32_e32 v14, 16, v30
	v_cmp_eq_u32_e64 s[18:19], 0, v14
	v_or_b32_e32 v14, 63, v0
	v_cmp_lt_u32_e64 s[0:1], 31, v30
	v_lshrrev_b32_e32 v31, 6, v0
	v_cmp_eq_u32_e64 s[2:3], v14, v0
	s_and_b64 vcc, exec, s[16:17]
	s_waitcnt lgkmcnt(0)
	s_barrier
	s_cbranch_vccz .LBB704_68
; %bb.38:
	v_mov_b32_dpp v14, v32 row_shr:1 row_mask:0xf bank_mask:0xf
	v_cndmask_b32_e64 v14, v14, 0, s[14:15]
	v_add_u32_e32 v14, v14, v32
	s_nop 1
	v_mov_b32_dpp v15, v14 row_shr:2 row_mask:0xf bank_mask:0xf
	v_cndmask_b32_e64 v15, 0, v15, s[12:13]
	v_add_u32_e32 v14, v14, v15
	s_nop 1
	;; [unrolled: 4-line block ×4, first 2 shown]
	v_mov_b32_dpp v15, v14 row_bcast:15 row_mask:0xf bank_mask:0xf
	v_cndmask_b32_e64 v15, v15, 0, s[18:19]
	v_add_u32_e32 v14, v14, v15
	s_nop 1
	v_mov_b32_dpp v15, v14 row_bcast:31 row_mask:0xf bank_mask:0xf
	v_cndmask_b32_e64 v15, 0, v15, s[0:1]
	v_add_u32_e32 v14, v14, v15
	s_and_saveexec_b64 s[16:17], s[2:3]
	s_cbranch_execz .LBB704_40
; %bb.39:
	v_lshlrev_b32_e32 v15, 2, v31
	ds_write_b32 v15, v14
.LBB704_40:
	s_or_b64 exec, exec, s[16:17]
	v_cmp_gt_u32_e32 vcc, 4, v0
	s_waitcnt lgkmcnt(0)
	s_barrier
	s_and_saveexec_b64 s[16:17], vcc
	s_cbranch_execz .LBB704_42
; %bb.41:
	v_lshlrev_b32_e32 v15, 2, v0
	ds_read_b32 v16, v15
	v_and_b32_e32 v17, 3, v30
	v_cmp_ne_u32_e32 vcc, 0, v17
	s_waitcnt lgkmcnt(0)
	v_mov_b32_dpp v18, v16 row_shr:1 row_mask:0xf bank_mask:0xf
	v_cndmask_b32_e32 v18, 0, v18, vcc
	v_add_u32_e32 v16, v18, v16
	v_cmp_lt_u32_e32 vcc, 1, v17
	s_nop 0
	v_mov_b32_dpp v18, v16 row_shr:2 row_mask:0xf bank_mask:0xf
	v_cndmask_b32_e32 v17, 0, v18, vcc
	v_add_u32_e32 v16, v16, v17
	ds_write_b32 v15, v16
.LBB704_42:
	s_or_b64 exec, exec, s[16:17]
	v_cmp_gt_u32_e32 vcc, 64, v0
	v_cmp_lt_u32_e64 s[16:17], 63, v0
	s_waitcnt lgkmcnt(0)
	s_barrier
	s_waitcnt lgkmcnt(0)
                                        ; implicit-def: $vgpr24
	s_and_saveexec_b64 s[30:31], s[16:17]
	s_cbranch_execz .LBB704_44
; %bb.43:
	v_lshl_add_u32 v15, v31, 2, -4
	ds_read_b32 v24, v15
	s_waitcnt lgkmcnt(0)
	v_add_u32_e32 v14, v24, v14
.LBB704_44:
	s_or_b64 exec, exec, s[30:31]
	v_add_u32_e32 v15, -1, v30
	v_and_b32_e32 v16, 64, v30
	v_cmp_lt_i32_e64 s[16:17], v15, v16
	v_cndmask_b32_e64 v15, v15, v30, s[16:17]
	v_lshlrev_b32_e32 v15, 2, v15
	ds_bpermute_b32 v26, v15, v14
	v_cmp_eq_u32_e64 s[16:17], 0, v30
	s_and_saveexec_b64 s[30:31], vcc
	s_cbranch_execz .LBB704_67
; %bb.45:
	v_mov_b32_e32 v23, 0
	ds_read_b32 v14, v23 offset:12
	s_and_saveexec_b64 s[34:35], s[16:17]
	s_cbranch_execz .LBB704_47
; %bb.46:
	s_add_i32 s36, s6, 64
	s_mov_b32 s37, 0
	s_lshl_b64 s[36:37], s[36:37], 3
	s_add_u32 s36, s28, s36
	v_mov_b32_e32 v15, 1
	s_addc_u32 s37, s29, s37
	s_waitcnt lgkmcnt(0)
	global_store_dwordx2 v23, v[14:15], s[36:37]
.LBB704_47:
	s_or_b64 exec, exec, s[34:35]
	v_xad_u32 v16, v30, -1, s6
	v_add_u32_e32 v22, 64, v16
	v_lshlrev_b64 v[18:19], 3, v[22:23]
	v_mov_b32_e32 v15, s29
	v_add_co_u32_e32 v18, vcc, s28, v18
	v_addc_co_u32_e32 v19, vcc, v15, v19, vcc
	global_load_dwordx2 v[20:21], v[18:19], off glc
	s_waitcnt vmcnt(0)
	v_cmp_eq_u16_sdwa s[36:37], v21, v23 src0_sel:BYTE_0 src1_sel:DWORD
	s_and_saveexec_b64 s[34:35], s[36:37]
	s_cbranch_execz .LBB704_53
; %bb.48:
	s_mov_b32 s7, 1
	s_mov_b64 s[36:37], 0
	v_mov_b32_e32 v15, 0
.LBB704_49:                             ; =>This Loop Header: Depth=1
                                        ;     Child Loop BB704_50 Depth 2
	s_max_u32 s33, s7, 1
.LBB704_50:                             ;   Parent Loop BB704_49 Depth=1
                                        ; =>  This Inner Loop Header: Depth=2
	s_add_i32 s33, s33, -1
	s_cmp_eq_u32 s33, 0
	s_sleep 1
	s_cbranch_scc0 .LBB704_50
; %bb.51:                               ;   in Loop: Header=BB704_49 Depth=1
	global_load_dwordx2 v[20:21], v[18:19], off glc
	s_cmp_lt_u32 s7, 32
	s_cselect_b64 s[38:39], -1, 0
	s_cmp_lg_u64 s[38:39], 0
	s_addc_u32 s7, s7, 0
	s_waitcnt vmcnt(0)
	v_cmp_ne_u16_sdwa s[38:39], v21, v15 src0_sel:BYTE_0 src1_sel:DWORD
	s_or_b64 s[36:37], s[38:39], s[36:37]
	s_andn2_b64 exec, exec, s[36:37]
	s_cbranch_execnz .LBB704_49
; %bb.52:
	s_or_b64 exec, exec, s[36:37]
.LBB704_53:
	s_or_b64 exec, exec, s[34:35]
	v_and_b32_e32 v34, 63, v30
	v_mov_b32_e32 v33, 2
	v_cmp_ne_u32_e32 vcc, 63, v34
	v_cmp_eq_u16_sdwa s[34:35], v21, v33 src0_sel:BYTE_0 src1_sel:DWORD
	v_lshlrev_b64 v[18:19], v30, -1
	v_addc_co_u32_e32 v22, vcc, 0, v30, vcc
	v_and_b32_e32 v15, s35, v19
	v_lshlrev_b32_e32 v35, 2, v22
	v_or_b32_e32 v15, 0x80000000, v15
	ds_bpermute_b32 v22, v35, v20
	v_and_b32_e32 v17, s34, v18
	v_ffbl_b32_e32 v15, v15
	v_add_u32_e32 v15, 32, v15
	v_ffbl_b32_e32 v17, v17
	v_min_u32_e32 v15, v17, v15
	v_cmp_lt_u32_e32 vcc, v34, v15
	s_waitcnt lgkmcnt(0)
	v_cndmask_b32_e32 v17, 0, v22, vcc
	v_cmp_gt_u32_e32 vcc, 62, v34
	v_add_u32_e32 v17, v17, v20
	v_cndmask_b32_e64 v20, 0, 1, vcc
	v_lshlrev_b32_e32 v20, 1, v20
	v_add_lshl_u32 v36, v20, v30, 2
	ds_bpermute_b32 v20, v36, v17
	v_add_u32_e32 v37, 2, v34
	v_cmp_le_u32_e32 vcc, v37, v15
	v_add_u32_e32 v39, 4, v34
	v_add_u32_e32 v41, 8, v34
	s_waitcnt lgkmcnt(0)
	v_cndmask_b32_e32 v20, 0, v20, vcc
	v_cmp_gt_u32_e32 vcc, 60, v34
	v_add_u32_e32 v17, v17, v20
	v_cndmask_b32_e64 v20, 0, 1, vcc
	v_lshlrev_b32_e32 v20, 2, v20
	v_add_lshl_u32 v38, v20, v30, 2
	ds_bpermute_b32 v20, v38, v17
	v_cmp_le_u32_e32 vcc, v39, v15
	v_add_u32_e32 v43, 16, v34
	v_add_u32_e32 v45, 32, v34
	s_waitcnt lgkmcnt(0)
	v_cndmask_b32_e32 v20, 0, v20, vcc
	v_cmp_gt_u32_e32 vcc, 56, v34
	v_add_u32_e32 v17, v17, v20
	v_cndmask_b32_e64 v20, 0, 1, vcc
	v_lshlrev_b32_e32 v20, 3, v20
	v_add_lshl_u32 v40, v20, v30, 2
	ds_bpermute_b32 v20, v40, v17
	v_cmp_le_u32_e32 vcc, v41, v15
	s_waitcnt lgkmcnt(0)
	v_cndmask_b32_e32 v20, 0, v20, vcc
	v_cmp_gt_u32_e32 vcc, 48, v34
	v_add_u32_e32 v17, v17, v20
	v_cndmask_b32_e64 v20, 0, 1, vcc
	v_lshlrev_b32_e32 v20, 4, v20
	v_add_lshl_u32 v42, v20, v30, 2
	ds_bpermute_b32 v20, v42, v17
	v_cmp_le_u32_e32 vcc, v43, v15
	;; [unrolled: 9-line block ×3, first 2 shown]
	s_waitcnt lgkmcnt(0)
	v_cndmask_b32_e32 v15, 0, v20, vcc
	v_add_u32_e32 v20, v17, v15
	v_mov_b32_e32 v17, 0
	s_branch .LBB704_55
.LBB704_54:                             ;   in Loop: Header=BB704_55 Depth=1
	s_or_b64 exec, exec, s[34:35]
	v_cmp_eq_u16_sdwa s[34:35], v21, v33 src0_sel:BYTE_0 src1_sel:DWORD
	v_and_b32_e32 v22, s35, v19
	v_or_b32_e32 v22, 0x80000000, v22
	ds_bpermute_b32 v46, v35, v20
	v_and_b32_e32 v23, s34, v18
	v_ffbl_b32_e32 v22, v22
	v_add_u32_e32 v22, 32, v22
	v_ffbl_b32_e32 v23, v23
	v_min_u32_e32 v22, v23, v22
	v_cmp_lt_u32_e32 vcc, v34, v22
	s_waitcnt lgkmcnt(0)
	v_cndmask_b32_e32 v23, 0, v46, vcc
	v_add_u32_e32 v20, v23, v20
	ds_bpermute_b32 v23, v36, v20
	v_cmp_le_u32_e32 vcc, v37, v22
	v_subrev_u32_e32 v16, 64, v16
	s_waitcnt lgkmcnt(0)
	v_cndmask_b32_e32 v23, 0, v23, vcc
	v_add_u32_e32 v20, v20, v23
	ds_bpermute_b32 v23, v38, v20
	v_cmp_le_u32_e32 vcc, v39, v22
	s_waitcnt lgkmcnt(0)
	v_cndmask_b32_e32 v23, 0, v23, vcc
	v_add_u32_e32 v20, v20, v23
	ds_bpermute_b32 v23, v40, v20
	v_cmp_le_u32_e32 vcc, v41, v22
	;; [unrolled: 5-line block ×4, first 2 shown]
	s_waitcnt lgkmcnt(0)
	v_cndmask_b32_e32 v22, 0, v23, vcc
	v_add3_u32 v20, v22, v15, v20
.LBB704_55:                             ; =>This Loop Header: Depth=1
                                        ;     Child Loop BB704_58 Depth 2
                                        ;       Child Loop BB704_59 Depth 3
	v_cmp_ne_u16_sdwa s[34:35], v21, v33 src0_sel:BYTE_0 src1_sel:DWORD
	v_cndmask_b32_e64 v15, 0, 1, s[34:35]
	;;#ASMSTART
	;;#ASMEND
	v_cmp_ne_u32_e32 vcc, 0, v15
	s_cmp_lg_u64 vcc, exec
	v_mov_b32_e32 v15, v20
	s_cbranch_scc1 .LBB704_62
; %bb.56:                               ;   in Loop: Header=BB704_55 Depth=1
	v_lshlrev_b64 v[20:21], 3, v[16:17]
	v_mov_b32_e32 v23, s29
	v_add_co_u32_e32 v22, vcc, s28, v20
	v_addc_co_u32_e32 v23, vcc, v23, v21, vcc
	global_load_dwordx2 v[20:21], v[22:23], off glc
	s_waitcnt vmcnt(0)
	v_cmp_eq_u16_sdwa s[36:37], v21, v17 src0_sel:BYTE_0 src1_sel:DWORD
	s_and_saveexec_b64 s[34:35], s[36:37]
	s_cbranch_execz .LBB704_54
; %bb.57:                               ;   in Loop: Header=BB704_55 Depth=1
	s_mov_b32 s7, 1
	s_mov_b64 s[36:37], 0
.LBB704_58:                             ;   Parent Loop BB704_55 Depth=1
                                        ; =>  This Loop Header: Depth=2
                                        ;       Child Loop BB704_59 Depth 3
	s_max_u32 s33, s7, 1
.LBB704_59:                             ;   Parent Loop BB704_55 Depth=1
                                        ;     Parent Loop BB704_58 Depth=2
                                        ; =>    This Inner Loop Header: Depth=3
	s_add_i32 s33, s33, -1
	s_cmp_eq_u32 s33, 0
	s_sleep 1
	s_cbranch_scc0 .LBB704_59
; %bb.60:                               ;   in Loop: Header=BB704_58 Depth=2
	global_load_dwordx2 v[20:21], v[22:23], off glc
	s_cmp_lt_u32 s7, 32
	s_cselect_b64 s[38:39], -1, 0
	s_cmp_lg_u64 s[38:39], 0
	s_addc_u32 s7, s7, 0
	s_waitcnt vmcnt(0)
	v_cmp_ne_u16_sdwa s[38:39], v21, v17 src0_sel:BYTE_0 src1_sel:DWORD
	s_or_b64 s[36:37], s[38:39], s[36:37]
	s_andn2_b64 exec, exec, s[36:37]
	s_cbranch_execnz .LBB704_58
; %bb.61:                               ;   in Loop: Header=BB704_55 Depth=1
	s_or_b64 exec, exec, s[36:37]
	s_branch .LBB704_54
.LBB704_62:                             ;   in Loop: Header=BB704_55 Depth=1
                                        ; implicit-def: $vgpr20
                                        ; implicit-def: $vgpr21
	s_cbranch_execz .LBB704_55
; %bb.63:
	s_and_saveexec_b64 s[34:35], s[16:17]
	s_cbranch_execz .LBB704_65
; %bb.64:
	s_add_i32 s6, s6, 64
	s_mov_b32 s7, 0
	s_lshl_b64 s[6:7], s[6:7], 3
	s_add_u32 s6, s28, s6
	v_add_u32_e32 v16, v15, v14
	v_mov_b32_e32 v17, 2
	s_addc_u32 s7, s29, s7
	v_mov_b32_e32 v18, 0
	global_store_dwordx2 v18, v[16:17], s[6:7]
	ds_write_b64 v18, v[14:15] offset:10240
.LBB704_65:
	s_or_b64 exec, exec, s[34:35]
	v_cmp_eq_u32_e32 vcc, 0, v0
	s_and_b64 exec, exec, vcc
	s_cbranch_execz .LBB704_67
; %bb.66:
	v_mov_b32_e32 v14, 0
	ds_write_b32 v14, v15 offset:12
.LBB704_67:
	s_or_b64 exec, exec, s[30:31]
	v_mov_b32_e32 v14, 0
	s_waitcnt lgkmcnt(0)
	s_barrier
	ds_read_b32 v15, v14 offset:12
	v_cndmask_b32_e64 v16, v26, v24, s[16:17]
	v_cmp_ne_u32_e32 vcc, 0, v0
	v_cndmask_b32_e32 v16, 0, v16, vcc
	s_waitcnt lgkmcnt(0)
	v_add_u32_e32 v26, v15, v16
	s_barrier
	ds_read_b64 v[14:15], v14 offset:10240
	v_add_u32_e32 v24, v26, v25
	v_add_u32_e32 v22, v24, v27
	;; [unrolled: 1-line block ×4, first 2 shown]
	s_load_dwordx2 s[4:5], s[4:5], 0x28
	v_lshrrev_b64 v[16:17], 24, v[12:13]
	s_branch .LBB704_78
.LBB704_68:
                                        ; implicit-def: $vgpr15
                                        ; implicit-def: $vgpr18
                                        ; implicit-def: $vgpr20
                                        ; implicit-def: $vgpr22
                                        ; implicit-def: $vgpr24
                                        ; implicit-def: $vgpr26
	s_load_dwordx2 s[4:5], s[4:5], 0x28
	v_lshrrev_b64 v[16:17], 24, v[12:13]
	s_cbranch_execz .LBB704_78
; %bb.69:
	s_waitcnt lgkmcnt(0)
	v_mov_b32_dpp v14, v32 row_shr:1 row_mask:0xf bank_mask:0xf
	v_cndmask_b32_e64 v14, v14, 0, s[14:15]
	v_add_u32_e32 v14, v14, v32
	s_nop 1
	v_mov_b32_dpp v15, v14 row_shr:2 row_mask:0xf bank_mask:0xf
	v_cndmask_b32_e64 v15, 0, v15, s[12:13]
	v_add_u32_e32 v14, v14, v15
	s_nop 1
	;; [unrolled: 4-line block ×4, first 2 shown]
	v_mov_b32_dpp v15, v14 row_bcast:15 row_mask:0xf bank_mask:0xf
	v_cndmask_b32_e64 v15, v15, 0, s[18:19]
	v_add_u32_e32 v14, v14, v15
	s_nop 1
	v_mov_b32_dpp v15, v14 row_bcast:31 row_mask:0xf bank_mask:0xf
	v_cndmask_b32_e64 v15, 0, v15, s[0:1]
	v_add_u32_e32 v14, v14, v15
	s_and_saveexec_b64 s[0:1], s[2:3]
	s_cbranch_execz .LBB704_71
; %bb.70:
	v_lshlrev_b32_e32 v15, 2, v31
	ds_write_b32 v15, v14
.LBB704_71:
	s_or_b64 exec, exec, s[0:1]
	v_cmp_gt_u32_e32 vcc, 4, v0
	s_waitcnt lgkmcnt(0)
	s_barrier
	s_and_saveexec_b64 s[0:1], vcc
	s_cbranch_execz .LBB704_73
; %bb.72:
	s_movk_i32 s2, 0xffdc
	v_mad_i32_i24 v1, v0, s2, v1
	ds_read_b32 v15, v1
	v_and_b32_e32 v17, 3, v30
	v_cmp_ne_u32_e32 vcc, 0, v17
	s_waitcnt lgkmcnt(0)
	v_mov_b32_dpp v18, v15 row_shr:1 row_mask:0xf bank_mask:0xf
	v_cndmask_b32_e32 v18, 0, v18, vcc
	v_add_u32_e32 v15, v18, v15
	v_cmp_lt_u32_e32 vcc, 1, v17
	s_nop 0
	v_mov_b32_dpp v18, v15 row_shr:2 row_mask:0xf bank_mask:0xf
	v_cndmask_b32_e32 v17, 0, v18, vcc
	v_add_u32_e32 v15, v15, v17
	ds_write_b32 v1, v15
.LBB704_73:
	s_or_b64 exec, exec, s[0:1]
	v_cmp_lt_u32_e32 vcc, 63, v0
	v_mov_b32_e32 v15, 0
	v_mov_b32_e32 v1, 0
	s_waitcnt lgkmcnt(0)
	s_barrier
	s_and_saveexec_b64 s[0:1], vcc
	s_cbranch_execz .LBB704_75
; %bb.74:
	v_lshl_add_u32 v1, v31, 2, -4
	ds_read_b32 v1, v1
.LBB704_75:
	s_or_b64 exec, exec, s[0:1]
	v_add_u32_e32 v17, -1, v30
	v_and_b32_e32 v18, 64, v30
	v_cmp_lt_i32_e32 vcc, v17, v18
	v_cndmask_b32_e32 v17, v17, v30, vcc
	s_waitcnt lgkmcnt(0)
	v_add_u32_e32 v14, v1, v14
	v_lshlrev_b32_e32 v17, 2, v17
	ds_bpermute_b32 v17, v17, v14
	ds_read_b32 v14, v15 offset:12
	v_cmp_eq_u32_e32 vcc, 0, v0
	s_and_saveexec_b64 s[0:1], vcc
	s_cbranch_execz .LBB704_77
; %bb.76:
	v_mov_b32_e32 v18, 0
	v_mov_b32_e32 v15, 2
	s_waitcnt lgkmcnt(0)
	global_store_dwordx2 v18, v[14:15], s[28:29] offset:512
.LBB704_77:
	s_or_b64 exec, exec, s[0:1]
	v_cmp_eq_u32_e64 s[0:1], 0, v30
	s_waitcnt lgkmcnt(1)
	v_cndmask_b32_e64 v1, v17, v1, s[0:1]
	v_cndmask_b32_e64 v26, v1, 0, vcc
	v_add_u32_e32 v24, v26, v25
	v_add_u32_e32 v22, v24, v27
	;; [unrolled: 1-line block ×3, first 2 shown]
	v_mov_b32_e32 v15, 0
	v_add_u32_e32 v18, v20, v29
	s_waitcnt lgkmcnt(0)
	s_barrier
.LBB704_78:
	s_movk_i32 s0, 0x101
	s_waitcnt lgkmcnt(0)
	v_cmp_gt_u32_e32 vcc, s0, v14
	v_lshrrev_b32_e32 v1, 8, v12
	s_mov_b64 s[0:1], -1
	s_cbranch_vccnz .LBB704_82
; %bb.79:
	s_and_b64 vcc, exec, s[0:1]
	s_cbranch_vccnz .LBB704_98
.LBB704_80:
	v_cmp_eq_u32_e32 vcc, 0, v0
	s_and_b64 s[0:1], vcc, s[24:25]
	s_and_saveexec_b64 s[2:3], s[0:1]
	s_cbranch_execnz .LBB704_112
.LBB704_81:
	s_endpgm
.LBB704_82:
	v_add_u32_e32 v17, v15, v14
	v_cmp_lt_u32_e32 vcc, v26, v17
	s_or_b64 s[2:3], s[26:27], vcc
	s_and_saveexec_b64 s[0:1], s[2:3]
	s_cbranch_execz .LBB704_85
; %bb.83:
	v_and_b32_e32 v19, 1, v12
	v_cmp_eq_u32_e32 vcc, 1, v19
	s_and_b64 exec, exec, vcc
	s_cbranch_execz .LBB704_85
; %bb.84:
	s_lshl_b64 s[2:3], s[22:23], 3
	s_add_u32 s2, s4, s2
	v_mov_b32_e32 v27, 0
	s_addc_u32 s3, s5, s3
	v_lshlrev_b64 v[28:29], 3, v[26:27]
	v_mov_b32_e32 v19, s3
	v_add_co_u32_e32 v28, vcc, s2, v28
	v_addc_co_u32_e32 v29, vcc, v19, v29, vcc
	global_store_dwordx2 v[28:29], v[6:7], off
.LBB704_85:
	s_or_b64 exec, exec, s[0:1]
	v_cmp_lt_u32_e32 vcc, v24, v17
	s_or_b64 s[2:3], s[26:27], vcc
	s_and_saveexec_b64 s[0:1], s[2:3]
	s_cbranch_execz .LBB704_88
; %bb.86:
	v_and_b32_e32 v19, 1, v1
	v_cmp_eq_u32_e32 vcc, 1, v19
	s_and_b64 exec, exec, vcc
	s_cbranch_execz .LBB704_88
; %bb.87:
	s_lshl_b64 s[2:3], s[22:23], 3
	s_add_u32 s2, s4, s2
	v_mov_b32_e32 v25, 0
	s_addc_u32 s3, s5, s3
	v_lshlrev_b64 v[28:29], 3, v[24:25]
	v_mov_b32_e32 v19, s3
	v_add_co_u32_e32 v28, vcc, s2, v28
	v_addc_co_u32_e32 v29, vcc, v19, v29, vcc
	global_store_dwordx2 v[28:29], v[8:9], off
.LBB704_88:
	s_or_b64 exec, exec, s[0:1]
	v_cmp_lt_u32_e32 vcc, v22, v17
	s_or_b64 s[2:3], s[26:27], vcc
	s_and_saveexec_b64 s[0:1], s[2:3]
	s_cbranch_execz .LBB704_91
; %bb.89:
	v_mov_b32_e32 v19, 1
	v_and_b32_sdwa v19, v19, v12 dst_sel:DWORD dst_unused:UNUSED_PAD src0_sel:DWORD src1_sel:WORD_1
	v_cmp_eq_u32_e32 vcc, 1, v19
	s_and_b64 exec, exec, vcc
	s_cbranch_execz .LBB704_91
; %bb.90:
	s_lshl_b64 s[2:3], s[22:23], 3
	s_add_u32 s2, s4, s2
	v_mov_b32_e32 v23, 0
	s_addc_u32 s3, s5, s3
	v_lshlrev_b64 v[28:29], 3, v[22:23]
	v_mov_b32_e32 v19, s3
	v_add_co_u32_e32 v28, vcc, s2, v28
	v_addc_co_u32_e32 v29, vcc, v19, v29, vcc
	global_store_dwordx2 v[28:29], v[2:3], off
.LBB704_91:
	s_or_b64 exec, exec, s[0:1]
	v_cmp_lt_u32_e32 vcc, v20, v17
	s_or_b64 s[2:3], s[26:27], vcc
	s_and_saveexec_b64 s[0:1], s[2:3]
	s_cbranch_execz .LBB704_94
; %bb.92:
	v_and_b32_e32 v19, 1, v16
	v_cmp_eq_u32_e32 vcc, 1, v19
	s_and_b64 exec, exec, vcc
	s_cbranch_execz .LBB704_94
; %bb.93:
	s_lshl_b64 s[2:3], s[22:23], 3
	s_add_u32 s2, s4, s2
	v_mov_b32_e32 v21, 0
	s_addc_u32 s3, s5, s3
	v_lshlrev_b64 v[28:29], 3, v[20:21]
	v_mov_b32_e32 v19, s3
	v_add_co_u32_e32 v28, vcc, s2, v28
	v_addc_co_u32_e32 v29, vcc, v19, v29, vcc
	global_store_dwordx2 v[28:29], v[4:5], off
.LBB704_94:
	s_or_b64 exec, exec, s[0:1]
	v_cmp_lt_u32_e32 vcc, v18, v17
	s_or_b64 s[2:3], s[26:27], vcc
	s_and_saveexec_b64 s[0:1], s[2:3]
	s_cbranch_execz .LBB704_97
; %bb.95:
	v_and_b32_e32 v17, 1, v13
	v_cmp_eq_u32_e32 vcc, 1, v17
	s_and_b64 exec, exec, vcc
	s_cbranch_execz .LBB704_97
; %bb.96:
	s_lshl_b64 s[2:3], s[22:23], 3
	s_add_u32 s2, s4, s2
	v_mov_b32_e32 v19, 0
	s_addc_u32 s3, s5, s3
	v_lshlrev_b64 v[28:29], 3, v[18:19]
	v_mov_b32_e32 v17, s3
	v_add_co_u32_e32 v28, vcc, s2, v28
	v_addc_co_u32_e32 v29, vcc, v17, v29, vcc
	global_store_dwordx2 v[28:29], v[10:11], off
.LBB704_97:
	s_or_b64 exec, exec, s[0:1]
	s_branch .LBB704_80
.LBB704_98:
	v_and_b32_e32 v17, 1, v12
	v_cmp_eq_u32_e32 vcc, 1, v17
	s_and_saveexec_b64 s[0:1], vcc
	s_cbranch_execz .LBB704_100
; %bb.99:
	v_sub_u32_e32 v17, v26, v15
	v_lshlrev_b32_e32 v17, 3, v17
	ds_write_b64 v17, v[6:7]
.LBB704_100:
	s_or_b64 exec, exec, s[0:1]
	v_and_b32_e32 v1, 1, v1
	v_cmp_eq_u32_e32 vcc, 1, v1
	s_and_saveexec_b64 s[0:1], vcc
	s_cbranch_execz .LBB704_102
; %bb.101:
	v_sub_u32_e32 v1, v24, v15
	v_lshlrev_b32_e32 v1, 3, v1
	ds_write_b64 v1, v[8:9]
.LBB704_102:
	s_or_b64 exec, exec, s[0:1]
	v_mov_b32_e32 v1, 1
	v_and_b32_sdwa v1, v1, v12 dst_sel:DWORD dst_unused:UNUSED_PAD src0_sel:DWORD src1_sel:WORD_1
	v_cmp_eq_u32_e32 vcc, 1, v1
	s_and_saveexec_b64 s[0:1], vcc
	s_cbranch_execz .LBB704_104
; %bb.103:
	v_sub_u32_e32 v1, v22, v15
	v_lshlrev_b32_e32 v1, 3, v1
	ds_write_b64 v1, v[2:3]
.LBB704_104:
	s_or_b64 exec, exec, s[0:1]
	v_and_b32_e32 v1, 1, v16
	v_cmp_eq_u32_e32 vcc, 1, v1
	s_and_saveexec_b64 s[0:1], vcc
	s_cbranch_execz .LBB704_106
; %bb.105:
	v_sub_u32_e32 v1, v20, v15
	v_lshlrev_b32_e32 v1, 3, v1
	ds_write_b64 v1, v[4:5]
.LBB704_106:
	s_or_b64 exec, exec, s[0:1]
	v_and_b32_e32 v1, 1, v13
	v_cmp_eq_u32_e32 vcc, 1, v1
	s_and_saveexec_b64 s[0:1], vcc
	s_cbranch_execz .LBB704_108
; %bb.107:
	v_sub_u32_e32 v1, v18, v15
	v_lshlrev_b32_e32 v1, 3, v1
	ds_write_b64 v1, v[10:11]
.LBB704_108:
	s_or_b64 exec, exec, s[0:1]
	v_cmp_lt_u32_e32 vcc, v0, v14
	s_waitcnt lgkmcnt(0)
	s_barrier
	s_and_saveexec_b64 s[0:1], vcc
	s_cbranch_execz .LBB704_111
; %bb.109:
	v_mov_b32_e32 v3, 0
	v_mov_b32_e32 v2, v15
	v_lshlrev_b64 v[4:5], 3, v[2:3]
	v_mov_b32_e32 v1, s5
	v_add_co_u32_e32 v2, vcc, s4, v4
	v_addc_co_u32_e32 v4, vcc, v1, v5, vcc
	s_lshl_b64 s[2:3], s[22:23], 3
	v_mov_b32_e32 v5, s3
	v_add_co_u32_e32 v1, vcc, s2, v2
	v_addc_co_u32_e32 v4, vcc, v4, v5, vcc
	v_lshlrev_b32_e32 v5, 3, v0
	s_mov_b64 s[2:3], 0
	v_mov_b32_e32 v2, v0
.LBB704_110:                            ; =>This Inner Loop Header: Depth=1
	ds_read_b64 v[6:7], v5
	v_lshlrev_b64 v[8:9], 3, v[2:3]
	v_add_co_u32_e32 v8, vcc, v1, v8
	v_add_u32_e32 v2, 0x100, v2
	v_addc_co_u32_e32 v9, vcc, v4, v9, vcc
	v_cmp_ge_u32_e32 vcc, v2, v14
	v_add_u32_e32 v5, 0x800, v5
	s_or_b64 s[2:3], vcc, s[2:3]
	s_waitcnt lgkmcnt(0)
	global_store_dwordx2 v[8:9], v[6:7], off
	s_andn2_b64 exec, exec, s[2:3]
	s_cbranch_execnz .LBB704_110
.LBB704_111:
	s_or_b64 exec, exec, s[0:1]
	v_cmp_eq_u32_e32 vcc, 0, v0
	s_and_b64 s[0:1], vcc, s[24:25]
	s_and_saveexec_b64 s[2:3], s[0:1]
	s_cbranch_execz .LBB704_81
.LBB704_112:
	v_mov_b32_e32 v0, s23
	v_add_co_u32_e32 v1, vcc, s22, v14
	v_addc_co_u32_e32 v3, vcc, 0, v0, vcc
	v_add_co_u32_e32 v0, vcc, v1, v15
	v_mov_b32_e32 v2, 0
	v_addc_co_u32_e32 v1, vcc, 0, v3, vcc
	global_store_dwordx2 v2, v[0:1], s[20:21]
	s_endpgm
	.section	.rodata,"a",@progbits
	.p2align	6, 0x0
	.amdhsa_kernel _ZN7rocprim17ROCPRIM_400000_NS6detail17trampoline_kernelINS0_14default_configENS1_25partition_config_selectorILNS1_17partition_subalgoE8EmNS0_10empty_typeEbEEZZNS1_14partition_implILS5_8ELb0ES3_jPKmPS6_PKS6_NS0_5tupleIJPmS6_EEENSE_IJSB_SB_EEENS0_18inequality_wrapperIN6hipcub16HIPCUB_304000_NS8EqualityEEEPlJS6_EEE10hipError_tPvRmT3_T4_T5_T6_T7_T9_mT8_P12ihipStream_tbDpT10_ENKUlT_T0_E_clISt17integral_constantIbLb1EES16_IbLb0EEEEDaS12_S13_EUlS12_E_NS1_11comp_targetILNS1_3genE4ELNS1_11target_archE910ELNS1_3gpuE8ELNS1_3repE0EEENS1_30default_config_static_selectorELNS0_4arch9wavefront6targetE1EEEvT1_
		.amdhsa_group_segment_fixed_size 10248
		.amdhsa_private_segment_fixed_size 0
		.amdhsa_kernarg_size 112
		.amdhsa_user_sgpr_count 6
		.amdhsa_user_sgpr_private_segment_buffer 1
		.amdhsa_user_sgpr_dispatch_ptr 0
		.amdhsa_user_sgpr_queue_ptr 0
		.amdhsa_user_sgpr_kernarg_segment_ptr 1
		.amdhsa_user_sgpr_dispatch_id 0
		.amdhsa_user_sgpr_flat_scratch_init 0
		.amdhsa_user_sgpr_kernarg_preload_length 0
		.amdhsa_user_sgpr_kernarg_preload_offset 0
		.amdhsa_user_sgpr_private_segment_size 0
		.amdhsa_uses_dynamic_stack 0
		.amdhsa_system_sgpr_private_segment_wavefront_offset 0
		.amdhsa_system_sgpr_workgroup_id_x 1
		.amdhsa_system_sgpr_workgroup_id_y 0
		.amdhsa_system_sgpr_workgroup_id_z 0
		.amdhsa_system_sgpr_workgroup_info 0
		.amdhsa_system_vgpr_workitem_id 0
		.amdhsa_next_free_vgpr 47
		.amdhsa_next_free_sgpr 40
		.amdhsa_accum_offset 48
		.amdhsa_reserve_vcc 1
		.amdhsa_reserve_flat_scratch 0
		.amdhsa_float_round_mode_32 0
		.amdhsa_float_round_mode_16_64 0
		.amdhsa_float_denorm_mode_32 3
		.amdhsa_float_denorm_mode_16_64 3
		.amdhsa_dx10_clamp 1
		.amdhsa_ieee_mode 1
		.amdhsa_fp16_overflow 0
		.amdhsa_tg_split 0
		.amdhsa_exception_fp_ieee_invalid_op 0
		.amdhsa_exception_fp_denorm_src 0
		.amdhsa_exception_fp_ieee_div_zero 0
		.amdhsa_exception_fp_ieee_overflow 0
		.amdhsa_exception_fp_ieee_underflow 0
		.amdhsa_exception_fp_ieee_inexact 0
		.amdhsa_exception_int_div_zero 0
	.end_amdhsa_kernel
	.section	.text._ZN7rocprim17ROCPRIM_400000_NS6detail17trampoline_kernelINS0_14default_configENS1_25partition_config_selectorILNS1_17partition_subalgoE8EmNS0_10empty_typeEbEEZZNS1_14partition_implILS5_8ELb0ES3_jPKmPS6_PKS6_NS0_5tupleIJPmS6_EEENSE_IJSB_SB_EEENS0_18inequality_wrapperIN6hipcub16HIPCUB_304000_NS8EqualityEEEPlJS6_EEE10hipError_tPvRmT3_T4_T5_T6_T7_T9_mT8_P12ihipStream_tbDpT10_ENKUlT_T0_E_clISt17integral_constantIbLb1EES16_IbLb0EEEEDaS12_S13_EUlS12_E_NS1_11comp_targetILNS1_3genE4ELNS1_11target_archE910ELNS1_3gpuE8ELNS1_3repE0EEENS1_30default_config_static_selectorELNS0_4arch9wavefront6targetE1EEEvT1_,"axG",@progbits,_ZN7rocprim17ROCPRIM_400000_NS6detail17trampoline_kernelINS0_14default_configENS1_25partition_config_selectorILNS1_17partition_subalgoE8EmNS0_10empty_typeEbEEZZNS1_14partition_implILS5_8ELb0ES3_jPKmPS6_PKS6_NS0_5tupleIJPmS6_EEENSE_IJSB_SB_EEENS0_18inequality_wrapperIN6hipcub16HIPCUB_304000_NS8EqualityEEEPlJS6_EEE10hipError_tPvRmT3_T4_T5_T6_T7_T9_mT8_P12ihipStream_tbDpT10_ENKUlT_T0_E_clISt17integral_constantIbLb1EES16_IbLb0EEEEDaS12_S13_EUlS12_E_NS1_11comp_targetILNS1_3genE4ELNS1_11target_archE910ELNS1_3gpuE8ELNS1_3repE0EEENS1_30default_config_static_selectorELNS0_4arch9wavefront6targetE1EEEvT1_,comdat
.Lfunc_end704:
	.size	_ZN7rocprim17ROCPRIM_400000_NS6detail17trampoline_kernelINS0_14default_configENS1_25partition_config_selectorILNS1_17partition_subalgoE8EmNS0_10empty_typeEbEEZZNS1_14partition_implILS5_8ELb0ES3_jPKmPS6_PKS6_NS0_5tupleIJPmS6_EEENSE_IJSB_SB_EEENS0_18inequality_wrapperIN6hipcub16HIPCUB_304000_NS8EqualityEEEPlJS6_EEE10hipError_tPvRmT3_T4_T5_T6_T7_T9_mT8_P12ihipStream_tbDpT10_ENKUlT_T0_E_clISt17integral_constantIbLb1EES16_IbLb0EEEEDaS12_S13_EUlS12_E_NS1_11comp_targetILNS1_3genE4ELNS1_11target_archE910ELNS1_3gpuE8ELNS1_3repE0EEENS1_30default_config_static_selectorELNS0_4arch9wavefront6targetE1EEEvT1_, .Lfunc_end704-_ZN7rocprim17ROCPRIM_400000_NS6detail17trampoline_kernelINS0_14default_configENS1_25partition_config_selectorILNS1_17partition_subalgoE8EmNS0_10empty_typeEbEEZZNS1_14partition_implILS5_8ELb0ES3_jPKmPS6_PKS6_NS0_5tupleIJPmS6_EEENSE_IJSB_SB_EEENS0_18inequality_wrapperIN6hipcub16HIPCUB_304000_NS8EqualityEEEPlJS6_EEE10hipError_tPvRmT3_T4_T5_T6_T7_T9_mT8_P12ihipStream_tbDpT10_ENKUlT_T0_E_clISt17integral_constantIbLb1EES16_IbLb0EEEEDaS12_S13_EUlS12_E_NS1_11comp_targetILNS1_3genE4ELNS1_11target_archE910ELNS1_3gpuE8ELNS1_3repE0EEENS1_30default_config_static_selectorELNS0_4arch9wavefront6targetE1EEEvT1_
                                        ; -- End function
	.section	.AMDGPU.csdata,"",@progbits
; Kernel info:
; codeLenInByte = 4632
; NumSgprs: 44
; NumVgprs: 47
; NumAgprs: 0
; TotalNumVgprs: 47
; ScratchSize: 0
; MemoryBound: 0
; FloatMode: 240
; IeeeMode: 1
; LDSByteSize: 10248 bytes/workgroup (compile time only)
; SGPRBlocks: 5
; VGPRBlocks: 5
; NumSGPRsForWavesPerEU: 44
; NumVGPRsForWavesPerEU: 47
; AccumOffset: 48
; Occupancy: 6
; WaveLimiterHint : 1
; COMPUTE_PGM_RSRC2:SCRATCH_EN: 0
; COMPUTE_PGM_RSRC2:USER_SGPR: 6
; COMPUTE_PGM_RSRC2:TRAP_HANDLER: 0
; COMPUTE_PGM_RSRC2:TGID_X_EN: 1
; COMPUTE_PGM_RSRC2:TGID_Y_EN: 0
; COMPUTE_PGM_RSRC2:TGID_Z_EN: 0
; COMPUTE_PGM_RSRC2:TIDIG_COMP_CNT: 0
; COMPUTE_PGM_RSRC3_GFX90A:ACCUM_OFFSET: 11
; COMPUTE_PGM_RSRC3_GFX90A:TG_SPLIT: 0
	.section	.text._ZN7rocprim17ROCPRIM_400000_NS6detail17trampoline_kernelINS0_14default_configENS1_25partition_config_selectorILNS1_17partition_subalgoE8EmNS0_10empty_typeEbEEZZNS1_14partition_implILS5_8ELb0ES3_jPKmPS6_PKS6_NS0_5tupleIJPmS6_EEENSE_IJSB_SB_EEENS0_18inequality_wrapperIN6hipcub16HIPCUB_304000_NS8EqualityEEEPlJS6_EEE10hipError_tPvRmT3_T4_T5_T6_T7_T9_mT8_P12ihipStream_tbDpT10_ENKUlT_T0_E_clISt17integral_constantIbLb1EES16_IbLb0EEEEDaS12_S13_EUlS12_E_NS1_11comp_targetILNS1_3genE3ELNS1_11target_archE908ELNS1_3gpuE7ELNS1_3repE0EEENS1_30default_config_static_selectorELNS0_4arch9wavefront6targetE1EEEvT1_,"axG",@progbits,_ZN7rocprim17ROCPRIM_400000_NS6detail17trampoline_kernelINS0_14default_configENS1_25partition_config_selectorILNS1_17partition_subalgoE8EmNS0_10empty_typeEbEEZZNS1_14partition_implILS5_8ELb0ES3_jPKmPS6_PKS6_NS0_5tupleIJPmS6_EEENSE_IJSB_SB_EEENS0_18inequality_wrapperIN6hipcub16HIPCUB_304000_NS8EqualityEEEPlJS6_EEE10hipError_tPvRmT3_T4_T5_T6_T7_T9_mT8_P12ihipStream_tbDpT10_ENKUlT_T0_E_clISt17integral_constantIbLb1EES16_IbLb0EEEEDaS12_S13_EUlS12_E_NS1_11comp_targetILNS1_3genE3ELNS1_11target_archE908ELNS1_3gpuE7ELNS1_3repE0EEENS1_30default_config_static_selectorELNS0_4arch9wavefront6targetE1EEEvT1_,comdat
	.protected	_ZN7rocprim17ROCPRIM_400000_NS6detail17trampoline_kernelINS0_14default_configENS1_25partition_config_selectorILNS1_17partition_subalgoE8EmNS0_10empty_typeEbEEZZNS1_14partition_implILS5_8ELb0ES3_jPKmPS6_PKS6_NS0_5tupleIJPmS6_EEENSE_IJSB_SB_EEENS0_18inequality_wrapperIN6hipcub16HIPCUB_304000_NS8EqualityEEEPlJS6_EEE10hipError_tPvRmT3_T4_T5_T6_T7_T9_mT8_P12ihipStream_tbDpT10_ENKUlT_T0_E_clISt17integral_constantIbLb1EES16_IbLb0EEEEDaS12_S13_EUlS12_E_NS1_11comp_targetILNS1_3genE3ELNS1_11target_archE908ELNS1_3gpuE7ELNS1_3repE0EEENS1_30default_config_static_selectorELNS0_4arch9wavefront6targetE1EEEvT1_ ; -- Begin function _ZN7rocprim17ROCPRIM_400000_NS6detail17trampoline_kernelINS0_14default_configENS1_25partition_config_selectorILNS1_17partition_subalgoE8EmNS0_10empty_typeEbEEZZNS1_14partition_implILS5_8ELb0ES3_jPKmPS6_PKS6_NS0_5tupleIJPmS6_EEENSE_IJSB_SB_EEENS0_18inequality_wrapperIN6hipcub16HIPCUB_304000_NS8EqualityEEEPlJS6_EEE10hipError_tPvRmT3_T4_T5_T6_T7_T9_mT8_P12ihipStream_tbDpT10_ENKUlT_T0_E_clISt17integral_constantIbLb1EES16_IbLb0EEEEDaS12_S13_EUlS12_E_NS1_11comp_targetILNS1_3genE3ELNS1_11target_archE908ELNS1_3gpuE7ELNS1_3repE0EEENS1_30default_config_static_selectorELNS0_4arch9wavefront6targetE1EEEvT1_
	.globl	_ZN7rocprim17ROCPRIM_400000_NS6detail17trampoline_kernelINS0_14default_configENS1_25partition_config_selectorILNS1_17partition_subalgoE8EmNS0_10empty_typeEbEEZZNS1_14partition_implILS5_8ELb0ES3_jPKmPS6_PKS6_NS0_5tupleIJPmS6_EEENSE_IJSB_SB_EEENS0_18inequality_wrapperIN6hipcub16HIPCUB_304000_NS8EqualityEEEPlJS6_EEE10hipError_tPvRmT3_T4_T5_T6_T7_T9_mT8_P12ihipStream_tbDpT10_ENKUlT_T0_E_clISt17integral_constantIbLb1EES16_IbLb0EEEEDaS12_S13_EUlS12_E_NS1_11comp_targetILNS1_3genE3ELNS1_11target_archE908ELNS1_3gpuE7ELNS1_3repE0EEENS1_30default_config_static_selectorELNS0_4arch9wavefront6targetE1EEEvT1_
	.p2align	8
	.type	_ZN7rocprim17ROCPRIM_400000_NS6detail17trampoline_kernelINS0_14default_configENS1_25partition_config_selectorILNS1_17partition_subalgoE8EmNS0_10empty_typeEbEEZZNS1_14partition_implILS5_8ELb0ES3_jPKmPS6_PKS6_NS0_5tupleIJPmS6_EEENSE_IJSB_SB_EEENS0_18inequality_wrapperIN6hipcub16HIPCUB_304000_NS8EqualityEEEPlJS6_EEE10hipError_tPvRmT3_T4_T5_T6_T7_T9_mT8_P12ihipStream_tbDpT10_ENKUlT_T0_E_clISt17integral_constantIbLb1EES16_IbLb0EEEEDaS12_S13_EUlS12_E_NS1_11comp_targetILNS1_3genE3ELNS1_11target_archE908ELNS1_3gpuE7ELNS1_3repE0EEENS1_30default_config_static_selectorELNS0_4arch9wavefront6targetE1EEEvT1_,@function
_ZN7rocprim17ROCPRIM_400000_NS6detail17trampoline_kernelINS0_14default_configENS1_25partition_config_selectorILNS1_17partition_subalgoE8EmNS0_10empty_typeEbEEZZNS1_14partition_implILS5_8ELb0ES3_jPKmPS6_PKS6_NS0_5tupleIJPmS6_EEENSE_IJSB_SB_EEENS0_18inequality_wrapperIN6hipcub16HIPCUB_304000_NS8EqualityEEEPlJS6_EEE10hipError_tPvRmT3_T4_T5_T6_T7_T9_mT8_P12ihipStream_tbDpT10_ENKUlT_T0_E_clISt17integral_constantIbLb1EES16_IbLb0EEEEDaS12_S13_EUlS12_E_NS1_11comp_targetILNS1_3genE3ELNS1_11target_archE908ELNS1_3gpuE7ELNS1_3repE0EEENS1_30default_config_static_selectorELNS0_4arch9wavefront6targetE1EEEvT1_: ; @_ZN7rocprim17ROCPRIM_400000_NS6detail17trampoline_kernelINS0_14default_configENS1_25partition_config_selectorILNS1_17partition_subalgoE8EmNS0_10empty_typeEbEEZZNS1_14partition_implILS5_8ELb0ES3_jPKmPS6_PKS6_NS0_5tupleIJPmS6_EEENSE_IJSB_SB_EEENS0_18inequality_wrapperIN6hipcub16HIPCUB_304000_NS8EqualityEEEPlJS6_EEE10hipError_tPvRmT3_T4_T5_T6_T7_T9_mT8_P12ihipStream_tbDpT10_ENKUlT_T0_E_clISt17integral_constantIbLb1EES16_IbLb0EEEEDaS12_S13_EUlS12_E_NS1_11comp_targetILNS1_3genE3ELNS1_11target_archE908ELNS1_3gpuE7ELNS1_3repE0EEENS1_30default_config_static_selectorELNS0_4arch9wavefront6targetE1EEEvT1_
; %bb.0:
	.section	.rodata,"a",@progbits
	.p2align	6, 0x0
	.amdhsa_kernel _ZN7rocprim17ROCPRIM_400000_NS6detail17trampoline_kernelINS0_14default_configENS1_25partition_config_selectorILNS1_17partition_subalgoE8EmNS0_10empty_typeEbEEZZNS1_14partition_implILS5_8ELb0ES3_jPKmPS6_PKS6_NS0_5tupleIJPmS6_EEENSE_IJSB_SB_EEENS0_18inequality_wrapperIN6hipcub16HIPCUB_304000_NS8EqualityEEEPlJS6_EEE10hipError_tPvRmT3_T4_T5_T6_T7_T9_mT8_P12ihipStream_tbDpT10_ENKUlT_T0_E_clISt17integral_constantIbLb1EES16_IbLb0EEEEDaS12_S13_EUlS12_E_NS1_11comp_targetILNS1_3genE3ELNS1_11target_archE908ELNS1_3gpuE7ELNS1_3repE0EEENS1_30default_config_static_selectorELNS0_4arch9wavefront6targetE1EEEvT1_
		.amdhsa_group_segment_fixed_size 0
		.amdhsa_private_segment_fixed_size 0
		.amdhsa_kernarg_size 112
		.amdhsa_user_sgpr_count 6
		.amdhsa_user_sgpr_private_segment_buffer 1
		.amdhsa_user_sgpr_dispatch_ptr 0
		.amdhsa_user_sgpr_queue_ptr 0
		.amdhsa_user_sgpr_kernarg_segment_ptr 1
		.amdhsa_user_sgpr_dispatch_id 0
		.amdhsa_user_sgpr_flat_scratch_init 0
		.amdhsa_user_sgpr_kernarg_preload_length 0
		.amdhsa_user_sgpr_kernarg_preload_offset 0
		.amdhsa_user_sgpr_private_segment_size 0
		.amdhsa_uses_dynamic_stack 0
		.amdhsa_system_sgpr_private_segment_wavefront_offset 0
		.amdhsa_system_sgpr_workgroup_id_x 1
		.amdhsa_system_sgpr_workgroup_id_y 0
		.amdhsa_system_sgpr_workgroup_id_z 0
		.amdhsa_system_sgpr_workgroup_info 0
		.amdhsa_system_vgpr_workitem_id 0
		.amdhsa_next_free_vgpr 1
		.amdhsa_next_free_sgpr 0
		.amdhsa_accum_offset 4
		.amdhsa_reserve_vcc 0
		.amdhsa_reserve_flat_scratch 0
		.amdhsa_float_round_mode_32 0
		.amdhsa_float_round_mode_16_64 0
		.amdhsa_float_denorm_mode_32 3
		.amdhsa_float_denorm_mode_16_64 3
		.amdhsa_dx10_clamp 1
		.amdhsa_ieee_mode 1
		.amdhsa_fp16_overflow 0
		.amdhsa_tg_split 0
		.amdhsa_exception_fp_ieee_invalid_op 0
		.amdhsa_exception_fp_denorm_src 0
		.amdhsa_exception_fp_ieee_div_zero 0
		.amdhsa_exception_fp_ieee_overflow 0
		.amdhsa_exception_fp_ieee_underflow 0
		.amdhsa_exception_fp_ieee_inexact 0
		.amdhsa_exception_int_div_zero 0
	.end_amdhsa_kernel
	.section	.text._ZN7rocprim17ROCPRIM_400000_NS6detail17trampoline_kernelINS0_14default_configENS1_25partition_config_selectorILNS1_17partition_subalgoE8EmNS0_10empty_typeEbEEZZNS1_14partition_implILS5_8ELb0ES3_jPKmPS6_PKS6_NS0_5tupleIJPmS6_EEENSE_IJSB_SB_EEENS0_18inequality_wrapperIN6hipcub16HIPCUB_304000_NS8EqualityEEEPlJS6_EEE10hipError_tPvRmT3_T4_T5_T6_T7_T9_mT8_P12ihipStream_tbDpT10_ENKUlT_T0_E_clISt17integral_constantIbLb1EES16_IbLb0EEEEDaS12_S13_EUlS12_E_NS1_11comp_targetILNS1_3genE3ELNS1_11target_archE908ELNS1_3gpuE7ELNS1_3repE0EEENS1_30default_config_static_selectorELNS0_4arch9wavefront6targetE1EEEvT1_,"axG",@progbits,_ZN7rocprim17ROCPRIM_400000_NS6detail17trampoline_kernelINS0_14default_configENS1_25partition_config_selectorILNS1_17partition_subalgoE8EmNS0_10empty_typeEbEEZZNS1_14partition_implILS5_8ELb0ES3_jPKmPS6_PKS6_NS0_5tupleIJPmS6_EEENSE_IJSB_SB_EEENS0_18inequality_wrapperIN6hipcub16HIPCUB_304000_NS8EqualityEEEPlJS6_EEE10hipError_tPvRmT3_T4_T5_T6_T7_T9_mT8_P12ihipStream_tbDpT10_ENKUlT_T0_E_clISt17integral_constantIbLb1EES16_IbLb0EEEEDaS12_S13_EUlS12_E_NS1_11comp_targetILNS1_3genE3ELNS1_11target_archE908ELNS1_3gpuE7ELNS1_3repE0EEENS1_30default_config_static_selectorELNS0_4arch9wavefront6targetE1EEEvT1_,comdat
.Lfunc_end705:
	.size	_ZN7rocprim17ROCPRIM_400000_NS6detail17trampoline_kernelINS0_14default_configENS1_25partition_config_selectorILNS1_17partition_subalgoE8EmNS0_10empty_typeEbEEZZNS1_14partition_implILS5_8ELb0ES3_jPKmPS6_PKS6_NS0_5tupleIJPmS6_EEENSE_IJSB_SB_EEENS0_18inequality_wrapperIN6hipcub16HIPCUB_304000_NS8EqualityEEEPlJS6_EEE10hipError_tPvRmT3_T4_T5_T6_T7_T9_mT8_P12ihipStream_tbDpT10_ENKUlT_T0_E_clISt17integral_constantIbLb1EES16_IbLb0EEEEDaS12_S13_EUlS12_E_NS1_11comp_targetILNS1_3genE3ELNS1_11target_archE908ELNS1_3gpuE7ELNS1_3repE0EEENS1_30default_config_static_selectorELNS0_4arch9wavefront6targetE1EEEvT1_, .Lfunc_end705-_ZN7rocprim17ROCPRIM_400000_NS6detail17trampoline_kernelINS0_14default_configENS1_25partition_config_selectorILNS1_17partition_subalgoE8EmNS0_10empty_typeEbEEZZNS1_14partition_implILS5_8ELb0ES3_jPKmPS6_PKS6_NS0_5tupleIJPmS6_EEENSE_IJSB_SB_EEENS0_18inequality_wrapperIN6hipcub16HIPCUB_304000_NS8EqualityEEEPlJS6_EEE10hipError_tPvRmT3_T4_T5_T6_T7_T9_mT8_P12ihipStream_tbDpT10_ENKUlT_T0_E_clISt17integral_constantIbLb1EES16_IbLb0EEEEDaS12_S13_EUlS12_E_NS1_11comp_targetILNS1_3genE3ELNS1_11target_archE908ELNS1_3gpuE7ELNS1_3repE0EEENS1_30default_config_static_selectorELNS0_4arch9wavefront6targetE1EEEvT1_
                                        ; -- End function
	.section	.AMDGPU.csdata,"",@progbits
; Kernel info:
; codeLenInByte = 0
; NumSgprs: 4
; NumVgprs: 0
; NumAgprs: 0
; TotalNumVgprs: 0
; ScratchSize: 0
; MemoryBound: 0
; FloatMode: 240
; IeeeMode: 1
; LDSByteSize: 0 bytes/workgroup (compile time only)
; SGPRBlocks: 0
; VGPRBlocks: 0
; NumSGPRsForWavesPerEU: 4
; NumVGPRsForWavesPerEU: 1
; AccumOffset: 4
; Occupancy: 8
; WaveLimiterHint : 0
; COMPUTE_PGM_RSRC2:SCRATCH_EN: 0
; COMPUTE_PGM_RSRC2:USER_SGPR: 6
; COMPUTE_PGM_RSRC2:TRAP_HANDLER: 0
; COMPUTE_PGM_RSRC2:TGID_X_EN: 1
; COMPUTE_PGM_RSRC2:TGID_Y_EN: 0
; COMPUTE_PGM_RSRC2:TGID_Z_EN: 0
; COMPUTE_PGM_RSRC2:TIDIG_COMP_CNT: 0
; COMPUTE_PGM_RSRC3_GFX90A:ACCUM_OFFSET: 0
; COMPUTE_PGM_RSRC3_GFX90A:TG_SPLIT: 0
	.section	.text._ZN7rocprim17ROCPRIM_400000_NS6detail17trampoline_kernelINS0_14default_configENS1_25partition_config_selectorILNS1_17partition_subalgoE8EmNS0_10empty_typeEbEEZZNS1_14partition_implILS5_8ELb0ES3_jPKmPS6_PKS6_NS0_5tupleIJPmS6_EEENSE_IJSB_SB_EEENS0_18inequality_wrapperIN6hipcub16HIPCUB_304000_NS8EqualityEEEPlJS6_EEE10hipError_tPvRmT3_T4_T5_T6_T7_T9_mT8_P12ihipStream_tbDpT10_ENKUlT_T0_E_clISt17integral_constantIbLb1EES16_IbLb0EEEEDaS12_S13_EUlS12_E_NS1_11comp_targetILNS1_3genE2ELNS1_11target_archE906ELNS1_3gpuE6ELNS1_3repE0EEENS1_30default_config_static_selectorELNS0_4arch9wavefront6targetE1EEEvT1_,"axG",@progbits,_ZN7rocprim17ROCPRIM_400000_NS6detail17trampoline_kernelINS0_14default_configENS1_25partition_config_selectorILNS1_17partition_subalgoE8EmNS0_10empty_typeEbEEZZNS1_14partition_implILS5_8ELb0ES3_jPKmPS6_PKS6_NS0_5tupleIJPmS6_EEENSE_IJSB_SB_EEENS0_18inequality_wrapperIN6hipcub16HIPCUB_304000_NS8EqualityEEEPlJS6_EEE10hipError_tPvRmT3_T4_T5_T6_T7_T9_mT8_P12ihipStream_tbDpT10_ENKUlT_T0_E_clISt17integral_constantIbLb1EES16_IbLb0EEEEDaS12_S13_EUlS12_E_NS1_11comp_targetILNS1_3genE2ELNS1_11target_archE906ELNS1_3gpuE6ELNS1_3repE0EEENS1_30default_config_static_selectorELNS0_4arch9wavefront6targetE1EEEvT1_,comdat
	.protected	_ZN7rocprim17ROCPRIM_400000_NS6detail17trampoline_kernelINS0_14default_configENS1_25partition_config_selectorILNS1_17partition_subalgoE8EmNS0_10empty_typeEbEEZZNS1_14partition_implILS5_8ELb0ES3_jPKmPS6_PKS6_NS0_5tupleIJPmS6_EEENSE_IJSB_SB_EEENS0_18inequality_wrapperIN6hipcub16HIPCUB_304000_NS8EqualityEEEPlJS6_EEE10hipError_tPvRmT3_T4_T5_T6_T7_T9_mT8_P12ihipStream_tbDpT10_ENKUlT_T0_E_clISt17integral_constantIbLb1EES16_IbLb0EEEEDaS12_S13_EUlS12_E_NS1_11comp_targetILNS1_3genE2ELNS1_11target_archE906ELNS1_3gpuE6ELNS1_3repE0EEENS1_30default_config_static_selectorELNS0_4arch9wavefront6targetE1EEEvT1_ ; -- Begin function _ZN7rocprim17ROCPRIM_400000_NS6detail17trampoline_kernelINS0_14default_configENS1_25partition_config_selectorILNS1_17partition_subalgoE8EmNS0_10empty_typeEbEEZZNS1_14partition_implILS5_8ELb0ES3_jPKmPS6_PKS6_NS0_5tupleIJPmS6_EEENSE_IJSB_SB_EEENS0_18inequality_wrapperIN6hipcub16HIPCUB_304000_NS8EqualityEEEPlJS6_EEE10hipError_tPvRmT3_T4_T5_T6_T7_T9_mT8_P12ihipStream_tbDpT10_ENKUlT_T0_E_clISt17integral_constantIbLb1EES16_IbLb0EEEEDaS12_S13_EUlS12_E_NS1_11comp_targetILNS1_3genE2ELNS1_11target_archE906ELNS1_3gpuE6ELNS1_3repE0EEENS1_30default_config_static_selectorELNS0_4arch9wavefront6targetE1EEEvT1_
	.globl	_ZN7rocprim17ROCPRIM_400000_NS6detail17trampoline_kernelINS0_14default_configENS1_25partition_config_selectorILNS1_17partition_subalgoE8EmNS0_10empty_typeEbEEZZNS1_14partition_implILS5_8ELb0ES3_jPKmPS6_PKS6_NS0_5tupleIJPmS6_EEENSE_IJSB_SB_EEENS0_18inequality_wrapperIN6hipcub16HIPCUB_304000_NS8EqualityEEEPlJS6_EEE10hipError_tPvRmT3_T4_T5_T6_T7_T9_mT8_P12ihipStream_tbDpT10_ENKUlT_T0_E_clISt17integral_constantIbLb1EES16_IbLb0EEEEDaS12_S13_EUlS12_E_NS1_11comp_targetILNS1_3genE2ELNS1_11target_archE906ELNS1_3gpuE6ELNS1_3repE0EEENS1_30default_config_static_selectorELNS0_4arch9wavefront6targetE1EEEvT1_
	.p2align	8
	.type	_ZN7rocprim17ROCPRIM_400000_NS6detail17trampoline_kernelINS0_14default_configENS1_25partition_config_selectorILNS1_17partition_subalgoE8EmNS0_10empty_typeEbEEZZNS1_14partition_implILS5_8ELb0ES3_jPKmPS6_PKS6_NS0_5tupleIJPmS6_EEENSE_IJSB_SB_EEENS0_18inequality_wrapperIN6hipcub16HIPCUB_304000_NS8EqualityEEEPlJS6_EEE10hipError_tPvRmT3_T4_T5_T6_T7_T9_mT8_P12ihipStream_tbDpT10_ENKUlT_T0_E_clISt17integral_constantIbLb1EES16_IbLb0EEEEDaS12_S13_EUlS12_E_NS1_11comp_targetILNS1_3genE2ELNS1_11target_archE906ELNS1_3gpuE6ELNS1_3repE0EEENS1_30default_config_static_selectorELNS0_4arch9wavefront6targetE1EEEvT1_,@function
_ZN7rocprim17ROCPRIM_400000_NS6detail17trampoline_kernelINS0_14default_configENS1_25partition_config_selectorILNS1_17partition_subalgoE8EmNS0_10empty_typeEbEEZZNS1_14partition_implILS5_8ELb0ES3_jPKmPS6_PKS6_NS0_5tupleIJPmS6_EEENSE_IJSB_SB_EEENS0_18inequality_wrapperIN6hipcub16HIPCUB_304000_NS8EqualityEEEPlJS6_EEE10hipError_tPvRmT3_T4_T5_T6_T7_T9_mT8_P12ihipStream_tbDpT10_ENKUlT_T0_E_clISt17integral_constantIbLb1EES16_IbLb0EEEEDaS12_S13_EUlS12_E_NS1_11comp_targetILNS1_3genE2ELNS1_11target_archE906ELNS1_3gpuE6ELNS1_3repE0EEENS1_30default_config_static_selectorELNS0_4arch9wavefront6targetE1EEEvT1_: ; @_ZN7rocprim17ROCPRIM_400000_NS6detail17trampoline_kernelINS0_14default_configENS1_25partition_config_selectorILNS1_17partition_subalgoE8EmNS0_10empty_typeEbEEZZNS1_14partition_implILS5_8ELb0ES3_jPKmPS6_PKS6_NS0_5tupleIJPmS6_EEENSE_IJSB_SB_EEENS0_18inequality_wrapperIN6hipcub16HIPCUB_304000_NS8EqualityEEEPlJS6_EEE10hipError_tPvRmT3_T4_T5_T6_T7_T9_mT8_P12ihipStream_tbDpT10_ENKUlT_T0_E_clISt17integral_constantIbLb1EES16_IbLb0EEEEDaS12_S13_EUlS12_E_NS1_11comp_targetILNS1_3genE2ELNS1_11target_archE906ELNS1_3gpuE6ELNS1_3repE0EEENS1_30default_config_static_selectorELNS0_4arch9wavefront6targetE1EEEvT1_
; %bb.0:
	.section	.rodata,"a",@progbits
	.p2align	6, 0x0
	.amdhsa_kernel _ZN7rocprim17ROCPRIM_400000_NS6detail17trampoline_kernelINS0_14default_configENS1_25partition_config_selectorILNS1_17partition_subalgoE8EmNS0_10empty_typeEbEEZZNS1_14partition_implILS5_8ELb0ES3_jPKmPS6_PKS6_NS0_5tupleIJPmS6_EEENSE_IJSB_SB_EEENS0_18inequality_wrapperIN6hipcub16HIPCUB_304000_NS8EqualityEEEPlJS6_EEE10hipError_tPvRmT3_T4_T5_T6_T7_T9_mT8_P12ihipStream_tbDpT10_ENKUlT_T0_E_clISt17integral_constantIbLb1EES16_IbLb0EEEEDaS12_S13_EUlS12_E_NS1_11comp_targetILNS1_3genE2ELNS1_11target_archE906ELNS1_3gpuE6ELNS1_3repE0EEENS1_30default_config_static_selectorELNS0_4arch9wavefront6targetE1EEEvT1_
		.amdhsa_group_segment_fixed_size 0
		.amdhsa_private_segment_fixed_size 0
		.amdhsa_kernarg_size 112
		.amdhsa_user_sgpr_count 6
		.amdhsa_user_sgpr_private_segment_buffer 1
		.amdhsa_user_sgpr_dispatch_ptr 0
		.amdhsa_user_sgpr_queue_ptr 0
		.amdhsa_user_sgpr_kernarg_segment_ptr 1
		.amdhsa_user_sgpr_dispatch_id 0
		.amdhsa_user_sgpr_flat_scratch_init 0
		.amdhsa_user_sgpr_kernarg_preload_length 0
		.amdhsa_user_sgpr_kernarg_preload_offset 0
		.amdhsa_user_sgpr_private_segment_size 0
		.amdhsa_uses_dynamic_stack 0
		.amdhsa_system_sgpr_private_segment_wavefront_offset 0
		.amdhsa_system_sgpr_workgroup_id_x 1
		.amdhsa_system_sgpr_workgroup_id_y 0
		.amdhsa_system_sgpr_workgroup_id_z 0
		.amdhsa_system_sgpr_workgroup_info 0
		.amdhsa_system_vgpr_workitem_id 0
		.amdhsa_next_free_vgpr 1
		.amdhsa_next_free_sgpr 0
		.amdhsa_accum_offset 4
		.amdhsa_reserve_vcc 0
		.amdhsa_reserve_flat_scratch 0
		.amdhsa_float_round_mode_32 0
		.amdhsa_float_round_mode_16_64 0
		.amdhsa_float_denorm_mode_32 3
		.amdhsa_float_denorm_mode_16_64 3
		.amdhsa_dx10_clamp 1
		.amdhsa_ieee_mode 1
		.amdhsa_fp16_overflow 0
		.amdhsa_tg_split 0
		.amdhsa_exception_fp_ieee_invalid_op 0
		.amdhsa_exception_fp_denorm_src 0
		.amdhsa_exception_fp_ieee_div_zero 0
		.amdhsa_exception_fp_ieee_overflow 0
		.amdhsa_exception_fp_ieee_underflow 0
		.amdhsa_exception_fp_ieee_inexact 0
		.amdhsa_exception_int_div_zero 0
	.end_amdhsa_kernel
	.section	.text._ZN7rocprim17ROCPRIM_400000_NS6detail17trampoline_kernelINS0_14default_configENS1_25partition_config_selectorILNS1_17partition_subalgoE8EmNS0_10empty_typeEbEEZZNS1_14partition_implILS5_8ELb0ES3_jPKmPS6_PKS6_NS0_5tupleIJPmS6_EEENSE_IJSB_SB_EEENS0_18inequality_wrapperIN6hipcub16HIPCUB_304000_NS8EqualityEEEPlJS6_EEE10hipError_tPvRmT3_T4_T5_T6_T7_T9_mT8_P12ihipStream_tbDpT10_ENKUlT_T0_E_clISt17integral_constantIbLb1EES16_IbLb0EEEEDaS12_S13_EUlS12_E_NS1_11comp_targetILNS1_3genE2ELNS1_11target_archE906ELNS1_3gpuE6ELNS1_3repE0EEENS1_30default_config_static_selectorELNS0_4arch9wavefront6targetE1EEEvT1_,"axG",@progbits,_ZN7rocprim17ROCPRIM_400000_NS6detail17trampoline_kernelINS0_14default_configENS1_25partition_config_selectorILNS1_17partition_subalgoE8EmNS0_10empty_typeEbEEZZNS1_14partition_implILS5_8ELb0ES3_jPKmPS6_PKS6_NS0_5tupleIJPmS6_EEENSE_IJSB_SB_EEENS0_18inequality_wrapperIN6hipcub16HIPCUB_304000_NS8EqualityEEEPlJS6_EEE10hipError_tPvRmT3_T4_T5_T6_T7_T9_mT8_P12ihipStream_tbDpT10_ENKUlT_T0_E_clISt17integral_constantIbLb1EES16_IbLb0EEEEDaS12_S13_EUlS12_E_NS1_11comp_targetILNS1_3genE2ELNS1_11target_archE906ELNS1_3gpuE6ELNS1_3repE0EEENS1_30default_config_static_selectorELNS0_4arch9wavefront6targetE1EEEvT1_,comdat
.Lfunc_end706:
	.size	_ZN7rocprim17ROCPRIM_400000_NS6detail17trampoline_kernelINS0_14default_configENS1_25partition_config_selectorILNS1_17partition_subalgoE8EmNS0_10empty_typeEbEEZZNS1_14partition_implILS5_8ELb0ES3_jPKmPS6_PKS6_NS0_5tupleIJPmS6_EEENSE_IJSB_SB_EEENS0_18inequality_wrapperIN6hipcub16HIPCUB_304000_NS8EqualityEEEPlJS6_EEE10hipError_tPvRmT3_T4_T5_T6_T7_T9_mT8_P12ihipStream_tbDpT10_ENKUlT_T0_E_clISt17integral_constantIbLb1EES16_IbLb0EEEEDaS12_S13_EUlS12_E_NS1_11comp_targetILNS1_3genE2ELNS1_11target_archE906ELNS1_3gpuE6ELNS1_3repE0EEENS1_30default_config_static_selectorELNS0_4arch9wavefront6targetE1EEEvT1_, .Lfunc_end706-_ZN7rocprim17ROCPRIM_400000_NS6detail17trampoline_kernelINS0_14default_configENS1_25partition_config_selectorILNS1_17partition_subalgoE8EmNS0_10empty_typeEbEEZZNS1_14partition_implILS5_8ELb0ES3_jPKmPS6_PKS6_NS0_5tupleIJPmS6_EEENSE_IJSB_SB_EEENS0_18inequality_wrapperIN6hipcub16HIPCUB_304000_NS8EqualityEEEPlJS6_EEE10hipError_tPvRmT3_T4_T5_T6_T7_T9_mT8_P12ihipStream_tbDpT10_ENKUlT_T0_E_clISt17integral_constantIbLb1EES16_IbLb0EEEEDaS12_S13_EUlS12_E_NS1_11comp_targetILNS1_3genE2ELNS1_11target_archE906ELNS1_3gpuE6ELNS1_3repE0EEENS1_30default_config_static_selectorELNS0_4arch9wavefront6targetE1EEEvT1_
                                        ; -- End function
	.section	.AMDGPU.csdata,"",@progbits
; Kernel info:
; codeLenInByte = 0
; NumSgprs: 4
; NumVgprs: 0
; NumAgprs: 0
; TotalNumVgprs: 0
; ScratchSize: 0
; MemoryBound: 0
; FloatMode: 240
; IeeeMode: 1
; LDSByteSize: 0 bytes/workgroup (compile time only)
; SGPRBlocks: 0
; VGPRBlocks: 0
; NumSGPRsForWavesPerEU: 4
; NumVGPRsForWavesPerEU: 1
; AccumOffset: 4
; Occupancy: 8
; WaveLimiterHint : 0
; COMPUTE_PGM_RSRC2:SCRATCH_EN: 0
; COMPUTE_PGM_RSRC2:USER_SGPR: 6
; COMPUTE_PGM_RSRC2:TRAP_HANDLER: 0
; COMPUTE_PGM_RSRC2:TGID_X_EN: 1
; COMPUTE_PGM_RSRC2:TGID_Y_EN: 0
; COMPUTE_PGM_RSRC2:TGID_Z_EN: 0
; COMPUTE_PGM_RSRC2:TIDIG_COMP_CNT: 0
; COMPUTE_PGM_RSRC3_GFX90A:ACCUM_OFFSET: 0
; COMPUTE_PGM_RSRC3_GFX90A:TG_SPLIT: 0
	.section	.text._ZN7rocprim17ROCPRIM_400000_NS6detail17trampoline_kernelINS0_14default_configENS1_25partition_config_selectorILNS1_17partition_subalgoE8EmNS0_10empty_typeEbEEZZNS1_14partition_implILS5_8ELb0ES3_jPKmPS6_PKS6_NS0_5tupleIJPmS6_EEENSE_IJSB_SB_EEENS0_18inequality_wrapperIN6hipcub16HIPCUB_304000_NS8EqualityEEEPlJS6_EEE10hipError_tPvRmT3_T4_T5_T6_T7_T9_mT8_P12ihipStream_tbDpT10_ENKUlT_T0_E_clISt17integral_constantIbLb1EES16_IbLb0EEEEDaS12_S13_EUlS12_E_NS1_11comp_targetILNS1_3genE10ELNS1_11target_archE1200ELNS1_3gpuE4ELNS1_3repE0EEENS1_30default_config_static_selectorELNS0_4arch9wavefront6targetE1EEEvT1_,"axG",@progbits,_ZN7rocprim17ROCPRIM_400000_NS6detail17trampoline_kernelINS0_14default_configENS1_25partition_config_selectorILNS1_17partition_subalgoE8EmNS0_10empty_typeEbEEZZNS1_14partition_implILS5_8ELb0ES3_jPKmPS6_PKS6_NS0_5tupleIJPmS6_EEENSE_IJSB_SB_EEENS0_18inequality_wrapperIN6hipcub16HIPCUB_304000_NS8EqualityEEEPlJS6_EEE10hipError_tPvRmT3_T4_T5_T6_T7_T9_mT8_P12ihipStream_tbDpT10_ENKUlT_T0_E_clISt17integral_constantIbLb1EES16_IbLb0EEEEDaS12_S13_EUlS12_E_NS1_11comp_targetILNS1_3genE10ELNS1_11target_archE1200ELNS1_3gpuE4ELNS1_3repE0EEENS1_30default_config_static_selectorELNS0_4arch9wavefront6targetE1EEEvT1_,comdat
	.protected	_ZN7rocprim17ROCPRIM_400000_NS6detail17trampoline_kernelINS0_14default_configENS1_25partition_config_selectorILNS1_17partition_subalgoE8EmNS0_10empty_typeEbEEZZNS1_14partition_implILS5_8ELb0ES3_jPKmPS6_PKS6_NS0_5tupleIJPmS6_EEENSE_IJSB_SB_EEENS0_18inequality_wrapperIN6hipcub16HIPCUB_304000_NS8EqualityEEEPlJS6_EEE10hipError_tPvRmT3_T4_T5_T6_T7_T9_mT8_P12ihipStream_tbDpT10_ENKUlT_T0_E_clISt17integral_constantIbLb1EES16_IbLb0EEEEDaS12_S13_EUlS12_E_NS1_11comp_targetILNS1_3genE10ELNS1_11target_archE1200ELNS1_3gpuE4ELNS1_3repE0EEENS1_30default_config_static_selectorELNS0_4arch9wavefront6targetE1EEEvT1_ ; -- Begin function _ZN7rocprim17ROCPRIM_400000_NS6detail17trampoline_kernelINS0_14default_configENS1_25partition_config_selectorILNS1_17partition_subalgoE8EmNS0_10empty_typeEbEEZZNS1_14partition_implILS5_8ELb0ES3_jPKmPS6_PKS6_NS0_5tupleIJPmS6_EEENSE_IJSB_SB_EEENS0_18inequality_wrapperIN6hipcub16HIPCUB_304000_NS8EqualityEEEPlJS6_EEE10hipError_tPvRmT3_T4_T5_T6_T7_T9_mT8_P12ihipStream_tbDpT10_ENKUlT_T0_E_clISt17integral_constantIbLb1EES16_IbLb0EEEEDaS12_S13_EUlS12_E_NS1_11comp_targetILNS1_3genE10ELNS1_11target_archE1200ELNS1_3gpuE4ELNS1_3repE0EEENS1_30default_config_static_selectorELNS0_4arch9wavefront6targetE1EEEvT1_
	.globl	_ZN7rocprim17ROCPRIM_400000_NS6detail17trampoline_kernelINS0_14default_configENS1_25partition_config_selectorILNS1_17partition_subalgoE8EmNS0_10empty_typeEbEEZZNS1_14partition_implILS5_8ELb0ES3_jPKmPS6_PKS6_NS0_5tupleIJPmS6_EEENSE_IJSB_SB_EEENS0_18inequality_wrapperIN6hipcub16HIPCUB_304000_NS8EqualityEEEPlJS6_EEE10hipError_tPvRmT3_T4_T5_T6_T7_T9_mT8_P12ihipStream_tbDpT10_ENKUlT_T0_E_clISt17integral_constantIbLb1EES16_IbLb0EEEEDaS12_S13_EUlS12_E_NS1_11comp_targetILNS1_3genE10ELNS1_11target_archE1200ELNS1_3gpuE4ELNS1_3repE0EEENS1_30default_config_static_selectorELNS0_4arch9wavefront6targetE1EEEvT1_
	.p2align	8
	.type	_ZN7rocprim17ROCPRIM_400000_NS6detail17trampoline_kernelINS0_14default_configENS1_25partition_config_selectorILNS1_17partition_subalgoE8EmNS0_10empty_typeEbEEZZNS1_14partition_implILS5_8ELb0ES3_jPKmPS6_PKS6_NS0_5tupleIJPmS6_EEENSE_IJSB_SB_EEENS0_18inequality_wrapperIN6hipcub16HIPCUB_304000_NS8EqualityEEEPlJS6_EEE10hipError_tPvRmT3_T4_T5_T6_T7_T9_mT8_P12ihipStream_tbDpT10_ENKUlT_T0_E_clISt17integral_constantIbLb1EES16_IbLb0EEEEDaS12_S13_EUlS12_E_NS1_11comp_targetILNS1_3genE10ELNS1_11target_archE1200ELNS1_3gpuE4ELNS1_3repE0EEENS1_30default_config_static_selectorELNS0_4arch9wavefront6targetE1EEEvT1_,@function
_ZN7rocprim17ROCPRIM_400000_NS6detail17trampoline_kernelINS0_14default_configENS1_25partition_config_selectorILNS1_17partition_subalgoE8EmNS0_10empty_typeEbEEZZNS1_14partition_implILS5_8ELb0ES3_jPKmPS6_PKS6_NS0_5tupleIJPmS6_EEENSE_IJSB_SB_EEENS0_18inequality_wrapperIN6hipcub16HIPCUB_304000_NS8EqualityEEEPlJS6_EEE10hipError_tPvRmT3_T4_T5_T6_T7_T9_mT8_P12ihipStream_tbDpT10_ENKUlT_T0_E_clISt17integral_constantIbLb1EES16_IbLb0EEEEDaS12_S13_EUlS12_E_NS1_11comp_targetILNS1_3genE10ELNS1_11target_archE1200ELNS1_3gpuE4ELNS1_3repE0EEENS1_30default_config_static_selectorELNS0_4arch9wavefront6targetE1EEEvT1_: ; @_ZN7rocprim17ROCPRIM_400000_NS6detail17trampoline_kernelINS0_14default_configENS1_25partition_config_selectorILNS1_17partition_subalgoE8EmNS0_10empty_typeEbEEZZNS1_14partition_implILS5_8ELb0ES3_jPKmPS6_PKS6_NS0_5tupleIJPmS6_EEENSE_IJSB_SB_EEENS0_18inequality_wrapperIN6hipcub16HIPCUB_304000_NS8EqualityEEEPlJS6_EEE10hipError_tPvRmT3_T4_T5_T6_T7_T9_mT8_P12ihipStream_tbDpT10_ENKUlT_T0_E_clISt17integral_constantIbLb1EES16_IbLb0EEEEDaS12_S13_EUlS12_E_NS1_11comp_targetILNS1_3genE10ELNS1_11target_archE1200ELNS1_3gpuE4ELNS1_3repE0EEENS1_30default_config_static_selectorELNS0_4arch9wavefront6targetE1EEEvT1_
; %bb.0:
	.section	.rodata,"a",@progbits
	.p2align	6, 0x0
	.amdhsa_kernel _ZN7rocprim17ROCPRIM_400000_NS6detail17trampoline_kernelINS0_14default_configENS1_25partition_config_selectorILNS1_17partition_subalgoE8EmNS0_10empty_typeEbEEZZNS1_14partition_implILS5_8ELb0ES3_jPKmPS6_PKS6_NS0_5tupleIJPmS6_EEENSE_IJSB_SB_EEENS0_18inequality_wrapperIN6hipcub16HIPCUB_304000_NS8EqualityEEEPlJS6_EEE10hipError_tPvRmT3_T4_T5_T6_T7_T9_mT8_P12ihipStream_tbDpT10_ENKUlT_T0_E_clISt17integral_constantIbLb1EES16_IbLb0EEEEDaS12_S13_EUlS12_E_NS1_11comp_targetILNS1_3genE10ELNS1_11target_archE1200ELNS1_3gpuE4ELNS1_3repE0EEENS1_30default_config_static_selectorELNS0_4arch9wavefront6targetE1EEEvT1_
		.amdhsa_group_segment_fixed_size 0
		.amdhsa_private_segment_fixed_size 0
		.amdhsa_kernarg_size 112
		.amdhsa_user_sgpr_count 6
		.amdhsa_user_sgpr_private_segment_buffer 1
		.amdhsa_user_sgpr_dispatch_ptr 0
		.amdhsa_user_sgpr_queue_ptr 0
		.amdhsa_user_sgpr_kernarg_segment_ptr 1
		.amdhsa_user_sgpr_dispatch_id 0
		.amdhsa_user_sgpr_flat_scratch_init 0
		.amdhsa_user_sgpr_kernarg_preload_length 0
		.amdhsa_user_sgpr_kernarg_preload_offset 0
		.amdhsa_user_sgpr_private_segment_size 0
		.amdhsa_uses_dynamic_stack 0
		.amdhsa_system_sgpr_private_segment_wavefront_offset 0
		.amdhsa_system_sgpr_workgroup_id_x 1
		.amdhsa_system_sgpr_workgroup_id_y 0
		.amdhsa_system_sgpr_workgroup_id_z 0
		.amdhsa_system_sgpr_workgroup_info 0
		.amdhsa_system_vgpr_workitem_id 0
		.amdhsa_next_free_vgpr 1
		.amdhsa_next_free_sgpr 0
		.amdhsa_accum_offset 4
		.amdhsa_reserve_vcc 0
		.amdhsa_reserve_flat_scratch 0
		.amdhsa_float_round_mode_32 0
		.amdhsa_float_round_mode_16_64 0
		.amdhsa_float_denorm_mode_32 3
		.amdhsa_float_denorm_mode_16_64 3
		.amdhsa_dx10_clamp 1
		.amdhsa_ieee_mode 1
		.amdhsa_fp16_overflow 0
		.amdhsa_tg_split 0
		.amdhsa_exception_fp_ieee_invalid_op 0
		.amdhsa_exception_fp_denorm_src 0
		.amdhsa_exception_fp_ieee_div_zero 0
		.amdhsa_exception_fp_ieee_overflow 0
		.amdhsa_exception_fp_ieee_underflow 0
		.amdhsa_exception_fp_ieee_inexact 0
		.amdhsa_exception_int_div_zero 0
	.end_amdhsa_kernel
	.section	.text._ZN7rocprim17ROCPRIM_400000_NS6detail17trampoline_kernelINS0_14default_configENS1_25partition_config_selectorILNS1_17partition_subalgoE8EmNS0_10empty_typeEbEEZZNS1_14partition_implILS5_8ELb0ES3_jPKmPS6_PKS6_NS0_5tupleIJPmS6_EEENSE_IJSB_SB_EEENS0_18inequality_wrapperIN6hipcub16HIPCUB_304000_NS8EqualityEEEPlJS6_EEE10hipError_tPvRmT3_T4_T5_T6_T7_T9_mT8_P12ihipStream_tbDpT10_ENKUlT_T0_E_clISt17integral_constantIbLb1EES16_IbLb0EEEEDaS12_S13_EUlS12_E_NS1_11comp_targetILNS1_3genE10ELNS1_11target_archE1200ELNS1_3gpuE4ELNS1_3repE0EEENS1_30default_config_static_selectorELNS0_4arch9wavefront6targetE1EEEvT1_,"axG",@progbits,_ZN7rocprim17ROCPRIM_400000_NS6detail17trampoline_kernelINS0_14default_configENS1_25partition_config_selectorILNS1_17partition_subalgoE8EmNS0_10empty_typeEbEEZZNS1_14partition_implILS5_8ELb0ES3_jPKmPS6_PKS6_NS0_5tupleIJPmS6_EEENSE_IJSB_SB_EEENS0_18inequality_wrapperIN6hipcub16HIPCUB_304000_NS8EqualityEEEPlJS6_EEE10hipError_tPvRmT3_T4_T5_T6_T7_T9_mT8_P12ihipStream_tbDpT10_ENKUlT_T0_E_clISt17integral_constantIbLb1EES16_IbLb0EEEEDaS12_S13_EUlS12_E_NS1_11comp_targetILNS1_3genE10ELNS1_11target_archE1200ELNS1_3gpuE4ELNS1_3repE0EEENS1_30default_config_static_selectorELNS0_4arch9wavefront6targetE1EEEvT1_,comdat
.Lfunc_end707:
	.size	_ZN7rocprim17ROCPRIM_400000_NS6detail17trampoline_kernelINS0_14default_configENS1_25partition_config_selectorILNS1_17partition_subalgoE8EmNS0_10empty_typeEbEEZZNS1_14partition_implILS5_8ELb0ES3_jPKmPS6_PKS6_NS0_5tupleIJPmS6_EEENSE_IJSB_SB_EEENS0_18inequality_wrapperIN6hipcub16HIPCUB_304000_NS8EqualityEEEPlJS6_EEE10hipError_tPvRmT3_T4_T5_T6_T7_T9_mT8_P12ihipStream_tbDpT10_ENKUlT_T0_E_clISt17integral_constantIbLb1EES16_IbLb0EEEEDaS12_S13_EUlS12_E_NS1_11comp_targetILNS1_3genE10ELNS1_11target_archE1200ELNS1_3gpuE4ELNS1_3repE0EEENS1_30default_config_static_selectorELNS0_4arch9wavefront6targetE1EEEvT1_, .Lfunc_end707-_ZN7rocprim17ROCPRIM_400000_NS6detail17trampoline_kernelINS0_14default_configENS1_25partition_config_selectorILNS1_17partition_subalgoE8EmNS0_10empty_typeEbEEZZNS1_14partition_implILS5_8ELb0ES3_jPKmPS6_PKS6_NS0_5tupleIJPmS6_EEENSE_IJSB_SB_EEENS0_18inequality_wrapperIN6hipcub16HIPCUB_304000_NS8EqualityEEEPlJS6_EEE10hipError_tPvRmT3_T4_T5_T6_T7_T9_mT8_P12ihipStream_tbDpT10_ENKUlT_T0_E_clISt17integral_constantIbLb1EES16_IbLb0EEEEDaS12_S13_EUlS12_E_NS1_11comp_targetILNS1_3genE10ELNS1_11target_archE1200ELNS1_3gpuE4ELNS1_3repE0EEENS1_30default_config_static_selectorELNS0_4arch9wavefront6targetE1EEEvT1_
                                        ; -- End function
	.section	.AMDGPU.csdata,"",@progbits
; Kernel info:
; codeLenInByte = 0
; NumSgprs: 4
; NumVgprs: 0
; NumAgprs: 0
; TotalNumVgprs: 0
; ScratchSize: 0
; MemoryBound: 0
; FloatMode: 240
; IeeeMode: 1
; LDSByteSize: 0 bytes/workgroup (compile time only)
; SGPRBlocks: 0
; VGPRBlocks: 0
; NumSGPRsForWavesPerEU: 4
; NumVGPRsForWavesPerEU: 1
; AccumOffset: 4
; Occupancy: 8
; WaveLimiterHint : 0
; COMPUTE_PGM_RSRC2:SCRATCH_EN: 0
; COMPUTE_PGM_RSRC2:USER_SGPR: 6
; COMPUTE_PGM_RSRC2:TRAP_HANDLER: 0
; COMPUTE_PGM_RSRC2:TGID_X_EN: 1
; COMPUTE_PGM_RSRC2:TGID_Y_EN: 0
; COMPUTE_PGM_RSRC2:TGID_Z_EN: 0
; COMPUTE_PGM_RSRC2:TIDIG_COMP_CNT: 0
; COMPUTE_PGM_RSRC3_GFX90A:ACCUM_OFFSET: 0
; COMPUTE_PGM_RSRC3_GFX90A:TG_SPLIT: 0
	.section	.text._ZN7rocprim17ROCPRIM_400000_NS6detail17trampoline_kernelINS0_14default_configENS1_25partition_config_selectorILNS1_17partition_subalgoE8EmNS0_10empty_typeEbEEZZNS1_14partition_implILS5_8ELb0ES3_jPKmPS6_PKS6_NS0_5tupleIJPmS6_EEENSE_IJSB_SB_EEENS0_18inequality_wrapperIN6hipcub16HIPCUB_304000_NS8EqualityEEEPlJS6_EEE10hipError_tPvRmT3_T4_T5_T6_T7_T9_mT8_P12ihipStream_tbDpT10_ENKUlT_T0_E_clISt17integral_constantIbLb1EES16_IbLb0EEEEDaS12_S13_EUlS12_E_NS1_11comp_targetILNS1_3genE9ELNS1_11target_archE1100ELNS1_3gpuE3ELNS1_3repE0EEENS1_30default_config_static_selectorELNS0_4arch9wavefront6targetE1EEEvT1_,"axG",@progbits,_ZN7rocprim17ROCPRIM_400000_NS6detail17trampoline_kernelINS0_14default_configENS1_25partition_config_selectorILNS1_17partition_subalgoE8EmNS0_10empty_typeEbEEZZNS1_14partition_implILS5_8ELb0ES3_jPKmPS6_PKS6_NS0_5tupleIJPmS6_EEENSE_IJSB_SB_EEENS0_18inequality_wrapperIN6hipcub16HIPCUB_304000_NS8EqualityEEEPlJS6_EEE10hipError_tPvRmT3_T4_T5_T6_T7_T9_mT8_P12ihipStream_tbDpT10_ENKUlT_T0_E_clISt17integral_constantIbLb1EES16_IbLb0EEEEDaS12_S13_EUlS12_E_NS1_11comp_targetILNS1_3genE9ELNS1_11target_archE1100ELNS1_3gpuE3ELNS1_3repE0EEENS1_30default_config_static_selectorELNS0_4arch9wavefront6targetE1EEEvT1_,comdat
	.protected	_ZN7rocprim17ROCPRIM_400000_NS6detail17trampoline_kernelINS0_14default_configENS1_25partition_config_selectorILNS1_17partition_subalgoE8EmNS0_10empty_typeEbEEZZNS1_14partition_implILS5_8ELb0ES3_jPKmPS6_PKS6_NS0_5tupleIJPmS6_EEENSE_IJSB_SB_EEENS0_18inequality_wrapperIN6hipcub16HIPCUB_304000_NS8EqualityEEEPlJS6_EEE10hipError_tPvRmT3_T4_T5_T6_T7_T9_mT8_P12ihipStream_tbDpT10_ENKUlT_T0_E_clISt17integral_constantIbLb1EES16_IbLb0EEEEDaS12_S13_EUlS12_E_NS1_11comp_targetILNS1_3genE9ELNS1_11target_archE1100ELNS1_3gpuE3ELNS1_3repE0EEENS1_30default_config_static_selectorELNS0_4arch9wavefront6targetE1EEEvT1_ ; -- Begin function _ZN7rocprim17ROCPRIM_400000_NS6detail17trampoline_kernelINS0_14default_configENS1_25partition_config_selectorILNS1_17partition_subalgoE8EmNS0_10empty_typeEbEEZZNS1_14partition_implILS5_8ELb0ES3_jPKmPS6_PKS6_NS0_5tupleIJPmS6_EEENSE_IJSB_SB_EEENS0_18inequality_wrapperIN6hipcub16HIPCUB_304000_NS8EqualityEEEPlJS6_EEE10hipError_tPvRmT3_T4_T5_T6_T7_T9_mT8_P12ihipStream_tbDpT10_ENKUlT_T0_E_clISt17integral_constantIbLb1EES16_IbLb0EEEEDaS12_S13_EUlS12_E_NS1_11comp_targetILNS1_3genE9ELNS1_11target_archE1100ELNS1_3gpuE3ELNS1_3repE0EEENS1_30default_config_static_selectorELNS0_4arch9wavefront6targetE1EEEvT1_
	.globl	_ZN7rocprim17ROCPRIM_400000_NS6detail17trampoline_kernelINS0_14default_configENS1_25partition_config_selectorILNS1_17partition_subalgoE8EmNS0_10empty_typeEbEEZZNS1_14partition_implILS5_8ELb0ES3_jPKmPS6_PKS6_NS0_5tupleIJPmS6_EEENSE_IJSB_SB_EEENS0_18inequality_wrapperIN6hipcub16HIPCUB_304000_NS8EqualityEEEPlJS6_EEE10hipError_tPvRmT3_T4_T5_T6_T7_T9_mT8_P12ihipStream_tbDpT10_ENKUlT_T0_E_clISt17integral_constantIbLb1EES16_IbLb0EEEEDaS12_S13_EUlS12_E_NS1_11comp_targetILNS1_3genE9ELNS1_11target_archE1100ELNS1_3gpuE3ELNS1_3repE0EEENS1_30default_config_static_selectorELNS0_4arch9wavefront6targetE1EEEvT1_
	.p2align	8
	.type	_ZN7rocprim17ROCPRIM_400000_NS6detail17trampoline_kernelINS0_14default_configENS1_25partition_config_selectorILNS1_17partition_subalgoE8EmNS0_10empty_typeEbEEZZNS1_14partition_implILS5_8ELb0ES3_jPKmPS6_PKS6_NS0_5tupleIJPmS6_EEENSE_IJSB_SB_EEENS0_18inequality_wrapperIN6hipcub16HIPCUB_304000_NS8EqualityEEEPlJS6_EEE10hipError_tPvRmT3_T4_T5_T6_T7_T9_mT8_P12ihipStream_tbDpT10_ENKUlT_T0_E_clISt17integral_constantIbLb1EES16_IbLb0EEEEDaS12_S13_EUlS12_E_NS1_11comp_targetILNS1_3genE9ELNS1_11target_archE1100ELNS1_3gpuE3ELNS1_3repE0EEENS1_30default_config_static_selectorELNS0_4arch9wavefront6targetE1EEEvT1_,@function
_ZN7rocprim17ROCPRIM_400000_NS6detail17trampoline_kernelINS0_14default_configENS1_25partition_config_selectorILNS1_17partition_subalgoE8EmNS0_10empty_typeEbEEZZNS1_14partition_implILS5_8ELb0ES3_jPKmPS6_PKS6_NS0_5tupleIJPmS6_EEENSE_IJSB_SB_EEENS0_18inequality_wrapperIN6hipcub16HIPCUB_304000_NS8EqualityEEEPlJS6_EEE10hipError_tPvRmT3_T4_T5_T6_T7_T9_mT8_P12ihipStream_tbDpT10_ENKUlT_T0_E_clISt17integral_constantIbLb1EES16_IbLb0EEEEDaS12_S13_EUlS12_E_NS1_11comp_targetILNS1_3genE9ELNS1_11target_archE1100ELNS1_3gpuE3ELNS1_3repE0EEENS1_30default_config_static_selectorELNS0_4arch9wavefront6targetE1EEEvT1_: ; @_ZN7rocprim17ROCPRIM_400000_NS6detail17trampoline_kernelINS0_14default_configENS1_25partition_config_selectorILNS1_17partition_subalgoE8EmNS0_10empty_typeEbEEZZNS1_14partition_implILS5_8ELb0ES3_jPKmPS6_PKS6_NS0_5tupleIJPmS6_EEENSE_IJSB_SB_EEENS0_18inequality_wrapperIN6hipcub16HIPCUB_304000_NS8EqualityEEEPlJS6_EEE10hipError_tPvRmT3_T4_T5_T6_T7_T9_mT8_P12ihipStream_tbDpT10_ENKUlT_T0_E_clISt17integral_constantIbLb1EES16_IbLb0EEEEDaS12_S13_EUlS12_E_NS1_11comp_targetILNS1_3genE9ELNS1_11target_archE1100ELNS1_3gpuE3ELNS1_3repE0EEENS1_30default_config_static_selectorELNS0_4arch9wavefront6targetE1EEEvT1_
; %bb.0:
	.section	.rodata,"a",@progbits
	.p2align	6, 0x0
	.amdhsa_kernel _ZN7rocprim17ROCPRIM_400000_NS6detail17trampoline_kernelINS0_14default_configENS1_25partition_config_selectorILNS1_17partition_subalgoE8EmNS0_10empty_typeEbEEZZNS1_14partition_implILS5_8ELb0ES3_jPKmPS6_PKS6_NS0_5tupleIJPmS6_EEENSE_IJSB_SB_EEENS0_18inequality_wrapperIN6hipcub16HIPCUB_304000_NS8EqualityEEEPlJS6_EEE10hipError_tPvRmT3_T4_T5_T6_T7_T9_mT8_P12ihipStream_tbDpT10_ENKUlT_T0_E_clISt17integral_constantIbLb1EES16_IbLb0EEEEDaS12_S13_EUlS12_E_NS1_11comp_targetILNS1_3genE9ELNS1_11target_archE1100ELNS1_3gpuE3ELNS1_3repE0EEENS1_30default_config_static_selectorELNS0_4arch9wavefront6targetE1EEEvT1_
		.amdhsa_group_segment_fixed_size 0
		.amdhsa_private_segment_fixed_size 0
		.amdhsa_kernarg_size 112
		.amdhsa_user_sgpr_count 6
		.amdhsa_user_sgpr_private_segment_buffer 1
		.amdhsa_user_sgpr_dispatch_ptr 0
		.amdhsa_user_sgpr_queue_ptr 0
		.amdhsa_user_sgpr_kernarg_segment_ptr 1
		.amdhsa_user_sgpr_dispatch_id 0
		.amdhsa_user_sgpr_flat_scratch_init 0
		.amdhsa_user_sgpr_kernarg_preload_length 0
		.amdhsa_user_sgpr_kernarg_preload_offset 0
		.amdhsa_user_sgpr_private_segment_size 0
		.amdhsa_uses_dynamic_stack 0
		.amdhsa_system_sgpr_private_segment_wavefront_offset 0
		.amdhsa_system_sgpr_workgroup_id_x 1
		.amdhsa_system_sgpr_workgroup_id_y 0
		.amdhsa_system_sgpr_workgroup_id_z 0
		.amdhsa_system_sgpr_workgroup_info 0
		.amdhsa_system_vgpr_workitem_id 0
		.amdhsa_next_free_vgpr 1
		.amdhsa_next_free_sgpr 0
		.amdhsa_accum_offset 4
		.amdhsa_reserve_vcc 0
		.amdhsa_reserve_flat_scratch 0
		.amdhsa_float_round_mode_32 0
		.amdhsa_float_round_mode_16_64 0
		.amdhsa_float_denorm_mode_32 3
		.amdhsa_float_denorm_mode_16_64 3
		.amdhsa_dx10_clamp 1
		.amdhsa_ieee_mode 1
		.amdhsa_fp16_overflow 0
		.amdhsa_tg_split 0
		.amdhsa_exception_fp_ieee_invalid_op 0
		.amdhsa_exception_fp_denorm_src 0
		.amdhsa_exception_fp_ieee_div_zero 0
		.amdhsa_exception_fp_ieee_overflow 0
		.amdhsa_exception_fp_ieee_underflow 0
		.amdhsa_exception_fp_ieee_inexact 0
		.amdhsa_exception_int_div_zero 0
	.end_amdhsa_kernel
	.section	.text._ZN7rocprim17ROCPRIM_400000_NS6detail17trampoline_kernelINS0_14default_configENS1_25partition_config_selectorILNS1_17partition_subalgoE8EmNS0_10empty_typeEbEEZZNS1_14partition_implILS5_8ELb0ES3_jPKmPS6_PKS6_NS0_5tupleIJPmS6_EEENSE_IJSB_SB_EEENS0_18inequality_wrapperIN6hipcub16HIPCUB_304000_NS8EqualityEEEPlJS6_EEE10hipError_tPvRmT3_T4_T5_T6_T7_T9_mT8_P12ihipStream_tbDpT10_ENKUlT_T0_E_clISt17integral_constantIbLb1EES16_IbLb0EEEEDaS12_S13_EUlS12_E_NS1_11comp_targetILNS1_3genE9ELNS1_11target_archE1100ELNS1_3gpuE3ELNS1_3repE0EEENS1_30default_config_static_selectorELNS0_4arch9wavefront6targetE1EEEvT1_,"axG",@progbits,_ZN7rocprim17ROCPRIM_400000_NS6detail17trampoline_kernelINS0_14default_configENS1_25partition_config_selectorILNS1_17partition_subalgoE8EmNS0_10empty_typeEbEEZZNS1_14partition_implILS5_8ELb0ES3_jPKmPS6_PKS6_NS0_5tupleIJPmS6_EEENSE_IJSB_SB_EEENS0_18inequality_wrapperIN6hipcub16HIPCUB_304000_NS8EqualityEEEPlJS6_EEE10hipError_tPvRmT3_T4_T5_T6_T7_T9_mT8_P12ihipStream_tbDpT10_ENKUlT_T0_E_clISt17integral_constantIbLb1EES16_IbLb0EEEEDaS12_S13_EUlS12_E_NS1_11comp_targetILNS1_3genE9ELNS1_11target_archE1100ELNS1_3gpuE3ELNS1_3repE0EEENS1_30default_config_static_selectorELNS0_4arch9wavefront6targetE1EEEvT1_,comdat
.Lfunc_end708:
	.size	_ZN7rocprim17ROCPRIM_400000_NS6detail17trampoline_kernelINS0_14default_configENS1_25partition_config_selectorILNS1_17partition_subalgoE8EmNS0_10empty_typeEbEEZZNS1_14partition_implILS5_8ELb0ES3_jPKmPS6_PKS6_NS0_5tupleIJPmS6_EEENSE_IJSB_SB_EEENS0_18inequality_wrapperIN6hipcub16HIPCUB_304000_NS8EqualityEEEPlJS6_EEE10hipError_tPvRmT3_T4_T5_T6_T7_T9_mT8_P12ihipStream_tbDpT10_ENKUlT_T0_E_clISt17integral_constantIbLb1EES16_IbLb0EEEEDaS12_S13_EUlS12_E_NS1_11comp_targetILNS1_3genE9ELNS1_11target_archE1100ELNS1_3gpuE3ELNS1_3repE0EEENS1_30default_config_static_selectorELNS0_4arch9wavefront6targetE1EEEvT1_, .Lfunc_end708-_ZN7rocprim17ROCPRIM_400000_NS6detail17trampoline_kernelINS0_14default_configENS1_25partition_config_selectorILNS1_17partition_subalgoE8EmNS0_10empty_typeEbEEZZNS1_14partition_implILS5_8ELb0ES3_jPKmPS6_PKS6_NS0_5tupleIJPmS6_EEENSE_IJSB_SB_EEENS0_18inequality_wrapperIN6hipcub16HIPCUB_304000_NS8EqualityEEEPlJS6_EEE10hipError_tPvRmT3_T4_T5_T6_T7_T9_mT8_P12ihipStream_tbDpT10_ENKUlT_T0_E_clISt17integral_constantIbLb1EES16_IbLb0EEEEDaS12_S13_EUlS12_E_NS1_11comp_targetILNS1_3genE9ELNS1_11target_archE1100ELNS1_3gpuE3ELNS1_3repE0EEENS1_30default_config_static_selectorELNS0_4arch9wavefront6targetE1EEEvT1_
                                        ; -- End function
	.section	.AMDGPU.csdata,"",@progbits
; Kernel info:
; codeLenInByte = 0
; NumSgprs: 4
; NumVgprs: 0
; NumAgprs: 0
; TotalNumVgprs: 0
; ScratchSize: 0
; MemoryBound: 0
; FloatMode: 240
; IeeeMode: 1
; LDSByteSize: 0 bytes/workgroup (compile time only)
; SGPRBlocks: 0
; VGPRBlocks: 0
; NumSGPRsForWavesPerEU: 4
; NumVGPRsForWavesPerEU: 1
; AccumOffset: 4
; Occupancy: 8
; WaveLimiterHint : 0
; COMPUTE_PGM_RSRC2:SCRATCH_EN: 0
; COMPUTE_PGM_RSRC2:USER_SGPR: 6
; COMPUTE_PGM_RSRC2:TRAP_HANDLER: 0
; COMPUTE_PGM_RSRC2:TGID_X_EN: 1
; COMPUTE_PGM_RSRC2:TGID_Y_EN: 0
; COMPUTE_PGM_RSRC2:TGID_Z_EN: 0
; COMPUTE_PGM_RSRC2:TIDIG_COMP_CNT: 0
; COMPUTE_PGM_RSRC3_GFX90A:ACCUM_OFFSET: 0
; COMPUTE_PGM_RSRC3_GFX90A:TG_SPLIT: 0
	.section	.text._ZN7rocprim17ROCPRIM_400000_NS6detail17trampoline_kernelINS0_14default_configENS1_25partition_config_selectorILNS1_17partition_subalgoE8EmNS0_10empty_typeEbEEZZNS1_14partition_implILS5_8ELb0ES3_jPKmPS6_PKS6_NS0_5tupleIJPmS6_EEENSE_IJSB_SB_EEENS0_18inequality_wrapperIN6hipcub16HIPCUB_304000_NS8EqualityEEEPlJS6_EEE10hipError_tPvRmT3_T4_T5_T6_T7_T9_mT8_P12ihipStream_tbDpT10_ENKUlT_T0_E_clISt17integral_constantIbLb1EES16_IbLb0EEEEDaS12_S13_EUlS12_E_NS1_11comp_targetILNS1_3genE8ELNS1_11target_archE1030ELNS1_3gpuE2ELNS1_3repE0EEENS1_30default_config_static_selectorELNS0_4arch9wavefront6targetE1EEEvT1_,"axG",@progbits,_ZN7rocprim17ROCPRIM_400000_NS6detail17trampoline_kernelINS0_14default_configENS1_25partition_config_selectorILNS1_17partition_subalgoE8EmNS0_10empty_typeEbEEZZNS1_14partition_implILS5_8ELb0ES3_jPKmPS6_PKS6_NS0_5tupleIJPmS6_EEENSE_IJSB_SB_EEENS0_18inequality_wrapperIN6hipcub16HIPCUB_304000_NS8EqualityEEEPlJS6_EEE10hipError_tPvRmT3_T4_T5_T6_T7_T9_mT8_P12ihipStream_tbDpT10_ENKUlT_T0_E_clISt17integral_constantIbLb1EES16_IbLb0EEEEDaS12_S13_EUlS12_E_NS1_11comp_targetILNS1_3genE8ELNS1_11target_archE1030ELNS1_3gpuE2ELNS1_3repE0EEENS1_30default_config_static_selectorELNS0_4arch9wavefront6targetE1EEEvT1_,comdat
	.protected	_ZN7rocprim17ROCPRIM_400000_NS6detail17trampoline_kernelINS0_14default_configENS1_25partition_config_selectorILNS1_17partition_subalgoE8EmNS0_10empty_typeEbEEZZNS1_14partition_implILS5_8ELb0ES3_jPKmPS6_PKS6_NS0_5tupleIJPmS6_EEENSE_IJSB_SB_EEENS0_18inequality_wrapperIN6hipcub16HIPCUB_304000_NS8EqualityEEEPlJS6_EEE10hipError_tPvRmT3_T4_T5_T6_T7_T9_mT8_P12ihipStream_tbDpT10_ENKUlT_T0_E_clISt17integral_constantIbLb1EES16_IbLb0EEEEDaS12_S13_EUlS12_E_NS1_11comp_targetILNS1_3genE8ELNS1_11target_archE1030ELNS1_3gpuE2ELNS1_3repE0EEENS1_30default_config_static_selectorELNS0_4arch9wavefront6targetE1EEEvT1_ ; -- Begin function _ZN7rocprim17ROCPRIM_400000_NS6detail17trampoline_kernelINS0_14default_configENS1_25partition_config_selectorILNS1_17partition_subalgoE8EmNS0_10empty_typeEbEEZZNS1_14partition_implILS5_8ELb0ES3_jPKmPS6_PKS6_NS0_5tupleIJPmS6_EEENSE_IJSB_SB_EEENS0_18inequality_wrapperIN6hipcub16HIPCUB_304000_NS8EqualityEEEPlJS6_EEE10hipError_tPvRmT3_T4_T5_T6_T7_T9_mT8_P12ihipStream_tbDpT10_ENKUlT_T0_E_clISt17integral_constantIbLb1EES16_IbLb0EEEEDaS12_S13_EUlS12_E_NS1_11comp_targetILNS1_3genE8ELNS1_11target_archE1030ELNS1_3gpuE2ELNS1_3repE0EEENS1_30default_config_static_selectorELNS0_4arch9wavefront6targetE1EEEvT1_
	.globl	_ZN7rocprim17ROCPRIM_400000_NS6detail17trampoline_kernelINS0_14default_configENS1_25partition_config_selectorILNS1_17partition_subalgoE8EmNS0_10empty_typeEbEEZZNS1_14partition_implILS5_8ELb0ES3_jPKmPS6_PKS6_NS0_5tupleIJPmS6_EEENSE_IJSB_SB_EEENS0_18inequality_wrapperIN6hipcub16HIPCUB_304000_NS8EqualityEEEPlJS6_EEE10hipError_tPvRmT3_T4_T5_T6_T7_T9_mT8_P12ihipStream_tbDpT10_ENKUlT_T0_E_clISt17integral_constantIbLb1EES16_IbLb0EEEEDaS12_S13_EUlS12_E_NS1_11comp_targetILNS1_3genE8ELNS1_11target_archE1030ELNS1_3gpuE2ELNS1_3repE0EEENS1_30default_config_static_selectorELNS0_4arch9wavefront6targetE1EEEvT1_
	.p2align	8
	.type	_ZN7rocprim17ROCPRIM_400000_NS6detail17trampoline_kernelINS0_14default_configENS1_25partition_config_selectorILNS1_17partition_subalgoE8EmNS0_10empty_typeEbEEZZNS1_14partition_implILS5_8ELb0ES3_jPKmPS6_PKS6_NS0_5tupleIJPmS6_EEENSE_IJSB_SB_EEENS0_18inequality_wrapperIN6hipcub16HIPCUB_304000_NS8EqualityEEEPlJS6_EEE10hipError_tPvRmT3_T4_T5_T6_T7_T9_mT8_P12ihipStream_tbDpT10_ENKUlT_T0_E_clISt17integral_constantIbLb1EES16_IbLb0EEEEDaS12_S13_EUlS12_E_NS1_11comp_targetILNS1_3genE8ELNS1_11target_archE1030ELNS1_3gpuE2ELNS1_3repE0EEENS1_30default_config_static_selectorELNS0_4arch9wavefront6targetE1EEEvT1_,@function
_ZN7rocprim17ROCPRIM_400000_NS6detail17trampoline_kernelINS0_14default_configENS1_25partition_config_selectorILNS1_17partition_subalgoE8EmNS0_10empty_typeEbEEZZNS1_14partition_implILS5_8ELb0ES3_jPKmPS6_PKS6_NS0_5tupleIJPmS6_EEENSE_IJSB_SB_EEENS0_18inequality_wrapperIN6hipcub16HIPCUB_304000_NS8EqualityEEEPlJS6_EEE10hipError_tPvRmT3_T4_T5_T6_T7_T9_mT8_P12ihipStream_tbDpT10_ENKUlT_T0_E_clISt17integral_constantIbLb1EES16_IbLb0EEEEDaS12_S13_EUlS12_E_NS1_11comp_targetILNS1_3genE8ELNS1_11target_archE1030ELNS1_3gpuE2ELNS1_3repE0EEENS1_30default_config_static_selectorELNS0_4arch9wavefront6targetE1EEEvT1_: ; @_ZN7rocprim17ROCPRIM_400000_NS6detail17trampoline_kernelINS0_14default_configENS1_25partition_config_selectorILNS1_17partition_subalgoE8EmNS0_10empty_typeEbEEZZNS1_14partition_implILS5_8ELb0ES3_jPKmPS6_PKS6_NS0_5tupleIJPmS6_EEENSE_IJSB_SB_EEENS0_18inequality_wrapperIN6hipcub16HIPCUB_304000_NS8EqualityEEEPlJS6_EEE10hipError_tPvRmT3_T4_T5_T6_T7_T9_mT8_P12ihipStream_tbDpT10_ENKUlT_T0_E_clISt17integral_constantIbLb1EES16_IbLb0EEEEDaS12_S13_EUlS12_E_NS1_11comp_targetILNS1_3genE8ELNS1_11target_archE1030ELNS1_3gpuE2ELNS1_3repE0EEENS1_30default_config_static_selectorELNS0_4arch9wavefront6targetE1EEEvT1_
; %bb.0:
	.section	.rodata,"a",@progbits
	.p2align	6, 0x0
	.amdhsa_kernel _ZN7rocprim17ROCPRIM_400000_NS6detail17trampoline_kernelINS0_14default_configENS1_25partition_config_selectorILNS1_17partition_subalgoE8EmNS0_10empty_typeEbEEZZNS1_14partition_implILS5_8ELb0ES3_jPKmPS6_PKS6_NS0_5tupleIJPmS6_EEENSE_IJSB_SB_EEENS0_18inequality_wrapperIN6hipcub16HIPCUB_304000_NS8EqualityEEEPlJS6_EEE10hipError_tPvRmT3_T4_T5_T6_T7_T9_mT8_P12ihipStream_tbDpT10_ENKUlT_T0_E_clISt17integral_constantIbLb1EES16_IbLb0EEEEDaS12_S13_EUlS12_E_NS1_11comp_targetILNS1_3genE8ELNS1_11target_archE1030ELNS1_3gpuE2ELNS1_3repE0EEENS1_30default_config_static_selectorELNS0_4arch9wavefront6targetE1EEEvT1_
		.amdhsa_group_segment_fixed_size 0
		.amdhsa_private_segment_fixed_size 0
		.amdhsa_kernarg_size 112
		.amdhsa_user_sgpr_count 6
		.amdhsa_user_sgpr_private_segment_buffer 1
		.amdhsa_user_sgpr_dispatch_ptr 0
		.amdhsa_user_sgpr_queue_ptr 0
		.amdhsa_user_sgpr_kernarg_segment_ptr 1
		.amdhsa_user_sgpr_dispatch_id 0
		.amdhsa_user_sgpr_flat_scratch_init 0
		.amdhsa_user_sgpr_kernarg_preload_length 0
		.amdhsa_user_sgpr_kernarg_preload_offset 0
		.amdhsa_user_sgpr_private_segment_size 0
		.amdhsa_uses_dynamic_stack 0
		.amdhsa_system_sgpr_private_segment_wavefront_offset 0
		.amdhsa_system_sgpr_workgroup_id_x 1
		.amdhsa_system_sgpr_workgroup_id_y 0
		.amdhsa_system_sgpr_workgroup_id_z 0
		.amdhsa_system_sgpr_workgroup_info 0
		.amdhsa_system_vgpr_workitem_id 0
		.amdhsa_next_free_vgpr 1
		.amdhsa_next_free_sgpr 0
		.amdhsa_accum_offset 4
		.amdhsa_reserve_vcc 0
		.amdhsa_reserve_flat_scratch 0
		.amdhsa_float_round_mode_32 0
		.amdhsa_float_round_mode_16_64 0
		.amdhsa_float_denorm_mode_32 3
		.amdhsa_float_denorm_mode_16_64 3
		.amdhsa_dx10_clamp 1
		.amdhsa_ieee_mode 1
		.amdhsa_fp16_overflow 0
		.amdhsa_tg_split 0
		.amdhsa_exception_fp_ieee_invalid_op 0
		.amdhsa_exception_fp_denorm_src 0
		.amdhsa_exception_fp_ieee_div_zero 0
		.amdhsa_exception_fp_ieee_overflow 0
		.amdhsa_exception_fp_ieee_underflow 0
		.amdhsa_exception_fp_ieee_inexact 0
		.amdhsa_exception_int_div_zero 0
	.end_amdhsa_kernel
	.section	.text._ZN7rocprim17ROCPRIM_400000_NS6detail17trampoline_kernelINS0_14default_configENS1_25partition_config_selectorILNS1_17partition_subalgoE8EmNS0_10empty_typeEbEEZZNS1_14partition_implILS5_8ELb0ES3_jPKmPS6_PKS6_NS0_5tupleIJPmS6_EEENSE_IJSB_SB_EEENS0_18inequality_wrapperIN6hipcub16HIPCUB_304000_NS8EqualityEEEPlJS6_EEE10hipError_tPvRmT3_T4_T5_T6_T7_T9_mT8_P12ihipStream_tbDpT10_ENKUlT_T0_E_clISt17integral_constantIbLb1EES16_IbLb0EEEEDaS12_S13_EUlS12_E_NS1_11comp_targetILNS1_3genE8ELNS1_11target_archE1030ELNS1_3gpuE2ELNS1_3repE0EEENS1_30default_config_static_selectorELNS0_4arch9wavefront6targetE1EEEvT1_,"axG",@progbits,_ZN7rocprim17ROCPRIM_400000_NS6detail17trampoline_kernelINS0_14default_configENS1_25partition_config_selectorILNS1_17partition_subalgoE8EmNS0_10empty_typeEbEEZZNS1_14partition_implILS5_8ELb0ES3_jPKmPS6_PKS6_NS0_5tupleIJPmS6_EEENSE_IJSB_SB_EEENS0_18inequality_wrapperIN6hipcub16HIPCUB_304000_NS8EqualityEEEPlJS6_EEE10hipError_tPvRmT3_T4_T5_T6_T7_T9_mT8_P12ihipStream_tbDpT10_ENKUlT_T0_E_clISt17integral_constantIbLb1EES16_IbLb0EEEEDaS12_S13_EUlS12_E_NS1_11comp_targetILNS1_3genE8ELNS1_11target_archE1030ELNS1_3gpuE2ELNS1_3repE0EEENS1_30default_config_static_selectorELNS0_4arch9wavefront6targetE1EEEvT1_,comdat
.Lfunc_end709:
	.size	_ZN7rocprim17ROCPRIM_400000_NS6detail17trampoline_kernelINS0_14default_configENS1_25partition_config_selectorILNS1_17partition_subalgoE8EmNS0_10empty_typeEbEEZZNS1_14partition_implILS5_8ELb0ES3_jPKmPS6_PKS6_NS0_5tupleIJPmS6_EEENSE_IJSB_SB_EEENS0_18inequality_wrapperIN6hipcub16HIPCUB_304000_NS8EqualityEEEPlJS6_EEE10hipError_tPvRmT3_T4_T5_T6_T7_T9_mT8_P12ihipStream_tbDpT10_ENKUlT_T0_E_clISt17integral_constantIbLb1EES16_IbLb0EEEEDaS12_S13_EUlS12_E_NS1_11comp_targetILNS1_3genE8ELNS1_11target_archE1030ELNS1_3gpuE2ELNS1_3repE0EEENS1_30default_config_static_selectorELNS0_4arch9wavefront6targetE1EEEvT1_, .Lfunc_end709-_ZN7rocprim17ROCPRIM_400000_NS6detail17trampoline_kernelINS0_14default_configENS1_25partition_config_selectorILNS1_17partition_subalgoE8EmNS0_10empty_typeEbEEZZNS1_14partition_implILS5_8ELb0ES3_jPKmPS6_PKS6_NS0_5tupleIJPmS6_EEENSE_IJSB_SB_EEENS0_18inequality_wrapperIN6hipcub16HIPCUB_304000_NS8EqualityEEEPlJS6_EEE10hipError_tPvRmT3_T4_T5_T6_T7_T9_mT8_P12ihipStream_tbDpT10_ENKUlT_T0_E_clISt17integral_constantIbLb1EES16_IbLb0EEEEDaS12_S13_EUlS12_E_NS1_11comp_targetILNS1_3genE8ELNS1_11target_archE1030ELNS1_3gpuE2ELNS1_3repE0EEENS1_30default_config_static_selectorELNS0_4arch9wavefront6targetE1EEEvT1_
                                        ; -- End function
	.section	.AMDGPU.csdata,"",@progbits
; Kernel info:
; codeLenInByte = 0
; NumSgprs: 4
; NumVgprs: 0
; NumAgprs: 0
; TotalNumVgprs: 0
; ScratchSize: 0
; MemoryBound: 0
; FloatMode: 240
; IeeeMode: 1
; LDSByteSize: 0 bytes/workgroup (compile time only)
; SGPRBlocks: 0
; VGPRBlocks: 0
; NumSGPRsForWavesPerEU: 4
; NumVGPRsForWavesPerEU: 1
; AccumOffset: 4
; Occupancy: 8
; WaveLimiterHint : 0
; COMPUTE_PGM_RSRC2:SCRATCH_EN: 0
; COMPUTE_PGM_RSRC2:USER_SGPR: 6
; COMPUTE_PGM_RSRC2:TRAP_HANDLER: 0
; COMPUTE_PGM_RSRC2:TGID_X_EN: 1
; COMPUTE_PGM_RSRC2:TGID_Y_EN: 0
; COMPUTE_PGM_RSRC2:TGID_Z_EN: 0
; COMPUTE_PGM_RSRC2:TIDIG_COMP_CNT: 0
; COMPUTE_PGM_RSRC3_GFX90A:ACCUM_OFFSET: 0
; COMPUTE_PGM_RSRC3_GFX90A:TG_SPLIT: 0
	.section	.text._ZN7rocprim17ROCPRIM_400000_NS6detail17trampoline_kernelINS0_14default_configENS1_25partition_config_selectorILNS1_17partition_subalgoE8EmNS0_10empty_typeEbEEZZNS1_14partition_implILS5_8ELb0ES3_jPKmPS6_PKS6_NS0_5tupleIJPmS6_EEENSE_IJSB_SB_EEENS0_18inequality_wrapperIN6hipcub16HIPCUB_304000_NS8EqualityEEEPlJS6_EEE10hipError_tPvRmT3_T4_T5_T6_T7_T9_mT8_P12ihipStream_tbDpT10_ENKUlT_T0_E_clISt17integral_constantIbLb0EES16_IbLb1EEEEDaS12_S13_EUlS12_E_NS1_11comp_targetILNS1_3genE0ELNS1_11target_archE4294967295ELNS1_3gpuE0ELNS1_3repE0EEENS1_30default_config_static_selectorELNS0_4arch9wavefront6targetE1EEEvT1_,"axG",@progbits,_ZN7rocprim17ROCPRIM_400000_NS6detail17trampoline_kernelINS0_14default_configENS1_25partition_config_selectorILNS1_17partition_subalgoE8EmNS0_10empty_typeEbEEZZNS1_14partition_implILS5_8ELb0ES3_jPKmPS6_PKS6_NS0_5tupleIJPmS6_EEENSE_IJSB_SB_EEENS0_18inequality_wrapperIN6hipcub16HIPCUB_304000_NS8EqualityEEEPlJS6_EEE10hipError_tPvRmT3_T4_T5_T6_T7_T9_mT8_P12ihipStream_tbDpT10_ENKUlT_T0_E_clISt17integral_constantIbLb0EES16_IbLb1EEEEDaS12_S13_EUlS12_E_NS1_11comp_targetILNS1_3genE0ELNS1_11target_archE4294967295ELNS1_3gpuE0ELNS1_3repE0EEENS1_30default_config_static_selectorELNS0_4arch9wavefront6targetE1EEEvT1_,comdat
	.protected	_ZN7rocprim17ROCPRIM_400000_NS6detail17trampoline_kernelINS0_14default_configENS1_25partition_config_selectorILNS1_17partition_subalgoE8EmNS0_10empty_typeEbEEZZNS1_14partition_implILS5_8ELb0ES3_jPKmPS6_PKS6_NS0_5tupleIJPmS6_EEENSE_IJSB_SB_EEENS0_18inequality_wrapperIN6hipcub16HIPCUB_304000_NS8EqualityEEEPlJS6_EEE10hipError_tPvRmT3_T4_T5_T6_T7_T9_mT8_P12ihipStream_tbDpT10_ENKUlT_T0_E_clISt17integral_constantIbLb0EES16_IbLb1EEEEDaS12_S13_EUlS12_E_NS1_11comp_targetILNS1_3genE0ELNS1_11target_archE4294967295ELNS1_3gpuE0ELNS1_3repE0EEENS1_30default_config_static_selectorELNS0_4arch9wavefront6targetE1EEEvT1_ ; -- Begin function _ZN7rocprim17ROCPRIM_400000_NS6detail17trampoline_kernelINS0_14default_configENS1_25partition_config_selectorILNS1_17partition_subalgoE8EmNS0_10empty_typeEbEEZZNS1_14partition_implILS5_8ELb0ES3_jPKmPS6_PKS6_NS0_5tupleIJPmS6_EEENSE_IJSB_SB_EEENS0_18inequality_wrapperIN6hipcub16HIPCUB_304000_NS8EqualityEEEPlJS6_EEE10hipError_tPvRmT3_T4_T5_T6_T7_T9_mT8_P12ihipStream_tbDpT10_ENKUlT_T0_E_clISt17integral_constantIbLb0EES16_IbLb1EEEEDaS12_S13_EUlS12_E_NS1_11comp_targetILNS1_3genE0ELNS1_11target_archE4294967295ELNS1_3gpuE0ELNS1_3repE0EEENS1_30default_config_static_selectorELNS0_4arch9wavefront6targetE1EEEvT1_
	.globl	_ZN7rocprim17ROCPRIM_400000_NS6detail17trampoline_kernelINS0_14default_configENS1_25partition_config_selectorILNS1_17partition_subalgoE8EmNS0_10empty_typeEbEEZZNS1_14partition_implILS5_8ELb0ES3_jPKmPS6_PKS6_NS0_5tupleIJPmS6_EEENSE_IJSB_SB_EEENS0_18inequality_wrapperIN6hipcub16HIPCUB_304000_NS8EqualityEEEPlJS6_EEE10hipError_tPvRmT3_T4_T5_T6_T7_T9_mT8_P12ihipStream_tbDpT10_ENKUlT_T0_E_clISt17integral_constantIbLb0EES16_IbLb1EEEEDaS12_S13_EUlS12_E_NS1_11comp_targetILNS1_3genE0ELNS1_11target_archE4294967295ELNS1_3gpuE0ELNS1_3repE0EEENS1_30default_config_static_selectorELNS0_4arch9wavefront6targetE1EEEvT1_
	.p2align	8
	.type	_ZN7rocprim17ROCPRIM_400000_NS6detail17trampoline_kernelINS0_14default_configENS1_25partition_config_selectorILNS1_17partition_subalgoE8EmNS0_10empty_typeEbEEZZNS1_14partition_implILS5_8ELb0ES3_jPKmPS6_PKS6_NS0_5tupleIJPmS6_EEENSE_IJSB_SB_EEENS0_18inequality_wrapperIN6hipcub16HIPCUB_304000_NS8EqualityEEEPlJS6_EEE10hipError_tPvRmT3_T4_T5_T6_T7_T9_mT8_P12ihipStream_tbDpT10_ENKUlT_T0_E_clISt17integral_constantIbLb0EES16_IbLb1EEEEDaS12_S13_EUlS12_E_NS1_11comp_targetILNS1_3genE0ELNS1_11target_archE4294967295ELNS1_3gpuE0ELNS1_3repE0EEENS1_30default_config_static_selectorELNS0_4arch9wavefront6targetE1EEEvT1_,@function
_ZN7rocprim17ROCPRIM_400000_NS6detail17trampoline_kernelINS0_14default_configENS1_25partition_config_selectorILNS1_17partition_subalgoE8EmNS0_10empty_typeEbEEZZNS1_14partition_implILS5_8ELb0ES3_jPKmPS6_PKS6_NS0_5tupleIJPmS6_EEENSE_IJSB_SB_EEENS0_18inequality_wrapperIN6hipcub16HIPCUB_304000_NS8EqualityEEEPlJS6_EEE10hipError_tPvRmT3_T4_T5_T6_T7_T9_mT8_P12ihipStream_tbDpT10_ENKUlT_T0_E_clISt17integral_constantIbLb0EES16_IbLb1EEEEDaS12_S13_EUlS12_E_NS1_11comp_targetILNS1_3genE0ELNS1_11target_archE4294967295ELNS1_3gpuE0ELNS1_3repE0EEENS1_30default_config_static_selectorELNS0_4arch9wavefront6targetE1EEEvT1_: ; @_ZN7rocprim17ROCPRIM_400000_NS6detail17trampoline_kernelINS0_14default_configENS1_25partition_config_selectorILNS1_17partition_subalgoE8EmNS0_10empty_typeEbEEZZNS1_14partition_implILS5_8ELb0ES3_jPKmPS6_PKS6_NS0_5tupleIJPmS6_EEENSE_IJSB_SB_EEENS0_18inequality_wrapperIN6hipcub16HIPCUB_304000_NS8EqualityEEEPlJS6_EEE10hipError_tPvRmT3_T4_T5_T6_T7_T9_mT8_P12ihipStream_tbDpT10_ENKUlT_T0_E_clISt17integral_constantIbLb0EES16_IbLb1EEEEDaS12_S13_EUlS12_E_NS1_11comp_targetILNS1_3genE0ELNS1_11target_archE4294967295ELNS1_3gpuE0ELNS1_3repE0EEENS1_30default_config_static_selectorELNS0_4arch9wavefront6targetE1EEEvT1_
; %bb.0:
	.section	.rodata,"a",@progbits
	.p2align	6, 0x0
	.amdhsa_kernel _ZN7rocprim17ROCPRIM_400000_NS6detail17trampoline_kernelINS0_14default_configENS1_25partition_config_selectorILNS1_17partition_subalgoE8EmNS0_10empty_typeEbEEZZNS1_14partition_implILS5_8ELb0ES3_jPKmPS6_PKS6_NS0_5tupleIJPmS6_EEENSE_IJSB_SB_EEENS0_18inequality_wrapperIN6hipcub16HIPCUB_304000_NS8EqualityEEEPlJS6_EEE10hipError_tPvRmT3_T4_T5_T6_T7_T9_mT8_P12ihipStream_tbDpT10_ENKUlT_T0_E_clISt17integral_constantIbLb0EES16_IbLb1EEEEDaS12_S13_EUlS12_E_NS1_11comp_targetILNS1_3genE0ELNS1_11target_archE4294967295ELNS1_3gpuE0ELNS1_3repE0EEENS1_30default_config_static_selectorELNS0_4arch9wavefront6targetE1EEEvT1_
		.amdhsa_group_segment_fixed_size 0
		.amdhsa_private_segment_fixed_size 0
		.amdhsa_kernarg_size 128
		.amdhsa_user_sgpr_count 6
		.amdhsa_user_sgpr_private_segment_buffer 1
		.amdhsa_user_sgpr_dispatch_ptr 0
		.amdhsa_user_sgpr_queue_ptr 0
		.amdhsa_user_sgpr_kernarg_segment_ptr 1
		.amdhsa_user_sgpr_dispatch_id 0
		.amdhsa_user_sgpr_flat_scratch_init 0
		.amdhsa_user_sgpr_kernarg_preload_length 0
		.amdhsa_user_sgpr_kernarg_preload_offset 0
		.amdhsa_user_sgpr_private_segment_size 0
		.amdhsa_uses_dynamic_stack 0
		.amdhsa_system_sgpr_private_segment_wavefront_offset 0
		.amdhsa_system_sgpr_workgroup_id_x 1
		.amdhsa_system_sgpr_workgroup_id_y 0
		.amdhsa_system_sgpr_workgroup_id_z 0
		.amdhsa_system_sgpr_workgroup_info 0
		.amdhsa_system_vgpr_workitem_id 0
		.amdhsa_next_free_vgpr 1
		.amdhsa_next_free_sgpr 0
		.amdhsa_accum_offset 4
		.amdhsa_reserve_vcc 0
		.amdhsa_reserve_flat_scratch 0
		.amdhsa_float_round_mode_32 0
		.amdhsa_float_round_mode_16_64 0
		.amdhsa_float_denorm_mode_32 3
		.amdhsa_float_denorm_mode_16_64 3
		.amdhsa_dx10_clamp 1
		.amdhsa_ieee_mode 1
		.amdhsa_fp16_overflow 0
		.amdhsa_tg_split 0
		.amdhsa_exception_fp_ieee_invalid_op 0
		.amdhsa_exception_fp_denorm_src 0
		.amdhsa_exception_fp_ieee_div_zero 0
		.amdhsa_exception_fp_ieee_overflow 0
		.amdhsa_exception_fp_ieee_underflow 0
		.amdhsa_exception_fp_ieee_inexact 0
		.amdhsa_exception_int_div_zero 0
	.end_amdhsa_kernel
	.section	.text._ZN7rocprim17ROCPRIM_400000_NS6detail17trampoline_kernelINS0_14default_configENS1_25partition_config_selectorILNS1_17partition_subalgoE8EmNS0_10empty_typeEbEEZZNS1_14partition_implILS5_8ELb0ES3_jPKmPS6_PKS6_NS0_5tupleIJPmS6_EEENSE_IJSB_SB_EEENS0_18inequality_wrapperIN6hipcub16HIPCUB_304000_NS8EqualityEEEPlJS6_EEE10hipError_tPvRmT3_T4_T5_T6_T7_T9_mT8_P12ihipStream_tbDpT10_ENKUlT_T0_E_clISt17integral_constantIbLb0EES16_IbLb1EEEEDaS12_S13_EUlS12_E_NS1_11comp_targetILNS1_3genE0ELNS1_11target_archE4294967295ELNS1_3gpuE0ELNS1_3repE0EEENS1_30default_config_static_selectorELNS0_4arch9wavefront6targetE1EEEvT1_,"axG",@progbits,_ZN7rocprim17ROCPRIM_400000_NS6detail17trampoline_kernelINS0_14default_configENS1_25partition_config_selectorILNS1_17partition_subalgoE8EmNS0_10empty_typeEbEEZZNS1_14partition_implILS5_8ELb0ES3_jPKmPS6_PKS6_NS0_5tupleIJPmS6_EEENSE_IJSB_SB_EEENS0_18inequality_wrapperIN6hipcub16HIPCUB_304000_NS8EqualityEEEPlJS6_EEE10hipError_tPvRmT3_T4_T5_T6_T7_T9_mT8_P12ihipStream_tbDpT10_ENKUlT_T0_E_clISt17integral_constantIbLb0EES16_IbLb1EEEEDaS12_S13_EUlS12_E_NS1_11comp_targetILNS1_3genE0ELNS1_11target_archE4294967295ELNS1_3gpuE0ELNS1_3repE0EEENS1_30default_config_static_selectorELNS0_4arch9wavefront6targetE1EEEvT1_,comdat
.Lfunc_end710:
	.size	_ZN7rocprim17ROCPRIM_400000_NS6detail17trampoline_kernelINS0_14default_configENS1_25partition_config_selectorILNS1_17partition_subalgoE8EmNS0_10empty_typeEbEEZZNS1_14partition_implILS5_8ELb0ES3_jPKmPS6_PKS6_NS0_5tupleIJPmS6_EEENSE_IJSB_SB_EEENS0_18inequality_wrapperIN6hipcub16HIPCUB_304000_NS8EqualityEEEPlJS6_EEE10hipError_tPvRmT3_T4_T5_T6_T7_T9_mT8_P12ihipStream_tbDpT10_ENKUlT_T0_E_clISt17integral_constantIbLb0EES16_IbLb1EEEEDaS12_S13_EUlS12_E_NS1_11comp_targetILNS1_3genE0ELNS1_11target_archE4294967295ELNS1_3gpuE0ELNS1_3repE0EEENS1_30default_config_static_selectorELNS0_4arch9wavefront6targetE1EEEvT1_, .Lfunc_end710-_ZN7rocprim17ROCPRIM_400000_NS6detail17trampoline_kernelINS0_14default_configENS1_25partition_config_selectorILNS1_17partition_subalgoE8EmNS0_10empty_typeEbEEZZNS1_14partition_implILS5_8ELb0ES3_jPKmPS6_PKS6_NS0_5tupleIJPmS6_EEENSE_IJSB_SB_EEENS0_18inequality_wrapperIN6hipcub16HIPCUB_304000_NS8EqualityEEEPlJS6_EEE10hipError_tPvRmT3_T4_T5_T6_T7_T9_mT8_P12ihipStream_tbDpT10_ENKUlT_T0_E_clISt17integral_constantIbLb0EES16_IbLb1EEEEDaS12_S13_EUlS12_E_NS1_11comp_targetILNS1_3genE0ELNS1_11target_archE4294967295ELNS1_3gpuE0ELNS1_3repE0EEENS1_30default_config_static_selectorELNS0_4arch9wavefront6targetE1EEEvT1_
                                        ; -- End function
	.section	.AMDGPU.csdata,"",@progbits
; Kernel info:
; codeLenInByte = 0
; NumSgprs: 4
; NumVgprs: 0
; NumAgprs: 0
; TotalNumVgprs: 0
; ScratchSize: 0
; MemoryBound: 0
; FloatMode: 240
; IeeeMode: 1
; LDSByteSize: 0 bytes/workgroup (compile time only)
; SGPRBlocks: 0
; VGPRBlocks: 0
; NumSGPRsForWavesPerEU: 4
; NumVGPRsForWavesPerEU: 1
; AccumOffset: 4
; Occupancy: 8
; WaveLimiterHint : 0
; COMPUTE_PGM_RSRC2:SCRATCH_EN: 0
; COMPUTE_PGM_RSRC2:USER_SGPR: 6
; COMPUTE_PGM_RSRC2:TRAP_HANDLER: 0
; COMPUTE_PGM_RSRC2:TGID_X_EN: 1
; COMPUTE_PGM_RSRC2:TGID_Y_EN: 0
; COMPUTE_PGM_RSRC2:TGID_Z_EN: 0
; COMPUTE_PGM_RSRC2:TIDIG_COMP_CNT: 0
; COMPUTE_PGM_RSRC3_GFX90A:ACCUM_OFFSET: 0
; COMPUTE_PGM_RSRC3_GFX90A:TG_SPLIT: 0
	.section	.text._ZN7rocprim17ROCPRIM_400000_NS6detail17trampoline_kernelINS0_14default_configENS1_25partition_config_selectorILNS1_17partition_subalgoE8EmNS0_10empty_typeEbEEZZNS1_14partition_implILS5_8ELb0ES3_jPKmPS6_PKS6_NS0_5tupleIJPmS6_EEENSE_IJSB_SB_EEENS0_18inequality_wrapperIN6hipcub16HIPCUB_304000_NS8EqualityEEEPlJS6_EEE10hipError_tPvRmT3_T4_T5_T6_T7_T9_mT8_P12ihipStream_tbDpT10_ENKUlT_T0_E_clISt17integral_constantIbLb0EES16_IbLb1EEEEDaS12_S13_EUlS12_E_NS1_11comp_targetILNS1_3genE5ELNS1_11target_archE942ELNS1_3gpuE9ELNS1_3repE0EEENS1_30default_config_static_selectorELNS0_4arch9wavefront6targetE1EEEvT1_,"axG",@progbits,_ZN7rocprim17ROCPRIM_400000_NS6detail17trampoline_kernelINS0_14default_configENS1_25partition_config_selectorILNS1_17partition_subalgoE8EmNS0_10empty_typeEbEEZZNS1_14partition_implILS5_8ELb0ES3_jPKmPS6_PKS6_NS0_5tupleIJPmS6_EEENSE_IJSB_SB_EEENS0_18inequality_wrapperIN6hipcub16HIPCUB_304000_NS8EqualityEEEPlJS6_EEE10hipError_tPvRmT3_T4_T5_T6_T7_T9_mT8_P12ihipStream_tbDpT10_ENKUlT_T0_E_clISt17integral_constantIbLb0EES16_IbLb1EEEEDaS12_S13_EUlS12_E_NS1_11comp_targetILNS1_3genE5ELNS1_11target_archE942ELNS1_3gpuE9ELNS1_3repE0EEENS1_30default_config_static_selectorELNS0_4arch9wavefront6targetE1EEEvT1_,comdat
	.protected	_ZN7rocprim17ROCPRIM_400000_NS6detail17trampoline_kernelINS0_14default_configENS1_25partition_config_selectorILNS1_17partition_subalgoE8EmNS0_10empty_typeEbEEZZNS1_14partition_implILS5_8ELb0ES3_jPKmPS6_PKS6_NS0_5tupleIJPmS6_EEENSE_IJSB_SB_EEENS0_18inequality_wrapperIN6hipcub16HIPCUB_304000_NS8EqualityEEEPlJS6_EEE10hipError_tPvRmT3_T4_T5_T6_T7_T9_mT8_P12ihipStream_tbDpT10_ENKUlT_T0_E_clISt17integral_constantIbLb0EES16_IbLb1EEEEDaS12_S13_EUlS12_E_NS1_11comp_targetILNS1_3genE5ELNS1_11target_archE942ELNS1_3gpuE9ELNS1_3repE0EEENS1_30default_config_static_selectorELNS0_4arch9wavefront6targetE1EEEvT1_ ; -- Begin function _ZN7rocprim17ROCPRIM_400000_NS6detail17trampoline_kernelINS0_14default_configENS1_25partition_config_selectorILNS1_17partition_subalgoE8EmNS0_10empty_typeEbEEZZNS1_14partition_implILS5_8ELb0ES3_jPKmPS6_PKS6_NS0_5tupleIJPmS6_EEENSE_IJSB_SB_EEENS0_18inequality_wrapperIN6hipcub16HIPCUB_304000_NS8EqualityEEEPlJS6_EEE10hipError_tPvRmT3_T4_T5_T6_T7_T9_mT8_P12ihipStream_tbDpT10_ENKUlT_T0_E_clISt17integral_constantIbLb0EES16_IbLb1EEEEDaS12_S13_EUlS12_E_NS1_11comp_targetILNS1_3genE5ELNS1_11target_archE942ELNS1_3gpuE9ELNS1_3repE0EEENS1_30default_config_static_selectorELNS0_4arch9wavefront6targetE1EEEvT1_
	.globl	_ZN7rocprim17ROCPRIM_400000_NS6detail17trampoline_kernelINS0_14default_configENS1_25partition_config_selectorILNS1_17partition_subalgoE8EmNS0_10empty_typeEbEEZZNS1_14partition_implILS5_8ELb0ES3_jPKmPS6_PKS6_NS0_5tupleIJPmS6_EEENSE_IJSB_SB_EEENS0_18inequality_wrapperIN6hipcub16HIPCUB_304000_NS8EqualityEEEPlJS6_EEE10hipError_tPvRmT3_T4_T5_T6_T7_T9_mT8_P12ihipStream_tbDpT10_ENKUlT_T0_E_clISt17integral_constantIbLb0EES16_IbLb1EEEEDaS12_S13_EUlS12_E_NS1_11comp_targetILNS1_3genE5ELNS1_11target_archE942ELNS1_3gpuE9ELNS1_3repE0EEENS1_30default_config_static_selectorELNS0_4arch9wavefront6targetE1EEEvT1_
	.p2align	8
	.type	_ZN7rocprim17ROCPRIM_400000_NS6detail17trampoline_kernelINS0_14default_configENS1_25partition_config_selectorILNS1_17partition_subalgoE8EmNS0_10empty_typeEbEEZZNS1_14partition_implILS5_8ELb0ES3_jPKmPS6_PKS6_NS0_5tupleIJPmS6_EEENSE_IJSB_SB_EEENS0_18inequality_wrapperIN6hipcub16HIPCUB_304000_NS8EqualityEEEPlJS6_EEE10hipError_tPvRmT3_T4_T5_T6_T7_T9_mT8_P12ihipStream_tbDpT10_ENKUlT_T0_E_clISt17integral_constantIbLb0EES16_IbLb1EEEEDaS12_S13_EUlS12_E_NS1_11comp_targetILNS1_3genE5ELNS1_11target_archE942ELNS1_3gpuE9ELNS1_3repE0EEENS1_30default_config_static_selectorELNS0_4arch9wavefront6targetE1EEEvT1_,@function
_ZN7rocprim17ROCPRIM_400000_NS6detail17trampoline_kernelINS0_14default_configENS1_25partition_config_selectorILNS1_17partition_subalgoE8EmNS0_10empty_typeEbEEZZNS1_14partition_implILS5_8ELb0ES3_jPKmPS6_PKS6_NS0_5tupleIJPmS6_EEENSE_IJSB_SB_EEENS0_18inequality_wrapperIN6hipcub16HIPCUB_304000_NS8EqualityEEEPlJS6_EEE10hipError_tPvRmT3_T4_T5_T6_T7_T9_mT8_P12ihipStream_tbDpT10_ENKUlT_T0_E_clISt17integral_constantIbLb0EES16_IbLb1EEEEDaS12_S13_EUlS12_E_NS1_11comp_targetILNS1_3genE5ELNS1_11target_archE942ELNS1_3gpuE9ELNS1_3repE0EEENS1_30default_config_static_selectorELNS0_4arch9wavefront6targetE1EEEvT1_: ; @_ZN7rocprim17ROCPRIM_400000_NS6detail17trampoline_kernelINS0_14default_configENS1_25partition_config_selectorILNS1_17partition_subalgoE8EmNS0_10empty_typeEbEEZZNS1_14partition_implILS5_8ELb0ES3_jPKmPS6_PKS6_NS0_5tupleIJPmS6_EEENSE_IJSB_SB_EEENS0_18inequality_wrapperIN6hipcub16HIPCUB_304000_NS8EqualityEEEPlJS6_EEE10hipError_tPvRmT3_T4_T5_T6_T7_T9_mT8_P12ihipStream_tbDpT10_ENKUlT_T0_E_clISt17integral_constantIbLb0EES16_IbLb1EEEEDaS12_S13_EUlS12_E_NS1_11comp_targetILNS1_3genE5ELNS1_11target_archE942ELNS1_3gpuE9ELNS1_3repE0EEENS1_30default_config_static_selectorELNS0_4arch9wavefront6targetE1EEEvT1_
; %bb.0:
	.section	.rodata,"a",@progbits
	.p2align	6, 0x0
	.amdhsa_kernel _ZN7rocprim17ROCPRIM_400000_NS6detail17trampoline_kernelINS0_14default_configENS1_25partition_config_selectorILNS1_17partition_subalgoE8EmNS0_10empty_typeEbEEZZNS1_14partition_implILS5_8ELb0ES3_jPKmPS6_PKS6_NS0_5tupleIJPmS6_EEENSE_IJSB_SB_EEENS0_18inequality_wrapperIN6hipcub16HIPCUB_304000_NS8EqualityEEEPlJS6_EEE10hipError_tPvRmT3_T4_T5_T6_T7_T9_mT8_P12ihipStream_tbDpT10_ENKUlT_T0_E_clISt17integral_constantIbLb0EES16_IbLb1EEEEDaS12_S13_EUlS12_E_NS1_11comp_targetILNS1_3genE5ELNS1_11target_archE942ELNS1_3gpuE9ELNS1_3repE0EEENS1_30default_config_static_selectorELNS0_4arch9wavefront6targetE1EEEvT1_
		.amdhsa_group_segment_fixed_size 0
		.amdhsa_private_segment_fixed_size 0
		.amdhsa_kernarg_size 128
		.amdhsa_user_sgpr_count 6
		.amdhsa_user_sgpr_private_segment_buffer 1
		.amdhsa_user_sgpr_dispatch_ptr 0
		.amdhsa_user_sgpr_queue_ptr 0
		.amdhsa_user_sgpr_kernarg_segment_ptr 1
		.amdhsa_user_sgpr_dispatch_id 0
		.amdhsa_user_sgpr_flat_scratch_init 0
		.amdhsa_user_sgpr_kernarg_preload_length 0
		.amdhsa_user_sgpr_kernarg_preload_offset 0
		.amdhsa_user_sgpr_private_segment_size 0
		.amdhsa_uses_dynamic_stack 0
		.amdhsa_system_sgpr_private_segment_wavefront_offset 0
		.amdhsa_system_sgpr_workgroup_id_x 1
		.amdhsa_system_sgpr_workgroup_id_y 0
		.amdhsa_system_sgpr_workgroup_id_z 0
		.amdhsa_system_sgpr_workgroup_info 0
		.amdhsa_system_vgpr_workitem_id 0
		.amdhsa_next_free_vgpr 1
		.amdhsa_next_free_sgpr 0
		.amdhsa_accum_offset 4
		.amdhsa_reserve_vcc 0
		.amdhsa_reserve_flat_scratch 0
		.amdhsa_float_round_mode_32 0
		.amdhsa_float_round_mode_16_64 0
		.amdhsa_float_denorm_mode_32 3
		.amdhsa_float_denorm_mode_16_64 3
		.amdhsa_dx10_clamp 1
		.amdhsa_ieee_mode 1
		.amdhsa_fp16_overflow 0
		.amdhsa_tg_split 0
		.amdhsa_exception_fp_ieee_invalid_op 0
		.amdhsa_exception_fp_denorm_src 0
		.amdhsa_exception_fp_ieee_div_zero 0
		.amdhsa_exception_fp_ieee_overflow 0
		.amdhsa_exception_fp_ieee_underflow 0
		.amdhsa_exception_fp_ieee_inexact 0
		.amdhsa_exception_int_div_zero 0
	.end_amdhsa_kernel
	.section	.text._ZN7rocprim17ROCPRIM_400000_NS6detail17trampoline_kernelINS0_14default_configENS1_25partition_config_selectorILNS1_17partition_subalgoE8EmNS0_10empty_typeEbEEZZNS1_14partition_implILS5_8ELb0ES3_jPKmPS6_PKS6_NS0_5tupleIJPmS6_EEENSE_IJSB_SB_EEENS0_18inequality_wrapperIN6hipcub16HIPCUB_304000_NS8EqualityEEEPlJS6_EEE10hipError_tPvRmT3_T4_T5_T6_T7_T9_mT8_P12ihipStream_tbDpT10_ENKUlT_T0_E_clISt17integral_constantIbLb0EES16_IbLb1EEEEDaS12_S13_EUlS12_E_NS1_11comp_targetILNS1_3genE5ELNS1_11target_archE942ELNS1_3gpuE9ELNS1_3repE0EEENS1_30default_config_static_selectorELNS0_4arch9wavefront6targetE1EEEvT1_,"axG",@progbits,_ZN7rocprim17ROCPRIM_400000_NS6detail17trampoline_kernelINS0_14default_configENS1_25partition_config_selectorILNS1_17partition_subalgoE8EmNS0_10empty_typeEbEEZZNS1_14partition_implILS5_8ELb0ES3_jPKmPS6_PKS6_NS0_5tupleIJPmS6_EEENSE_IJSB_SB_EEENS0_18inequality_wrapperIN6hipcub16HIPCUB_304000_NS8EqualityEEEPlJS6_EEE10hipError_tPvRmT3_T4_T5_T6_T7_T9_mT8_P12ihipStream_tbDpT10_ENKUlT_T0_E_clISt17integral_constantIbLb0EES16_IbLb1EEEEDaS12_S13_EUlS12_E_NS1_11comp_targetILNS1_3genE5ELNS1_11target_archE942ELNS1_3gpuE9ELNS1_3repE0EEENS1_30default_config_static_selectorELNS0_4arch9wavefront6targetE1EEEvT1_,comdat
.Lfunc_end711:
	.size	_ZN7rocprim17ROCPRIM_400000_NS6detail17trampoline_kernelINS0_14default_configENS1_25partition_config_selectorILNS1_17partition_subalgoE8EmNS0_10empty_typeEbEEZZNS1_14partition_implILS5_8ELb0ES3_jPKmPS6_PKS6_NS0_5tupleIJPmS6_EEENSE_IJSB_SB_EEENS0_18inequality_wrapperIN6hipcub16HIPCUB_304000_NS8EqualityEEEPlJS6_EEE10hipError_tPvRmT3_T4_T5_T6_T7_T9_mT8_P12ihipStream_tbDpT10_ENKUlT_T0_E_clISt17integral_constantIbLb0EES16_IbLb1EEEEDaS12_S13_EUlS12_E_NS1_11comp_targetILNS1_3genE5ELNS1_11target_archE942ELNS1_3gpuE9ELNS1_3repE0EEENS1_30default_config_static_selectorELNS0_4arch9wavefront6targetE1EEEvT1_, .Lfunc_end711-_ZN7rocprim17ROCPRIM_400000_NS6detail17trampoline_kernelINS0_14default_configENS1_25partition_config_selectorILNS1_17partition_subalgoE8EmNS0_10empty_typeEbEEZZNS1_14partition_implILS5_8ELb0ES3_jPKmPS6_PKS6_NS0_5tupleIJPmS6_EEENSE_IJSB_SB_EEENS0_18inequality_wrapperIN6hipcub16HIPCUB_304000_NS8EqualityEEEPlJS6_EEE10hipError_tPvRmT3_T4_T5_T6_T7_T9_mT8_P12ihipStream_tbDpT10_ENKUlT_T0_E_clISt17integral_constantIbLb0EES16_IbLb1EEEEDaS12_S13_EUlS12_E_NS1_11comp_targetILNS1_3genE5ELNS1_11target_archE942ELNS1_3gpuE9ELNS1_3repE0EEENS1_30default_config_static_selectorELNS0_4arch9wavefront6targetE1EEEvT1_
                                        ; -- End function
	.section	.AMDGPU.csdata,"",@progbits
; Kernel info:
; codeLenInByte = 0
; NumSgprs: 4
; NumVgprs: 0
; NumAgprs: 0
; TotalNumVgprs: 0
; ScratchSize: 0
; MemoryBound: 0
; FloatMode: 240
; IeeeMode: 1
; LDSByteSize: 0 bytes/workgroup (compile time only)
; SGPRBlocks: 0
; VGPRBlocks: 0
; NumSGPRsForWavesPerEU: 4
; NumVGPRsForWavesPerEU: 1
; AccumOffset: 4
; Occupancy: 8
; WaveLimiterHint : 0
; COMPUTE_PGM_RSRC2:SCRATCH_EN: 0
; COMPUTE_PGM_RSRC2:USER_SGPR: 6
; COMPUTE_PGM_RSRC2:TRAP_HANDLER: 0
; COMPUTE_PGM_RSRC2:TGID_X_EN: 1
; COMPUTE_PGM_RSRC2:TGID_Y_EN: 0
; COMPUTE_PGM_RSRC2:TGID_Z_EN: 0
; COMPUTE_PGM_RSRC2:TIDIG_COMP_CNT: 0
; COMPUTE_PGM_RSRC3_GFX90A:ACCUM_OFFSET: 0
; COMPUTE_PGM_RSRC3_GFX90A:TG_SPLIT: 0
	.section	.text._ZN7rocprim17ROCPRIM_400000_NS6detail17trampoline_kernelINS0_14default_configENS1_25partition_config_selectorILNS1_17partition_subalgoE8EmNS0_10empty_typeEbEEZZNS1_14partition_implILS5_8ELb0ES3_jPKmPS6_PKS6_NS0_5tupleIJPmS6_EEENSE_IJSB_SB_EEENS0_18inequality_wrapperIN6hipcub16HIPCUB_304000_NS8EqualityEEEPlJS6_EEE10hipError_tPvRmT3_T4_T5_T6_T7_T9_mT8_P12ihipStream_tbDpT10_ENKUlT_T0_E_clISt17integral_constantIbLb0EES16_IbLb1EEEEDaS12_S13_EUlS12_E_NS1_11comp_targetILNS1_3genE4ELNS1_11target_archE910ELNS1_3gpuE8ELNS1_3repE0EEENS1_30default_config_static_selectorELNS0_4arch9wavefront6targetE1EEEvT1_,"axG",@progbits,_ZN7rocprim17ROCPRIM_400000_NS6detail17trampoline_kernelINS0_14default_configENS1_25partition_config_selectorILNS1_17partition_subalgoE8EmNS0_10empty_typeEbEEZZNS1_14partition_implILS5_8ELb0ES3_jPKmPS6_PKS6_NS0_5tupleIJPmS6_EEENSE_IJSB_SB_EEENS0_18inequality_wrapperIN6hipcub16HIPCUB_304000_NS8EqualityEEEPlJS6_EEE10hipError_tPvRmT3_T4_T5_T6_T7_T9_mT8_P12ihipStream_tbDpT10_ENKUlT_T0_E_clISt17integral_constantIbLb0EES16_IbLb1EEEEDaS12_S13_EUlS12_E_NS1_11comp_targetILNS1_3genE4ELNS1_11target_archE910ELNS1_3gpuE8ELNS1_3repE0EEENS1_30default_config_static_selectorELNS0_4arch9wavefront6targetE1EEEvT1_,comdat
	.protected	_ZN7rocprim17ROCPRIM_400000_NS6detail17trampoline_kernelINS0_14default_configENS1_25partition_config_selectorILNS1_17partition_subalgoE8EmNS0_10empty_typeEbEEZZNS1_14partition_implILS5_8ELb0ES3_jPKmPS6_PKS6_NS0_5tupleIJPmS6_EEENSE_IJSB_SB_EEENS0_18inequality_wrapperIN6hipcub16HIPCUB_304000_NS8EqualityEEEPlJS6_EEE10hipError_tPvRmT3_T4_T5_T6_T7_T9_mT8_P12ihipStream_tbDpT10_ENKUlT_T0_E_clISt17integral_constantIbLb0EES16_IbLb1EEEEDaS12_S13_EUlS12_E_NS1_11comp_targetILNS1_3genE4ELNS1_11target_archE910ELNS1_3gpuE8ELNS1_3repE0EEENS1_30default_config_static_selectorELNS0_4arch9wavefront6targetE1EEEvT1_ ; -- Begin function _ZN7rocprim17ROCPRIM_400000_NS6detail17trampoline_kernelINS0_14default_configENS1_25partition_config_selectorILNS1_17partition_subalgoE8EmNS0_10empty_typeEbEEZZNS1_14partition_implILS5_8ELb0ES3_jPKmPS6_PKS6_NS0_5tupleIJPmS6_EEENSE_IJSB_SB_EEENS0_18inequality_wrapperIN6hipcub16HIPCUB_304000_NS8EqualityEEEPlJS6_EEE10hipError_tPvRmT3_T4_T5_T6_T7_T9_mT8_P12ihipStream_tbDpT10_ENKUlT_T0_E_clISt17integral_constantIbLb0EES16_IbLb1EEEEDaS12_S13_EUlS12_E_NS1_11comp_targetILNS1_3genE4ELNS1_11target_archE910ELNS1_3gpuE8ELNS1_3repE0EEENS1_30default_config_static_selectorELNS0_4arch9wavefront6targetE1EEEvT1_
	.globl	_ZN7rocprim17ROCPRIM_400000_NS6detail17trampoline_kernelINS0_14default_configENS1_25partition_config_selectorILNS1_17partition_subalgoE8EmNS0_10empty_typeEbEEZZNS1_14partition_implILS5_8ELb0ES3_jPKmPS6_PKS6_NS0_5tupleIJPmS6_EEENSE_IJSB_SB_EEENS0_18inequality_wrapperIN6hipcub16HIPCUB_304000_NS8EqualityEEEPlJS6_EEE10hipError_tPvRmT3_T4_T5_T6_T7_T9_mT8_P12ihipStream_tbDpT10_ENKUlT_T0_E_clISt17integral_constantIbLb0EES16_IbLb1EEEEDaS12_S13_EUlS12_E_NS1_11comp_targetILNS1_3genE4ELNS1_11target_archE910ELNS1_3gpuE8ELNS1_3repE0EEENS1_30default_config_static_selectorELNS0_4arch9wavefront6targetE1EEEvT1_
	.p2align	8
	.type	_ZN7rocprim17ROCPRIM_400000_NS6detail17trampoline_kernelINS0_14default_configENS1_25partition_config_selectorILNS1_17partition_subalgoE8EmNS0_10empty_typeEbEEZZNS1_14partition_implILS5_8ELb0ES3_jPKmPS6_PKS6_NS0_5tupleIJPmS6_EEENSE_IJSB_SB_EEENS0_18inequality_wrapperIN6hipcub16HIPCUB_304000_NS8EqualityEEEPlJS6_EEE10hipError_tPvRmT3_T4_T5_T6_T7_T9_mT8_P12ihipStream_tbDpT10_ENKUlT_T0_E_clISt17integral_constantIbLb0EES16_IbLb1EEEEDaS12_S13_EUlS12_E_NS1_11comp_targetILNS1_3genE4ELNS1_11target_archE910ELNS1_3gpuE8ELNS1_3repE0EEENS1_30default_config_static_selectorELNS0_4arch9wavefront6targetE1EEEvT1_,@function
_ZN7rocprim17ROCPRIM_400000_NS6detail17trampoline_kernelINS0_14default_configENS1_25partition_config_selectorILNS1_17partition_subalgoE8EmNS0_10empty_typeEbEEZZNS1_14partition_implILS5_8ELb0ES3_jPKmPS6_PKS6_NS0_5tupleIJPmS6_EEENSE_IJSB_SB_EEENS0_18inequality_wrapperIN6hipcub16HIPCUB_304000_NS8EqualityEEEPlJS6_EEE10hipError_tPvRmT3_T4_T5_T6_T7_T9_mT8_P12ihipStream_tbDpT10_ENKUlT_T0_E_clISt17integral_constantIbLb0EES16_IbLb1EEEEDaS12_S13_EUlS12_E_NS1_11comp_targetILNS1_3genE4ELNS1_11target_archE910ELNS1_3gpuE8ELNS1_3repE0EEENS1_30default_config_static_selectorELNS0_4arch9wavefront6targetE1EEEvT1_: ; @_ZN7rocprim17ROCPRIM_400000_NS6detail17trampoline_kernelINS0_14default_configENS1_25partition_config_selectorILNS1_17partition_subalgoE8EmNS0_10empty_typeEbEEZZNS1_14partition_implILS5_8ELb0ES3_jPKmPS6_PKS6_NS0_5tupleIJPmS6_EEENSE_IJSB_SB_EEENS0_18inequality_wrapperIN6hipcub16HIPCUB_304000_NS8EqualityEEEPlJS6_EEE10hipError_tPvRmT3_T4_T5_T6_T7_T9_mT8_P12ihipStream_tbDpT10_ENKUlT_T0_E_clISt17integral_constantIbLb0EES16_IbLb1EEEEDaS12_S13_EUlS12_E_NS1_11comp_targetILNS1_3genE4ELNS1_11target_archE910ELNS1_3gpuE8ELNS1_3repE0EEENS1_30default_config_static_selectorELNS0_4arch9wavefront6targetE1EEEvT1_
; %bb.0:
	s_load_dwordx2 s[18:19], s[4:5], 0x28
	s_load_dwordx4 s[20:23], s[4:5], 0x40
	s_load_dwordx2 s[6:7], s[4:5], 0x50
	s_load_dwordx2 s[28:29], s[4:5], 0x60
	v_cmp_ne_u32_e64 s[2:3], 0, v0
	v_cmp_eq_u32_e64 s[0:1], 0, v0
	s_and_saveexec_b64 s[8:9], s[0:1]
	s_cbranch_execz .LBB712_4
; %bb.1:
	s_mov_b64 s[12:13], exec
	v_mbcnt_lo_u32_b32 v1, s12, 0
	v_mbcnt_hi_u32_b32 v1, s13, v1
	v_cmp_eq_u32_e32 vcc, 0, v1
                                        ; implicit-def: $vgpr2
	s_and_saveexec_b64 s[10:11], vcc
	s_cbranch_execz .LBB712_3
; %bb.2:
	s_load_dwordx2 s[14:15], s[4:5], 0x70
	s_bcnt1_i32_b64 s12, s[12:13]
	v_mov_b32_e32 v2, 0
	v_mov_b32_e32 v3, s12
	s_waitcnt lgkmcnt(0)
	global_atomic_add v2, v2, v3, s[14:15] glc
.LBB712_3:
	s_or_b64 exec, exec, s[10:11]
	s_waitcnt vmcnt(0)
	v_readfirstlane_b32 s10, v2
	v_add_u32_e32 v1, s10, v1
	v_mov_b32_e32 v2, 0
	ds_write_b32 v2, v1
.LBB712_4:
	s_or_b64 exec, exec, s[8:9]
	v_mov_b32_e32 v3, 0
	s_load_dwordx4 s[8:11], s[4:5], 0x8
	s_load_dword s12, s[4:5], 0x68
	s_waitcnt lgkmcnt(0)
	s_barrier
	ds_read_b32 v1, v3
	s_waitcnt lgkmcnt(0)
	s_barrier
	global_load_dwordx2 v[4:5], v3, s[22:23]
	s_lshl_b64 s[4:5], s[10:11], 3
	s_mul_i32 s13, s12, 0x500
	s_add_u32 s8, s8, s4
	s_addc_u32 s4, s9, s5
	s_add_i32 s5, s13, s10
	s_add_i32 s12, s12, -1
	s_sub_i32 s30, s6, s5
	v_mov_b32_e32 v8, s4
	s_add_u32 s4, s10, s13
	s_addc_u32 s5, s11, 0
	v_readfirstlane_b32 s33, v1
	v_mov_b32_e32 v6, s6
	v_mov_b32_e32 v7, s7
	s_movk_i32 s7, 0x500
	s_cmp_eq_u32 s33, s12
	v_mul_lo_u32 v2, v1, s7
	v_cmp_ge_u64_e32 vcc, s[4:5], v[6:7]
	s_cselect_b64 s[24:25], -1, 0
	v_lshlrev_b64 v[2:3], 3, v[2:3]
	s_and_b64 s[12:13], vcc, s[24:25]
	v_add_co_u32_e64 v18, s[4:5], s8, v2
	s_xor_b64 s[26:27], s[12:13], -1
	s_mov_b64 s[14:15], -1
	v_addc_co_u32_e64 v19, s[4:5], v8, v3, s[4:5]
	s_and_b64 vcc, exec, s[26:27]
	s_waitcnt vmcnt(0)
	v_readfirstlane_b32 s22, v4
	v_readfirstlane_b32 s23, v5
	s_cbranch_vccz .LBB712_6
; %bb.5:
	v_lshlrev_b32_e32 v1, 3, v0
	v_add_co_u32_e32 v12, vcc, v18, v1
	v_addc_co_u32_e32 v13, vcc, 0, v19, vcc
	v_add_co_u32_e32 v2, vcc, 0x1000, v12
	v_readfirstlane_b32 s4, v18
	v_readfirstlane_b32 s5, v19
	v_addc_co_u32_e32 v3, vcc, 0, v13, vcc
	s_nop 3
	global_load_dwordx2 v[4:5], v1, s[4:5]
	global_load_dwordx2 v[6:7], v1, s[4:5] offset:2048
	global_load_dwordx2 v[8:9], v[2:3], off
	global_load_dwordx2 v[10:11], v[2:3], off offset:2048
	v_add_co_u32_e32 v2, vcc, 0x2000, v12
	v_addc_co_u32_e32 v3, vcc, 0, v13, vcc
	global_load_dwordx2 v[2:3], v[2:3], off
	s_mov_b64 s[14:15], 0
	s_waitcnt vmcnt(3)
	ds_write2st64_b64 v1, v[4:5], v[6:7] offset1:4
	s_waitcnt vmcnt(1)
	ds_write2st64_b64 v1, v[8:9], v[10:11] offset0:8 offset1:12
	s_waitcnt vmcnt(0)
	ds_write_b64 v1, v[2:3] offset:8192
	s_waitcnt lgkmcnt(0)
	s_barrier
.LBB712_6:
	s_andn2_b64 vcc, exec, s[14:15]
	s_addk_i32 s30, 0x500
	s_cbranch_vccnz .LBB712_18
; %bb.7:
	v_cmp_gt_u32_e32 vcc, s30, v0
                                        ; implicit-def: $vgpr2_vgpr3_vgpr4_vgpr5_vgpr6_vgpr7_vgpr8_vgpr9_vgpr10_vgpr11_vgpr12_vgpr13_vgpr14_vgpr15_vgpr16_vgpr17
	s_and_saveexec_b64 s[4:5], vcc
	s_cbranch_execz .LBB712_9
; %bb.8:
	v_lshlrev_b32_e32 v1, 3, v0
	v_readfirstlane_b32 s6, v18
	v_readfirstlane_b32 s7, v19
	s_nop 4
	global_load_dwordx2 v[2:3], v1, s[6:7]
.LBB712_9:
	s_or_b64 exec, exec, s[4:5]
	v_or_b32_e32 v1, 0x100, v0
	v_cmp_gt_u32_e32 vcc, s30, v1
	s_and_saveexec_b64 s[4:5], vcc
	s_cbranch_execz .LBB712_11
; %bb.10:
	v_lshlrev_b32_e32 v1, 3, v0
	v_readfirstlane_b32 s6, v18
	v_readfirstlane_b32 s7, v19
	s_nop 4
	global_load_dwordx2 v[4:5], v1, s[6:7] offset:2048
.LBB712_11:
	s_or_b64 exec, exec, s[4:5]
	v_or_b32_e32 v1, 0x200, v0
	v_cmp_gt_u32_e32 vcc, s30, v1
	s_and_saveexec_b64 s[4:5], vcc
	s_cbranch_execz .LBB712_13
; %bb.12:
	v_lshlrev_b32_e32 v1, 3, v1
	v_readfirstlane_b32 s6, v18
	v_readfirstlane_b32 s7, v19
	s_nop 4
	global_load_dwordx2 v[6:7], v1, s[6:7]
.LBB712_13:
	s_or_b64 exec, exec, s[4:5]
	v_or_b32_e32 v1, 0x300, v0
	v_cmp_gt_u32_e32 vcc, s30, v1
	s_and_saveexec_b64 s[4:5], vcc
	s_cbranch_execz .LBB712_15
; %bb.14:
	v_lshlrev_b32_e32 v1, 3, v1
	v_readfirstlane_b32 s6, v18
	v_readfirstlane_b32 s7, v19
	s_nop 4
	global_load_dwordx2 v[8:9], v1, s[6:7]
.LBB712_15:
	;; [unrolled: 12-line block ×3, first 2 shown]
	s_or_b64 exec, exec, s[4:5]
	v_lshlrev_b32_e32 v1, 3, v0
	s_waitcnt vmcnt(0)
	ds_write2st64_b64 v1, v[2:3], v[4:5] offset1:4
	ds_write2st64_b64 v1, v[6:7], v[8:9] offset0:8 offset1:12
	ds_write_b64 v1, v[10:11] offset:8192
	s_waitcnt lgkmcnt(0)
	s_barrier
.LBB712_18:
	v_mul_u32_u24_e32 v20, 5, v0
	v_lshlrev_b32_e32 v1, 3, v20
	ds_read2_b64 v[6:9], v1 offset1:1
	ds_read2_b64 v[2:5], v1 offset0:2 offset1:3
	ds_read_b64 v[10:11], v1 offset:32
	s_cmp_lg_u32 s33, 0
	s_cselect_b64 s[16:17], -1, 0
	s_cmp_lg_u64 s[10:11], 0
	s_cselect_b64 s[4:5], -1, 0
	s_or_b64 s[4:5], s[4:5], s[16:17]
	v_mad_u32_u24 v23, v0, 5, 1
	v_mad_u32_u24 v21, v0, 5, 2
	;; [unrolled: 1-line block ×4, first 2 shown]
	s_mov_b64 s[14:15], 0
	s_and_b64 vcc, exec, s[4:5]
	s_waitcnt lgkmcnt(0)
	s_barrier
	s_cbranch_vccz .LBB712_23
; %bb.19:
	global_load_dwordx2 v[14:15], v[18:19], off offset:-8
	v_lshlrev_b32_e32 v12, 3, v0
	s_and_b64 vcc, exec, s[26:27]
	ds_write_b64 v12, v[10:11]
	s_cbranch_vccz .LBB712_24
; %bb.20:
	s_waitcnt vmcnt(0)
	v_pk_mov_b32 v[16:17], v[14:15], v[14:15] op_sel:[0,1]
	s_waitcnt lgkmcnt(0)
	s_barrier
	s_and_saveexec_b64 s[4:5], s[2:3]
	s_cbranch_execz .LBB712_22
; %bb.21:
	v_add_u32_e32 v13, -8, v12
	ds_read_b64 v[16:17], v13
.LBB712_22:
	s_or_b64 exec, exec, s[4:5]
	v_cmp_ne_u64_e32 vcc, v[4:5], v[10:11]
	v_cndmask_b32_e64 v13, 0, 1, vcc
	v_cmp_ne_u64_e32 vcc, v[2:3], v[4:5]
	v_cndmask_b32_e64 v18, 0, 1, vcc
	;; [unrolled: 2-line block ×4, first 2 shown]
	s_waitcnt lgkmcnt(0)
	v_cmp_ne_u64_e64 s[4:5], v[16:17], v[6:7]
	v_lshlrev_b16_e32 v16, 8, v18
	v_or_b32_sdwa v16, v19, v16 dst_sel:WORD_1 dst_unused:UNUSED_PAD src0_sel:DWORD src1_sel:DWORD
	v_lshlrev_b16_e32 v17, 8, v25
	v_or_b32_e32 v16, v17, v16
	s_branch .LBB712_28
.LBB712_23:
                                        ; implicit-def: $sgpr4_sgpr5
                                        ; implicit-def: $vgpr13
                                        ; implicit-def: $vgpr16
	s_branch .LBB712_29
.LBB712_24:
                                        ; implicit-def: $sgpr4_sgpr5
                                        ; implicit-def: $vgpr13
                                        ; implicit-def: $vgpr16
	s_cbranch_execz .LBB712_28
; %bb.25:
	s_waitcnt lgkmcnt(0)
	s_barrier
	s_and_saveexec_b64 s[4:5], s[2:3]
	s_cbranch_execz .LBB712_27
; %bb.26:
	v_add_u32_e32 v12, -8, v12
	s_waitcnt vmcnt(0)
	ds_read_b64 v[14:15], v12
.LBB712_27:
	s_or_b64 exec, exec, s[4:5]
	v_cmp_gt_u32_e32 vcc, s30, v22
	v_cmp_ne_u64_e64 s[4:5], v[4:5], v[10:11]
	s_and_b64 s[4:5], vcc, s[4:5]
	v_cndmask_b32_e64 v13, 0, 1, s[4:5]
	v_cmp_gt_u32_e32 vcc, s30, v24
	v_cmp_ne_u64_e64 s[4:5], v[2:3], v[4:5]
	s_and_b64 s[4:5], vcc, s[4:5]
	v_cndmask_b32_e64 v12, 0, 1, s[4:5]
	;; [unrolled: 4-line block ×4, first 2 shown]
	v_lshlrev_b16_e32 v12, 8, v12
	v_cmp_gt_u32_e32 vcc, s30, v20
	s_waitcnt vmcnt(0) lgkmcnt(0)
	v_cmp_ne_u64_e64 s[4:5], v[14:15], v[6:7]
	v_or_b32_sdwa v12, v16, v12 dst_sel:WORD_1 dst_unused:UNUSED_PAD src0_sel:DWORD src1_sel:DWORD
	v_lshlrev_b16_e32 v14, 8, v17
	s_and_b64 s[4:5], vcc, s[4:5]
	v_or_b32_e32 v16, v14, v12
.LBB712_28:
	s_mov_b64 s[14:15], -1
	s_cbranch_execnz .LBB712_37
.LBB712_29:
	v_lshlrev_b32_e32 v12, 5, v0
	s_waitcnt vmcnt(0)
	v_sub_u32_e32 v14, v1, v12
	s_and_b64 vcc, exec, s[26:27]
	v_cmp_ne_u64_e64 s[4:5], v[4:5], v[10:11]
	v_cmp_ne_u64_e64 s[6:7], v[2:3], v[4:5]
	;; [unrolled: 1-line block ×4, first 2 shown]
	ds_write_b64 v14, v[10:11]
	s_cbranch_vccz .LBB712_33
; %bb.30:
	v_cndmask_b32_e64 v12, 0, 1, s[6:7]
	v_cndmask_b32_e64 v13, 0, 1, s[8:9]
	;; [unrolled: 1-line block ×3, first 2 shown]
	v_lshlrev_b16_e32 v12, 8, v12
	v_or_b32_sdwa v12, v13, v12 dst_sel:WORD_1 dst_unused:UNUSED_PAD src0_sel:DWORD src1_sel:DWORD
	v_lshlrev_b16_e32 v13, 8, v15
	v_or_b32_e32 v13, 1, v13
	v_or_b32_sdwa v12, v13, v12 dst_sel:DWORD dst_unused:UNUSED_PAD src0_sel:WORD_0 src1_sel:DWORD
	v_cndmask_b32_e64 v13, 0, 1, s[4:5]
	s_waitcnt lgkmcnt(0)
	s_barrier
	s_waitcnt lgkmcnt(0)
                                        ; implicit-def: $sgpr4_sgpr5
                                        ; implicit-def: $vgpr16
	s_and_saveexec_b64 s[6:7], s[2:3]
	s_xor_b64 s[6:7], exec, s[6:7]
	s_cbranch_execz .LBB712_32
; %bb.31:
	v_add_u32_e32 v15, -8, v14
	ds_read_b64 v[18:19], v15
	s_mov_b32 s4, 0x3020104
	v_perm_b32 v16, v12, v12, s4
	s_or_b64 s[14:15], s[14:15], exec
	s_waitcnt lgkmcnt(0)
	v_cmp_ne_u64_e32 vcc, v[18:19], v[6:7]
	s_and_b64 s[4:5], vcc, exec
.LBB712_32:
	s_or_b64 exec, exec, s[6:7]
	s_branch .LBB712_37
.LBB712_33:
                                        ; implicit-def: $sgpr4_sgpr5
                                        ; implicit-def: $vgpr13
                                        ; implicit-def: $vgpr16
	s_cbranch_execz .LBB712_37
; %bb.34:
	v_cmp_gt_u32_e64 s[6:7], s30, v24
	v_cmp_ne_u64_e64 s[8:9], v[2:3], v[4:5]
	s_and_b64 s[6:7], s[6:7], s[8:9]
	v_cndmask_b32_e64 v12, 0, 1, s[6:7]
	v_cmp_gt_u32_e64 s[6:7], s30, v21
	v_cmp_ne_u64_e64 s[8:9], v[8:9], v[2:3]
	s_and_b64 s[6:7], s[6:7], s[8:9]
	v_cndmask_b32_e64 v13, 0, 1, s[6:7]
	;; [unrolled: 4-line block ×3, first 2 shown]
	v_lshlrev_b16_e32 v12, 8, v12
	v_cmp_gt_u32_e32 vcc, s30, v22
	v_cmp_ne_u64_e64 s[4:5], v[4:5], v[10:11]
	v_or_b32_sdwa v12, v13, v12 dst_sel:WORD_1 dst_unused:UNUSED_PAD src0_sel:DWORD src1_sel:DWORD
	v_lshlrev_b16_e32 v13, 8, v15
	v_or_b32_e32 v13, 1, v13
	s_and_b64 s[4:5], vcc, s[4:5]
	v_or_b32_sdwa v12, v13, v12 dst_sel:DWORD dst_unused:UNUSED_PAD src0_sel:WORD_0 src1_sel:DWORD
	v_cndmask_b32_e64 v13, 0, 1, s[4:5]
	s_waitcnt lgkmcnt(0)
	s_barrier
	s_waitcnt lgkmcnt(0)
                                        ; implicit-def: $sgpr4_sgpr5
                                        ; implicit-def: $vgpr16
	s_and_saveexec_b64 s[6:7], s[2:3]
	s_cbranch_execz .LBB712_36
; %bb.35:
	v_add_u32_e32 v14, -8, v14
	ds_read_b64 v[14:15], v14
	s_mov_b32 s2, 0x3020104
	v_cmp_gt_u32_e32 vcc, s30, v20
	v_perm_b32 v16, v12, v12, s2
	s_or_b64 s[14:15], s[14:15], exec
	s_waitcnt lgkmcnt(0)
	v_cmp_ne_u64_e64 s[2:3], v[14:15], v[6:7]
	s_and_b64 s[2:3], vcc, s[2:3]
	s_and_b64 s[4:5], s[2:3], exec
.LBB712_36:
	s_or_b64 exec, exec, s[6:7]
.LBB712_37:
	s_and_saveexec_b64 s[2:3], s[14:15]
	s_cbranch_execz .LBB712_39
; %bb.38:
	v_cndmask_b32_e64 v12, 0, 1, s[4:5]
	s_waitcnt vmcnt(0)
	v_lshrrev_b32_e32 v14, 24, v16
	s_movk_i32 s4, 0xff
	v_lshlrev_b16_e32 v14, 8, v14
	v_and_b32_sdwa v15, v16, s4 dst_sel:DWORD dst_unused:UNUSED_PAD src0_sel:WORD_1 src1_sel:DWORD
	v_or_b32_sdwa v14, v15, v14 dst_sel:WORD_1 dst_unused:UNUSED_PAD src0_sel:DWORD src1_sel:DWORD
	v_mov_b32_e32 v15, 8
	v_lshrrev_b32_sdwa v15, v15, v16 dst_sel:BYTE_1 dst_unused:UNUSED_PAD src0_sel:DWORD src1_sel:DWORD
	v_or_b32_e32 v12, v12, v15
	s_mov_b32 s4, 0xffff
	v_or_b32_sdwa v12, v12, v14 dst_sel:DWORD dst_unused:UNUSED_PAD src0_sel:WORD_0 src1_sel:DWORD
	v_and_b32_sdwa v13, s4, v13 dst_sel:DWORD dst_unused:UNUSED_PAD src0_sel:DWORD src1_sel:BYTE_0
.LBB712_39:
	s_or_b64 exec, exec, s[2:3]
	s_andn2_b64 vcc, exec, s[12:13]
	s_cbranch_vccnz .LBB712_41
; %bb.40:
	v_cmp_gt_u32_e32 vcc, s30, v20
	s_waitcnt vmcnt(0)
	v_cndmask_b32_e32 v14, 0, v12, vcc
	v_and_b32_e32 v14, 0xffff00ff, v14
	v_cmp_gt_u32_e64 s[2:3], s30, v23
	v_cndmask_b32_e64 v14, v14, v12, s[2:3]
	v_lshrrev_b32_e32 v15, 24, v14
	s_mov_b32 s4, 0x40c0100
	v_perm_b32 v14, v15, v14, s4
	v_cmp_gt_u32_e64 s[4:5], s30, v21
	v_cmp_gt_u32_e64 s[6:7], s30, v24
	v_cndmask_b32_e64 v14, v14, v12, s[4:5]
	s_or_b64 s[4:5], s[6:7], s[4:5]
	s_or_b64 s[2:3], s[4:5], s[2:3]
	s_or_b64 vcc, s[2:3], vcc
	v_and_b32_e32 v14, 0xffffff, v14
	v_cndmask_b32_e32 v15, 0, v13, vcc
	v_cndmask_b32_e64 v14, v14, v12, s[6:7]
	v_and_b32_e32 v15, 0xffffff00, v15
	v_cmp_gt_u32_e32 vcc, s30, v22
	v_cndmask_b32_e32 v12, v14, v12, vcc
	v_cndmask_b32_e32 v13, v15, v13, vcc
	s_mov_b32 s2, 0x3020104
	v_and_b32_e32 v13, 0xff, v13
	v_perm_b32 v12, v12, v12, s2
.LBB712_41:
	v_and_b32_e32 v25, 0xff, v12
	v_bfe_u32 v27, v12, 8, 8
	v_bfe_u32 v28, v12, 16, 8
	s_waitcnt vmcnt(0)
	v_alignbit_b32 v14, v13, v12, 24
	v_and_b32_e32 v29, 0xff, v14
	v_and_b32_e32 v14, 0xff, v13
	v_add3_u32 v15, v27, v25, v28
	v_add3_u32 v32, v15, v29, v14
	v_mbcnt_lo_u32_b32 v14, -1, 0
	v_mbcnt_hi_u32_b32 v30, -1, v14
	v_and_b32_e32 v14, 15, v30
	v_cmp_eq_u32_e64 s[14:15], 0, v14
	v_cmp_lt_u32_e64 s[12:13], 1, v14
	v_cmp_lt_u32_e64 s[10:11], 3, v14
	;; [unrolled: 1-line block ×3, first 2 shown]
	v_and_b32_e32 v14, 16, v30
	v_cmp_eq_u32_e64 s[6:7], 0, v14
	v_or_b32_e32 v14, 63, v0
	v_cmp_lt_u32_e64 s[2:3], 31, v30
	v_lshrrev_b32_e32 v31, 6, v0
	v_cmp_eq_u32_e64 s[4:5], v14, v0
	s_and_b64 vcc, exec, s[16:17]
	s_waitcnt lgkmcnt(0)
	s_barrier
	s_cbranch_vccz .LBB712_68
; %bb.42:
	v_mov_b32_dpp v14, v32 row_shr:1 row_mask:0xf bank_mask:0xf
	v_cndmask_b32_e64 v14, v14, 0, s[14:15]
	v_add_u32_e32 v14, v14, v32
	s_nop 1
	v_mov_b32_dpp v15, v14 row_shr:2 row_mask:0xf bank_mask:0xf
	v_cndmask_b32_e64 v15, 0, v15, s[12:13]
	v_add_u32_e32 v14, v14, v15
	s_nop 1
	;; [unrolled: 4-line block ×4, first 2 shown]
	v_mov_b32_dpp v15, v14 row_bcast:15 row_mask:0xf bank_mask:0xf
	v_cndmask_b32_e64 v15, v15, 0, s[6:7]
	v_add_u32_e32 v14, v14, v15
	s_nop 1
	v_mov_b32_dpp v15, v14 row_bcast:31 row_mask:0xf bank_mask:0xf
	v_cndmask_b32_e64 v15, 0, v15, s[2:3]
	v_add_u32_e32 v14, v14, v15
	s_and_saveexec_b64 s[16:17], s[4:5]
	s_cbranch_execz .LBB712_44
; %bb.43:
	v_lshlrev_b32_e32 v15, 2, v31
	ds_write_b32 v15, v14
.LBB712_44:
	s_or_b64 exec, exec, s[16:17]
	v_cmp_gt_u32_e32 vcc, 4, v0
	s_waitcnt lgkmcnt(0)
	s_barrier
	s_and_saveexec_b64 s[16:17], vcc
	s_cbranch_execz .LBB712_46
; %bb.45:
	v_lshlrev_b32_e32 v15, 2, v0
	ds_read_b32 v16, v15
	v_and_b32_e32 v17, 3, v30
	v_cmp_ne_u32_e32 vcc, 0, v17
	s_waitcnt lgkmcnt(0)
	v_mov_b32_dpp v18, v16 row_shr:1 row_mask:0xf bank_mask:0xf
	v_cndmask_b32_e32 v18, 0, v18, vcc
	v_add_u32_e32 v16, v18, v16
	v_cmp_lt_u32_e32 vcc, 1, v17
	s_nop 0
	v_mov_b32_dpp v18, v16 row_shr:2 row_mask:0xf bank_mask:0xf
	v_cndmask_b32_e32 v17, 0, v18, vcc
	v_add_u32_e32 v16, v16, v17
	ds_write_b32 v15, v16
.LBB712_46:
	s_or_b64 exec, exec, s[16:17]
	v_cmp_gt_u32_e32 vcc, 64, v0
	v_cmp_lt_u32_e64 s[16:17], 63, v0
	s_waitcnt lgkmcnt(0)
	s_barrier
	s_waitcnt lgkmcnt(0)
                                        ; implicit-def: $vgpr24
	s_and_saveexec_b64 s[30:31], s[16:17]
	s_cbranch_execz .LBB712_48
; %bb.47:
	v_lshl_add_u32 v15, v31, 2, -4
	ds_read_b32 v24, v15
	s_waitcnt lgkmcnt(0)
	v_add_u32_e32 v14, v24, v14
.LBB712_48:
	s_or_b64 exec, exec, s[30:31]
	v_add_u32_e32 v15, -1, v30
	v_and_b32_e32 v16, 64, v30
	v_cmp_lt_i32_e64 s[16:17], v15, v16
	v_cndmask_b32_e64 v15, v15, v30, s[16:17]
	v_lshlrev_b32_e32 v15, 2, v15
	ds_bpermute_b32 v26, v15, v14
	v_cmp_eq_u32_e64 s[16:17], 0, v30
	s_and_saveexec_b64 s[30:31], vcc
	s_cbranch_execz .LBB712_67
; %bb.49:
	v_mov_b32_e32 v21, 0
	ds_read_b32 v14, v21 offset:12
	s_and_saveexec_b64 s[34:35], s[16:17]
	s_cbranch_execz .LBB712_51
; %bb.50:
	s_add_i32 s36, s33, 64
	s_mov_b32 s37, 0
	s_lshl_b64 s[36:37], s[36:37], 3
	s_add_u32 s36, s28, s36
	v_mov_b32_e32 v15, 1
	s_addc_u32 s37, s29, s37
	s_waitcnt lgkmcnt(0)
	global_store_dwordx2 v21, v[14:15], s[36:37]
.LBB712_51:
	s_or_b64 exec, exec, s[34:35]
	v_xad_u32 v16, v30, -1, s33
	v_add_u32_e32 v20, 64, v16
	v_lshlrev_b64 v[18:19], 3, v[20:21]
	v_mov_b32_e32 v15, s29
	v_add_co_u32_e32 v22, vcc, s28, v18
	v_addc_co_u32_e32 v23, vcc, v15, v19, vcc
	global_load_dwordx2 v[18:19], v[22:23], off glc
	s_waitcnt vmcnt(0)
	v_cmp_eq_u16_sdwa s[36:37], v19, v21 src0_sel:BYTE_0 src1_sel:DWORD
	s_and_saveexec_b64 s[34:35], s[36:37]
	s_cbranch_execz .LBB712_55
; %bb.52:
	s_mov_b64 s[36:37], 0
	v_mov_b32_e32 v15, 0
.LBB712_53:                             ; =>This Inner Loop Header: Depth=1
	global_load_dwordx2 v[18:19], v[22:23], off glc
	s_waitcnt vmcnt(0)
	v_cmp_ne_u16_sdwa s[38:39], v19, v15 src0_sel:BYTE_0 src1_sel:DWORD
	s_or_b64 s[36:37], s[38:39], s[36:37]
	s_andn2_b64 exec, exec, s[36:37]
	s_cbranch_execnz .LBB712_53
; %bb.54:
	s_or_b64 exec, exec, s[36:37]
.LBB712_55:
	s_or_b64 exec, exec, s[34:35]
	v_and_b32_e32 v34, 63, v30
	v_mov_b32_e32 v33, 2
	v_cmp_ne_u32_e32 vcc, 63, v34
	v_cmp_eq_u16_sdwa s[34:35], v19, v33 src0_sel:BYTE_0 src1_sel:DWORD
	v_lshlrev_b64 v[20:21], v30, -1
	v_addc_co_u32_e32 v22, vcc, 0, v30, vcc
	v_and_b32_e32 v15, s35, v21
	v_lshlrev_b32_e32 v35, 2, v22
	v_or_b32_e32 v15, 0x80000000, v15
	ds_bpermute_b32 v22, v35, v18
	v_and_b32_e32 v17, s34, v20
	v_ffbl_b32_e32 v15, v15
	v_add_u32_e32 v15, 32, v15
	v_ffbl_b32_e32 v17, v17
	v_min_u32_e32 v15, v17, v15
	v_cmp_lt_u32_e32 vcc, v34, v15
	s_waitcnt lgkmcnt(0)
	v_cndmask_b32_e32 v17, 0, v22, vcc
	v_cmp_gt_u32_e32 vcc, 62, v34
	v_add_u32_e32 v17, v17, v18
	v_cndmask_b32_e64 v18, 0, 1, vcc
	v_lshlrev_b32_e32 v18, 1, v18
	v_add_lshl_u32 v36, v18, v30, 2
	ds_bpermute_b32 v18, v36, v17
	v_add_u32_e32 v37, 2, v34
	v_cmp_le_u32_e32 vcc, v37, v15
	v_add_u32_e32 v39, 4, v34
	v_add_u32_e32 v41, 8, v34
	s_waitcnt lgkmcnt(0)
	v_cndmask_b32_e32 v18, 0, v18, vcc
	v_cmp_gt_u32_e32 vcc, 60, v34
	v_add_u32_e32 v17, v17, v18
	v_cndmask_b32_e64 v18, 0, 1, vcc
	v_lshlrev_b32_e32 v18, 2, v18
	v_add_lshl_u32 v38, v18, v30, 2
	ds_bpermute_b32 v18, v38, v17
	v_cmp_le_u32_e32 vcc, v39, v15
	v_add_u32_e32 v43, 16, v34
	v_add_u32_e32 v45, 32, v34
	s_waitcnt lgkmcnt(0)
	v_cndmask_b32_e32 v18, 0, v18, vcc
	v_cmp_gt_u32_e32 vcc, 56, v34
	v_add_u32_e32 v17, v17, v18
	v_cndmask_b32_e64 v18, 0, 1, vcc
	v_lshlrev_b32_e32 v18, 3, v18
	v_add_lshl_u32 v40, v18, v30, 2
	ds_bpermute_b32 v18, v40, v17
	v_cmp_le_u32_e32 vcc, v41, v15
	s_waitcnt lgkmcnt(0)
	v_cndmask_b32_e32 v18, 0, v18, vcc
	v_cmp_gt_u32_e32 vcc, 48, v34
	v_add_u32_e32 v17, v17, v18
	v_cndmask_b32_e64 v18, 0, 1, vcc
	v_lshlrev_b32_e32 v18, 4, v18
	v_add_lshl_u32 v42, v18, v30, 2
	ds_bpermute_b32 v18, v42, v17
	v_cmp_le_u32_e32 vcc, v43, v15
	;; [unrolled: 9-line block ×3, first 2 shown]
	s_waitcnt lgkmcnt(0)
	v_cndmask_b32_e32 v15, 0, v18, vcc
	v_add_u32_e32 v18, v17, v15
	v_mov_b32_e32 v17, 0
	s_branch .LBB712_57
.LBB712_56:                             ;   in Loop: Header=BB712_57 Depth=1
	s_or_b64 exec, exec, s[34:35]
	v_cmp_eq_u16_sdwa s[34:35], v19, v33 src0_sel:BYTE_0 src1_sel:DWORD
	v_and_b32_e32 v22, s35, v21
	v_or_b32_e32 v22, 0x80000000, v22
	ds_bpermute_b32 v46, v35, v18
	v_and_b32_e32 v23, s34, v20
	v_ffbl_b32_e32 v22, v22
	v_add_u32_e32 v22, 32, v22
	v_ffbl_b32_e32 v23, v23
	v_min_u32_e32 v22, v23, v22
	v_cmp_lt_u32_e32 vcc, v34, v22
	s_waitcnt lgkmcnt(0)
	v_cndmask_b32_e32 v23, 0, v46, vcc
	v_add_u32_e32 v18, v23, v18
	ds_bpermute_b32 v23, v36, v18
	v_cmp_le_u32_e32 vcc, v37, v22
	v_subrev_u32_e32 v16, 64, v16
	s_waitcnt lgkmcnt(0)
	v_cndmask_b32_e32 v23, 0, v23, vcc
	v_add_u32_e32 v18, v18, v23
	ds_bpermute_b32 v23, v38, v18
	v_cmp_le_u32_e32 vcc, v39, v22
	s_waitcnt lgkmcnt(0)
	v_cndmask_b32_e32 v23, 0, v23, vcc
	v_add_u32_e32 v18, v18, v23
	ds_bpermute_b32 v23, v40, v18
	v_cmp_le_u32_e32 vcc, v41, v22
	;; [unrolled: 5-line block ×4, first 2 shown]
	s_waitcnt lgkmcnt(0)
	v_cndmask_b32_e32 v22, 0, v23, vcc
	v_add3_u32 v18, v22, v15, v18
.LBB712_57:                             ; =>This Loop Header: Depth=1
                                        ;     Child Loop BB712_60 Depth 2
	v_cmp_ne_u16_sdwa s[34:35], v19, v33 src0_sel:BYTE_0 src1_sel:DWORD
	v_cndmask_b32_e64 v15, 0, 1, s[34:35]
	;;#ASMSTART
	;;#ASMEND
	v_cmp_ne_u32_e32 vcc, 0, v15
	s_cmp_lg_u64 vcc, exec
	v_mov_b32_e32 v15, v18
	s_cbranch_scc1 .LBB712_62
; %bb.58:                               ;   in Loop: Header=BB712_57 Depth=1
	v_lshlrev_b64 v[18:19], 3, v[16:17]
	v_mov_b32_e32 v23, s29
	v_add_co_u32_e32 v22, vcc, s28, v18
	v_addc_co_u32_e32 v23, vcc, v23, v19, vcc
	global_load_dwordx2 v[18:19], v[22:23], off glc
	s_waitcnt vmcnt(0)
	v_cmp_eq_u16_sdwa s[36:37], v19, v17 src0_sel:BYTE_0 src1_sel:DWORD
	s_and_saveexec_b64 s[34:35], s[36:37]
	s_cbranch_execz .LBB712_56
; %bb.59:                               ;   in Loop: Header=BB712_57 Depth=1
	s_mov_b64 s[36:37], 0
.LBB712_60:                             ;   Parent Loop BB712_57 Depth=1
                                        ; =>  This Inner Loop Header: Depth=2
	global_load_dwordx2 v[18:19], v[22:23], off glc
	s_waitcnt vmcnt(0)
	v_cmp_ne_u16_sdwa s[38:39], v19, v17 src0_sel:BYTE_0 src1_sel:DWORD
	s_or_b64 s[36:37], s[38:39], s[36:37]
	s_andn2_b64 exec, exec, s[36:37]
	s_cbranch_execnz .LBB712_60
; %bb.61:                               ;   in Loop: Header=BB712_57 Depth=1
	s_or_b64 exec, exec, s[36:37]
	s_branch .LBB712_56
.LBB712_62:                             ;   in Loop: Header=BB712_57 Depth=1
                                        ; implicit-def: $vgpr18
                                        ; implicit-def: $vgpr19
	s_cbranch_execz .LBB712_57
; %bb.63:
	s_and_saveexec_b64 s[34:35], s[16:17]
	s_cbranch_execz .LBB712_65
; %bb.64:
	s_add_i32 s36, s33, 64
	s_mov_b32 s37, 0
	s_lshl_b64 s[36:37], s[36:37], 3
	s_add_u32 s36, s28, s36
	v_add_u32_e32 v16, v15, v14
	v_mov_b32_e32 v17, 2
	s_addc_u32 s37, s29, s37
	v_mov_b32_e32 v18, 0
	global_store_dwordx2 v18, v[16:17], s[36:37]
	ds_write_b64 v18, v[14:15] offset:10240
.LBB712_65:
	s_or_b64 exec, exec, s[34:35]
	s_and_b64 exec, exec, s[0:1]
	s_cbranch_execz .LBB712_67
; %bb.66:
	v_mov_b32_e32 v14, 0
	ds_write_b32 v14, v15 offset:12
.LBB712_67:
	s_or_b64 exec, exec, s[30:31]
	v_mov_b32_e32 v14, 0
	s_waitcnt lgkmcnt(0)
	s_barrier
	ds_read_b32 v15, v14 offset:12
	v_cndmask_b32_e64 v16, v26, v24, s[16:17]
	v_cndmask_b32_e64 v16, v16, 0, s[0:1]
	s_waitcnt lgkmcnt(0)
	s_barrier
	v_add_u32_e32 v26, v15, v16
	ds_read_b64 v[14:15], v14 offset:10240
	v_add_u32_e32 v24, v26, v25
	v_add_u32_e32 v22, v24, v27
	;; [unrolled: 1-line block ×4, first 2 shown]
	v_lshrrev_b64 v[16:17], 24, v[12:13]
	s_branch .LBB712_78
.LBB712_68:
                                        ; implicit-def: $vgpr15
                                        ; implicit-def: $vgpr18
                                        ; implicit-def: $vgpr20
                                        ; implicit-def: $vgpr22
                                        ; implicit-def: $vgpr24
                                        ; implicit-def: $vgpr26
	v_lshrrev_b64 v[16:17], 24, v[12:13]
	s_cbranch_execz .LBB712_78
; %bb.69:
	s_waitcnt lgkmcnt(0)
	v_mov_b32_dpp v14, v32 row_shr:1 row_mask:0xf bank_mask:0xf
	v_cndmask_b32_e64 v14, v14, 0, s[14:15]
	v_add_u32_e32 v14, v14, v32
	s_nop 1
	v_mov_b32_dpp v15, v14 row_shr:2 row_mask:0xf bank_mask:0xf
	v_cndmask_b32_e64 v15, 0, v15, s[12:13]
	v_add_u32_e32 v14, v14, v15
	s_nop 1
	;; [unrolled: 4-line block ×4, first 2 shown]
	v_mov_b32_dpp v15, v14 row_bcast:15 row_mask:0xf bank_mask:0xf
	v_cndmask_b32_e64 v15, v15, 0, s[6:7]
	v_add_u32_e32 v14, v14, v15
	s_nop 1
	v_mov_b32_dpp v15, v14 row_bcast:31 row_mask:0xf bank_mask:0xf
	v_cndmask_b32_e64 v15, 0, v15, s[2:3]
	v_add_u32_e32 v14, v14, v15
	s_and_saveexec_b64 s[2:3], s[4:5]
	s_cbranch_execz .LBB712_71
; %bb.70:
	v_lshlrev_b32_e32 v15, 2, v31
	ds_write_b32 v15, v14
.LBB712_71:
	s_or_b64 exec, exec, s[2:3]
	v_cmp_gt_u32_e32 vcc, 4, v0
	s_waitcnt lgkmcnt(0)
	s_barrier
	s_and_saveexec_b64 s[2:3], vcc
	s_cbranch_execz .LBB712_73
; %bb.72:
	s_movk_i32 s4, 0xffdc
	v_mad_i32_i24 v1, v0, s4, v1
	ds_read_b32 v15, v1
	v_and_b32_e32 v17, 3, v30
	v_cmp_ne_u32_e32 vcc, 0, v17
	s_waitcnt lgkmcnt(0)
	v_mov_b32_dpp v18, v15 row_shr:1 row_mask:0xf bank_mask:0xf
	v_cndmask_b32_e32 v18, 0, v18, vcc
	v_add_u32_e32 v15, v18, v15
	v_cmp_lt_u32_e32 vcc, 1, v17
	s_nop 0
	v_mov_b32_dpp v18, v15 row_shr:2 row_mask:0xf bank_mask:0xf
	v_cndmask_b32_e32 v17, 0, v18, vcc
	v_add_u32_e32 v15, v15, v17
	ds_write_b32 v1, v15
.LBB712_73:
	s_or_b64 exec, exec, s[2:3]
	v_cmp_lt_u32_e32 vcc, 63, v0
	v_mov_b32_e32 v15, 0
	v_mov_b32_e32 v1, 0
	s_waitcnt lgkmcnt(0)
	s_barrier
	s_and_saveexec_b64 s[2:3], vcc
	s_cbranch_execz .LBB712_75
; %bb.74:
	v_lshl_add_u32 v1, v31, 2, -4
	ds_read_b32 v1, v1
.LBB712_75:
	s_or_b64 exec, exec, s[2:3]
	v_add_u32_e32 v17, -1, v30
	v_and_b32_e32 v18, 64, v30
	v_cmp_lt_i32_e32 vcc, v17, v18
	v_cndmask_b32_e32 v17, v17, v30, vcc
	s_waitcnt lgkmcnt(0)
	v_add_u32_e32 v14, v1, v14
	v_lshlrev_b32_e32 v17, 2, v17
	ds_bpermute_b32 v17, v17, v14
	ds_read_b32 v14, v15 offset:12
	s_and_saveexec_b64 s[2:3], s[0:1]
	s_cbranch_execz .LBB712_77
; %bb.76:
	v_mov_b32_e32 v18, 0
	v_mov_b32_e32 v15, 2
	s_waitcnt lgkmcnt(0)
	global_store_dwordx2 v18, v[14:15], s[28:29] offset:512
.LBB712_77:
	s_or_b64 exec, exec, s[2:3]
	v_cmp_eq_u32_e32 vcc, 0, v30
	s_waitcnt lgkmcnt(1)
	v_cndmask_b32_e32 v1, v17, v1, vcc
	v_cndmask_b32_e64 v26, v1, 0, s[0:1]
	v_add_u32_e32 v24, v26, v25
	v_add_u32_e32 v22, v24, v27
	;; [unrolled: 1-line block ×3, first 2 shown]
	v_mov_b32_e32 v15, 0
	v_add_u32_e32 v18, v20, v29
	s_waitcnt lgkmcnt(0)
	s_barrier
.LBB712_78:
	s_movk_i32 s2, 0x101
	s_waitcnt lgkmcnt(0)
	v_cmp_gt_u32_e32 vcc, s2, v14
	v_lshrrev_b32_e32 v1, 8, v12
	s_mov_b64 s[2:3], -1
	s_cbranch_vccnz .LBB712_82
; %bb.79:
	s_and_b64 vcc, exec, s[2:3]
	s_cbranch_vccnz .LBB712_98
.LBB712_80:
	s_and_b64 s[0:1], s[0:1], s[24:25]
	s_and_saveexec_b64 s[2:3], s[0:1]
	s_cbranch_execnz .LBB712_112
.LBB712_81:
	s_endpgm
.LBB712_82:
	v_add_u32_e32 v17, v15, v14
	v_cmp_lt_u32_e32 vcc, v26, v17
	s_or_b64 s[4:5], s[26:27], vcc
	s_and_saveexec_b64 s[2:3], s[4:5]
	s_cbranch_execz .LBB712_85
; %bb.83:
	v_and_b32_e32 v19, 1, v12
	v_cmp_eq_u32_e32 vcc, 1, v19
	s_and_b64 exec, exec, vcc
	s_cbranch_execz .LBB712_85
; %bb.84:
	s_lshl_b64 s[4:5], s[22:23], 3
	s_add_u32 s4, s18, s4
	v_mov_b32_e32 v27, 0
	s_addc_u32 s5, s19, s5
	v_lshlrev_b64 v[28:29], 3, v[26:27]
	v_mov_b32_e32 v19, s5
	v_add_co_u32_e32 v28, vcc, s4, v28
	v_addc_co_u32_e32 v29, vcc, v19, v29, vcc
	global_store_dwordx2 v[28:29], v[6:7], off
.LBB712_85:
	s_or_b64 exec, exec, s[2:3]
	v_cmp_lt_u32_e32 vcc, v24, v17
	s_or_b64 s[4:5], s[26:27], vcc
	s_and_saveexec_b64 s[2:3], s[4:5]
	s_cbranch_execz .LBB712_88
; %bb.86:
	v_and_b32_e32 v19, 1, v1
	v_cmp_eq_u32_e32 vcc, 1, v19
	s_and_b64 exec, exec, vcc
	s_cbranch_execz .LBB712_88
; %bb.87:
	s_lshl_b64 s[4:5], s[22:23], 3
	s_add_u32 s4, s18, s4
	v_mov_b32_e32 v25, 0
	s_addc_u32 s5, s19, s5
	v_lshlrev_b64 v[28:29], 3, v[24:25]
	v_mov_b32_e32 v19, s5
	v_add_co_u32_e32 v28, vcc, s4, v28
	v_addc_co_u32_e32 v29, vcc, v19, v29, vcc
	global_store_dwordx2 v[28:29], v[8:9], off
.LBB712_88:
	s_or_b64 exec, exec, s[2:3]
	v_cmp_lt_u32_e32 vcc, v22, v17
	s_or_b64 s[4:5], s[26:27], vcc
	s_and_saveexec_b64 s[2:3], s[4:5]
	s_cbranch_execz .LBB712_91
; %bb.89:
	v_mov_b32_e32 v19, 1
	v_and_b32_sdwa v19, v19, v12 dst_sel:DWORD dst_unused:UNUSED_PAD src0_sel:DWORD src1_sel:WORD_1
	v_cmp_eq_u32_e32 vcc, 1, v19
	s_and_b64 exec, exec, vcc
	s_cbranch_execz .LBB712_91
; %bb.90:
	s_lshl_b64 s[4:5], s[22:23], 3
	s_add_u32 s4, s18, s4
	v_mov_b32_e32 v23, 0
	s_addc_u32 s5, s19, s5
	v_lshlrev_b64 v[28:29], 3, v[22:23]
	v_mov_b32_e32 v19, s5
	v_add_co_u32_e32 v28, vcc, s4, v28
	v_addc_co_u32_e32 v29, vcc, v19, v29, vcc
	global_store_dwordx2 v[28:29], v[2:3], off
.LBB712_91:
	s_or_b64 exec, exec, s[2:3]
	v_cmp_lt_u32_e32 vcc, v20, v17
	s_or_b64 s[4:5], s[26:27], vcc
	s_and_saveexec_b64 s[2:3], s[4:5]
	s_cbranch_execz .LBB712_94
; %bb.92:
	v_and_b32_e32 v19, 1, v16
	v_cmp_eq_u32_e32 vcc, 1, v19
	s_and_b64 exec, exec, vcc
	s_cbranch_execz .LBB712_94
; %bb.93:
	s_lshl_b64 s[4:5], s[22:23], 3
	s_add_u32 s4, s18, s4
	v_mov_b32_e32 v21, 0
	s_addc_u32 s5, s19, s5
	v_lshlrev_b64 v[28:29], 3, v[20:21]
	v_mov_b32_e32 v19, s5
	v_add_co_u32_e32 v28, vcc, s4, v28
	v_addc_co_u32_e32 v29, vcc, v19, v29, vcc
	global_store_dwordx2 v[28:29], v[4:5], off
.LBB712_94:
	s_or_b64 exec, exec, s[2:3]
	v_cmp_lt_u32_e32 vcc, v18, v17
	s_or_b64 s[4:5], s[26:27], vcc
	s_and_saveexec_b64 s[2:3], s[4:5]
	s_cbranch_execz .LBB712_97
; %bb.95:
	v_and_b32_e32 v17, 1, v13
	v_cmp_eq_u32_e32 vcc, 1, v17
	s_and_b64 exec, exec, vcc
	s_cbranch_execz .LBB712_97
; %bb.96:
	s_lshl_b64 s[4:5], s[22:23], 3
	s_add_u32 s4, s18, s4
	v_mov_b32_e32 v19, 0
	s_addc_u32 s5, s19, s5
	v_lshlrev_b64 v[28:29], 3, v[18:19]
	v_mov_b32_e32 v17, s5
	v_add_co_u32_e32 v28, vcc, s4, v28
	v_addc_co_u32_e32 v29, vcc, v17, v29, vcc
	global_store_dwordx2 v[28:29], v[10:11], off
.LBB712_97:
	s_or_b64 exec, exec, s[2:3]
	s_branch .LBB712_80
.LBB712_98:
	v_and_b32_e32 v17, 1, v12
	v_cmp_eq_u32_e32 vcc, 1, v17
	s_and_saveexec_b64 s[2:3], vcc
	s_cbranch_execz .LBB712_100
; %bb.99:
	v_sub_u32_e32 v17, v26, v15
	v_lshlrev_b32_e32 v17, 3, v17
	ds_write_b64 v17, v[6:7]
.LBB712_100:
	s_or_b64 exec, exec, s[2:3]
	v_and_b32_e32 v1, 1, v1
	v_cmp_eq_u32_e32 vcc, 1, v1
	s_and_saveexec_b64 s[2:3], vcc
	s_cbranch_execz .LBB712_102
; %bb.101:
	v_sub_u32_e32 v1, v24, v15
	v_lshlrev_b32_e32 v1, 3, v1
	ds_write_b64 v1, v[8:9]
.LBB712_102:
	s_or_b64 exec, exec, s[2:3]
	v_mov_b32_e32 v1, 1
	v_and_b32_sdwa v1, v1, v12 dst_sel:DWORD dst_unused:UNUSED_PAD src0_sel:DWORD src1_sel:WORD_1
	v_cmp_eq_u32_e32 vcc, 1, v1
	s_and_saveexec_b64 s[2:3], vcc
	s_cbranch_execz .LBB712_104
; %bb.103:
	v_sub_u32_e32 v1, v22, v15
	v_lshlrev_b32_e32 v1, 3, v1
	ds_write_b64 v1, v[2:3]
.LBB712_104:
	s_or_b64 exec, exec, s[2:3]
	v_and_b32_e32 v1, 1, v16
	v_cmp_eq_u32_e32 vcc, 1, v1
	s_and_saveexec_b64 s[2:3], vcc
	s_cbranch_execz .LBB712_106
; %bb.105:
	v_sub_u32_e32 v1, v20, v15
	v_lshlrev_b32_e32 v1, 3, v1
	ds_write_b64 v1, v[4:5]
.LBB712_106:
	s_or_b64 exec, exec, s[2:3]
	v_and_b32_e32 v1, 1, v13
	v_cmp_eq_u32_e32 vcc, 1, v1
	s_and_saveexec_b64 s[2:3], vcc
	s_cbranch_execz .LBB712_108
; %bb.107:
	v_sub_u32_e32 v1, v18, v15
	v_lshlrev_b32_e32 v1, 3, v1
	ds_write_b64 v1, v[10:11]
.LBB712_108:
	s_or_b64 exec, exec, s[2:3]
	v_cmp_lt_u32_e32 vcc, v0, v14
	s_waitcnt lgkmcnt(0)
	s_barrier
	s_and_saveexec_b64 s[2:3], vcc
	s_cbranch_execz .LBB712_111
; %bb.109:
	v_mov_b32_e32 v1, 0
	v_mov_b32_e32 v2, v15
	;; [unrolled: 1-line block ×3, first 2 shown]
	v_lshlrev_b64 v[2:3], 3, v[2:3]
	v_mov_b32_e32 v4, s19
	v_add_co_u32_e32 v2, vcc, s18, v2
	v_addc_co_u32_e32 v3, vcc, v4, v3, vcc
	s_lshl_b64 s[4:5], s[22:23], 3
	v_mov_b32_e32 v4, s5
	v_add_co_u32_e32 v2, vcc, s4, v2
	v_addc_co_u32_e32 v3, vcc, v3, v4, vcc
	v_lshlrev_b32_e32 v4, 3, v0
	s_mov_b64 s[4:5], 0
.LBB712_110:                            ; =>This Inner Loop Header: Depth=1
	ds_read_b64 v[6:7], v4
	v_lshlrev_b64 v[8:9], 3, v[0:1]
	v_add_co_u32_e32 v8, vcc, v2, v8
	v_add_u32_e32 v0, 0x100, v0
	v_addc_co_u32_e32 v9, vcc, v3, v9, vcc
	v_cmp_ge_u32_e32 vcc, v0, v14
	v_add_u32_e32 v4, 0x800, v4
	s_or_b64 s[4:5], vcc, s[4:5]
	s_waitcnt lgkmcnt(0)
	global_store_dwordx2 v[8:9], v[6:7], off
	s_andn2_b64 exec, exec, s[4:5]
	s_cbranch_execnz .LBB712_110
.LBB712_111:
	s_or_b64 exec, exec, s[2:3]
	s_and_b64 s[0:1], s[0:1], s[24:25]
	s_and_saveexec_b64 s[2:3], s[0:1]
	s_cbranch_execz .LBB712_81
.LBB712_112:
	v_mov_b32_e32 v0, s23
	v_add_co_u32_e32 v1, vcc, s22, v14
	v_addc_co_u32_e32 v3, vcc, 0, v0, vcc
	v_add_co_u32_e32 v0, vcc, v1, v15
	v_mov_b32_e32 v2, 0
	v_addc_co_u32_e32 v1, vcc, 0, v3, vcc
	global_store_dwordx2 v2, v[0:1], s[20:21]
	s_endpgm
	.section	.rodata,"a",@progbits
	.p2align	6, 0x0
	.amdhsa_kernel _ZN7rocprim17ROCPRIM_400000_NS6detail17trampoline_kernelINS0_14default_configENS1_25partition_config_selectorILNS1_17partition_subalgoE8EmNS0_10empty_typeEbEEZZNS1_14partition_implILS5_8ELb0ES3_jPKmPS6_PKS6_NS0_5tupleIJPmS6_EEENSE_IJSB_SB_EEENS0_18inequality_wrapperIN6hipcub16HIPCUB_304000_NS8EqualityEEEPlJS6_EEE10hipError_tPvRmT3_T4_T5_T6_T7_T9_mT8_P12ihipStream_tbDpT10_ENKUlT_T0_E_clISt17integral_constantIbLb0EES16_IbLb1EEEEDaS12_S13_EUlS12_E_NS1_11comp_targetILNS1_3genE4ELNS1_11target_archE910ELNS1_3gpuE8ELNS1_3repE0EEENS1_30default_config_static_selectorELNS0_4arch9wavefront6targetE1EEEvT1_
		.amdhsa_group_segment_fixed_size 10248
		.amdhsa_private_segment_fixed_size 0
		.amdhsa_kernarg_size 128
		.amdhsa_user_sgpr_count 6
		.amdhsa_user_sgpr_private_segment_buffer 1
		.amdhsa_user_sgpr_dispatch_ptr 0
		.amdhsa_user_sgpr_queue_ptr 0
		.amdhsa_user_sgpr_kernarg_segment_ptr 1
		.amdhsa_user_sgpr_dispatch_id 0
		.amdhsa_user_sgpr_flat_scratch_init 0
		.amdhsa_user_sgpr_kernarg_preload_length 0
		.amdhsa_user_sgpr_kernarg_preload_offset 0
		.amdhsa_user_sgpr_private_segment_size 0
		.amdhsa_uses_dynamic_stack 0
		.amdhsa_system_sgpr_private_segment_wavefront_offset 0
		.amdhsa_system_sgpr_workgroup_id_x 1
		.amdhsa_system_sgpr_workgroup_id_y 0
		.amdhsa_system_sgpr_workgroup_id_z 0
		.amdhsa_system_sgpr_workgroup_info 0
		.amdhsa_system_vgpr_workitem_id 0
		.amdhsa_next_free_vgpr 47
		.amdhsa_next_free_sgpr 40
		.amdhsa_accum_offset 48
		.amdhsa_reserve_vcc 1
		.amdhsa_reserve_flat_scratch 0
		.amdhsa_float_round_mode_32 0
		.amdhsa_float_round_mode_16_64 0
		.amdhsa_float_denorm_mode_32 3
		.amdhsa_float_denorm_mode_16_64 3
		.amdhsa_dx10_clamp 1
		.amdhsa_ieee_mode 1
		.amdhsa_fp16_overflow 0
		.amdhsa_tg_split 0
		.amdhsa_exception_fp_ieee_invalid_op 0
		.amdhsa_exception_fp_denorm_src 0
		.amdhsa_exception_fp_ieee_div_zero 0
		.amdhsa_exception_fp_ieee_overflow 0
		.amdhsa_exception_fp_ieee_underflow 0
		.amdhsa_exception_fp_ieee_inexact 0
		.amdhsa_exception_int_div_zero 0
	.end_amdhsa_kernel
	.section	.text._ZN7rocprim17ROCPRIM_400000_NS6detail17trampoline_kernelINS0_14default_configENS1_25partition_config_selectorILNS1_17partition_subalgoE8EmNS0_10empty_typeEbEEZZNS1_14partition_implILS5_8ELb0ES3_jPKmPS6_PKS6_NS0_5tupleIJPmS6_EEENSE_IJSB_SB_EEENS0_18inequality_wrapperIN6hipcub16HIPCUB_304000_NS8EqualityEEEPlJS6_EEE10hipError_tPvRmT3_T4_T5_T6_T7_T9_mT8_P12ihipStream_tbDpT10_ENKUlT_T0_E_clISt17integral_constantIbLb0EES16_IbLb1EEEEDaS12_S13_EUlS12_E_NS1_11comp_targetILNS1_3genE4ELNS1_11target_archE910ELNS1_3gpuE8ELNS1_3repE0EEENS1_30default_config_static_selectorELNS0_4arch9wavefront6targetE1EEEvT1_,"axG",@progbits,_ZN7rocprim17ROCPRIM_400000_NS6detail17trampoline_kernelINS0_14default_configENS1_25partition_config_selectorILNS1_17partition_subalgoE8EmNS0_10empty_typeEbEEZZNS1_14partition_implILS5_8ELb0ES3_jPKmPS6_PKS6_NS0_5tupleIJPmS6_EEENSE_IJSB_SB_EEENS0_18inequality_wrapperIN6hipcub16HIPCUB_304000_NS8EqualityEEEPlJS6_EEE10hipError_tPvRmT3_T4_T5_T6_T7_T9_mT8_P12ihipStream_tbDpT10_ENKUlT_T0_E_clISt17integral_constantIbLb0EES16_IbLb1EEEEDaS12_S13_EUlS12_E_NS1_11comp_targetILNS1_3genE4ELNS1_11target_archE910ELNS1_3gpuE8ELNS1_3repE0EEENS1_30default_config_static_selectorELNS0_4arch9wavefront6targetE1EEEvT1_,comdat
.Lfunc_end712:
	.size	_ZN7rocprim17ROCPRIM_400000_NS6detail17trampoline_kernelINS0_14default_configENS1_25partition_config_selectorILNS1_17partition_subalgoE8EmNS0_10empty_typeEbEEZZNS1_14partition_implILS5_8ELb0ES3_jPKmPS6_PKS6_NS0_5tupleIJPmS6_EEENSE_IJSB_SB_EEENS0_18inequality_wrapperIN6hipcub16HIPCUB_304000_NS8EqualityEEEPlJS6_EEE10hipError_tPvRmT3_T4_T5_T6_T7_T9_mT8_P12ihipStream_tbDpT10_ENKUlT_T0_E_clISt17integral_constantIbLb0EES16_IbLb1EEEEDaS12_S13_EUlS12_E_NS1_11comp_targetILNS1_3genE4ELNS1_11target_archE910ELNS1_3gpuE8ELNS1_3repE0EEENS1_30default_config_static_selectorELNS0_4arch9wavefront6targetE1EEEvT1_, .Lfunc_end712-_ZN7rocprim17ROCPRIM_400000_NS6detail17trampoline_kernelINS0_14default_configENS1_25partition_config_selectorILNS1_17partition_subalgoE8EmNS0_10empty_typeEbEEZZNS1_14partition_implILS5_8ELb0ES3_jPKmPS6_PKS6_NS0_5tupleIJPmS6_EEENSE_IJSB_SB_EEENS0_18inequality_wrapperIN6hipcub16HIPCUB_304000_NS8EqualityEEEPlJS6_EEE10hipError_tPvRmT3_T4_T5_T6_T7_T9_mT8_P12ihipStream_tbDpT10_ENKUlT_T0_E_clISt17integral_constantIbLb0EES16_IbLb1EEEEDaS12_S13_EUlS12_E_NS1_11comp_targetILNS1_3genE4ELNS1_11target_archE910ELNS1_3gpuE8ELNS1_3repE0EEENS1_30default_config_static_selectorELNS0_4arch9wavefront6targetE1EEEvT1_
                                        ; -- End function
	.section	.AMDGPU.csdata,"",@progbits
; Kernel info:
; codeLenInByte = 4748
; NumSgprs: 44
; NumVgprs: 47
; NumAgprs: 0
; TotalNumVgprs: 47
; ScratchSize: 0
; MemoryBound: 0
; FloatMode: 240
; IeeeMode: 1
; LDSByteSize: 10248 bytes/workgroup (compile time only)
; SGPRBlocks: 5
; VGPRBlocks: 5
; NumSGPRsForWavesPerEU: 44
; NumVGPRsForWavesPerEU: 47
; AccumOffset: 48
; Occupancy: 6
; WaveLimiterHint : 1
; COMPUTE_PGM_RSRC2:SCRATCH_EN: 0
; COMPUTE_PGM_RSRC2:USER_SGPR: 6
; COMPUTE_PGM_RSRC2:TRAP_HANDLER: 0
; COMPUTE_PGM_RSRC2:TGID_X_EN: 1
; COMPUTE_PGM_RSRC2:TGID_Y_EN: 0
; COMPUTE_PGM_RSRC2:TGID_Z_EN: 0
; COMPUTE_PGM_RSRC2:TIDIG_COMP_CNT: 0
; COMPUTE_PGM_RSRC3_GFX90A:ACCUM_OFFSET: 11
; COMPUTE_PGM_RSRC3_GFX90A:TG_SPLIT: 0
	.section	.text._ZN7rocprim17ROCPRIM_400000_NS6detail17trampoline_kernelINS0_14default_configENS1_25partition_config_selectorILNS1_17partition_subalgoE8EmNS0_10empty_typeEbEEZZNS1_14partition_implILS5_8ELb0ES3_jPKmPS6_PKS6_NS0_5tupleIJPmS6_EEENSE_IJSB_SB_EEENS0_18inequality_wrapperIN6hipcub16HIPCUB_304000_NS8EqualityEEEPlJS6_EEE10hipError_tPvRmT3_T4_T5_T6_T7_T9_mT8_P12ihipStream_tbDpT10_ENKUlT_T0_E_clISt17integral_constantIbLb0EES16_IbLb1EEEEDaS12_S13_EUlS12_E_NS1_11comp_targetILNS1_3genE3ELNS1_11target_archE908ELNS1_3gpuE7ELNS1_3repE0EEENS1_30default_config_static_selectorELNS0_4arch9wavefront6targetE1EEEvT1_,"axG",@progbits,_ZN7rocprim17ROCPRIM_400000_NS6detail17trampoline_kernelINS0_14default_configENS1_25partition_config_selectorILNS1_17partition_subalgoE8EmNS0_10empty_typeEbEEZZNS1_14partition_implILS5_8ELb0ES3_jPKmPS6_PKS6_NS0_5tupleIJPmS6_EEENSE_IJSB_SB_EEENS0_18inequality_wrapperIN6hipcub16HIPCUB_304000_NS8EqualityEEEPlJS6_EEE10hipError_tPvRmT3_T4_T5_T6_T7_T9_mT8_P12ihipStream_tbDpT10_ENKUlT_T0_E_clISt17integral_constantIbLb0EES16_IbLb1EEEEDaS12_S13_EUlS12_E_NS1_11comp_targetILNS1_3genE3ELNS1_11target_archE908ELNS1_3gpuE7ELNS1_3repE0EEENS1_30default_config_static_selectorELNS0_4arch9wavefront6targetE1EEEvT1_,comdat
	.protected	_ZN7rocprim17ROCPRIM_400000_NS6detail17trampoline_kernelINS0_14default_configENS1_25partition_config_selectorILNS1_17partition_subalgoE8EmNS0_10empty_typeEbEEZZNS1_14partition_implILS5_8ELb0ES3_jPKmPS6_PKS6_NS0_5tupleIJPmS6_EEENSE_IJSB_SB_EEENS0_18inequality_wrapperIN6hipcub16HIPCUB_304000_NS8EqualityEEEPlJS6_EEE10hipError_tPvRmT3_T4_T5_T6_T7_T9_mT8_P12ihipStream_tbDpT10_ENKUlT_T0_E_clISt17integral_constantIbLb0EES16_IbLb1EEEEDaS12_S13_EUlS12_E_NS1_11comp_targetILNS1_3genE3ELNS1_11target_archE908ELNS1_3gpuE7ELNS1_3repE0EEENS1_30default_config_static_selectorELNS0_4arch9wavefront6targetE1EEEvT1_ ; -- Begin function _ZN7rocprim17ROCPRIM_400000_NS6detail17trampoline_kernelINS0_14default_configENS1_25partition_config_selectorILNS1_17partition_subalgoE8EmNS0_10empty_typeEbEEZZNS1_14partition_implILS5_8ELb0ES3_jPKmPS6_PKS6_NS0_5tupleIJPmS6_EEENSE_IJSB_SB_EEENS0_18inequality_wrapperIN6hipcub16HIPCUB_304000_NS8EqualityEEEPlJS6_EEE10hipError_tPvRmT3_T4_T5_T6_T7_T9_mT8_P12ihipStream_tbDpT10_ENKUlT_T0_E_clISt17integral_constantIbLb0EES16_IbLb1EEEEDaS12_S13_EUlS12_E_NS1_11comp_targetILNS1_3genE3ELNS1_11target_archE908ELNS1_3gpuE7ELNS1_3repE0EEENS1_30default_config_static_selectorELNS0_4arch9wavefront6targetE1EEEvT1_
	.globl	_ZN7rocprim17ROCPRIM_400000_NS6detail17trampoline_kernelINS0_14default_configENS1_25partition_config_selectorILNS1_17partition_subalgoE8EmNS0_10empty_typeEbEEZZNS1_14partition_implILS5_8ELb0ES3_jPKmPS6_PKS6_NS0_5tupleIJPmS6_EEENSE_IJSB_SB_EEENS0_18inequality_wrapperIN6hipcub16HIPCUB_304000_NS8EqualityEEEPlJS6_EEE10hipError_tPvRmT3_T4_T5_T6_T7_T9_mT8_P12ihipStream_tbDpT10_ENKUlT_T0_E_clISt17integral_constantIbLb0EES16_IbLb1EEEEDaS12_S13_EUlS12_E_NS1_11comp_targetILNS1_3genE3ELNS1_11target_archE908ELNS1_3gpuE7ELNS1_3repE0EEENS1_30default_config_static_selectorELNS0_4arch9wavefront6targetE1EEEvT1_
	.p2align	8
	.type	_ZN7rocprim17ROCPRIM_400000_NS6detail17trampoline_kernelINS0_14default_configENS1_25partition_config_selectorILNS1_17partition_subalgoE8EmNS0_10empty_typeEbEEZZNS1_14partition_implILS5_8ELb0ES3_jPKmPS6_PKS6_NS0_5tupleIJPmS6_EEENSE_IJSB_SB_EEENS0_18inequality_wrapperIN6hipcub16HIPCUB_304000_NS8EqualityEEEPlJS6_EEE10hipError_tPvRmT3_T4_T5_T6_T7_T9_mT8_P12ihipStream_tbDpT10_ENKUlT_T0_E_clISt17integral_constantIbLb0EES16_IbLb1EEEEDaS12_S13_EUlS12_E_NS1_11comp_targetILNS1_3genE3ELNS1_11target_archE908ELNS1_3gpuE7ELNS1_3repE0EEENS1_30default_config_static_selectorELNS0_4arch9wavefront6targetE1EEEvT1_,@function
_ZN7rocprim17ROCPRIM_400000_NS6detail17trampoline_kernelINS0_14default_configENS1_25partition_config_selectorILNS1_17partition_subalgoE8EmNS0_10empty_typeEbEEZZNS1_14partition_implILS5_8ELb0ES3_jPKmPS6_PKS6_NS0_5tupleIJPmS6_EEENSE_IJSB_SB_EEENS0_18inequality_wrapperIN6hipcub16HIPCUB_304000_NS8EqualityEEEPlJS6_EEE10hipError_tPvRmT3_T4_T5_T6_T7_T9_mT8_P12ihipStream_tbDpT10_ENKUlT_T0_E_clISt17integral_constantIbLb0EES16_IbLb1EEEEDaS12_S13_EUlS12_E_NS1_11comp_targetILNS1_3genE3ELNS1_11target_archE908ELNS1_3gpuE7ELNS1_3repE0EEENS1_30default_config_static_selectorELNS0_4arch9wavefront6targetE1EEEvT1_: ; @_ZN7rocprim17ROCPRIM_400000_NS6detail17trampoline_kernelINS0_14default_configENS1_25partition_config_selectorILNS1_17partition_subalgoE8EmNS0_10empty_typeEbEEZZNS1_14partition_implILS5_8ELb0ES3_jPKmPS6_PKS6_NS0_5tupleIJPmS6_EEENSE_IJSB_SB_EEENS0_18inequality_wrapperIN6hipcub16HIPCUB_304000_NS8EqualityEEEPlJS6_EEE10hipError_tPvRmT3_T4_T5_T6_T7_T9_mT8_P12ihipStream_tbDpT10_ENKUlT_T0_E_clISt17integral_constantIbLb0EES16_IbLb1EEEEDaS12_S13_EUlS12_E_NS1_11comp_targetILNS1_3genE3ELNS1_11target_archE908ELNS1_3gpuE7ELNS1_3repE0EEENS1_30default_config_static_selectorELNS0_4arch9wavefront6targetE1EEEvT1_
; %bb.0:
	.section	.rodata,"a",@progbits
	.p2align	6, 0x0
	.amdhsa_kernel _ZN7rocprim17ROCPRIM_400000_NS6detail17trampoline_kernelINS0_14default_configENS1_25partition_config_selectorILNS1_17partition_subalgoE8EmNS0_10empty_typeEbEEZZNS1_14partition_implILS5_8ELb0ES3_jPKmPS6_PKS6_NS0_5tupleIJPmS6_EEENSE_IJSB_SB_EEENS0_18inequality_wrapperIN6hipcub16HIPCUB_304000_NS8EqualityEEEPlJS6_EEE10hipError_tPvRmT3_T4_T5_T6_T7_T9_mT8_P12ihipStream_tbDpT10_ENKUlT_T0_E_clISt17integral_constantIbLb0EES16_IbLb1EEEEDaS12_S13_EUlS12_E_NS1_11comp_targetILNS1_3genE3ELNS1_11target_archE908ELNS1_3gpuE7ELNS1_3repE0EEENS1_30default_config_static_selectorELNS0_4arch9wavefront6targetE1EEEvT1_
		.amdhsa_group_segment_fixed_size 0
		.amdhsa_private_segment_fixed_size 0
		.amdhsa_kernarg_size 128
		.amdhsa_user_sgpr_count 6
		.amdhsa_user_sgpr_private_segment_buffer 1
		.amdhsa_user_sgpr_dispatch_ptr 0
		.amdhsa_user_sgpr_queue_ptr 0
		.amdhsa_user_sgpr_kernarg_segment_ptr 1
		.amdhsa_user_sgpr_dispatch_id 0
		.amdhsa_user_sgpr_flat_scratch_init 0
		.amdhsa_user_sgpr_kernarg_preload_length 0
		.amdhsa_user_sgpr_kernarg_preload_offset 0
		.amdhsa_user_sgpr_private_segment_size 0
		.amdhsa_uses_dynamic_stack 0
		.amdhsa_system_sgpr_private_segment_wavefront_offset 0
		.amdhsa_system_sgpr_workgroup_id_x 1
		.amdhsa_system_sgpr_workgroup_id_y 0
		.amdhsa_system_sgpr_workgroup_id_z 0
		.amdhsa_system_sgpr_workgroup_info 0
		.amdhsa_system_vgpr_workitem_id 0
		.amdhsa_next_free_vgpr 1
		.amdhsa_next_free_sgpr 0
		.amdhsa_accum_offset 4
		.amdhsa_reserve_vcc 0
		.amdhsa_reserve_flat_scratch 0
		.amdhsa_float_round_mode_32 0
		.amdhsa_float_round_mode_16_64 0
		.amdhsa_float_denorm_mode_32 3
		.amdhsa_float_denorm_mode_16_64 3
		.amdhsa_dx10_clamp 1
		.amdhsa_ieee_mode 1
		.amdhsa_fp16_overflow 0
		.amdhsa_tg_split 0
		.amdhsa_exception_fp_ieee_invalid_op 0
		.amdhsa_exception_fp_denorm_src 0
		.amdhsa_exception_fp_ieee_div_zero 0
		.amdhsa_exception_fp_ieee_overflow 0
		.amdhsa_exception_fp_ieee_underflow 0
		.amdhsa_exception_fp_ieee_inexact 0
		.amdhsa_exception_int_div_zero 0
	.end_amdhsa_kernel
	.section	.text._ZN7rocprim17ROCPRIM_400000_NS6detail17trampoline_kernelINS0_14default_configENS1_25partition_config_selectorILNS1_17partition_subalgoE8EmNS0_10empty_typeEbEEZZNS1_14partition_implILS5_8ELb0ES3_jPKmPS6_PKS6_NS0_5tupleIJPmS6_EEENSE_IJSB_SB_EEENS0_18inequality_wrapperIN6hipcub16HIPCUB_304000_NS8EqualityEEEPlJS6_EEE10hipError_tPvRmT3_T4_T5_T6_T7_T9_mT8_P12ihipStream_tbDpT10_ENKUlT_T0_E_clISt17integral_constantIbLb0EES16_IbLb1EEEEDaS12_S13_EUlS12_E_NS1_11comp_targetILNS1_3genE3ELNS1_11target_archE908ELNS1_3gpuE7ELNS1_3repE0EEENS1_30default_config_static_selectorELNS0_4arch9wavefront6targetE1EEEvT1_,"axG",@progbits,_ZN7rocprim17ROCPRIM_400000_NS6detail17trampoline_kernelINS0_14default_configENS1_25partition_config_selectorILNS1_17partition_subalgoE8EmNS0_10empty_typeEbEEZZNS1_14partition_implILS5_8ELb0ES3_jPKmPS6_PKS6_NS0_5tupleIJPmS6_EEENSE_IJSB_SB_EEENS0_18inequality_wrapperIN6hipcub16HIPCUB_304000_NS8EqualityEEEPlJS6_EEE10hipError_tPvRmT3_T4_T5_T6_T7_T9_mT8_P12ihipStream_tbDpT10_ENKUlT_T0_E_clISt17integral_constantIbLb0EES16_IbLb1EEEEDaS12_S13_EUlS12_E_NS1_11comp_targetILNS1_3genE3ELNS1_11target_archE908ELNS1_3gpuE7ELNS1_3repE0EEENS1_30default_config_static_selectorELNS0_4arch9wavefront6targetE1EEEvT1_,comdat
.Lfunc_end713:
	.size	_ZN7rocprim17ROCPRIM_400000_NS6detail17trampoline_kernelINS0_14default_configENS1_25partition_config_selectorILNS1_17partition_subalgoE8EmNS0_10empty_typeEbEEZZNS1_14partition_implILS5_8ELb0ES3_jPKmPS6_PKS6_NS0_5tupleIJPmS6_EEENSE_IJSB_SB_EEENS0_18inequality_wrapperIN6hipcub16HIPCUB_304000_NS8EqualityEEEPlJS6_EEE10hipError_tPvRmT3_T4_T5_T6_T7_T9_mT8_P12ihipStream_tbDpT10_ENKUlT_T0_E_clISt17integral_constantIbLb0EES16_IbLb1EEEEDaS12_S13_EUlS12_E_NS1_11comp_targetILNS1_3genE3ELNS1_11target_archE908ELNS1_3gpuE7ELNS1_3repE0EEENS1_30default_config_static_selectorELNS0_4arch9wavefront6targetE1EEEvT1_, .Lfunc_end713-_ZN7rocprim17ROCPRIM_400000_NS6detail17trampoline_kernelINS0_14default_configENS1_25partition_config_selectorILNS1_17partition_subalgoE8EmNS0_10empty_typeEbEEZZNS1_14partition_implILS5_8ELb0ES3_jPKmPS6_PKS6_NS0_5tupleIJPmS6_EEENSE_IJSB_SB_EEENS0_18inequality_wrapperIN6hipcub16HIPCUB_304000_NS8EqualityEEEPlJS6_EEE10hipError_tPvRmT3_T4_T5_T6_T7_T9_mT8_P12ihipStream_tbDpT10_ENKUlT_T0_E_clISt17integral_constantIbLb0EES16_IbLb1EEEEDaS12_S13_EUlS12_E_NS1_11comp_targetILNS1_3genE3ELNS1_11target_archE908ELNS1_3gpuE7ELNS1_3repE0EEENS1_30default_config_static_selectorELNS0_4arch9wavefront6targetE1EEEvT1_
                                        ; -- End function
	.section	.AMDGPU.csdata,"",@progbits
; Kernel info:
; codeLenInByte = 0
; NumSgprs: 4
; NumVgprs: 0
; NumAgprs: 0
; TotalNumVgprs: 0
; ScratchSize: 0
; MemoryBound: 0
; FloatMode: 240
; IeeeMode: 1
; LDSByteSize: 0 bytes/workgroup (compile time only)
; SGPRBlocks: 0
; VGPRBlocks: 0
; NumSGPRsForWavesPerEU: 4
; NumVGPRsForWavesPerEU: 1
; AccumOffset: 4
; Occupancy: 8
; WaveLimiterHint : 0
; COMPUTE_PGM_RSRC2:SCRATCH_EN: 0
; COMPUTE_PGM_RSRC2:USER_SGPR: 6
; COMPUTE_PGM_RSRC2:TRAP_HANDLER: 0
; COMPUTE_PGM_RSRC2:TGID_X_EN: 1
; COMPUTE_PGM_RSRC2:TGID_Y_EN: 0
; COMPUTE_PGM_RSRC2:TGID_Z_EN: 0
; COMPUTE_PGM_RSRC2:TIDIG_COMP_CNT: 0
; COMPUTE_PGM_RSRC3_GFX90A:ACCUM_OFFSET: 0
; COMPUTE_PGM_RSRC3_GFX90A:TG_SPLIT: 0
	.section	.text._ZN7rocprim17ROCPRIM_400000_NS6detail17trampoline_kernelINS0_14default_configENS1_25partition_config_selectorILNS1_17partition_subalgoE8EmNS0_10empty_typeEbEEZZNS1_14partition_implILS5_8ELb0ES3_jPKmPS6_PKS6_NS0_5tupleIJPmS6_EEENSE_IJSB_SB_EEENS0_18inequality_wrapperIN6hipcub16HIPCUB_304000_NS8EqualityEEEPlJS6_EEE10hipError_tPvRmT3_T4_T5_T6_T7_T9_mT8_P12ihipStream_tbDpT10_ENKUlT_T0_E_clISt17integral_constantIbLb0EES16_IbLb1EEEEDaS12_S13_EUlS12_E_NS1_11comp_targetILNS1_3genE2ELNS1_11target_archE906ELNS1_3gpuE6ELNS1_3repE0EEENS1_30default_config_static_selectorELNS0_4arch9wavefront6targetE1EEEvT1_,"axG",@progbits,_ZN7rocprim17ROCPRIM_400000_NS6detail17trampoline_kernelINS0_14default_configENS1_25partition_config_selectorILNS1_17partition_subalgoE8EmNS0_10empty_typeEbEEZZNS1_14partition_implILS5_8ELb0ES3_jPKmPS6_PKS6_NS0_5tupleIJPmS6_EEENSE_IJSB_SB_EEENS0_18inequality_wrapperIN6hipcub16HIPCUB_304000_NS8EqualityEEEPlJS6_EEE10hipError_tPvRmT3_T4_T5_T6_T7_T9_mT8_P12ihipStream_tbDpT10_ENKUlT_T0_E_clISt17integral_constantIbLb0EES16_IbLb1EEEEDaS12_S13_EUlS12_E_NS1_11comp_targetILNS1_3genE2ELNS1_11target_archE906ELNS1_3gpuE6ELNS1_3repE0EEENS1_30default_config_static_selectorELNS0_4arch9wavefront6targetE1EEEvT1_,comdat
	.protected	_ZN7rocprim17ROCPRIM_400000_NS6detail17trampoline_kernelINS0_14default_configENS1_25partition_config_selectorILNS1_17partition_subalgoE8EmNS0_10empty_typeEbEEZZNS1_14partition_implILS5_8ELb0ES3_jPKmPS6_PKS6_NS0_5tupleIJPmS6_EEENSE_IJSB_SB_EEENS0_18inequality_wrapperIN6hipcub16HIPCUB_304000_NS8EqualityEEEPlJS6_EEE10hipError_tPvRmT3_T4_T5_T6_T7_T9_mT8_P12ihipStream_tbDpT10_ENKUlT_T0_E_clISt17integral_constantIbLb0EES16_IbLb1EEEEDaS12_S13_EUlS12_E_NS1_11comp_targetILNS1_3genE2ELNS1_11target_archE906ELNS1_3gpuE6ELNS1_3repE0EEENS1_30default_config_static_selectorELNS0_4arch9wavefront6targetE1EEEvT1_ ; -- Begin function _ZN7rocprim17ROCPRIM_400000_NS6detail17trampoline_kernelINS0_14default_configENS1_25partition_config_selectorILNS1_17partition_subalgoE8EmNS0_10empty_typeEbEEZZNS1_14partition_implILS5_8ELb0ES3_jPKmPS6_PKS6_NS0_5tupleIJPmS6_EEENSE_IJSB_SB_EEENS0_18inequality_wrapperIN6hipcub16HIPCUB_304000_NS8EqualityEEEPlJS6_EEE10hipError_tPvRmT3_T4_T5_T6_T7_T9_mT8_P12ihipStream_tbDpT10_ENKUlT_T0_E_clISt17integral_constantIbLb0EES16_IbLb1EEEEDaS12_S13_EUlS12_E_NS1_11comp_targetILNS1_3genE2ELNS1_11target_archE906ELNS1_3gpuE6ELNS1_3repE0EEENS1_30default_config_static_selectorELNS0_4arch9wavefront6targetE1EEEvT1_
	.globl	_ZN7rocprim17ROCPRIM_400000_NS6detail17trampoline_kernelINS0_14default_configENS1_25partition_config_selectorILNS1_17partition_subalgoE8EmNS0_10empty_typeEbEEZZNS1_14partition_implILS5_8ELb0ES3_jPKmPS6_PKS6_NS0_5tupleIJPmS6_EEENSE_IJSB_SB_EEENS0_18inequality_wrapperIN6hipcub16HIPCUB_304000_NS8EqualityEEEPlJS6_EEE10hipError_tPvRmT3_T4_T5_T6_T7_T9_mT8_P12ihipStream_tbDpT10_ENKUlT_T0_E_clISt17integral_constantIbLb0EES16_IbLb1EEEEDaS12_S13_EUlS12_E_NS1_11comp_targetILNS1_3genE2ELNS1_11target_archE906ELNS1_3gpuE6ELNS1_3repE0EEENS1_30default_config_static_selectorELNS0_4arch9wavefront6targetE1EEEvT1_
	.p2align	8
	.type	_ZN7rocprim17ROCPRIM_400000_NS6detail17trampoline_kernelINS0_14default_configENS1_25partition_config_selectorILNS1_17partition_subalgoE8EmNS0_10empty_typeEbEEZZNS1_14partition_implILS5_8ELb0ES3_jPKmPS6_PKS6_NS0_5tupleIJPmS6_EEENSE_IJSB_SB_EEENS0_18inequality_wrapperIN6hipcub16HIPCUB_304000_NS8EqualityEEEPlJS6_EEE10hipError_tPvRmT3_T4_T5_T6_T7_T9_mT8_P12ihipStream_tbDpT10_ENKUlT_T0_E_clISt17integral_constantIbLb0EES16_IbLb1EEEEDaS12_S13_EUlS12_E_NS1_11comp_targetILNS1_3genE2ELNS1_11target_archE906ELNS1_3gpuE6ELNS1_3repE0EEENS1_30default_config_static_selectorELNS0_4arch9wavefront6targetE1EEEvT1_,@function
_ZN7rocprim17ROCPRIM_400000_NS6detail17trampoline_kernelINS0_14default_configENS1_25partition_config_selectorILNS1_17partition_subalgoE8EmNS0_10empty_typeEbEEZZNS1_14partition_implILS5_8ELb0ES3_jPKmPS6_PKS6_NS0_5tupleIJPmS6_EEENSE_IJSB_SB_EEENS0_18inequality_wrapperIN6hipcub16HIPCUB_304000_NS8EqualityEEEPlJS6_EEE10hipError_tPvRmT3_T4_T5_T6_T7_T9_mT8_P12ihipStream_tbDpT10_ENKUlT_T0_E_clISt17integral_constantIbLb0EES16_IbLb1EEEEDaS12_S13_EUlS12_E_NS1_11comp_targetILNS1_3genE2ELNS1_11target_archE906ELNS1_3gpuE6ELNS1_3repE0EEENS1_30default_config_static_selectorELNS0_4arch9wavefront6targetE1EEEvT1_: ; @_ZN7rocprim17ROCPRIM_400000_NS6detail17trampoline_kernelINS0_14default_configENS1_25partition_config_selectorILNS1_17partition_subalgoE8EmNS0_10empty_typeEbEEZZNS1_14partition_implILS5_8ELb0ES3_jPKmPS6_PKS6_NS0_5tupleIJPmS6_EEENSE_IJSB_SB_EEENS0_18inequality_wrapperIN6hipcub16HIPCUB_304000_NS8EqualityEEEPlJS6_EEE10hipError_tPvRmT3_T4_T5_T6_T7_T9_mT8_P12ihipStream_tbDpT10_ENKUlT_T0_E_clISt17integral_constantIbLb0EES16_IbLb1EEEEDaS12_S13_EUlS12_E_NS1_11comp_targetILNS1_3genE2ELNS1_11target_archE906ELNS1_3gpuE6ELNS1_3repE0EEENS1_30default_config_static_selectorELNS0_4arch9wavefront6targetE1EEEvT1_
; %bb.0:
	.section	.rodata,"a",@progbits
	.p2align	6, 0x0
	.amdhsa_kernel _ZN7rocprim17ROCPRIM_400000_NS6detail17trampoline_kernelINS0_14default_configENS1_25partition_config_selectorILNS1_17partition_subalgoE8EmNS0_10empty_typeEbEEZZNS1_14partition_implILS5_8ELb0ES3_jPKmPS6_PKS6_NS0_5tupleIJPmS6_EEENSE_IJSB_SB_EEENS0_18inequality_wrapperIN6hipcub16HIPCUB_304000_NS8EqualityEEEPlJS6_EEE10hipError_tPvRmT3_T4_T5_T6_T7_T9_mT8_P12ihipStream_tbDpT10_ENKUlT_T0_E_clISt17integral_constantIbLb0EES16_IbLb1EEEEDaS12_S13_EUlS12_E_NS1_11comp_targetILNS1_3genE2ELNS1_11target_archE906ELNS1_3gpuE6ELNS1_3repE0EEENS1_30default_config_static_selectorELNS0_4arch9wavefront6targetE1EEEvT1_
		.amdhsa_group_segment_fixed_size 0
		.amdhsa_private_segment_fixed_size 0
		.amdhsa_kernarg_size 128
		.amdhsa_user_sgpr_count 6
		.amdhsa_user_sgpr_private_segment_buffer 1
		.amdhsa_user_sgpr_dispatch_ptr 0
		.amdhsa_user_sgpr_queue_ptr 0
		.amdhsa_user_sgpr_kernarg_segment_ptr 1
		.amdhsa_user_sgpr_dispatch_id 0
		.amdhsa_user_sgpr_flat_scratch_init 0
		.amdhsa_user_sgpr_kernarg_preload_length 0
		.amdhsa_user_sgpr_kernarg_preload_offset 0
		.amdhsa_user_sgpr_private_segment_size 0
		.amdhsa_uses_dynamic_stack 0
		.amdhsa_system_sgpr_private_segment_wavefront_offset 0
		.amdhsa_system_sgpr_workgroup_id_x 1
		.amdhsa_system_sgpr_workgroup_id_y 0
		.amdhsa_system_sgpr_workgroup_id_z 0
		.amdhsa_system_sgpr_workgroup_info 0
		.amdhsa_system_vgpr_workitem_id 0
		.amdhsa_next_free_vgpr 1
		.amdhsa_next_free_sgpr 0
		.amdhsa_accum_offset 4
		.amdhsa_reserve_vcc 0
		.amdhsa_reserve_flat_scratch 0
		.amdhsa_float_round_mode_32 0
		.amdhsa_float_round_mode_16_64 0
		.amdhsa_float_denorm_mode_32 3
		.amdhsa_float_denorm_mode_16_64 3
		.amdhsa_dx10_clamp 1
		.amdhsa_ieee_mode 1
		.amdhsa_fp16_overflow 0
		.amdhsa_tg_split 0
		.amdhsa_exception_fp_ieee_invalid_op 0
		.amdhsa_exception_fp_denorm_src 0
		.amdhsa_exception_fp_ieee_div_zero 0
		.amdhsa_exception_fp_ieee_overflow 0
		.amdhsa_exception_fp_ieee_underflow 0
		.amdhsa_exception_fp_ieee_inexact 0
		.amdhsa_exception_int_div_zero 0
	.end_amdhsa_kernel
	.section	.text._ZN7rocprim17ROCPRIM_400000_NS6detail17trampoline_kernelINS0_14default_configENS1_25partition_config_selectorILNS1_17partition_subalgoE8EmNS0_10empty_typeEbEEZZNS1_14partition_implILS5_8ELb0ES3_jPKmPS6_PKS6_NS0_5tupleIJPmS6_EEENSE_IJSB_SB_EEENS0_18inequality_wrapperIN6hipcub16HIPCUB_304000_NS8EqualityEEEPlJS6_EEE10hipError_tPvRmT3_T4_T5_T6_T7_T9_mT8_P12ihipStream_tbDpT10_ENKUlT_T0_E_clISt17integral_constantIbLb0EES16_IbLb1EEEEDaS12_S13_EUlS12_E_NS1_11comp_targetILNS1_3genE2ELNS1_11target_archE906ELNS1_3gpuE6ELNS1_3repE0EEENS1_30default_config_static_selectorELNS0_4arch9wavefront6targetE1EEEvT1_,"axG",@progbits,_ZN7rocprim17ROCPRIM_400000_NS6detail17trampoline_kernelINS0_14default_configENS1_25partition_config_selectorILNS1_17partition_subalgoE8EmNS0_10empty_typeEbEEZZNS1_14partition_implILS5_8ELb0ES3_jPKmPS6_PKS6_NS0_5tupleIJPmS6_EEENSE_IJSB_SB_EEENS0_18inequality_wrapperIN6hipcub16HIPCUB_304000_NS8EqualityEEEPlJS6_EEE10hipError_tPvRmT3_T4_T5_T6_T7_T9_mT8_P12ihipStream_tbDpT10_ENKUlT_T0_E_clISt17integral_constantIbLb0EES16_IbLb1EEEEDaS12_S13_EUlS12_E_NS1_11comp_targetILNS1_3genE2ELNS1_11target_archE906ELNS1_3gpuE6ELNS1_3repE0EEENS1_30default_config_static_selectorELNS0_4arch9wavefront6targetE1EEEvT1_,comdat
.Lfunc_end714:
	.size	_ZN7rocprim17ROCPRIM_400000_NS6detail17trampoline_kernelINS0_14default_configENS1_25partition_config_selectorILNS1_17partition_subalgoE8EmNS0_10empty_typeEbEEZZNS1_14partition_implILS5_8ELb0ES3_jPKmPS6_PKS6_NS0_5tupleIJPmS6_EEENSE_IJSB_SB_EEENS0_18inequality_wrapperIN6hipcub16HIPCUB_304000_NS8EqualityEEEPlJS6_EEE10hipError_tPvRmT3_T4_T5_T6_T7_T9_mT8_P12ihipStream_tbDpT10_ENKUlT_T0_E_clISt17integral_constantIbLb0EES16_IbLb1EEEEDaS12_S13_EUlS12_E_NS1_11comp_targetILNS1_3genE2ELNS1_11target_archE906ELNS1_3gpuE6ELNS1_3repE0EEENS1_30default_config_static_selectorELNS0_4arch9wavefront6targetE1EEEvT1_, .Lfunc_end714-_ZN7rocprim17ROCPRIM_400000_NS6detail17trampoline_kernelINS0_14default_configENS1_25partition_config_selectorILNS1_17partition_subalgoE8EmNS0_10empty_typeEbEEZZNS1_14partition_implILS5_8ELb0ES3_jPKmPS6_PKS6_NS0_5tupleIJPmS6_EEENSE_IJSB_SB_EEENS0_18inequality_wrapperIN6hipcub16HIPCUB_304000_NS8EqualityEEEPlJS6_EEE10hipError_tPvRmT3_T4_T5_T6_T7_T9_mT8_P12ihipStream_tbDpT10_ENKUlT_T0_E_clISt17integral_constantIbLb0EES16_IbLb1EEEEDaS12_S13_EUlS12_E_NS1_11comp_targetILNS1_3genE2ELNS1_11target_archE906ELNS1_3gpuE6ELNS1_3repE0EEENS1_30default_config_static_selectorELNS0_4arch9wavefront6targetE1EEEvT1_
                                        ; -- End function
	.section	.AMDGPU.csdata,"",@progbits
; Kernel info:
; codeLenInByte = 0
; NumSgprs: 4
; NumVgprs: 0
; NumAgprs: 0
; TotalNumVgprs: 0
; ScratchSize: 0
; MemoryBound: 0
; FloatMode: 240
; IeeeMode: 1
; LDSByteSize: 0 bytes/workgroup (compile time only)
; SGPRBlocks: 0
; VGPRBlocks: 0
; NumSGPRsForWavesPerEU: 4
; NumVGPRsForWavesPerEU: 1
; AccumOffset: 4
; Occupancy: 8
; WaveLimiterHint : 0
; COMPUTE_PGM_RSRC2:SCRATCH_EN: 0
; COMPUTE_PGM_RSRC2:USER_SGPR: 6
; COMPUTE_PGM_RSRC2:TRAP_HANDLER: 0
; COMPUTE_PGM_RSRC2:TGID_X_EN: 1
; COMPUTE_PGM_RSRC2:TGID_Y_EN: 0
; COMPUTE_PGM_RSRC2:TGID_Z_EN: 0
; COMPUTE_PGM_RSRC2:TIDIG_COMP_CNT: 0
; COMPUTE_PGM_RSRC3_GFX90A:ACCUM_OFFSET: 0
; COMPUTE_PGM_RSRC3_GFX90A:TG_SPLIT: 0
	.section	.text._ZN7rocprim17ROCPRIM_400000_NS6detail17trampoline_kernelINS0_14default_configENS1_25partition_config_selectorILNS1_17partition_subalgoE8EmNS0_10empty_typeEbEEZZNS1_14partition_implILS5_8ELb0ES3_jPKmPS6_PKS6_NS0_5tupleIJPmS6_EEENSE_IJSB_SB_EEENS0_18inequality_wrapperIN6hipcub16HIPCUB_304000_NS8EqualityEEEPlJS6_EEE10hipError_tPvRmT3_T4_T5_T6_T7_T9_mT8_P12ihipStream_tbDpT10_ENKUlT_T0_E_clISt17integral_constantIbLb0EES16_IbLb1EEEEDaS12_S13_EUlS12_E_NS1_11comp_targetILNS1_3genE10ELNS1_11target_archE1200ELNS1_3gpuE4ELNS1_3repE0EEENS1_30default_config_static_selectorELNS0_4arch9wavefront6targetE1EEEvT1_,"axG",@progbits,_ZN7rocprim17ROCPRIM_400000_NS6detail17trampoline_kernelINS0_14default_configENS1_25partition_config_selectorILNS1_17partition_subalgoE8EmNS0_10empty_typeEbEEZZNS1_14partition_implILS5_8ELb0ES3_jPKmPS6_PKS6_NS0_5tupleIJPmS6_EEENSE_IJSB_SB_EEENS0_18inequality_wrapperIN6hipcub16HIPCUB_304000_NS8EqualityEEEPlJS6_EEE10hipError_tPvRmT3_T4_T5_T6_T7_T9_mT8_P12ihipStream_tbDpT10_ENKUlT_T0_E_clISt17integral_constantIbLb0EES16_IbLb1EEEEDaS12_S13_EUlS12_E_NS1_11comp_targetILNS1_3genE10ELNS1_11target_archE1200ELNS1_3gpuE4ELNS1_3repE0EEENS1_30default_config_static_selectorELNS0_4arch9wavefront6targetE1EEEvT1_,comdat
	.protected	_ZN7rocprim17ROCPRIM_400000_NS6detail17trampoline_kernelINS0_14default_configENS1_25partition_config_selectorILNS1_17partition_subalgoE8EmNS0_10empty_typeEbEEZZNS1_14partition_implILS5_8ELb0ES3_jPKmPS6_PKS6_NS0_5tupleIJPmS6_EEENSE_IJSB_SB_EEENS0_18inequality_wrapperIN6hipcub16HIPCUB_304000_NS8EqualityEEEPlJS6_EEE10hipError_tPvRmT3_T4_T5_T6_T7_T9_mT8_P12ihipStream_tbDpT10_ENKUlT_T0_E_clISt17integral_constantIbLb0EES16_IbLb1EEEEDaS12_S13_EUlS12_E_NS1_11comp_targetILNS1_3genE10ELNS1_11target_archE1200ELNS1_3gpuE4ELNS1_3repE0EEENS1_30default_config_static_selectorELNS0_4arch9wavefront6targetE1EEEvT1_ ; -- Begin function _ZN7rocprim17ROCPRIM_400000_NS6detail17trampoline_kernelINS0_14default_configENS1_25partition_config_selectorILNS1_17partition_subalgoE8EmNS0_10empty_typeEbEEZZNS1_14partition_implILS5_8ELb0ES3_jPKmPS6_PKS6_NS0_5tupleIJPmS6_EEENSE_IJSB_SB_EEENS0_18inequality_wrapperIN6hipcub16HIPCUB_304000_NS8EqualityEEEPlJS6_EEE10hipError_tPvRmT3_T4_T5_T6_T7_T9_mT8_P12ihipStream_tbDpT10_ENKUlT_T0_E_clISt17integral_constantIbLb0EES16_IbLb1EEEEDaS12_S13_EUlS12_E_NS1_11comp_targetILNS1_3genE10ELNS1_11target_archE1200ELNS1_3gpuE4ELNS1_3repE0EEENS1_30default_config_static_selectorELNS0_4arch9wavefront6targetE1EEEvT1_
	.globl	_ZN7rocprim17ROCPRIM_400000_NS6detail17trampoline_kernelINS0_14default_configENS1_25partition_config_selectorILNS1_17partition_subalgoE8EmNS0_10empty_typeEbEEZZNS1_14partition_implILS5_8ELb0ES3_jPKmPS6_PKS6_NS0_5tupleIJPmS6_EEENSE_IJSB_SB_EEENS0_18inequality_wrapperIN6hipcub16HIPCUB_304000_NS8EqualityEEEPlJS6_EEE10hipError_tPvRmT3_T4_T5_T6_T7_T9_mT8_P12ihipStream_tbDpT10_ENKUlT_T0_E_clISt17integral_constantIbLb0EES16_IbLb1EEEEDaS12_S13_EUlS12_E_NS1_11comp_targetILNS1_3genE10ELNS1_11target_archE1200ELNS1_3gpuE4ELNS1_3repE0EEENS1_30default_config_static_selectorELNS0_4arch9wavefront6targetE1EEEvT1_
	.p2align	8
	.type	_ZN7rocprim17ROCPRIM_400000_NS6detail17trampoline_kernelINS0_14default_configENS1_25partition_config_selectorILNS1_17partition_subalgoE8EmNS0_10empty_typeEbEEZZNS1_14partition_implILS5_8ELb0ES3_jPKmPS6_PKS6_NS0_5tupleIJPmS6_EEENSE_IJSB_SB_EEENS0_18inequality_wrapperIN6hipcub16HIPCUB_304000_NS8EqualityEEEPlJS6_EEE10hipError_tPvRmT3_T4_T5_T6_T7_T9_mT8_P12ihipStream_tbDpT10_ENKUlT_T0_E_clISt17integral_constantIbLb0EES16_IbLb1EEEEDaS12_S13_EUlS12_E_NS1_11comp_targetILNS1_3genE10ELNS1_11target_archE1200ELNS1_3gpuE4ELNS1_3repE0EEENS1_30default_config_static_selectorELNS0_4arch9wavefront6targetE1EEEvT1_,@function
_ZN7rocprim17ROCPRIM_400000_NS6detail17trampoline_kernelINS0_14default_configENS1_25partition_config_selectorILNS1_17partition_subalgoE8EmNS0_10empty_typeEbEEZZNS1_14partition_implILS5_8ELb0ES3_jPKmPS6_PKS6_NS0_5tupleIJPmS6_EEENSE_IJSB_SB_EEENS0_18inequality_wrapperIN6hipcub16HIPCUB_304000_NS8EqualityEEEPlJS6_EEE10hipError_tPvRmT3_T4_T5_T6_T7_T9_mT8_P12ihipStream_tbDpT10_ENKUlT_T0_E_clISt17integral_constantIbLb0EES16_IbLb1EEEEDaS12_S13_EUlS12_E_NS1_11comp_targetILNS1_3genE10ELNS1_11target_archE1200ELNS1_3gpuE4ELNS1_3repE0EEENS1_30default_config_static_selectorELNS0_4arch9wavefront6targetE1EEEvT1_: ; @_ZN7rocprim17ROCPRIM_400000_NS6detail17trampoline_kernelINS0_14default_configENS1_25partition_config_selectorILNS1_17partition_subalgoE8EmNS0_10empty_typeEbEEZZNS1_14partition_implILS5_8ELb0ES3_jPKmPS6_PKS6_NS0_5tupleIJPmS6_EEENSE_IJSB_SB_EEENS0_18inequality_wrapperIN6hipcub16HIPCUB_304000_NS8EqualityEEEPlJS6_EEE10hipError_tPvRmT3_T4_T5_T6_T7_T9_mT8_P12ihipStream_tbDpT10_ENKUlT_T0_E_clISt17integral_constantIbLb0EES16_IbLb1EEEEDaS12_S13_EUlS12_E_NS1_11comp_targetILNS1_3genE10ELNS1_11target_archE1200ELNS1_3gpuE4ELNS1_3repE0EEENS1_30default_config_static_selectorELNS0_4arch9wavefront6targetE1EEEvT1_
; %bb.0:
	.section	.rodata,"a",@progbits
	.p2align	6, 0x0
	.amdhsa_kernel _ZN7rocprim17ROCPRIM_400000_NS6detail17trampoline_kernelINS0_14default_configENS1_25partition_config_selectorILNS1_17partition_subalgoE8EmNS0_10empty_typeEbEEZZNS1_14partition_implILS5_8ELb0ES3_jPKmPS6_PKS6_NS0_5tupleIJPmS6_EEENSE_IJSB_SB_EEENS0_18inequality_wrapperIN6hipcub16HIPCUB_304000_NS8EqualityEEEPlJS6_EEE10hipError_tPvRmT3_T4_T5_T6_T7_T9_mT8_P12ihipStream_tbDpT10_ENKUlT_T0_E_clISt17integral_constantIbLb0EES16_IbLb1EEEEDaS12_S13_EUlS12_E_NS1_11comp_targetILNS1_3genE10ELNS1_11target_archE1200ELNS1_3gpuE4ELNS1_3repE0EEENS1_30default_config_static_selectorELNS0_4arch9wavefront6targetE1EEEvT1_
		.amdhsa_group_segment_fixed_size 0
		.amdhsa_private_segment_fixed_size 0
		.amdhsa_kernarg_size 128
		.amdhsa_user_sgpr_count 6
		.amdhsa_user_sgpr_private_segment_buffer 1
		.amdhsa_user_sgpr_dispatch_ptr 0
		.amdhsa_user_sgpr_queue_ptr 0
		.amdhsa_user_sgpr_kernarg_segment_ptr 1
		.amdhsa_user_sgpr_dispatch_id 0
		.amdhsa_user_sgpr_flat_scratch_init 0
		.amdhsa_user_sgpr_kernarg_preload_length 0
		.amdhsa_user_sgpr_kernarg_preload_offset 0
		.amdhsa_user_sgpr_private_segment_size 0
		.amdhsa_uses_dynamic_stack 0
		.amdhsa_system_sgpr_private_segment_wavefront_offset 0
		.amdhsa_system_sgpr_workgroup_id_x 1
		.amdhsa_system_sgpr_workgroup_id_y 0
		.amdhsa_system_sgpr_workgroup_id_z 0
		.amdhsa_system_sgpr_workgroup_info 0
		.amdhsa_system_vgpr_workitem_id 0
		.amdhsa_next_free_vgpr 1
		.amdhsa_next_free_sgpr 0
		.amdhsa_accum_offset 4
		.amdhsa_reserve_vcc 0
		.amdhsa_reserve_flat_scratch 0
		.amdhsa_float_round_mode_32 0
		.amdhsa_float_round_mode_16_64 0
		.amdhsa_float_denorm_mode_32 3
		.amdhsa_float_denorm_mode_16_64 3
		.amdhsa_dx10_clamp 1
		.amdhsa_ieee_mode 1
		.amdhsa_fp16_overflow 0
		.amdhsa_tg_split 0
		.amdhsa_exception_fp_ieee_invalid_op 0
		.amdhsa_exception_fp_denorm_src 0
		.amdhsa_exception_fp_ieee_div_zero 0
		.amdhsa_exception_fp_ieee_overflow 0
		.amdhsa_exception_fp_ieee_underflow 0
		.amdhsa_exception_fp_ieee_inexact 0
		.amdhsa_exception_int_div_zero 0
	.end_amdhsa_kernel
	.section	.text._ZN7rocprim17ROCPRIM_400000_NS6detail17trampoline_kernelINS0_14default_configENS1_25partition_config_selectorILNS1_17partition_subalgoE8EmNS0_10empty_typeEbEEZZNS1_14partition_implILS5_8ELb0ES3_jPKmPS6_PKS6_NS0_5tupleIJPmS6_EEENSE_IJSB_SB_EEENS0_18inequality_wrapperIN6hipcub16HIPCUB_304000_NS8EqualityEEEPlJS6_EEE10hipError_tPvRmT3_T4_T5_T6_T7_T9_mT8_P12ihipStream_tbDpT10_ENKUlT_T0_E_clISt17integral_constantIbLb0EES16_IbLb1EEEEDaS12_S13_EUlS12_E_NS1_11comp_targetILNS1_3genE10ELNS1_11target_archE1200ELNS1_3gpuE4ELNS1_3repE0EEENS1_30default_config_static_selectorELNS0_4arch9wavefront6targetE1EEEvT1_,"axG",@progbits,_ZN7rocprim17ROCPRIM_400000_NS6detail17trampoline_kernelINS0_14default_configENS1_25partition_config_selectorILNS1_17partition_subalgoE8EmNS0_10empty_typeEbEEZZNS1_14partition_implILS5_8ELb0ES3_jPKmPS6_PKS6_NS0_5tupleIJPmS6_EEENSE_IJSB_SB_EEENS0_18inequality_wrapperIN6hipcub16HIPCUB_304000_NS8EqualityEEEPlJS6_EEE10hipError_tPvRmT3_T4_T5_T6_T7_T9_mT8_P12ihipStream_tbDpT10_ENKUlT_T0_E_clISt17integral_constantIbLb0EES16_IbLb1EEEEDaS12_S13_EUlS12_E_NS1_11comp_targetILNS1_3genE10ELNS1_11target_archE1200ELNS1_3gpuE4ELNS1_3repE0EEENS1_30default_config_static_selectorELNS0_4arch9wavefront6targetE1EEEvT1_,comdat
.Lfunc_end715:
	.size	_ZN7rocprim17ROCPRIM_400000_NS6detail17trampoline_kernelINS0_14default_configENS1_25partition_config_selectorILNS1_17partition_subalgoE8EmNS0_10empty_typeEbEEZZNS1_14partition_implILS5_8ELb0ES3_jPKmPS6_PKS6_NS0_5tupleIJPmS6_EEENSE_IJSB_SB_EEENS0_18inequality_wrapperIN6hipcub16HIPCUB_304000_NS8EqualityEEEPlJS6_EEE10hipError_tPvRmT3_T4_T5_T6_T7_T9_mT8_P12ihipStream_tbDpT10_ENKUlT_T0_E_clISt17integral_constantIbLb0EES16_IbLb1EEEEDaS12_S13_EUlS12_E_NS1_11comp_targetILNS1_3genE10ELNS1_11target_archE1200ELNS1_3gpuE4ELNS1_3repE0EEENS1_30default_config_static_selectorELNS0_4arch9wavefront6targetE1EEEvT1_, .Lfunc_end715-_ZN7rocprim17ROCPRIM_400000_NS6detail17trampoline_kernelINS0_14default_configENS1_25partition_config_selectorILNS1_17partition_subalgoE8EmNS0_10empty_typeEbEEZZNS1_14partition_implILS5_8ELb0ES3_jPKmPS6_PKS6_NS0_5tupleIJPmS6_EEENSE_IJSB_SB_EEENS0_18inequality_wrapperIN6hipcub16HIPCUB_304000_NS8EqualityEEEPlJS6_EEE10hipError_tPvRmT3_T4_T5_T6_T7_T9_mT8_P12ihipStream_tbDpT10_ENKUlT_T0_E_clISt17integral_constantIbLb0EES16_IbLb1EEEEDaS12_S13_EUlS12_E_NS1_11comp_targetILNS1_3genE10ELNS1_11target_archE1200ELNS1_3gpuE4ELNS1_3repE0EEENS1_30default_config_static_selectorELNS0_4arch9wavefront6targetE1EEEvT1_
                                        ; -- End function
	.section	.AMDGPU.csdata,"",@progbits
; Kernel info:
; codeLenInByte = 0
; NumSgprs: 4
; NumVgprs: 0
; NumAgprs: 0
; TotalNumVgprs: 0
; ScratchSize: 0
; MemoryBound: 0
; FloatMode: 240
; IeeeMode: 1
; LDSByteSize: 0 bytes/workgroup (compile time only)
; SGPRBlocks: 0
; VGPRBlocks: 0
; NumSGPRsForWavesPerEU: 4
; NumVGPRsForWavesPerEU: 1
; AccumOffset: 4
; Occupancy: 8
; WaveLimiterHint : 0
; COMPUTE_PGM_RSRC2:SCRATCH_EN: 0
; COMPUTE_PGM_RSRC2:USER_SGPR: 6
; COMPUTE_PGM_RSRC2:TRAP_HANDLER: 0
; COMPUTE_PGM_RSRC2:TGID_X_EN: 1
; COMPUTE_PGM_RSRC2:TGID_Y_EN: 0
; COMPUTE_PGM_RSRC2:TGID_Z_EN: 0
; COMPUTE_PGM_RSRC2:TIDIG_COMP_CNT: 0
; COMPUTE_PGM_RSRC3_GFX90A:ACCUM_OFFSET: 0
; COMPUTE_PGM_RSRC3_GFX90A:TG_SPLIT: 0
	.section	.text._ZN7rocprim17ROCPRIM_400000_NS6detail17trampoline_kernelINS0_14default_configENS1_25partition_config_selectorILNS1_17partition_subalgoE8EmNS0_10empty_typeEbEEZZNS1_14partition_implILS5_8ELb0ES3_jPKmPS6_PKS6_NS0_5tupleIJPmS6_EEENSE_IJSB_SB_EEENS0_18inequality_wrapperIN6hipcub16HIPCUB_304000_NS8EqualityEEEPlJS6_EEE10hipError_tPvRmT3_T4_T5_T6_T7_T9_mT8_P12ihipStream_tbDpT10_ENKUlT_T0_E_clISt17integral_constantIbLb0EES16_IbLb1EEEEDaS12_S13_EUlS12_E_NS1_11comp_targetILNS1_3genE9ELNS1_11target_archE1100ELNS1_3gpuE3ELNS1_3repE0EEENS1_30default_config_static_selectorELNS0_4arch9wavefront6targetE1EEEvT1_,"axG",@progbits,_ZN7rocprim17ROCPRIM_400000_NS6detail17trampoline_kernelINS0_14default_configENS1_25partition_config_selectorILNS1_17partition_subalgoE8EmNS0_10empty_typeEbEEZZNS1_14partition_implILS5_8ELb0ES3_jPKmPS6_PKS6_NS0_5tupleIJPmS6_EEENSE_IJSB_SB_EEENS0_18inequality_wrapperIN6hipcub16HIPCUB_304000_NS8EqualityEEEPlJS6_EEE10hipError_tPvRmT3_T4_T5_T6_T7_T9_mT8_P12ihipStream_tbDpT10_ENKUlT_T0_E_clISt17integral_constantIbLb0EES16_IbLb1EEEEDaS12_S13_EUlS12_E_NS1_11comp_targetILNS1_3genE9ELNS1_11target_archE1100ELNS1_3gpuE3ELNS1_3repE0EEENS1_30default_config_static_selectorELNS0_4arch9wavefront6targetE1EEEvT1_,comdat
	.protected	_ZN7rocprim17ROCPRIM_400000_NS6detail17trampoline_kernelINS0_14default_configENS1_25partition_config_selectorILNS1_17partition_subalgoE8EmNS0_10empty_typeEbEEZZNS1_14partition_implILS5_8ELb0ES3_jPKmPS6_PKS6_NS0_5tupleIJPmS6_EEENSE_IJSB_SB_EEENS0_18inequality_wrapperIN6hipcub16HIPCUB_304000_NS8EqualityEEEPlJS6_EEE10hipError_tPvRmT3_T4_T5_T6_T7_T9_mT8_P12ihipStream_tbDpT10_ENKUlT_T0_E_clISt17integral_constantIbLb0EES16_IbLb1EEEEDaS12_S13_EUlS12_E_NS1_11comp_targetILNS1_3genE9ELNS1_11target_archE1100ELNS1_3gpuE3ELNS1_3repE0EEENS1_30default_config_static_selectorELNS0_4arch9wavefront6targetE1EEEvT1_ ; -- Begin function _ZN7rocprim17ROCPRIM_400000_NS6detail17trampoline_kernelINS0_14default_configENS1_25partition_config_selectorILNS1_17partition_subalgoE8EmNS0_10empty_typeEbEEZZNS1_14partition_implILS5_8ELb0ES3_jPKmPS6_PKS6_NS0_5tupleIJPmS6_EEENSE_IJSB_SB_EEENS0_18inequality_wrapperIN6hipcub16HIPCUB_304000_NS8EqualityEEEPlJS6_EEE10hipError_tPvRmT3_T4_T5_T6_T7_T9_mT8_P12ihipStream_tbDpT10_ENKUlT_T0_E_clISt17integral_constantIbLb0EES16_IbLb1EEEEDaS12_S13_EUlS12_E_NS1_11comp_targetILNS1_3genE9ELNS1_11target_archE1100ELNS1_3gpuE3ELNS1_3repE0EEENS1_30default_config_static_selectorELNS0_4arch9wavefront6targetE1EEEvT1_
	.globl	_ZN7rocprim17ROCPRIM_400000_NS6detail17trampoline_kernelINS0_14default_configENS1_25partition_config_selectorILNS1_17partition_subalgoE8EmNS0_10empty_typeEbEEZZNS1_14partition_implILS5_8ELb0ES3_jPKmPS6_PKS6_NS0_5tupleIJPmS6_EEENSE_IJSB_SB_EEENS0_18inequality_wrapperIN6hipcub16HIPCUB_304000_NS8EqualityEEEPlJS6_EEE10hipError_tPvRmT3_T4_T5_T6_T7_T9_mT8_P12ihipStream_tbDpT10_ENKUlT_T0_E_clISt17integral_constantIbLb0EES16_IbLb1EEEEDaS12_S13_EUlS12_E_NS1_11comp_targetILNS1_3genE9ELNS1_11target_archE1100ELNS1_3gpuE3ELNS1_3repE0EEENS1_30default_config_static_selectorELNS0_4arch9wavefront6targetE1EEEvT1_
	.p2align	8
	.type	_ZN7rocprim17ROCPRIM_400000_NS6detail17trampoline_kernelINS0_14default_configENS1_25partition_config_selectorILNS1_17partition_subalgoE8EmNS0_10empty_typeEbEEZZNS1_14partition_implILS5_8ELb0ES3_jPKmPS6_PKS6_NS0_5tupleIJPmS6_EEENSE_IJSB_SB_EEENS0_18inequality_wrapperIN6hipcub16HIPCUB_304000_NS8EqualityEEEPlJS6_EEE10hipError_tPvRmT3_T4_T5_T6_T7_T9_mT8_P12ihipStream_tbDpT10_ENKUlT_T0_E_clISt17integral_constantIbLb0EES16_IbLb1EEEEDaS12_S13_EUlS12_E_NS1_11comp_targetILNS1_3genE9ELNS1_11target_archE1100ELNS1_3gpuE3ELNS1_3repE0EEENS1_30default_config_static_selectorELNS0_4arch9wavefront6targetE1EEEvT1_,@function
_ZN7rocprim17ROCPRIM_400000_NS6detail17trampoline_kernelINS0_14default_configENS1_25partition_config_selectorILNS1_17partition_subalgoE8EmNS0_10empty_typeEbEEZZNS1_14partition_implILS5_8ELb0ES3_jPKmPS6_PKS6_NS0_5tupleIJPmS6_EEENSE_IJSB_SB_EEENS0_18inequality_wrapperIN6hipcub16HIPCUB_304000_NS8EqualityEEEPlJS6_EEE10hipError_tPvRmT3_T4_T5_T6_T7_T9_mT8_P12ihipStream_tbDpT10_ENKUlT_T0_E_clISt17integral_constantIbLb0EES16_IbLb1EEEEDaS12_S13_EUlS12_E_NS1_11comp_targetILNS1_3genE9ELNS1_11target_archE1100ELNS1_3gpuE3ELNS1_3repE0EEENS1_30default_config_static_selectorELNS0_4arch9wavefront6targetE1EEEvT1_: ; @_ZN7rocprim17ROCPRIM_400000_NS6detail17trampoline_kernelINS0_14default_configENS1_25partition_config_selectorILNS1_17partition_subalgoE8EmNS0_10empty_typeEbEEZZNS1_14partition_implILS5_8ELb0ES3_jPKmPS6_PKS6_NS0_5tupleIJPmS6_EEENSE_IJSB_SB_EEENS0_18inequality_wrapperIN6hipcub16HIPCUB_304000_NS8EqualityEEEPlJS6_EEE10hipError_tPvRmT3_T4_T5_T6_T7_T9_mT8_P12ihipStream_tbDpT10_ENKUlT_T0_E_clISt17integral_constantIbLb0EES16_IbLb1EEEEDaS12_S13_EUlS12_E_NS1_11comp_targetILNS1_3genE9ELNS1_11target_archE1100ELNS1_3gpuE3ELNS1_3repE0EEENS1_30default_config_static_selectorELNS0_4arch9wavefront6targetE1EEEvT1_
; %bb.0:
	.section	.rodata,"a",@progbits
	.p2align	6, 0x0
	.amdhsa_kernel _ZN7rocprim17ROCPRIM_400000_NS6detail17trampoline_kernelINS0_14default_configENS1_25partition_config_selectorILNS1_17partition_subalgoE8EmNS0_10empty_typeEbEEZZNS1_14partition_implILS5_8ELb0ES3_jPKmPS6_PKS6_NS0_5tupleIJPmS6_EEENSE_IJSB_SB_EEENS0_18inequality_wrapperIN6hipcub16HIPCUB_304000_NS8EqualityEEEPlJS6_EEE10hipError_tPvRmT3_T4_T5_T6_T7_T9_mT8_P12ihipStream_tbDpT10_ENKUlT_T0_E_clISt17integral_constantIbLb0EES16_IbLb1EEEEDaS12_S13_EUlS12_E_NS1_11comp_targetILNS1_3genE9ELNS1_11target_archE1100ELNS1_3gpuE3ELNS1_3repE0EEENS1_30default_config_static_selectorELNS0_4arch9wavefront6targetE1EEEvT1_
		.amdhsa_group_segment_fixed_size 0
		.amdhsa_private_segment_fixed_size 0
		.amdhsa_kernarg_size 128
		.amdhsa_user_sgpr_count 6
		.amdhsa_user_sgpr_private_segment_buffer 1
		.amdhsa_user_sgpr_dispatch_ptr 0
		.amdhsa_user_sgpr_queue_ptr 0
		.amdhsa_user_sgpr_kernarg_segment_ptr 1
		.amdhsa_user_sgpr_dispatch_id 0
		.amdhsa_user_sgpr_flat_scratch_init 0
		.amdhsa_user_sgpr_kernarg_preload_length 0
		.amdhsa_user_sgpr_kernarg_preload_offset 0
		.amdhsa_user_sgpr_private_segment_size 0
		.amdhsa_uses_dynamic_stack 0
		.amdhsa_system_sgpr_private_segment_wavefront_offset 0
		.amdhsa_system_sgpr_workgroup_id_x 1
		.amdhsa_system_sgpr_workgroup_id_y 0
		.amdhsa_system_sgpr_workgroup_id_z 0
		.amdhsa_system_sgpr_workgroup_info 0
		.amdhsa_system_vgpr_workitem_id 0
		.amdhsa_next_free_vgpr 1
		.amdhsa_next_free_sgpr 0
		.amdhsa_accum_offset 4
		.amdhsa_reserve_vcc 0
		.amdhsa_reserve_flat_scratch 0
		.amdhsa_float_round_mode_32 0
		.amdhsa_float_round_mode_16_64 0
		.amdhsa_float_denorm_mode_32 3
		.amdhsa_float_denorm_mode_16_64 3
		.amdhsa_dx10_clamp 1
		.amdhsa_ieee_mode 1
		.amdhsa_fp16_overflow 0
		.amdhsa_tg_split 0
		.amdhsa_exception_fp_ieee_invalid_op 0
		.amdhsa_exception_fp_denorm_src 0
		.amdhsa_exception_fp_ieee_div_zero 0
		.amdhsa_exception_fp_ieee_overflow 0
		.amdhsa_exception_fp_ieee_underflow 0
		.amdhsa_exception_fp_ieee_inexact 0
		.amdhsa_exception_int_div_zero 0
	.end_amdhsa_kernel
	.section	.text._ZN7rocprim17ROCPRIM_400000_NS6detail17trampoline_kernelINS0_14default_configENS1_25partition_config_selectorILNS1_17partition_subalgoE8EmNS0_10empty_typeEbEEZZNS1_14partition_implILS5_8ELb0ES3_jPKmPS6_PKS6_NS0_5tupleIJPmS6_EEENSE_IJSB_SB_EEENS0_18inequality_wrapperIN6hipcub16HIPCUB_304000_NS8EqualityEEEPlJS6_EEE10hipError_tPvRmT3_T4_T5_T6_T7_T9_mT8_P12ihipStream_tbDpT10_ENKUlT_T0_E_clISt17integral_constantIbLb0EES16_IbLb1EEEEDaS12_S13_EUlS12_E_NS1_11comp_targetILNS1_3genE9ELNS1_11target_archE1100ELNS1_3gpuE3ELNS1_3repE0EEENS1_30default_config_static_selectorELNS0_4arch9wavefront6targetE1EEEvT1_,"axG",@progbits,_ZN7rocprim17ROCPRIM_400000_NS6detail17trampoline_kernelINS0_14default_configENS1_25partition_config_selectorILNS1_17partition_subalgoE8EmNS0_10empty_typeEbEEZZNS1_14partition_implILS5_8ELb0ES3_jPKmPS6_PKS6_NS0_5tupleIJPmS6_EEENSE_IJSB_SB_EEENS0_18inequality_wrapperIN6hipcub16HIPCUB_304000_NS8EqualityEEEPlJS6_EEE10hipError_tPvRmT3_T4_T5_T6_T7_T9_mT8_P12ihipStream_tbDpT10_ENKUlT_T0_E_clISt17integral_constantIbLb0EES16_IbLb1EEEEDaS12_S13_EUlS12_E_NS1_11comp_targetILNS1_3genE9ELNS1_11target_archE1100ELNS1_3gpuE3ELNS1_3repE0EEENS1_30default_config_static_selectorELNS0_4arch9wavefront6targetE1EEEvT1_,comdat
.Lfunc_end716:
	.size	_ZN7rocprim17ROCPRIM_400000_NS6detail17trampoline_kernelINS0_14default_configENS1_25partition_config_selectorILNS1_17partition_subalgoE8EmNS0_10empty_typeEbEEZZNS1_14partition_implILS5_8ELb0ES3_jPKmPS6_PKS6_NS0_5tupleIJPmS6_EEENSE_IJSB_SB_EEENS0_18inequality_wrapperIN6hipcub16HIPCUB_304000_NS8EqualityEEEPlJS6_EEE10hipError_tPvRmT3_T4_T5_T6_T7_T9_mT8_P12ihipStream_tbDpT10_ENKUlT_T0_E_clISt17integral_constantIbLb0EES16_IbLb1EEEEDaS12_S13_EUlS12_E_NS1_11comp_targetILNS1_3genE9ELNS1_11target_archE1100ELNS1_3gpuE3ELNS1_3repE0EEENS1_30default_config_static_selectorELNS0_4arch9wavefront6targetE1EEEvT1_, .Lfunc_end716-_ZN7rocprim17ROCPRIM_400000_NS6detail17trampoline_kernelINS0_14default_configENS1_25partition_config_selectorILNS1_17partition_subalgoE8EmNS0_10empty_typeEbEEZZNS1_14partition_implILS5_8ELb0ES3_jPKmPS6_PKS6_NS0_5tupleIJPmS6_EEENSE_IJSB_SB_EEENS0_18inequality_wrapperIN6hipcub16HIPCUB_304000_NS8EqualityEEEPlJS6_EEE10hipError_tPvRmT3_T4_T5_T6_T7_T9_mT8_P12ihipStream_tbDpT10_ENKUlT_T0_E_clISt17integral_constantIbLb0EES16_IbLb1EEEEDaS12_S13_EUlS12_E_NS1_11comp_targetILNS1_3genE9ELNS1_11target_archE1100ELNS1_3gpuE3ELNS1_3repE0EEENS1_30default_config_static_selectorELNS0_4arch9wavefront6targetE1EEEvT1_
                                        ; -- End function
	.section	.AMDGPU.csdata,"",@progbits
; Kernel info:
; codeLenInByte = 0
; NumSgprs: 4
; NumVgprs: 0
; NumAgprs: 0
; TotalNumVgprs: 0
; ScratchSize: 0
; MemoryBound: 0
; FloatMode: 240
; IeeeMode: 1
; LDSByteSize: 0 bytes/workgroup (compile time only)
; SGPRBlocks: 0
; VGPRBlocks: 0
; NumSGPRsForWavesPerEU: 4
; NumVGPRsForWavesPerEU: 1
; AccumOffset: 4
; Occupancy: 8
; WaveLimiterHint : 0
; COMPUTE_PGM_RSRC2:SCRATCH_EN: 0
; COMPUTE_PGM_RSRC2:USER_SGPR: 6
; COMPUTE_PGM_RSRC2:TRAP_HANDLER: 0
; COMPUTE_PGM_RSRC2:TGID_X_EN: 1
; COMPUTE_PGM_RSRC2:TGID_Y_EN: 0
; COMPUTE_PGM_RSRC2:TGID_Z_EN: 0
; COMPUTE_PGM_RSRC2:TIDIG_COMP_CNT: 0
; COMPUTE_PGM_RSRC3_GFX90A:ACCUM_OFFSET: 0
; COMPUTE_PGM_RSRC3_GFX90A:TG_SPLIT: 0
	.section	.text._ZN7rocprim17ROCPRIM_400000_NS6detail17trampoline_kernelINS0_14default_configENS1_25partition_config_selectorILNS1_17partition_subalgoE8EmNS0_10empty_typeEbEEZZNS1_14partition_implILS5_8ELb0ES3_jPKmPS6_PKS6_NS0_5tupleIJPmS6_EEENSE_IJSB_SB_EEENS0_18inequality_wrapperIN6hipcub16HIPCUB_304000_NS8EqualityEEEPlJS6_EEE10hipError_tPvRmT3_T4_T5_T6_T7_T9_mT8_P12ihipStream_tbDpT10_ENKUlT_T0_E_clISt17integral_constantIbLb0EES16_IbLb1EEEEDaS12_S13_EUlS12_E_NS1_11comp_targetILNS1_3genE8ELNS1_11target_archE1030ELNS1_3gpuE2ELNS1_3repE0EEENS1_30default_config_static_selectorELNS0_4arch9wavefront6targetE1EEEvT1_,"axG",@progbits,_ZN7rocprim17ROCPRIM_400000_NS6detail17trampoline_kernelINS0_14default_configENS1_25partition_config_selectorILNS1_17partition_subalgoE8EmNS0_10empty_typeEbEEZZNS1_14partition_implILS5_8ELb0ES3_jPKmPS6_PKS6_NS0_5tupleIJPmS6_EEENSE_IJSB_SB_EEENS0_18inequality_wrapperIN6hipcub16HIPCUB_304000_NS8EqualityEEEPlJS6_EEE10hipError_tPvRmT3_T4_T5_T6_T7_T9_mT8_P12ihipStream_tbDpT10_ENKUlT_T0_E_clISt17integral_constantIbLb0EES16_IbLb1EEEEDaS12_S13_EUlS12_E_NS1_11comp_targetILNS1_3genE8ELNS1_11target_archE1030ELNS1_3gpuE2ELNS1_3repE0EEENS1_30default_config_static_selectorELNS0_4arch9wavefront6targetE1EEEvT1_,comdat
	.protected	_ZN7rocprim17ROCPRIM_400000_NS6detail17trampoline_kernelINS0_14default_configENS1_25partition_config_selectorILNS1_17partition_subalgoE8EmNS0_10empty_typeEbEEZZNS1_14partition_implILS5_8ELb0ES3_jPKmPS6_PKS6_NS0_5tupleIJPmS6_EEENSE_IJSB_SB_EEENS0_18inequality_wrapperIN6hipcub16HIPCUB_304000_NS8EqualityEEEPlJS6_EEE10hipError_tPvRmT3_T4_T5_T6_T7_T9_mT8_P12ihipStream_tbDpT10_ENKUlT_T0_E_clISt17integral_constantIbLb0EES16_IbLb1EEEEDaS12_S13_EUlS12_E_NS1_11comp_targetILNS1_3genE8ELNS1_11target_archE1030ELNS1_3gpuE2ELNS1_3repE0EEENS1_30default_config_static_selectorELNS0_4arch9wavefront6targetE1EEEvT1_ ; -- Begin function _ZN7rocprim17ROCPRIM_400000_NS6detail17trampoline_kernelINS0_14default_configENS1_25partition_config_selectorILNS1_17partition_subalgoE8EmNS0_10empty_typeEbEEZZNS1_14partition_implILS5_8ELb0ES3_jPKmPS6_PKS6_NS0_5tupleIJPmS6_EEENSE_IJSB_SB_EEENS0_18inequality_wrapperIN6hipcub16HIPCUB_304000_NS8EqualityEEEPlJS6_EEE10hipError_tPvRmT3_T4_T5_T6_T7_T9_mT8_P12ihipStream_tbDpT10_ENKUlT_T0_E_clISt17integral_constantIbLb0EES16_IbLb1EEEEDaS12_S13_EUlS12_E_NS1_11comp_targetILNS1_3genE8ELNS1_11target_archE1030ELNS1_3gpuE2ELNS1_3repE0EEENS1_30default_config_static_selectorELNS0_4arch9wavefront6targetE1EEEvT1_
	.globl	_ZN7rocprim17ROCPRIM_400000_NS6detail17trampoline_kernelINS0_14default_configENS1_25partition_config_selectorILNS1_17partition_subalgoE8EmNS0_10empty_typeEbEEZZNS1_14partition_implILS5_8ELb0ES3_jPKmPS6_PKS6_NS0_5tupleIJPmS6_EEENSE_IJSB_SB_EEENS0_18inequality_wrapperIN6hipcub16HIPCUB_304000_NS8EqualityEEEPlJS6_EEE10hipError_tPvRmT3_T4_T5_T6_T7_T9_mT8_P12ihipStream_tbDpT10_ENKUlT_T0_E_clISt17integral_constantIbLb0EES16_IbLb1EEEEDaS12_S13_EUlS12_E_NS1_11comp_targetILNS1_3genE8ELNS1_11target_archE1030ELNS1_3gpuE2ELNS1_3repE0EEENS1_30default_config_static_selectorELNS0_4arch9wavefront6targetE1EEEvT1_
	.p2align	8
	.type	_ZN7rocprim17ROCPRIM_400000_NS6detail17trampoline_kernelINS0_14default_configENS1_25partition_config_selectorILNS1_17partition_subalgoE8EmNS0_10empty_typeEbEEZZNS1_14partition_implILS5_8ELb0ES3_jPKmPS6_PKS6_NS0_5tupleIJPmS6_EEENSE_IJSB_SB_EEENS0_18inequality_wrapperIN6hipcub16HIPCUB_304000_NS8EqualityEEEPlJS6_EEE10hipError_tPvRmT3_T4_T5_T6_T7_T9_mT8_P12ihipStream_tbDpT10_ENKUlT_T0_E_clISt17integral_constantIbLb0EES16_IbLb1EEEEDaS12_S13_EUlS12_E_NS1_11comp_targetILNS1_3genE8ELNS1_11target_archE1030ELNS1_3gpuE2ELNS1_3repE0EEENS1_30default_config_static_selectorELNS0_4arch9wavefront6targetE1EEEvT1_,@function
_ZN7rocprim17ROCPRIM_400000_NS6detail17trampoline_kernelINS0_14default_configENS1_25partition_config_selectorILNS1_17partition_subalgoE8EmNS0_10empty_typeEbEEZZNS1_14partition_implILS5_8ELb0ES3_jPKmPS6_PKS6_NS0_5tupleIJPmS6_EEENSE_IJSB_SB_EEENS0_18inequality_wrapperIN6hipcub16HIPCUB_304000_NS8EqualityEEEPlJS6_EEE10hipError_tPvRmT3_T4_T5_T6_T7_T9_mT8_P12ihipStream_tbDpT10_ENKUlT_T0_E_clISt17integral_constantIbLb0EES16_IbLb1EEEEDaS12_S13_EUlS12_E_NS1_11comp_targetILNS1_3genE8ELNS1_11target_archE1030ELNS1_3gpuE2ELNS1_3repE0EEENS1_30default_config_static_selectorELNS0_4arch9wavefront6targetE1EEEvT1_: ; @_ZN7rocprim17ROCPRIM_400000_NS6detail17trampoline_kernelINS0_14default_configENS1_25partition_config_selectorILNS1_17partition_subalgoE8EmNS0_10empty_typeEbEEZZNS1_14partition_implILS5_8ELb0ES3_jPKmPS6_PKS6_NS0_5tupleIJPmS6_EEENSE_IJSB_SB_EEENS0_18inequality_wrapperIN6hipcub16HIPCUB_304000_NS8EqualityEEEPlJS6_EEE10hipError_tPvRmT3_T4_T5_T6_T7_T9_mT8_P12ihipStream_tbDpT10_ENKUlT_T0_E_clISt17integral_constantIbLb0EES16_IbLb1EEEEDaS12_S13_EUlS12_E_NS1_11comp_targetILNS1_3genE8ELNS1_11target_archE1030ELNS1_3gpuE2ELNS1_3repE0EEENS1_30default_config_static_selectorELNS0_4arch9wavefront6targetE1EEEvT1_
; %bb.0:
	.section	.rodata,"a",@progbits
	.p2align	6, 0x0
	.amdhsa_kernel _ZN7rocprim17ROCPRIM_400000_NS6detail17trampoline_kernelINS0_14default_configENS1_25partition_config_selectorILNS1_17partition_subalgoE8EmNS0_10empty_typeEbEEZZNS1_14partition_implILS5_8ELb0ES3_jPKmPS6_PKS6_NS0_5tupleIJPmS6_EEENSE_IJSB_SB_EEENS0_18inequality_wrapperIN6hipcub16HIPCUB_304000_NS8EqualityEEEPlJS6_EEE10hipError_tPvRmT3_T4_T5_T6_T7_T9_mT8_P12ihipStream_tbDpT10_ENKUlT_T0_E_clISt17integral_constantIbLb0EES16_IbLb1EEEEDaS12_S13_EUlS12_E_NS1_11comp_targetILNS1_3genE8ELNS1_11target_archE1030ELNS1_3gpuE2ELNS1_3repE0EEENS1_30default_config_static_selectorELNS0_4arch9wavefront6targetE1EEEvT1_
		.amdhsa_group_segment_fixed_size 0
		.amdhsa_private_segment_fixed_size 0
		.amdhsa_kernarg_size 128
		.amdhsa_user_sgpr_count 6
		.amdhsa_user_sgpr_private_segment_buffer 1
		.amdhsa_user_sgpr_dispatch_ptr 0
		.amdhsa_user_sgpr_queue_ptr 0
		.amdhsa_user_sgpr_kernarg_segment_ptr 1
		.amdhsa_user_sgpr_dispatch_id 0
		.amdhsa_user_sgpr_flat_scratch_init 0
		.amdhsa_user_sgpr_kernarg_preload_length 0
		.amdhsa_user_sgpr_kernarg_preload_offset 0
		.amdhsa_user_sgpr_private_segment_size 0
		.amdhsa_uses_dynamic_stack 0
		.amdhsa_system_sgpr_private_segment_wavefront_offset 0
		.amdhsa_system_sgpr_workgroup_id_x 1
		.amdhsa_system_sgpr_workgroup_id_y 0
		.amdhsa_system_sgpr_workgroup_id_z 0
		.amdhsa_system_sgpr_workgroup_info 0
		.amdhsa_system_vgpr_workitem_id 0
		.amdhsa_next_free_vgpr 1
		.amdhsa_next_free_sgpr 0
		.amdhsa_accum_offset 4
		.amdhsa_reserve_vcc 0
		.amdhsa_reserve_flat_scratch 0
		.amdhsa_float_round_mode_32 0
		.amdhsa_float_round_mode_16_64 0
		.amdhsa_float_denorm_mode_32 3
		.amdhsa_float_denorm_mode_16_64 3
		.amdhsa_dx10_clamp 1
		.amdhsa_ieee_mode 1
		.amdhsa_fp16_overflow 0
		.amdhsa_tg_split 0
		.amdhsa_exception_fp_ieee_invalid_op 0
		.amdhsa_exception_fp_denorm_src 0
		.amdhsa_exception_fp_ieee_div_zero 0
		.amdhsa_exception_fp_ieee_overflow 0
		.amdhsa_exception_fp_ieee_underflow 0
		.amdhsa_exception_fp_ieee_inexact 0
		.amdhsa_exception_int_div_zero 0
	.end_amdhsa_kernel
	.section	.text._ZN7rocprim17ROCPRIM_400000_NS6detail17trampoline_kernelINS0_14default_configENS1_25partition_config_selectorILNS1_17partition_subalgoE8EmNS0_10empty_typeEbEEZZNS1_14partition_implILS5_8ELb0ES3_jPKmPS6_PKS6_NS0_5tupleIJPmS6_EEENSE_IJSB_SB_EEENS0_18inequality_wrapperIN6hipcub16HIPCUB_304000_NS8EqualityEEEPlJS6_EEE10hipError_tPvRmT3_T4_T5_T6_T7_T9_mT8_P12ihipStream_tbDpT10_ENKUlT_T0_E_clISt17integral_constantIbLb0EES16_IbLb1EEEEDaS12_S13_EUlS12_E_NS1_11comp_targetILNS1_3genE8ELNS1_11target_archE1030ELNS1_3gpuE2ELNS1_3repE0EEENS1_30default_config_static_selectorELNS0_4arch9wavefront6targetE1EEEvT1_,"axG",@progbits,_ZN7rocprim17ROCPRIM_400000_NS6detail17trampoline_kernelINS0_14default_configENS1_25partition_config_selectorILNS1_17partition_subalgoE8EmNS0_10empty_typeEbEEZZNS1_14partition_implILS5_8ELb0ES3_jPKmPS6_PKS6_NS0_5tupleIJPmS6_EEENSE_IJSB_SB_EEENS0_18inequality_wrapperIN6hipcub16HIPCUB_304000_NS8EqualityEEEPlJS6_EEE10hipError_tPvRmT3_T4_T5_T6_T7_T9_mT8_P12ihipStream_tbDpT10_ENKUlT_T0_E_clISt17integral_constantIbLb0EES16_IbLb1EEEEDaS12_S13_EUlS12_E_NS1_11comp_targetILNS1_3genE8ELNS1_11target_archE1030ELNS1_3gpuE2ELNS1_3repE0EEENS1_30default_config_static_selectorELNS0_4arch9wavefront6targetE1EEEvT1_,comdat
.Lfunc_end717:
	.size	_ZN7rocprim17ROCPRIM_400000_NS6detail17trampoline_kernelINS0_14default_configENS1_25partition_config_selectorILNS1_17partition_subalgoE8EmNS0_10empty_typeEbEEZZNS1_14partition_implILS5_8ELb0ES3_jPKmPS6_PKS6_NS0_5tupleIJPmS6_EEENSE_IJSB_SB_EEENS0_18inequality_wrapperIN6hipcub16HIPCUB_304000_NS8EqualityEEEPlJS6_EEE10hipError_tPvRmT3_T4_T5_T6_T7_T9_mT8_P12ihipStream_tbDpT10_ENKUlT_T0_E_clISt17integral_constantIbLb0EES16_IbLb1EEEEDaS12_S13_EUlS12_E_NS1_11comp_targetILNS1_3genE8ELNS1_11target_archE1030ELNS1_3gpuE2ELNS1_3repE0EEENS1_30default_config_static_selectorELNS0_4arch9wavefront6targetE1EEEvT1_, .Lfunc_end717-_ZN7rocprim17ROCPRIM_400000_NS6detail17trampoline_kernelINS0_14default_configENS1_25partition_config_selectorILNS1_17partition_subalgoE8EmNS0_10empty_typeEbEEZZNS1_14partition_implILS5_8ELb0ES3_jPKmPS6_PKS6_NS0_5tupleIJPmS6_EEENSE_IJSB_SB_EEENS0_18inequality_wrapperIN6hipcub16HIPCUB_304000_NS8EqualityEEEPlJS6_EEE10hipError_tPvRmT3_T4_T5_T6_T7_T9_mT8_P12ihipStream_tbDpT10_ENKUlT_T0_E_clISt17integral_constantIbLb0EES16_IbLb1EEEEDaS12_S13_EUlS12_E_NS1_11comp_targetILNS1_3genE8ELNS1_11target_archE1030ELNS1_3gpuE2ELNS1_3repE0EEENS1_30default_config_static_selectorELNS0_4arch9wavefront6targetE1EEEvT1_
                                        ; -- End function
	.section	.AMDGPU.csdata,"",@progbits
; Kernel info:
; codeLenInByte = 0
; NumSgprs: 4
; NumVgprs: 0
; NumAgprs: 0
; TotalNumVgprs: 0
; ScratchSize: 0
; MemoryBound: 0
; FloatMode: 240
; IeeeMode: 1
; LDSByteSize: 0 bytes/workgroup (compile time only)
; SGPRBlocks: 0
; VGPRBlocks: 0
; NumSGPRsForWavesPerEU: 4
; NumVGPRsForWavesPerEU: 1
; AccumOffset: 4
; Occupancy: 8
; WaveLimiterHint : 0
; COMPUTE_PGM_RSRC2:SCRATCH_EN: 0
; COMPUTE_PGM_RSRC2:USER_SGPR: 6
; COMPUTE_PGM_RSRC2:TRAP_HANDLER: 0
; COMPUTE_PGM_RSRC2:TGID_X_EN: 1
; COMPUTE_PGM_RSRC2:TGID_Y_EN: 0
; COMPUTE_PGM_RSRC2:TGID_Z_EN: 0
; COMPUTE_PGM_RSRC2:TIDIG_COMP_CNT: 0
; COMPUTE_PGM_RSRC3_GFX90A:ACCUM_OFFSET: 0
; COMPUTE_PGM_RSRC3_GFX90A:TG_SPLIT: 0
	.section	.text._ZN7rocprim17ROCPRIM_400000_NS6detail17trampoline_kernelINS0_14default_configENS1_33run_length_encode_config_selectorImjNS0_4plusIjEEEEZZNS1_33reduce_by_key_impl_wrapped_configILNS1_25lookback_scan_determinismE0ES3_S7_PKmNS0_17constant_iteratorIjlEEPmPlSF_S6_NS0_8equal_toImEEEE10hipError_tPvRmT2_T3_mT4_T5_T6_T7_T8_P12ihipStream_tbENKUlT_T0_E_clISt17integral_constantIbLb0EESZ_EEDaSU_SV_EUlSU_E_NS1_11comp_targetILNS1_3genE0ELNS1_11target_archE4294967295ELNS1_3gpuE0ELNS1_3repE0EEENS1_30default_config_static_selectorELNS0_4arch9wavefront6targetE1EEEvT1_,"axG",@progbits,_ZN7rocprim17ROCPRIM_400000_NS6detail17trampoline_kernelINS0_14default_configENS1_33run_length_encode_config_selectorImjNS0_4plusIjEEEEZZNS1_33reduce_by_key_impl_wrapped_configILNS1_25lookback_scan_determinismE0ES3_S7_PKmNS0_17constant_iteratorIjlEEPmPlSF_S6_NS0_8equal_toImEEEE10hipError_tPvRmT2_T3_mT4_T5_T6_T7_T8_P12ihipStream_tbENKUlT_T0_E_clISt17integral_constantIbLb0EESZ_EEDaSU_SV_EUlSU_E_NS1_11comp_targetILNS1_3genE0ELNS1_11target_archE4294967295ELNS1_3gpuE0ELNS1_3repE0EEENS1_30default_config_static_selectorELNS0_4arch9wavefront6targetE1EEEvT1_,comdat
	.protected	_ZN7rocprim17ROCPRIM_400000_NS6detail17trampoline_kernelINS0_14default_configENS1_33run_length_encode_config_selectorImjNS0_4plusIjEEEEZZNS1_33reduce_by_key_impl_wrapped_configILNS1_25lookback_scan_determinismE0ES3_S7_PKmNS0_17constant_iteratorIjlEEPmPlSF_S6_NS0_8equal_toImEEEE10hipError_tPvRmT2_T3_mT4_T5_T6_T7_T8_P12ihipStream_tbENKUlT_T0_E_clISt17integral_constantIbLb0EESZ_EEDaSU_SV_EUlSU_E_NS1_11comp_targetILNS1_3genE0ELNS1_11target_archE4294967295ELNS1_3gpuE0ELNS1_3repE0EEENS1_30default_config_static_selectorELNS0_4arch9wavefront6targetE1EEEvT1_ ; -- Begin function _ZN7rocprim17ROCPRIM_400000_NS6detail17trampoline_kernelINS0_14default_configENS1_33run_length_encode_config_selectorImjNS0_4plusIjEEEEZZNS1_33reduce_by_key_impl_wrapped_configILNS1_25lookback_scan_determinismE0ES3_S7_PKmNS0_17constant_iteratorIjlEEPmPlSF_S6_NS0_8equal_toImEEEE10hipError_tPvRmT2_T3_mT4_T5_T6_T7_T8_P12ihipStream_tbENKUlT_T0_E_clISt17integral_constantIbLb0EESZ_EEDaSU_SV_EUlSU_E_NS1_11comp_targetILNS1_3genE0ELNS1_11target_archE4294967295ELNS1_3gpuE0ELNS1_3repE0EEENS1_30default_config_static_selectorELNS0_4arch9wavefront6targetE1EEEvT1_
	.globl	_ZN7rocprim17ROCPRIM_400000_NS6detail17trampoline_kernelINS0_14default_configENS1_33run_length_encode_config_selectorImjNS0_4plusIjEEEEZZNS1_33reduce_by_key_impl_wrapped_configILNS1_25lookback_scan_determinismE0ES3_S7_PKmNS0_17constant_iteratorIjlEEPmPlSF_S6_NS0_8equal_toImEEEE10hipError_tPvRmT2_T3_mT4_T5_T6_T7_T8_P12ihipStream_tbENKUlT_T0_E_clISt17integral_constantIbLb0EESZ_EEDaSU_SV_EUlSU_E_NS1_11comp_targetILNS1_3genE0ELNS1_11target_archE4294967295ELNS1_3gpuE0ELNS1_3repE0EEENS1_30default_config_static_selectorELNS0_4arch9wavefront6targetE1EEEvT1_
	.p2align	8
	.type	_ZN7rocprim17ROCPRIM_400000_NS6detail17trampoline_kernelINS0_14default_configENS1_33run_length_encode_config_selectorImjNS0_4plusIjEEEEZZNS1_33reduce_by_key_impl_wrapped_configILNS1_25lookback_scan_determinismE0ES3_S7_PKmNS0_17constant_iteratorIjlEEPmPlSF_S6_NS0_8equal_toImEEEE10hipError_tPvRmT2_T3_mT4_T5_T6_T7_T8_P12ihipStream_tbENKUlT_T0_E_clISt17integral_constantIbLb0EESZ_EEDaSU_SV_EUlSU_E_NS1_11comp_targetILNS1_3genE0ELNS1_11target_archE4294967295ELNS1_3gpuE0ELNS1_3repE0EEENS1_30default_config_static_selectorELNS0_4arch9wavefront6targetE1EEEvT1_,@function
_ZN7rocprim17ROCPRIM_400000_NS6detail17trampoline_kernelINS0_14default_configENS1_33run_length_encode_config_selectorImjNS0_4plusIjEEEEZZNS1_33reduce_by_key_impl_wrapped_configILNS1_25lookback_scan_determinismE0ES3_S7_PKmNS0_17constant_iteratorIjlEEPmPlSF_S6_NS0_8equal_toImEEEE10hipError_tPvRmT2_T3_mT4_T5_T6_T7_T8_P12ihipStream_tbENKUlT_T0_E_clISt17integral_constantIbLb0EESZ_EEDaSU_SV_EUlSU_E_NS1_11comp_targetILNS1_3genE0ELNS1_11target_archE4294967295ELNS1_3gpuE0ELNS1_3repE0EEENS1_30default_config_static_selectorELNS0_4arch9wavefront6targetE1EEEvT1_: ; @_ZN7rocprim17ROCPRIM_400000_NS6detail17trampoline_kernelINS0_14default_configENS1_33run_length_encode_config_selectorImjNS0_4plusIjEEEEZZNS1_33reduce_by_key_impl_wrapped_configILNS1_25lookback_scan_determinismE0ES3_S7_PKmNS0_17constant_iteratorIjlEEPmPlSF_S6_NS0_8equal_toImEEEE10hipError_tPvRmT2_T3_mT4_T5_T6_T7_T8_P12ihipStream_tbENKUlT_T0_E_clISt17integral_constantIbLb0EESZ_EEDaSU_SV_EUlSU_E_NS1_11comp_targetILNS1_3genE0ELNS1_11target_archE4294967295ELNS1_3gpuE0ELNS1_3repE0EEENS1_30default_config_static_selectorELNS0_4arch9wavefront6targetE1EEEvT1_
; %bb.0:
	.section	.rodata,"a",@progbits
	.p2align	6, 0x0
	.amdhsa_kernel _ZN7rocprim17ROCPRIM_400000_NS6detail17trampoline_kernelINS0_14default_configENS1_33run_length_encode_config_selectorImjNS0_4plusIjEEEEZZNS1_33reduce_by_key_impl_wrapped_configILNS1_25lookback_scan_determinismE0ES3_S7_PKmNS0_17constant_iteratorIjlEEPmPlSF_S6_NS0_8equal_toImEEEE10hipError_tPvRmT2_T3_mT4_T5_T6_T7_T8_P12ihipStream_tbENKUlT_T0_E_clISt17integral_constantIbLb0EESZ_EEDaSU_SV_EUlSU_E_NS1_11comp_targetILNS1_3genE0ELNS1_11target_archE4294967295ELNS1_3gpuE0ELNS1_3repE0EEENS1_30default_config_static_selectorELNS0_4arch9wavefront6targetE1EEEvT1_
		.amdhsa_group_segment_fixed_size 0
		.amdhsa_private_segment_fixed_size 0
		.amdhsa_kernarg_size 128
		.amdhsa_user_sgpr_count 6
		.amdhsa_user_sgpr_private_segment_buffer 1
		.amdhsa_user_sgpr_dispatch_ptr 0
		.amdhsa_user_sgpr_queue_ptr 0
		.amdhsa_user_sgpr_kernarg_segment_ptr 1
		.amdhsa_user_sgpr_dispatch_id 0
		.amdhsa_user_sgpr_flat_scratch_init 0
		.amdhsa_user_sgpr_kernarg_preload_length 0
		.amdhsa_user_sgpr_kernarg_preload_offset 0
		.amdhsa_user_sgpr_private_segment_size 0
		.amdhsa_uses_dynamic_stack 0
		.amdhsa_system_sgpr_private_segment_wavefront_offset 0
		.amdhsa_system_sgpr_workgroup_id_x 1
		.amdhsa_system_sgpr_workgroup_id_y 0
		.amdhsa_system_sgpr_workgroup_id_z 0
		.amdhsa_system_sgpr_workgroup_info 0
		.amdhsa_system_vgpr_workitem_id 0
		.amdhsa_next_free_vgpr 1
		.amdhsa_next_free_sgpr 0
		.amdhsa_accum_offset 4
		.amdhsa_reserve_vcc 0
		.amdhsa_reserve_flat_scratch 0
		.amdhsa_float_round_mode_32 0
		.amdhsa_float_round_mode_16_64 0
		.amdhsa_float_denorm_mode_32 3
		.amdhsa_float_denorm_mode_16_64 3
		.amdhsa_dx10_clamp 1
		.amdhsa_ieee_mode 1
		.amdhsa_fp16_overflow 0
		.amdhsa_tg_split 0
		.amdhsa_exception_fp_ieee_invalid_op 0
		.amdhsa_exception_fp_denorm_src 0
		.amdhsa_exception_fp_ieee_div_zero 0
		.amdhsa_exception_fp_ieee_overflow 0
		.amdhsa_exception_fp_ieee_underflow 0
		.amdhsa_exception_fp_ieee_inexact 0
		.amdhsa_exception_int_div_zero 0
	.end_amdhsa_kernel
	.section	.text._ZN7rocprim17ROCPRIM_400000_NS6detail17trampoline_kernelINS0_14default_configENS1_33run_length_encode_config_selectorImjNS0_4plusIjEEEEZZNS1_33reduce_by_key_impl_wrapped_configILNS1_25lookback_scan_determinismE0ES3_S7_PKmNS0_17constant_iteratorIjlEEPmPlSF_S6_NS0_8equal_toImEEEE10hipError_tPvRmT2_T3_mT4_T5_T6_T7_T8_P12ihipStream_tbENKUlT_T0_E_clISt17integral_constantIbLb0EESZ_EEDaSU_SV_EUlSU_E_NS1_11comp_targetILNS1_3genE0ELNS1_11target_archE4294967295ELNS1_3gpuE0ELNS1_3repE0EEENS1_30default_config_static_selectorELNS0_4arch9wavefront6targetE1EEEvT1_,"axG",@progbits,_ZN7rocprim17ROCPRIM_400000_NS6detail17trampoline_kernelINS0_14default_configENS1_33run_length_encode_config_selectorImjNS0_4plusIjEEEEZZNS1_33reduce_by_key_impl_wrapped_configILNS1_25lookback_scan_determinismE0ES3_S7_PKmNS0_17constant_iteratorIjlEEPmPlSF_S6_NS0_8equal_toImEEEE10hipError_tPvRmT2_T3_mT4_T5_T6_T7_T8_P12ihipStream_tbENKUlT_T0_E_clISt17integral_constantIbLb0EESZ_EEDaSU_SV_EUlSU_E_NS1_11comp_targetILNS1_3genE0ELNS1_11target_archE4294967295ELNS1_3gpuE0ELNS1_3repE0EEENS1_30default_config_static_selectorELNS0_4arch9wavefront6targetE1EEEvT1_,comdat
.Lfunc_end718:
	.size	_ZN7rocprim17ROCPRIM_400000_NS6detail17trampoline_kernelINS0_14default_configENS1_33run_length_encode_config_selectorImjNS0_4plusIjEEEEZZNS1_33reduce_by_key_impl_wrapped_configILNS1_25lookback_scan_determinismE0ES3_S7_PKmNS0_17constant_iteratorIjlEEPmPlSF_S6_NS0_8equal_toImEEEE10hipError_tPvRmT2_T3_mT4_T5_T6_T7_T8_P12ihipStream_tbENKUlT_T0_E_clISt17integral_constantIbLb0EESZ_EEDaSU_SV_EUlSU_E_NS1_11comp_targetILNS1_3genE0ELNS1_11target_archE4294967295ELNS1_3gpuE0ELNS1_3repE0EEENS1_30default_config_static_selectorELNS0_4arch9wavefront6targetE1EEEvT1_, .Lfunc_end718-_ZN7rocprim17ROCPRIM_400000_NS6detail17trampoline_kernelINS0_14default_configENS1_33run_length_encode_config_selectorImjNS0_4plusIjEEEEZZNS1_33reduce_by_key_impl_wrapped_configILNS1_25lookback_scan_determinismE0ES3_S7_PKmNS0_17constant_iteratorIjlEEPmPlSF_S6_NS0_8equal_toImEEEE10hipError_tPvRmT2_T3_mT4_T5_T6_T7_T8_P12ihipStream_tbENKUlT_T0_E_clISt17integral_constantIbLb0EESZ_EEDaSU_SV_EUlSU_E_NS1_11comp_targetILNS1_3genE0ELNS1_11target_archE4294967295ELNS1_3gpuE0ELNS1_3repE0EEENS1_30default_config_static_selectorELNS0_4arch9wavefront6targetE1EEEvT1_
                                        ; -- End function
	.section	.AMDGPU.csdata,"",@progbits
; Kernel info:
; codeLenInByte = 0
; NumSgprs: 4
; NumVgprs: 0
; NumAgprs: 0
; TotalNumVgprs: 0
; ScratchSize: 0
; MemoryBound: 0
; FloatMode: 240
; IeeeMode: 1
; LDSByteSize: 0 bytes/workgroup (compile time only)
; SGPRBlocks: 0
; VGPRBlocks: 0
; NumSGPRsForWavesPerEU: 4
; NumVGPRsForWavesPerEU: 1
; AccumOffset: 4
; Occupancy: 8
; WaveLimiterHint : 0
; COMPUTE_PGM_RSRC2:SCRATCH_EN: 0
; COMPUTE_PGM_RSRC2:USER_SGPR: 6
; COMPUTE_PGM_RSRC2:TRAP_HANDLER: 0
; COMPUTE_PGM_RSRC2:TGID_X_EN: 1
; COMPUTE_PGM_RSRC2:TGID_Y_EN: 0
; COMPUTE_PGM_RSRC2:TGID_Z_EN: 0
; COMPUTE_PGM_RSRC2:TIDIG_COMP_CNT: 0
; COMPUTE_PGM_RSRC3_GFX90A:ACCUM_OFFSET: 0
; COMPUTE_PGM_RSRC3_GFX90A:TG_SPLIT: 0
	.section	.text._ZN7rocprim17ROCPRIM_400000_NS6detail17trampoline_kernelINS0_14default_configENS1_33run_length_encode_config_selectorImjNS0_4plusIjEEEEZZNS1_33reduce_by_key_impl_wrapped_configILNS1_25lookback_scan_determinismE0ES3_S7_PKmNS0_17constant_iteratorIjlEEPmPlSF_S6_NS0_8equal_toImEEEE10hipError_tPvRmT2_T3_mT4_T5_T6_T7_T8_P12ihipStream_tbENKUlT_T0_E_clISt17integral_constantIbLb0EESZ_EEDaSU_SV_EUlSU_E_NS1_11comp_targetILNS1_3genE5ELNS1_11target_archE942ELNS1_3gpuE9ELNS1_3repE0EEENS1_30default_config_static_selectorELNS0_4arch9wavefront6targetE1EEEvT1_,"axG",@progbits,_ZN7rocprim17ROCPRIM_400000_NS6detail17trampoline_kernelINS0_14default_configENS1_33run_length_encode_config_selectorImjNS0_4plusIjEEEEZZNS1_33reduce_by_key_impl_wrapped_configILNS1_25lookback_scan_determinismE0ES3_S7_PKmNS0_17constant_iteratorIjlEEPmPlSF_S6_NS0_8equal_toImEEEE10hipError_tPvRmT2_T3_mT4_T5_T6_T7_T8_P12ihipStream_tbENKUlT_T0_E_clISt17integral_constantIbLb0EESZ_EEDaSU_SV_EUlSU_E_NS1_11comp_targetILNS1_3genE5ELNS1_11target_archE942ELNS1_3gpuE9ELNS1_3repE0EEENS1_30default_config_static_selectorELNS0_4arch9wavefront6targetE1EEEvT1_,comdat
	.protected	_ZN7rocprim17ROCPRIM_400000_NS6detail17trampoline_kernelINS0_14default_configENS1_33run_length_encode_config_selectorImjNS0_4plusIjEEEEZZNS1_33reduce_by_key_impl_wrapped_configILNS1_25lookback_scan_determinismE0ES3_S7_PKmNS0_17constant_iteratorIjlEEPmPlSF_S6_NS0_8equal_toImEEEE10hipError_tPvRmT2_T3_mT4_T5_T6_T7_T8_P12ihipStream_tbENKUlT_T0_E_clISt17integral_constantIbLb0EESZ_EEDaSU_SV_EUlSU_E_NS1_11comp_targetILNS1_3genE5ELNS1_11target_archE942ELNS1_3gpuE9ELNS1_3repE0EEENS1_30default_config_static_selectorELNS0_4arch9wavefront6targetE1EEEvT1_ ; -- Begin function _ZN7rocprim17ROCPRIM_400000_NS6detail17trampoline_kernelINS0_14default_configENS1_33run_length_encode_config_selectorImjNS0_4plusIjEEEEZZNS1_33reduce_by_key_impl_wrapped_configILNS1_25lookback_scan_determinismE0ES3_S7_PKmNS0_17constant_iteratorIjlEEPmPlSF_S6_NS0_8equal_toImEEEE10hipError_tPvRmT2_T3_mT4_T5_T6_T7_T8_P12ihipStream_tbENKUlT_T0_E_clISt17integral_constantIbLb0EESZ_EEDaSU_SV_EUlSU_E_NS1_11comp_targetILNS1_3genE5ELNS1_11target_archE942ELNS1_3gpuE9ELNS1_3repE0EEENS1_30default_config_static_selectorELNS0_4arch9wavefront6targetE1EEEvT1_
	.globl	_ZN7rocprim17ROCPRIM_400000_NS6detail17trampoline_kernelINS0_14default_configENS1_33run_length_encode_config_selectorImjNS0_4plusIjEEEEZZNS1_33reduce_by_key_impl_wrapped_configILNS1_25lookback_scan_determinismE0ES3_S7_PKmNS0_17constant_iteratorIjlEEPmPlSF_S6_NS0_8equal_toImEEEE10hipError_tPvRmT2_T3_mT4_T5_T6_T7_T8_P12ihipStream_tbENKUlT_T0_E_clISt17integral_constantIbLb0EESZ_EEDaSU_SV_EUlSU_E_NS1_11comp_targetILNS1_3genE5ELNS1_11target_archE942ELNS1_3gpuE9ELNS1_3repE0EEENS1_30default_config_static_selectorELNS0_4arch9wavefront6targetE1EEEvT1_
	.p2align	8
	.type	_ZN7rocprim17ROCPRIM_400000_NS6detail17trampoline_kernelINS0_14default_configENS1_33run_length_encode_config_selectorImjNS0_4plusIjEEEEZZNS1_33reduce_by_key_impl_wrapped_configILNS1_25lookback_scan_determinismE0ES3_S7_PKmNS0_17constant_iteratorIjlEEPmPlSF_S6_NS0_8equal_toImEEEE10hipError_tPvRmT2_T3_mT4_T5_T6_T7_T8_P12ihipStream_tbENKUlT_T0_E_clISt17integral_constantIbLb0EESZ_EEDaSU_SV_EUlSU_E_NS1_11comp_targetILNS1_3genE5ELNS1_11target_archE942ELNS1_3gpuE9ELNS1_3repE0EEENS1_30default_config_static_selectorELNS0_4arch9wavefront6targetE1EEEvT1_,@function
_ZN7rocprim17ROCPRIM_400000_NS6detail17trampoline_kernelINS0_14default_configENS1_33run_length_encode_config_selectorImjNS0_4plusIjEEEEZZNS1_33reduce_by_key_impl_wrapped_configILNS1_25lookback_scan_determinismE0ES3_S7_PKmNS0_17constant_iteratorIjlEEPmPlSF_S6_NS0_8equal_toImEEEE10hipError_tPvRmT2_T3_mT4_T5_T6_T7_T8_P12ihipStream_tbENKUlT_T0_E_clISt17integral_constantIbLb0EESZ_EEDaSU_SV_EUlSU_E_NS1_11comp_targetILNS1_3genE5ELNS1_11target_archE942ELNS1_3gpuE9ELNS1_3repE0EEENS1_30default_config_static_selectorELNS0_4arch9wavefront6targetE1EEEvT1_: ; @_ZN7rocprim17ROCPRIM_400000_NS6detail17trampoline_kernelINS0_14default_configENS1_33run_length_encode_config_selectorImjNS0_4plusIjEEEEZZNS1_33reduce_by_key_impl_wrapped_configILNS1_25lookback_scan_determinismE0ES3_S7_PKmNS0_17constant_iteratorIjlEEPmPlSF_S6_NS0_8equal_toImEEEE10hipError_tPvRmT2_T3_mT4_T5_T6_T7_T8_P12ihipStream_tbENKUlT_T0_E_clISt17integral_constantIbLb0EESZ_EEDaSU_SV_EUlSU_E_NS1_11comp_targetILNS1_3genE5ELNS1_11target_archE942ELNS1_3gpuE9ELNS1_3repE0EEENS1_30default_config_static_selectorELNS0_4arch9wavefront6targetE1EEEvT1_
; %bb.0:
	.section	.rodata,"a",@progbits
	.p2align	6, 0x0
	.amdhsa_kernel _ZN7rocprim17ROCPRIM_400000_NS6detail17trampoline_kernelINS0_14default_configENS1_33run_length_encode_config_selectorImjNS0_4plusIjEEEEZZNS1_33reduce_by_key_impl_wrapped_configILNS1_25lookback_scan_determinismE0ES3_S7_PKmNS0_17constant_iteratorIjlEEPmPlSF_S6_NS0_8equal_toImEEEE10hipError_tPvRmT2_T3_mT4_T5_T6_T7_T8_P12ihipStream_tbENKUlT_T0_E_clISt17integral_constantIbLb0EESZ_EEDaSU_SV_EUlSU_E_NS1_11comp_targetILNS1_3genE5ELNS1_11target_archE942ELNS1_3gpuE9ELNS1_3repE0EEENS1_30default_config_static_selectorELNS0_4arch9wavefront6targetE1EEEvT1_
		.amdhsa_group_segment_fixed_size 0
		.amdhsa_private_segment_fixed_size 0
		.amdhsa_kernarg_size 128
		.amdhsa_user_sgpr_count 6
		.amdhsa_user_sgpr_private_segment_buffer 1
		.amdhsa_user_sgpr_dispatch_ptr 0
		.amdhsa_user_sgpr_queue_ptr 0
		.amdhsa_user_sgpr_kernarg_segment_ptr 1
		.amdhsa_user_sgpr_dispatch_id 0
		.amdhsa_user_sgpr_flat_scratch_init 0
		.amdhsa_user_sgpr_kernarg_preload_length 0
		.amdhsa_user_sgpr_kernarg_preload_offset 0
		.amdhsa_user_sgpr_private_segment_size 0
		.amdhsa_uses_dynamic_stack 0
		.amdhsa_system_sgpr_private_segment_wavefront_offset 0
		.amdhsa_system_sgpr_workgroup_id_x 1
		.amdhsa_system_sgpr_workgroup_id_y 0
		.amdhsa_system_sgpr_workgroup_id_z 0
		.amdhsa_system_sgpr_workgroup_info 0
		.amdhsa_system_vgpr_workitem_id 0
		.amdhsa_next_free_vgpr 1
		.amdhsa_next_free_sgpr 0
		.amdhsa_accum_offset 4
		.amdhsa_reserve_vcc 0
		.amdhsa_reserve_flat_scratch 0
		.amdhsa_float_round_mode_32 0
		.amdhsa_float_round_mode_16_64 0
		.amdhsa_float_denorm_mode_32 3
		.amdhsa_float_denorm_mode_16_64 3
		.amdhsa_dx10_clamp 1
		.amdhsa_ieee_mode 1
		.amdhsa_fp16_overflow 0
		.amdhsa_tg_split 0
		.amdhsa_exception_fp_ieee_invalid_op 0
		.amdhsa_exception_fp_denorm_src 0
		.amdhsa_exception_fp_ieee_div_zero 0
		.amdhsa_exception_fp_ieee_overflow 0
		.amdhsa_exception_fp_ieee_underflow 0
		.amdhsa_exception_fp_ieee_inexact 0
		.amdhsa_exception_int_div_zero 0
	.end_amdhsa_kernel
	.section	.text._ZN7rocprim17ROCPRIM_400000_NS6detail17trampoline_kernelINS0_14default_configENS1_33run_length_encode_config_selectorImjNS0_4plusIjEEEEZZNS1_33reduce_by_key_impl_wrapped_configILNS1_25lookback_scan_determinismE0ES3_S7_PKmNS0_17constant_iteratorIjlEEPmPlSF_S6_NS0_8equal_toImEEEE10hipError_tPvRmT2_T3_mT4_T5_T6_T7_T8_P12ihipStream_tbENKUlT_T0_E_clISt17integral_constantIbLb0EESZ_EEDaSU_SV_EUlSU_E_NS1_11comp_targetILNS1_3genE5ELNS1_11target_archE942ELNS1_3gpuE9ELNS1_3repE0EEENS1_30default_config_static_selectorELNS0_4arch9wavefront6targetE1EEEvT1_,"axG",@progbits,_ZN7rocprim17ROCPRIM_400000_NS6detail17trampoline_kernelINS0_14default_configENS1_33run_length_encode_config_selectorImjNS0_4plusIjEEEEZZNS1_33reduce_by_key_impl_wrapped_configILNS1_25lookback_scan_determinismE0ES3_S7_PKmNS0_17constant_iteratorIjlEEPmPlSF_S6_NS0_8equal_toImEEEE10hipError_tPvRmT2_T3_mT4_T5_T6_T7_T8_P12ihipStream_tbENKUlT_T0_E_clISt17integral_constantIbLb0EESZ_EEDaSU_SV_EUlSU_E_NS1_11comp_targetILNS1_3genE5ELNS1_11target_archE942ELNS1_3gpuE9ELNS1_3repE0EEENS1_30default_config_static_selectorELNS0_4arch9wavefront6targetE1EEEvT1_,comdat
.Lfunc_end719:
	.size	_ZN7rocprim17ROCPRIM_400000_NS6detail17trampoline_kernelINS0_14default_configENS1_33run_length_encode_config_selectorImjNS0_4plusIjEEEEZZNS1_33reduce_by_key_impl_wrapped_configILNS1_25lookback_scan_determinismE0ES3_S7_PKmNS0_17constant_iteratorIjlEEPmPlSF_S6_NS0_8equal_toImEEEE10hipError_tPvRmT2_T3_mT4_T5_T6_T7_T8_P12ihipStream_tbENKUlT_T0_E_clISt17integral_constantIbLb0EESZ_EEDaSU_SV_EUlSU_E_NS1_11comp_targetILNS1_3genE5ELNS1_11target_archE942ELNS1_3gpuE9ELNS1_3repE0EEENS1_30default_config_static_selectorELNS0_4arch9wavefront6targetE1EEEvT1_, .Lfunc_end719-_ZN7rocprim17ROCPRIM_400000_NS6detail17trampoline_kernelINS0_14default_configENS1_33run_length_encode_config_selectorImjNS0_4plusIjEEEEZZNS1_33reduce_by_key_impl_wrapped_configILNS1_25lookback_scan_determinismE0ES3_S7_PKmNS0_17constant_iteratorIjlEEPmPlSF_S6_NS0_8equal_toImEEEE10hipError_tPvRmT2_T3_mT4_T5_T6_T7_T8_P12ihipStream_tbENKUlT_T0_E_clISt17integral_constantIbLb0EESZ_EEDaSU_SV_EUlSU_E_NS1_11comp_targetILNS1_3genE5ELNS1_11target_archE942ELNS1_3gpuE9ELNS1_3repE0EEENS1_30default_config_static_selectorELNS0_4arch9wavefront6targetE1EEEvT1_
                                        ; -- End function
	.section	.AMDGPU.csdata,"",@progbits
; Kernel info:
; codeLenInByte = 0
; NumSgprs: 4
; NumVgprs: 0
; NumAgprs: 0
; TotalNumVgprs: 0
; ScratchSize: 0
; MemoryBound: 0
; FloatMode: 240
; IeeeMode: 1
; LDSByteSize: 0 bytes/workgroup (compile time only)
; SGPRBlocks: 0
; VGPRBlocks: 0
; NumSGPRsForWavesPerEU: 4
; NumVGPRsForWavesPerEU: 1
; AccumOffset: 4
; Occupancy: 8
; WaveLimiterHint : 0
; COMPUTE_PGM_RSRC2:SCRATCH_EN: 0
; COMPUTE_PGM_RSRC2:USER_SGPR: 6
; COMPUTE_PGM_RSRC2:TRAP_HANDLER: 0
; COMPUTE_PGM_RSRC2:TGID_X_EN: 1
; COMPUTE_PGM_RSRC2:TGID_Y_EN: 0
; COMPUTE_PGM_RSRC2:TGID_Z_EN: 0
; COMPUTE_PGM_RSRC2:TIDIG_COMP_CNT: 0
; COMPUTE_PGM_RSRC3_GFX90A:ACCUM_OFFSET: 0
; COMPUTE_PGM_RSRC3_GFX90A:TG_SPLIT: 0
	.section	.text._ZN7rocprim17ROCPRIM_400000_NS6detail17trampoline_kernelINS0_14default_configENS1_33run_length_encode_config_selectorImjNS0_4plusIjEEEEZZNS1_33reduce_by_key_impl_wrapped_configILNS1_25lookback_scan_determinismE0ES3_S7_PKmNS0_17constant_iteratorIjlEEPmPlSF_S6_NS0_8equal_toImEEEE10hipError_tPvRmT2_T3_mT4_T5_T6_T7_T8_P12ihipStream_tbENKUlT_T0_E_clISt17integral_constantIbLb0EESZ_EEDaSU_SV_EUlSU_E_NS1_11comp_targetILNS1_3genE4ELNS1_11target_archE910ELNS1_3gpuE8ELNS1_3repE0EEENS1_30default_config_static_selectorELNS0_4arch9wavefront6targetE1EEEvT1_,"axG",@progbits,_ZN7rocprim17ROCPRIM_400000_NS6detail17trampoline_kernelINS0_14default_configENS1_33run_length_encode_config_selectorImjNS0_4plusIjEEEEZZNS1_33reduce_by_key_impl_wrapped_configILNS1_25lookback_scan_determinismE0ES3_S7_PKmNS0_17constant_iteratorIjlEEPmPlSF_S6_NS0_8equal_toImEEEE10hipError_tPvRmT2_T3_mT4_T5_T6_T7_T8_P12ihipStream_tbENKUlT_T0_E_clISt17integral_constantIbLb0EESZ_EEDaSU_SV_EUlSU_E_NS1_11comp_targetILNS1_3genE4ELNS1_11target_archE910ELNS1_3gpuE8ELNS1_3repE0EEENS1_30default_config_static_selectorELNS0_4arch9wavefront6targetE1EEEvT1_,comdat
	.protected	_ZN7rocprim17ROCPRIM_400000_NS6detail17trampoline_kernelINS0_14default_configENS1_33run_length_encode_config_selectorImjNS0_4plusIjEEEEZZNS1_33reduce_by_key_impl_wrapped_configILNS1_25lookback_scan_determinismE0ES3_S7_PKmNS0_17constant_iteratorIjlEEPmPlSF_S6_NS0_8equal_toImEEEE10hipError_tPvRmT2_T3_mT4_T5_T6_T7_T8_P12ihipStream_tbENKUlT_T0_E_clISt17integral_constantIbLb0EESZ_EEDaSU_SV_EUlSU_E_NS1_11comp_targetILNS1_3genE4ELNS1_11target_archE910ELNS1_3gpuE8ELNS1_3repE0EEENS1_30default_config_static_selectorELNS0_4arch9wavefront6targetE1EEEvT1_ ; -- Begin function _ZN7rocprim17ROCPRIM_400000_NS6detail17trampoline_kernelINS0_14default_configENS1_33run_length_encode_config_selectorImjNS0_4plusIjEEEEZZNS1_33reduce_by_key_impl_wrapped_configILNS1_25lookback_scan_determinismE0ES3_S7_PKmNS0_17constant_iteratorIjlEEPmPlSF_S6_NS0_8equal_toImEEEE10hipError_tPvRmT2_T3_mT4_T5_T6_T7_T8_P12ihipStream_tbENKUlT_T0_E_clISt17integral_constantIbLb0EESZ_EEDaSU_SV_EUlSU_E_NS1_11comp_targetILNS1_3genE4ELNS1_11target_archE910ELNS1_3gpuE8ELNS1_3repE0EEENS1_30default_config_static_selectorELNS0_4arch9wavefront6targetE1EEEvT1_
	.globl	_ZN7rocprim17ROCPRIM_400000_NS6detail17trampoline_kernelINS0_14default_configENS1_33run_length_encode_config_selectorImjNS0_4plusIjEEEEZZNS1_33reduce_by_key_impl_wrapped_configILNS1_25lookback_scan_determinismE0ES3_S7_PKmNS0_17constant_iteratorIjlEEPmPlSF_S6_NS0_8equal_toImEEEE10hipError_tPvRmT2_T3_mT4_T5_T6_T7_T8_P12ihipStream_tbENKUlT_T0_E_clISt17integral_constantIbLb0EESZ_EEDaSU_SV_EUlSU_E_NS1_11comp_targetILNS1_3genE4ELNS1_11target_archE910ELNS1_3gpuE8ELNS1_3repE0EEENS1_30default_config_static_selectorELNS0_4arch9wavefront6targetE1EEEvT1_
	.p2align	8
	.type	_ZN7rocprim17ROCPRIM_400000_NS6detail17trampoline_kernelINS0_14default_configENS1_33run_length_encode_config_selectorImjNS0_4plusIjEEEEZZNS1_33reduce_by_key_impl_wrapped_configILNS1_25lookback_scan_determinismE0ES3_S7_PKmNS0_17constant_iteratorIjlEEPmPlSF_S6_NS0_8equal_toImEEEE10hipError_tPvRmT2_T3_mT4_T5_T6_T7_T8_P12ihipStream_tbENKUlT_T0_E_clISt17integral_constantIbLb0EESZ_EEDaSU_SV_EUlSU_E_NS1_11comp_targetILNS1_3genE4ELNS1_11target_archE910ELNS1_3gpuE8ELNS1_3repE0EEENS1_30default_config_static_selectorELNS0_4arch9wavefront6targetE1EEEvT1_,@function
_ZN7rocprim17ROCPRIM_400000_NS6detail17trampoline_kernelINS0_14default_configENS1_33run_length_encode_config_selectorImjNS0_4plusIjEEEEZZNS1_33reduce_by_key_impl_wrapped_configILNS1_25lookback_scan_determinismE0ES3_S7_PKmNS0_17constant_iteratorIjlEEPmPlSF_S6_NS0_8equal_toImEEEE10hipError_tPvRmT2_T3_mT4_T5_T6_T7_T8_P12ihipStream_tbENKUlT_T0_E_clISt17integral_constantIbLb0EESZ_EEDaSU_SV_EUlSU_E_NS1_11comp_targetILNS1_3genE4ELNS1_11target_archE910ELNS1_3gpuE8ELNS1_3repE0EEENS1_30default_config_static_selectorELNS0_4arch9wavefront6targetE1EEEvT1_: ; @_ZN7rocprim17ROCPRIM_400000_NS6detail17trampoline_kernelINS0_14default_configENS1_33run_length_encode_config_selectorImjNS0_4plusIjEEEEZZNS1_33reduce_by_key_impl_wrapped_configILNS1_25lookback_scan_determinismE0ES3_S7_PKmNS0_17constant_iteratorIjlEEPmPlSF_S6_NS0_8equal_toImEEEE10hipError_tPvRmT2_T3_mT4_T5_T6_T7_T8_P12ihipStream_tbENKUlT_T0_E_clISt17integral_constantIbLb0EESZ_EEDaSU_SV_EUlSU_E_NS1_11comp_targetILNS1_3genE4ELNS1_11target_archE910ELNS1_3gpuE8ELNS1_3repE0EEENS1_30default_config_static_selectorELNS0_4arch9wavefront6targetE1EEEvT1_
; %bb.0:
	s_load_dwordx8 s[24:31], s[4:5], 0x40
	s_load_dwordx4 s[0:3], s[4:5], 0x0
	s_load_dword s7, s[4:5], 0x10
	s_load_dwordx4 s[36:39], s[4:5], 0x60
	s_waitcnt lgkmcnt(0)
	s_mul_i32 s8, s28, s27
	s_mul_hi_u32 s9, s28, s26
	s_add_i32 s8, s9, s8
	s_mul_i32 s9, s29, s26
	s_add_i32 s8, s8, s9
	s_lshl_b64 s[2:3], s[2:3], 3
	s_add_u32 s2, s0, s2
	s_addc_u32 s3, s1, s3
	s_mul_i32 s0, s6, 0xa00
	s_mov_b32 s1, 0
	s_lshl_b64 s[0:1], s[0:1], 3
	s_mul_i32 s9, s28, s26
	s_add_u32 s28, s2, s0
	s_addc_u32 s29, s3, s1
	s_add_u32 s22, s9, s6
	s_addc_u32 s23, s8, 0
	s_add_u32 s2, s30, -1
	s_addc_u32 s3, s31, -1
	s_cmp_eq_u64 s[22:23], s[2:3]
	s_cselect_b64 s[34:35], -1, 0
	s_cmp_lg_u64 s[22:23], s[2:3]
	s_mov_b64 s[8:9], -1
	s_cselect_b64 s[0:1], -1, 0
	s_mul_i32 s33, s2, 0xfffff600
	s_and_b64 vcc, exec, s[34:35]
	s_cbranch_vccnz .LBB720_2
; %bb.1:
	v_lshlrev_b32_e32 v1, 3, v0
	v_mov_b32_e32 v2, s29
	v_add_co_u32_e32 v22, vcc, s28, v1
	v_addc_co_u32_e32 v23, vcc, 0, v2, vcc
	v_add_co_u32_e32 v2, vcc, 0x1000, v22
	v_addc_co_u32_e32 v3, vcc, 0, v23, vcc
	global_load_dwordx2 v[4:5], v1, s[28:29]
	global_load_dwordx2 v[6:7], v1, s[28:29] offset:2048
	global_load_dwordx2 v[8:9], v[2:3], off
	global_load_dwordx2 v[10:11], v[2:3], off offset:2048
	v_add_co_u32_e32 v2, vcc, 0x2000, v22
	v_addc_co_u32_e32 v3, vcc, 0, v23, vcc
	v_add_co_u32_e32 v12, vcc, 0x3000, v22
	v_addc_co_u32_e32 v13, vcc, 0, v23, vcc
	global_load_dwordx2 v[14:15], v[2:3], off
	global_load_dwordx2 v[16:17], v[2:3], off offset:2048
	global_load_dwordx2 v[18:19], v[12:13], off
	global_load_dwordx2 v[20:21], v[12:13], off offset:2048
	v_add_co_u32_e32 v2, vcc, 0x4000, v22
	v_addc_co_u32_e32 v3, vcc, 0, v23, vcc
	global_load_dwordx2 v[12:13], v[2:3], off
	global_load_dwordx2 v[22:23], v[2:3], off offset:2048
	s_movk_i32 s2, 0x48
	v_mad_u32_u24 v24, v0, s2, v1
	s_mov_b64 s[2:3], -1
	s_waitcnt vmcnt(8)
	ds_write2st64_b64 v1, v[4:5], v[6:7] offset1:4
	s_waitcnt vmcnt(6)
	ds_write2st64_b64 v1, v[8:9], v[10:11] offset0:8 offset1:12
	s_waitcnt vmcnt(4)
	ds_write2st64_b64 v1, v[14:15], v[16:17] offset0:16 offset1:20
	;; [unrolled: 2-line block ×4, first 2 shown]
	s_waitcnt lgkmcnt(0)
	s_barrier
	ds_read_b128 v[18:21], v24
	ds_read_b128 v[14:17], v24 offset:16
	ds_read_b128 v[10:13], v24 offset:32
	;; [unrolled: 1-line block ×4, first 2 shown]
	s_waitcnt lgkmcnt(4)
	v_mov_b32_e32 v26, v18
	v_mov_b32_e32 v27, v19
	s_waitcnt lgkmcnt(3)
	v_mov_b32_e32 v28, v14
	v_mov_b32_e32 v29, v15
	;; [unrolled: 3-line block ×4, first 2 shown]
	s_add_i32 s33, s33, s36
	s_cbranch_execz .LBB720_3
	s_branch .LBB720_24
.LBB720_2:
	s_mov_b64 s[2:3], 0
                                        ; implicit-def: $vgpr2_vgpr3
                                        ; implicit-def: $vgpr10_vgpr11
                                        ; implicit-def: $vgpr14_vgpr15
                                        ; implicit-def: $vgpr18_vgpr19
                                        ; implicit-def: $vgpr6_vgpr7
                                        ; implicit-def: $vgpr22_vgpr23_vgpr24_vgpr25
                                        ; implicit-def: $vgpr26_vgpr27_vgpr28_vgpr29
	s_add_i32 s33, s33, s36
	s_andn2_b64 vcc, exec, s[8:9]
	s_cbranch_vccnz .LBB720_24
.LBB720_3:
	v_cmp_gt_u32_e32 vcc, s33, v0
                                        ; implicit-def: $vgpr2_vgpr3
	s_and_saveexec_b64 s[2:3], vcc
	s_cbranch_execz .LBB720_5
; %bb.4:
	v_lshlrev_b32_e32 v1, 3, v0
	global_load_dwordx2 v[2:3], v1, s[28:29]
.LBB720_5:
	s_or_b64 exec, exec, s[2:3]
	v_or_b32_e32 v1, 0x100, v0
	v_cmp_gt_u32_e32 vcc, s33, v1
                                        ; implicit-def: $vgpr4_vgpr5
	s_and_saveexec_b64 s[2:3], vcc
	s_cbranch_execz .LBB720_7
; %bb.6:
	v_lshlrev_b32_e32 v1, 3, v0
	global_load_dwordx2 v[4:5], v1, s[28:29] offset:2048
.LBB720_7:
	s_or_b64 exec, exec, s[2:3]
	v_or_b32_e32 v1, 0x200, v0
	v_cmp_gt_u32_e32 vcc, s33, v1
                                        ; implicit-def: $vgpr6_vgpr7
	s_and_saveexec_b64 s[2:3], vcc
	s_cbranch_execz .LBB720_9
; %bb.8:
	v_lshlrev_b32_e32 v1, 3, v1
	s_waitcnt lgkmcnt(0)
	global_load_dwordx2 v[6:7], v1, s[28:29]
.LBB720_9:
	s_or_b64 exec, exec, s[2:3]
	v_or_b32_e32 v1, 0x300, v0
	v_cmp_gt_u32_e32 vcc, s33, v1
                                        ; implicit-def: $vgpr8_vgpr9
	s_and_saveexec_b64 s[2:3], vcc
	s_cbranch_execz .LBB720_11
; %bb.10:
	v_lshlrev_b32_e32 v1, 3, v1
	s_waitcnt lgkmcnt(0)
	global_load_dwordx2 v[8:9], v1, s[28:29]
.LBB720_11:
	s_or_b64 exec, exec, s[2:3]
	v_or_b32_e32 v1, 0x400, v0
	v_cmp_gt_u32_e32 vcc, s33, v1
                                        ; implicit-def: $vgpr10_vgpr11
	s_and_saveexec_b64 s[2:3], vcc
	s_cbranch_execz .LBB720_13
; %bb.12:
	v_lshlrev_b32_e32 v1, 3, v1
	global_load_dwordx2 v[10:11], v1, s[28:29]
.LBB720_13:
	s_or_b64 exec, exec, s[2:3]
	v_or_b32_e32 v1, 0x500, v0
	v_cmp_gt_u32_e32 vcc, s33, v1
                                        ; implicit-def: $vgpr12_vgpr13
	s_and_saveexec_b64 s[2:3], vcc
	s_cbranch_execz .LBB720_15
; %bb.14:
	v_lshlrev_b32_e32 v1, 3, v1
	global_load_dwordx2 v[12:13], v1, s[28:29]
.LBB720_15:
	s_or_b64 exec, exec, s[2:3]
	v_or_b32_e32 v1, 0x600, v0
	v_cmp_gt_u32_e32 vcc, s33, v1
                                        ; implicit-def: $vgpr14_vgpr15
	s_and_saveexec_b64 s[2:3], vcc
	s_cbranch_execz .LBB720_17
; %bb.16:
	v_lshlrev_b32_e32 v1, 3, v1
	global_load_dwordx2 v[14:15], v1, s[28:29]
.LBB720_17:
	s_or_b64 exec, exec, s[2:3]
	v_or_b32_e32 v1, 0x700, v0
	v_cmp_gt_u32_e32 vcc, s33, v1
                                        ; implicit-def: $vgpr16_vgpr17
	s_and_saveexec_b64 s[2:3], vcc
	s_cbranch_execz .LBB720_19
; %bb.18:
	v_lshlrev_b32_e32 v1, 3, v1
	global_load_dwordx2 v[16:17], v1, s[28:29]
.LBB720_19:
	s_or_b64 exec, exec, s[2:3]
	v_or_b32_e32 v1, 0x800, v0
	v_cmp_gt_u32_e32 vcc, s33, v1
                                        ; implicit-def: $vgpr18_vgpr19
	s_and_saveexec_b64 s[2:3], vcc
	s_cbranch_execz .LBB720_21
; %bb.20:
	v_lshlrev_b32_e32 v1, 3, v1
	global_load_dwordx2 v[18:19], v1, s[28:29]
.LBB720_21:
	s_or_b64 exec, exec, s[2:3]
	v_or_b32_e32 v1, 0x900, v0
	v_cmp_gt_u32_e32 vcc, s33, v1
                                        ; implicit-def: $vgpr20_vgpr21
	s_and_saveexec_b64 s[2:3], vcc
	s_cbranch_execz .LBB720_23
; %bb.22:
	v_lshlrev_b32_e32 v1, 3, v1
	global_load_dwordx2 v[20:21], v1, s[28:29]
.LBB720_23:
	s_or_b64 exec, exec, s[2:3]
	v_lshlrev_b32_e32 v1, 3, v0
	s_movk_i32 s2, 0x48
	s_waitcnt vmcnt(0)
	ds_write2st64_b64 v1, v[2:3], v[4:5] offset1:4
	s_waitcnt lgkmcnt(1)
	ds_write2st64_b64 v1, v[6:7], v[8:9] offset0:8 offset1:12
	ds_write2st64_b64 v1, v[10:11], v[12:13] offset0:16 offset1:20
	;; [unrolled: 1-line block ×4, first 2 shown]
	v_mad_u32_u24 v1, v0, s2, v1
	s_waitcnt lgkmcnt(0)
	s_barrier
	ds_read_b128 v[18:21], v1
	ds_read_b128 v[14:17], v1 offset:16
	ds_read_b128 v[10:13], v1 offset:32
	;; [unrolled: 1-line block ×4, first 2 shown]
	v_mad_u32_u24 v1, v0, 10, 9
	v_cmp_gt_u32_e64 s[2:3], s33, v1
	s_waitcnt lgkmcnt(4)
	v_mov_b32_e32 v26, v18
	v_mov_b32_e32 v27, v19
	s_waitcnt lgkmcnt(3)
	v_mov_b32_e32 v28, v14
	v_mov_b32_e32 v29, v15
	;; [unrolled: 3-line block ×4, first 2 shown]
.LBB720_24:
	v_mov_b32_e32 v48, s7
                                        ; implicit-def: $vgpr49
	s_and_saveexec_b64 s[8:9], s[2:3]
; %bb.25:
	v_mov_b32_e32 v49, s7
; %bb.26:
	s_or_b64 exec, exec, s[8:9]
	s_load_dwordx2 s[42:43], s[4:5], 0x70
	s_cmp_eq_u64 s[22:23], 0
	s_cselect_b64 s[40:41], -1, 0
	s_cmp_lg_u64 s[22:23], 0
	s_mov_b64 s[30:31], 0
	s_cselect_b64 s[44:45], -1, 0
	s_and_b64 vcc, exec, s[0:1]
	s_waitcnt lgkmcnt(0)
	s_barrier
	s_cbranch_vccz .LBB720_32
; %bb.27:
	s_and_b64 vcc, exec, s[44:45]
	s_cbranch_vccz .LBB720_33
; %bb.28:
	s_add_u32 s0, s28, -8
	s_addc_u32 s1, s29, -1
	s_load_dwordx2 s[30:31], s[0:1], 0x0
	v_lshlrev_b32_e32 v1, 3, v0
	v_cmp_ne_u64_e32 vcc, v[6:7], v[8:9]
	v_cmp_ne_u64_e64 s[0:1], v[4:5], v[6:7]
	v_cmp_ne_u64_e64 s[2:3], v[2:3], v[4:5]
	;; [unrolled: 1-line block ×8, first 2 shown]
	v_cmp_ne_u32_e64 s[20:21], 0, v0
	s_waitcnt lgkmcnt(0)
	v_pk_mov_b32 v[30:31], s[30:31], s[30:31] op_sel:[0,1]
	ds_write_b64 v1, v[8:9]
	s_waitcnt lgkmcnt(0)
	s_barrier
	s_and_saveexec_b64 s[30:31], s[20:21]
	s_cbranch_execz .LBB720_30
; %bb.29:
	v_add_u32_e32 v1, -8, v1
	ds_read_b64 v[30:31], v1
.LBB720_30:
	s_or_b64 exec, exec, s[30:31]
	v_cndmask_b32_e64 v1, 0, 1, vcc
	v_cndmask_b32_e64 v54, 0, 1, s[0:1]
	v_cndmask_b32_e64 v55, 0, 1, s[2:3]
	v_cndmask_b32_e64 v56, 0, 1, s[18:19]
	v_cndmask_b32_e64 v57, 0, 1, s[8:9]
	v_cndmask_b32_e64 v58, 0, 1, s[10:11]
	v_cndmask_b32_e64 v59, 0, 1, s[12:13]
	v_cndmask_b32_e64 v60, 0, 1, s[14:15]
	v_cndmask_b32_e64 v61, 0, 1, s[16:17]
	s_waitcnt lgkmcnt(0)
	v_cmp_ne_u64_e64 s[0:1], v[30:31], v[18:19]
	s_mov_b64 s[30:31], -1
.LBB720_31:
                                        ; implicit-def: $sgpr7
	s_branch .LBB720_45
.LBB720_32:
                                        ; implicit-def: $sgpr0_sgpr1
                                        ; implicit-def: $vgpr1
                                        ; implicit-def: $vgpr54
                                        ; implicit-def: $vgpr55
                                        ; implicit-def: $vgpr56
                                        ; implicit-def: $vgpr57
                                        ; implicit-def: $vgpr58
                                        ; implicit-def: $vgpr59
                                        ; implicit-def: $vgpr60
                                        ; implicit-def: $vgpr61
                                        ; implicit-def: $sgpr7
	s_cbranch_execnz .LBB720_37
	s_branch .LBB720_45
.LBB720_33:
                                        ; implicit-def: $sgpr0_sgpr1
                                        ; implicit-def: $vgpr1
                                        ; implicit-def: $vgpr54
                                        ; implicit-def: $vgpr55
                                        ; implicit-def: $vgpr56
                                        ; implicit-def: $vgpr57
                                        ; implicit-def: $vgpr58
                                        ; implicit-def: $vgpr59
                                        ; implicit-def: $vgpr60
                                        ; implicit-def: $vgpr61
	s_cbranch_execz .LBB720_31
; %bb.34:
	v_cmp_ne_u64_e32 vcc, v[6:7], v[8:9]
	v_cndmask_b32_e64 v1, 0, 1, vcc
	v_cmp_ne_u64_e32 vcc, v[20:21], v[26:27]
	v_cndmask_b32_e64 v61, 0, 1, vcc
	;; [unrolled: 2-line block ×8, first 2 shown]
	v_cmp_ne_u64_e32 vcc, v[6:7], v[4:5]
	v_lshlrev_b32_e32 v30, 3, v0
	v_cndmask_b32_e64 v54, 0, 1, vcc
	v_cmp_ne_u32_e32 vcc, 0, v0
	ds_write_b64 v30, v[8:9]
	s_waitcnt lgkmcnt(0)
	s_barrier
	s_waitcnt lgkmcnt(0)
                                        ; implicit-def: $sgpr0_sgpr1
	s_and_saveexec_b64 s[2:3], vcc
	s_xor_b64 s[2:3], exec, s[2:3]
	s_cbranch_execz .LBB720_36
; %bb.35:
	v_add_u32_e32 v22, -8, v30
	ds_read_b64 v[22:23], v22
	s_or_b64 s[30:31], s[30:31], exec
	s_waitcnt lgkmcnt(0)
	v_cmp_ne_u64_e32 vcc, v[22:23], v[18:19]
	s_and_b64 s[0:1], vcc, exec
.LBB720_36:
	s_or_b64 exec, exec, s[2:3]
	s_mov_b32 s7, 1
	s_branch .LBB720_45
.LBB720_37:
	s_mul_hi_u32 s1, s22, 0xfffff600
	s_mul_i32 s0, s23, 0xfffff600
	s_sub_i32 s1, s1, s22
	s_add_i32 s1, s1, s0
	s_mul_i32 s0, s22, 0xfffff600
	s_add_u32 s36, s0, s36
	s_addc_u32 s37, s1, s37
	s_and_b64 vcc, exec, s[44:45]
	v_cmp_ne_u64_e64 s[20:21], v[6:7], v[8:9]
	v_cmp_ne_u64_e64 s[18:19], v[4:5], v[6:7]
	;; [unrolled: 1-line block ×9, first 2 shown]
	v_mul_u32_u24_e32 v22, 10, v0
	v_mad_u32_u24 v24, v0, 10, 9
	v_mad_u32_u24 v38, v0, 10, 8
	;; [unrolled: 1-line block ×8, first 2 shown]
	v_cmp_ne_u32_e64 s[2:3], 0, v0
	s_cbranch_vccz .LBB720_42
; %bb.38:
	v_mov_b32_e32 v25, 0
	s_add_u32 s28, s28, -8
	v_cmp_gt_u64_e32 vcc, s[36:37], v[24:25]
	v_mov_b32_e32 v39, v25
	s_addc_u32 s29, s29, -1
	s_and_b64 s[20:21], vcc, s[20:21]
	v_cmp_gt_u64_e32 vcc, s[36:37], v[38:39]
	v_mov_b32_e32 v37, v25
	s_and_b64 s[18:19], vcc, s[18:19]
	v_cmp_gt_u64_e32 vcc, s[36:37], v[36:37]
	v_mov_b32_e32 v35, v25
	;; [unrolled: 3-line block ×3, first 2 shown]
	s_load_dwordx2 s[28:29], s[28:29], 0x0
	s_and_b64 s[14:15], vcc, s[14:15]
	v_cmp_gt_u64_e32 vcc, s[36:37], v[32:33]
	v_mov_b32_e32 v31, v25
	s_and_b64 s[12:13], vcc, s[12:13]
	v_cmp_gt_u64_e32 vcc, s[36:37], v[30:31]
	v_mov_b32_e32 v29, v25
	;; [unrolled: 3-line block ×3, first 2 shown]
	s_and_b64 s[8:9], vcc, s[8:9]
	v_cmp_gt_u64_e32 vcc, s[36:37], v[26:27]
	v_or_b32_e32 v40, 1, v22
	v_mov_b32_e32 v41, v25
	s_and_b64 s[22:23], vcc, s[22:23]
	v_cmp_gt_u64_e32 vcc, s[36:37], v[40:41]
	v_lshlrev_b32_e32 v1, 3, v0
	s_and_b64 s[0:1], vcc, s[0:1]
	s_waitcnt lgkmcnt(0)
	v_pk_mov_b32 v[40:41], s[28:29], s[28:29] op_sel:[0,1]
	ds_write_b64 v1, v[8:9]
	s_waitcnt lgkmcnt(0)
	s_barrier
	s_and_saveexec_b64 s[28:29], s[2:3]
	s_cbranch_execz .LBB720_40
; %bb.39:
	v_add_u32_e32 v1, -8, v1
	ds_read_b64 v[40:41], v1
.LBB720_40:
	s_or_b64 exec, exec, s[28:29]
	v_mov_b32_e32 v23, v25
	v_cndmask_b32_e64 v61, 0, 1, s[0:1]
	v_cmp_gt_u64_e32 vcc, s[36:37], v[22:23]
	s_waitcnt lgkmcnt(0)
	v_cmp_ne_u64_e64 s[0:1], v[40:41], v[18:19]
	v_cndmask_b32_e64 v1, 0, 1, s[20:21]
	v_cndmask_b32_e64 v54, 0, 1, s[18:19]
	;; [unrolled: 1-line block ×8, first 2 shown]
	s_and_b64 s[0:1], vcc, s[0:1]
	s_mov_b64 s[30:31], -1
.LBB720_41:
                                        ; implicit-def: $sgpr7
	v_mov_b32_e32 v62, s7
	s_and_saveexec_b64 s[2:3], s[30:31]
	s_cbranch_execnz .LBB720_46
	s_branch .LBB720_47
.LBB720_42:
                                        ; implicit-def: $sgpr0_sgpr1
                                        ; implicit-def: $vgpr1
                                        ; implicit-def: $vgpr54
                                        ; implicit-def: $vgpr55
                                        ; implicit-def: $vgpr56
                                        ; implicit-def: $vgpr57
                                        ; implicit-def: $vgpr58
                                        ; implicit-def: $vgpr59
                                        ; implicit-def: $vgpr60
                                        ; implicit-def: $vgpr61
	s_cbranch_execz .LBB720_41
; %bb.43:
	v_mov_b32_e32 v25, 0
	v_cmp_gt_u64_e32 vcc, s[36:37], v[24:25]
	v_cmp_ne_u64_e64 s[0:1], v[6:7], v[8:9]
	s_and_b64 s[0:1], vcc, s[0:1]
	v_mov_b32_e32 v39, v25
	v_cndmask_b32_e64 v1, 0, 1, s[0:1]
	v_cmp_gt_u64_e32 vcc, s[36:37], v[38:39]
	v_cmp_ne_u64_e64 s[0:1], v[4:5], v[6:7]
	s_and_b64 s[0:1], vcc, s[0:1]
	v_mov_b32_e32 v37, v25
	v_cndmask_b32_e64 v54, 0, 1, s[0:1]
	;; [unrolled: 5-line block ×7, first 2 shown]
	v_cmp_gt_u64_e32 vcc, s[36:37], v[26:27]
	v_cmp_ne_u64_e64 s[0:1], v[20:21], v[14:15]
	s_and_b64 s[0:1], vcc, s[0:1]
	v_or_b32_e32 v24, 1, v22
	v_cndmask_b32_e64 v60, 0, 1, s[0:1]
	v_cmp_gt_u64_e32 vcc, s[36:37], v[24:25]
	v_cmp_ne_u64_e64 s[0:1], v[18:19], v[20:21]
	s_and_b64 s[0:1], vcc, s[0:1]
	v_lshlrev_b32_e32 v23, 3, v0
	s_mov_b32 s7, 1
	v_cndmask_b32_e64 v61, 0, 1, s[0:1]
	v_cmp_ne_u32_e32 vcc, 0, v0
	ds_write_b64 v23, v[8:9]
	s_waitcnt lgkmcnt(0)
	s_barrier
	s_waitcnt lgkmcnt(0)
                                        ; implicit-def: $sgpr0_sgpr1
	s_and_saveexec_b64 s[2:3], vcc
	s_cbranch_execz .LBB720_126
; %bb.44:
	v_add_u32_e32 v23, -8, v23
	ds_read_b64 v[26:27], v23
	v_mov_b32_e32 v23, v25
	v_cmp_gt_u64_e32 vcc, s[36:37], v[22:23]
	s_or_b64 s[30:31], s[30:31], exec
	s_waitcnt lgkmcnt(0)
	v_cmp_ne_u64_e64 s[0:1], v[26:27], v[18:19]
	s_and_b64 s[0:1], vcc, s[0:1]
	s_and_b64 s[0:1], s[0:1], exec
	s_or_b64 exec, exec, s[2:3]
.LBB720_45:
	v_mov_b32_e32 v62, s7
	s_and_saveexec_b64 s[2:3], s[30:31]
.LBB720_46:
	v_cndmask_b32_e64 v62, 0, 1, s[0:1]
.LBB720_47:
	s_or_b64 exec, exec, s[2:3]
	s_load_dwordx4 s[28:31], s[4:5], 0x20
	s_load_dwordx2 s[22:23], s[4:5], 0x30
	s_cmp_eq_u64 s[26:27], 0
	v_add_u32_e32 v22, v61, v62
	s_cselect_b64 s[26:27], -1, 0
	s_cmp_lg_u32 s6, 0
	v_cmp_eq_u32_e64 s[14:15], 0, v61
	v_cmp_eq_u32_e64 s[12:13], 0, v60
	v_add3_u32 v53, v22, v60, v59
	v_cmp_eq_u32_e64 s[10:11], 0, v59
	v_cmp_eq_u32_e64 s[8:9], 0, v58
	;; [unrolled: 1-line block ×6, first 2 shown]
	v_cmp_eq_u32_e32 vcc, 0, v1
	v_mbcnt_lo_u32_b32 v52, -1, 0
	v_lshrrev_b32_e32 v50, 6, v0
	v_or_b32_e32 v51, 63, v0
	s_cbranch_scc0 .LBB720_74
; %bb.48:
	v_cndmask_b32_e64 v22, 0, v48, s[14:15]
	v_add_u32_e32 v22, v22, v48
	v_cndmask_b32_e64 v22, 0, v22, s[12:13]
	v_add_u32_e32 v22, v22, v48
	v_cndmask_b32_e64 v22, 0, v22, s[10:11]
	v_add_u32_e32 v22, v22, v48
	v_cndmask_b32_e64 v22, 0, v22, s[8:9]
	v_add_u32_e32 v22, v22, v48
	v_cndmask_b32_e64 v22, 0, v22, s[18:19]
	v_add_u32_e32 v22, v22, v48
	v_cndmask_b32_e64 v22, 0, v22, s[4:5]
	v_add_u32_e32 v22, v22, v48
	v_cndmask_b32_e64 v22, 0, v22, s[2:3]
	v_add_u32_e32 v22, v22, v48
	v_cndmask_b32_e64 v22, 0, v22, s[0:1]
	v_add3_u32 v23, v53, v58, v57
	v_add_u32_e32 v22, v22, v48
	v_add3_u32 v23, v23, v56, v55
	v_cndmask_b32_e32 v22, 0, v22, vcc
	v_add3_u32 v23, v23, v54, v1
	v_add_u32_e32 v22, v22, v49
	v_mbcnt_hi_u32_b32 v31, -1, v52
	v_and_b32_e32 v24, 15, v31
	v_mov_b32_dpp v26, v22 row_shr:1 row_mask:0xf bank_mask:0xf
	v_cmp_eq_u32_e32 vcc, 0, v23
	v_mov_b32_dpp v25, v23 row_shr:1 row_mask:0xf bank_mask:0xf
	v_cndmask_b32_e32 v26, 0, v26, vcc
	v_cmp_eq_u32_e32 vcc, 0, v24
	v_cndmask_b32_e64 v25, v25, 0, vcc
	v_add_u32_e32 v23, v25, v23
	v_cndmask_b32_e64 v25, v26, 0, vcc
	v_add_u32_e32 v22, v25, v22
	v_cmp_eq_u32_e32 vcc, 0, v23
	v_mov_b32_dpp v25, v23 row_shr:2 row_mask:0xf bank_mask:0xf
	v_cmp_lt_u32_e64 s[16:17], 1, v24
	v_mov_b32_dpp v26, v22 row_shr:2 row_mask:0xf bank_mask:0xf
	v_cndmask_b32_e64 v25, 0, v25, s[16:17]
	s_and_b64 vcc, s[16:17], vcc
	v_cndmask_b32_e32 v26, 0, v26, vcc
	v_add_u32_e32 v23, v23, v25
	v_add_u32_e32 v22, v26, v22
	v_cmp_eq_u32_e32 vcc, 0, v23
	v_mov_b32_dpp v25, v23 row_shr:4 row_mask:0xf bank_mask:0xf
	v_cmp_lt_u32_e64 s[16:17], 3, v24
	v_mov_b32_dpp v26, v22 row_shr:4 row_mask:0xf bank_mask:0xf
	v_cndmask_b32_e64 v25, 0, v25, s[16:17]
	s_and_b64 vcc, s[16:17], vcc
	v_cndmask_b32_e32 v26, 0, v26, vcc
	v_add_u32_e32 v23, v25, v23
	v_add_u32_e32 v22, v22, v26
	v_cmp_eq_u32_e32 vcc, 0, v23
	v_cmp_lt_u32_e64 s[16:17], 7, v24
	v_mov_b32_dpp v25, v23 row_shr:8 row_mask:0xf bank_mask:0xf
	v_mov_b32_dpp v26, v22 row_shr:8 row_mask:0xf bank_mask:0xf
	s_and_b64 vcc, s[16:17], vcc
	v_cndmask_b32_e64 v24, 0, v25, s[16:17]
	v_cndmask_b32_e32 v25, 0, v26, vcc
	v_add_u32_e32 v22, v25, v22
	v_add_u32_e32 v23, v24, v23
	v_bfe_i32 v26, v31, 4, 1
	v_mov_b32_dpp v25, v22 row_bcast:15 row_mask:0xf bank_mask:0xf
	v_mov_b32_dpp v24, v23 row_bcast:15 row_mask:0xf bank_mask:0xf
	v_cmp_eq_u32_e32 vcc, 0, v23
	v_cndmask_b32_e32 v25, 0, v25, vcc
	v_and_b32_e32 v24, v26, v24
	v_add_u32_e32 v23, v24, v23
	v_and_b32_e32 v24, v26, v25
	v_add_u32_e32 v24, v24, v22
	v_mov_b32_dpp v22, v23 row_bcast:31 row_mask:0xf bank_mask:0xf
	v_cmp_eq_u32_e32 vcc, 0, v23
	v_cmp_lt_u32_e64 s[16:17], 31, v31
	v_mov_b32_dpp v25, v24 row_bcast:31 row_mask:0xf bank_mask:0xf
	v_cndmask_b32_e64 v22, 0, v22, s[16:17]
	s_and_b64 vcc, s[16:17], vcc
	v_add_u32_e32 v22, v22, v23
	v_cndmask_b32_e32 v23, 0, v25, vcc
	v_add_u32_e32 v23, v23, v24
	v_cmp_eq_u32_e32 vcc, v51, v0
	v_lshlrev_b32_e32 v24, 3, v50
	s_and_saveexec_b64 s[16:17], vcc
	s_cbranch_execz .LBB720_50
; %bb.49:
	ds_write_b64 v24, v[22:23] offset:4112
.LBB720_50:
	s_or_b64 exec, exec, s[16:17]
	v_cmp_gt_u32_e32 vcc, 4, v0
	s_waitcnt lgkmcnt(0)
	s_barrier
	s_and_saveexec_b64 s[20:21], vcc
	s_cbranch_execz .LBB720_52
; %bb.51:
	v_lshlrev_b32_e32 v25, 3, v0
	ds_read_b64 v[26:27], v25 offset:4112
	v_and_b32_e32 v28, 3, v31
	v_cmp_lt_u32_e64 s[16:17], 1, v28
	s_waitcnt lgkmcnt(0)
	v_mov_b32_dpp v30, v27 row_shr:1 row_mask:0xf bank_mask:0xf
	v_cmp_eq_u32_e32 vcc, 0, v26
	v_mov_b32_dpp v29, v26 row_shr:1 row_mask:0xf bank_mask:0xf
	v_cndmask_b32_e32 v30, 0, v30, vcc
	v_cmp_eq_u32_e32 vcc, 0, v28
	v_cndmask_b32_e64 v29, v29, 0, vcc
	v_add_u32_e32 v26, v29, v26
	v_cndmask_b32_e64 v29, v30, 0, vcc
	v_add_u32_e32 v27, v29, v27
	v_cmp_eq_u32_e32 vcc, 0, v26
	v_mov_b32_dpp v29, v26 row_shr:2 row_mask:0xf bank_mask:0xf
	v_mov_b32_dpp v30, v27 row_shr:2 row_mask:0xf bank_mask:0xf
	v_cndmask_b32_e64 v28, 0, v29, s[16:17]
	s_and_b64 vcc, s[16:17], vcc
	v_add_u32_e32 v26, v28, v26
	v_cndmask_b32_e32 v28, 0, v30, vcc
	v_add_u32_e32 v27, v28, v27
	ds_write_b64 v25, v[26:27] offset:4112
.LBB720_52:
	s_or_b64 exec, exec, s[20:21]
	v_cmp_gt_u32_e32 vcc, 64, v0
	v_cmp_lt_u32_e64 s[16:17], 63, v0
	v_mov_b32_e32 v28, 0
	v_mov_b32_e32 v29, 0
	s_waitcnt lgkmcnt(0)
	s_barrier
	s_and_saveexec_b64 s[20:21], s[16:17]
	s_cbranch_execz .LBB720_54
; %bb.53:
	ds_read_b64 v[28:29], v24 offset:4104
	v_cmp_eq_u32_e64 s[16:17], 0, v22
	s_waitcnt lgkmcnt(0)
	v_add_u32_e32 v24, v28, v22
	v_cndmask_b32_e64 v22, 0, v29, s[16:17]
	v_add_u32_e32 v23, v22, v23
	v_mov_b32_e32 v22, v24
.LBB720_54:
	s_or_b64 exec, exec, s[20:21]
	v_add_u32_e32 v24, -1, v31
	v_and_b32_e32 v25, 64, v31
	v_cmp_lt_i32_e64 s[16:17], v24, v25
	v_cndmask_b32_e64 v24, v24, v31, s[16:17]
	v_lshlrev_b32_e32 v24, 2, v24
	ds_bpermute_b32 v36, v24, v22
	ds_bpermute_b32 v37, v24, v23
	v_cmp_eq_u32_e64 s[16:17], 0, v31
	s_and_saveexec_b64 s[36:37], vcc
	s_cbranch_execz .LBB720_73
; %bb.55:
	v_mov_b32_e32 v27, 0
	ds_read_b64 v[22:23], v27 offset:4136
	s_waitcnt lgkmcnt(0)
	v_readfirstlane_b32 s7, v22
	v_readfirstlane_b32 s46, v23
	s_and_saveexec_b64 s[20:21], s[16:17]
	s_cbranch_execz .LBB720_57
; %bb.56:
	s_add_i32 s44, s6, 64
	s_mov_b32 s45, 0
	s_lshl_b64 s[48:49], s[44:45], 4
	s_add_u32 s48, s24, s48
	s_addc_u32 s49, s25, s49
	s_and_b32 s51, s46, 0xff000000
	s_mov_b32 s50, s45
	s_and_b32 s53, s46, 0xff0000
	s_mov_b32 s52, s45
	s_or_b64 s[50:51], s[52:53], s[50:51]
	s_and_b32 s53, s46, 0xff00
	s_or_b64 s[50:51], s[50:51], s[52:53]
	s_and_b32 s53, s46, 0xff
	s_or_b64 s[44:45], s[50:51], s[52:53]
	v_mov_b32_e32 v24, s7
	v_mov_b32_e32 v25, s45
	;; [unrolled: 1-line block ×3, first 2 shown]
	v_pk_mov_b32 v[22:23], s[48:49], s[48:49] op_sel:[0,1]
	;;#ASMSTART
	global_store_dwordx4 v[22:23], v[24:27] off	
s_waitcnt vmcnt(0)
	;;#ASMEND
.LBB720_57:
	s_or_b64 exec, exec, s[20:21]
	v_xad_u32 v30, v31, -1, s6
	v_add_u32_e32 v26, 64, v30
	v_lshlrev_b64 v[22:23], 4, v[26:27]
	v_mov_b32_e32 v24, s25
	v_add_co_u32_e32 v32, vcc, s24, v22
	v_addc_co_u32_e32 v33, vcc, v24, v23, vcc
	;;#ASMSTART
	global_load_dwordx4 v[22:25], v[32:33] off glc	
s_waitcnt vmcnt(0)
	;;#ASMEND
	v_and_b32_e32 v25, 0xff, v23
	v_and_b32_e32 v26, 0xff00, v23
	v_or3_b32 v25, 0, v25, v26
	v_or3_b32 v22, v22, 0, 0
	v_and_b32_e32 v26, 0xff000000, v23
	v_and_b32_e32 v23, 0xff0000, v23
	v_or3_b32 v23, v25, v23, v26
	v_or3_b32 v22, v22, 0, 0
	v_cmp_eq_u16_sdwa s[44:45], v24, v27 src0_sel:BYTE_0 src1_sel:DWORD
	s_and_saveexec_b64 s[20:21], s[44:45]
	s_cbranch_execz .LBB720_61
; %bb.58:
	s_mov_b64 s[44:45], 0
	v_mov_b32_e32 v26, 0
.LBB720_59:                             ; =>This Inner Loop Header: Depth=1
	;;#ASMSTART
	global_load_dwordx4 v[22:25], v[32:33] off glc	
s_waitcnt vmcnt(0)
	;;#ASMEND
	v_cmp_ne_u16_sdwa s[48:49], v24, v26 src0_sel:BYTE_0 src1_sel:DWORD
	s_or_b64 s[44:45], s[48:49], s[44:45]
	s_andn2_b64 exec, exec, s[44:45]
	s_cbranch_execnz .LBB720_59
; %bb.60:
	s_or_b64 exec, exec, s[44:45]
.LBB720_61:
	s_or_b64 exec, exec, s[20:21]
	v_mov_b32_e32 v38, 2
	v_cmp_eq_u16_sdwa s[20:21], v24, v38 src0_sel:BYTE_0 src1_sel:DWORD
	v_lshlrev_b64 v[32:33], v31, -1
	v_and_b32_e32 v25, s21, v33
	v_and_b32_e32 v39, 63, v31
	v_or_b32_e32 v25, 0x80000000, v25
	v_cmp_ne_u32_e32 vcc, 63, v39
	v_and_b32_e32 v26, s20, v32
	v_ffbl_b32_e32 v25, v25
	v_addc_co_u32_e32 v27, vcc, 0, v31, vcc
	v_add_u32_e32 v25, 32, v25
	v_ffbl_b32_e32 v26, v26
	v_lshlrev_b32_e32 v40, 2, v27
	v_min_u32_e32 v25, v26, v25
	ds_bpermute_b32 v26, v40, v23
	v_cmp_eq_u32_e32 vcc, 0, v22
	v_cmp_lt_u32_e64 s[20:21], v39, v25
	ds_bpermute_b32 v27, v40, v22
	s_and_b64 vcc, s[20:21], vcc
	s_waitcnt lgkmcnt(1)
	v_cndmask_b32_e32 v26, 0, v26, vcc
	v_cmp_gt_u32_e32 vcc, 62, v39
	v_add_u32_e32 v23, v26, v23
	v_cndmask_b32_e64 v26, 0, 1, vcc
	v_lshlrev_b32_e32 v26, 1, v26
	v_add_lshl_u32 v41, v26, v31, 2
	s_waitcnt lgkmcnt(0)
	v_cndmask_b32_e64 v27, 0, v27, s[20:21]
	ds_bpermute_b32 v26, v41, v23
	v_add_u32_e32 v22, v27, v22
	ds_bpermute_b32 v27, v41, v22
	v_add_u32_e32 v42, 2, v39
	v_cmp_eq_u32_e32 vcc, 0, v22
	s_waitcnt lgkmcnt(1)
	v_cndmask_b32_e32 v26, 0, v26, vcc
	v_cmp_gt_u32_e32 vcc, v42, v25
	v_cndmask_b32_e64 v26, v26, 0, vcc
	v_add_u32_e32 v23, v26, v23
	s_waitcnt lgkmcnt(0)
	v_cndmask_b32_e64 v26, v27, 0, vcc
	v_cmp_gt_u32_e32 vcc, 60, v39
	v_cndmask_b32_e64 v27, 0, 1, vcc
	v_lshlrev_b32_e32 v27, 2, v27
	v_add_lshl_u32 v43, v27, v31, 2
	ds_bpermute_b32 v27, v43, v23
	v_add_u32_e32 v22, v22, v26
	ds_bpermute_b32 v26, v43, v22
	v_add_u32_e32 v44, 4, v39
	v_cmp_eq_u32_e32 vcc, 0, v22
	s_waitcnt lgkmcnt(1)
	v_cndmask_b32_e32 v27, 0, v27, vcc
	v_cmp_gt_u32_e32 vcc, v44, v25
	v_cndmask_b32_e64 v27, v27, 0, vcc
	s_waitcnt lgkmcnt(0)
	v_cndmask_b32_e64 v26, v26, 0, vcc
	v_cmp_gt_u32_e32 vcc, 56, v39
	v_add_u32_e32 v23, v23, v27
	v_cndmask_b32_e64 v27, 0, 1, vcc
	v_lshlrev_b32_e32 v27, 3, v27
	v_add_lshl_u32 v45, v27, v31, 2
	ds_bpermute_b32 v27, v45, v23
	v_add_u32_e32 v22, v22, v26
	ds_bpermute_b32 v26, v45, v22
	v_add_u32_e32 v46, 8, v39
	v_cmp_eq_u32_e32 vcc, 0, v22
	s_waitcnt lgkmcnt(1)
	v_cndmask_b32_e32 v27, 0, v27, vcc
	v_cmp_gt_u32_e32 vcc, v46, v25
	v_cndmask_b32_e64 v27, v27, 0, vcc
	s_waitcnt lgkmcnt(0)
	v_cndmask_b32_e64 v26, v26, 0, vcc
	v_cmp_gt_u32_e32 vcc, 48, v39
	v_add_u32_e32 v23, v23, v27
	;; [unrolled: 16-line block ×3, first 2 shown]
	v_cndmask_b32_e64 v27, 0, 1, vcc
	v_lshlrev_b32_e32 v27, 5, v27
	v_add_lshl_u32 v64, v27, v31, 2
	ds_bpermute_b32 v27, v64, v23
	v_add_u32_e32 v22, v22, v26
	ds_bpermute_b32 v26, v64, v22
	v_add_u32_e32 v65, 32, v39
	v_cmp_eq_u32_e32 vcc, 0, v22
	s_waitcnt lgkmcnt(1)
	v_cndmask_b32_e32 v27, 0, v27, vcc
	v_cmp_gt_u32_e32 vcc, v65, v25
	v_cndmask_b32_e64 v25, v27, 0, vcc
	v_add_u32_e32 v23, v25, v23
	s_waitcnt lgkmcnt(0)
	v_cndmask_b32_e64 v25, v26, 0, vcc
	v_add_u32_e32 v22, v25, v22
	v_mov_b32_e32 v31, 0
	s_branch .LBB720_63
.LBB720_62:                             ;   in Loop: Header=BB720_63 Depth=1
	s_or_b64 exec, exec, s[20:21]
	v_cmp_eq_u16_sdwa s[20:21], v24, v38 src0_sel:BYTE_0 src1_sel:DWORD
	v_and_b32_e32 v25, s21, v33
	v_or_b32_e32 v25, 0x80000000, v25
	v_and_b32_e32 v34, s20, v32
	v_ffbl_b32_e32 v25, v25
	v_add_u32_e32 v25, 32, v25
	v_ffbl_b32_e32 v34, v34
	v_min_u32_e32 v25, v34, v25
	ds_bpermute_b32 v34, v40, v23
	v_cmp_eq_u32_e32 vcc, 0, v22
	v_cmp_lt_u32_e64 s[20:21], v39, v25
	ds_bpermute_b32 v35, v40, v22
	s_and_b64 vcc, s[20:21], vcc
	s_waitcnt lgkmcnt(1)
	v_cndmask_b32_e32 v34, 0, v34, vcc
	v_add_u32_e32 v23, v34, v23
	ds_bpermute_b32 v34, v41, v23
	s_waitcnt lgkmcnt(1)
	v_cndmask_b32_e64 v35, 0, v35, s[20:21]
	v_add_u32_e32 v22, v35, v22
	v_cmp_eq_u32_e32 vcc, 0, v22
	ds_bpermute_b32 v35, v41, v22
	s_waitcnt lgkmcnt(1)
	v_cndmask_b32_e32 v34, 0, v34, vcc
	v_cmp_gt_u32_e32 vcc, v42, v25
	v_cndmask_b32_e64 v34, v34, 0, vcc
	v_add_u32_e32 v23, v34, v23
	ds_bpermute_b32 v34, v43, v23
	s_waitcnt lgkmcnt(1)
	v_cndmask_b32_e64 v35, v35, 0, vcc
	v_add_u32_e32 v22, v22, v35
	v_cmp_eq_u32_e32 vcc, 0, v22
	ds_bpermute_b32 v35, v43, v22
	s_waitcnt lgkmcnt(1)
	v_cndmask_b32_e32 v34, 0, v34, vcc
	v_cmp_gt_u32_e32 vcc, v44, v25
	v_cndmask_b32_e64 v34, v34, 0, vcc
	v_add_u32_e32 v23, v23, v34
	ds_bpermute_b32 v34, v45, v23
	s_waitcnt lgkmcnt(1)
	v_cndmask_b32_e64 v35, v35, 0, vcc
	v_add_u32_e32 v22, v22, v35
	ds_bpermute_b32 v35, v45, v22
	v_cmp_eq_u32_e32 vcc, 0, v22
	s_waitcnt lgkmcnt(1)
	v_cndmask_b32_e32 v34, 0, v34, vcc
	v_cmp_gt_u32_e32 vcc, v46, v25
	v_cndmask_b32_e64 v34, v34, 0, vcc
	v_add_u32_e32 v23, v23, v34
	ds_bpermute_b32 v34, v47, v23
	s_waitcnt lgkmcnt(1)
	v_cndmask_b32_e64 v35, v35, 0, vcc
	v_add_u32_e32 v22, v22, v35
	ds_bpermute_b32 v35, v47, v22
	v_cmp_eq_u32_e32 vcc, 0, v22
	;; [unrolled: 11-line block ×3, first 2 shown]
	s_waitcnt lgkmcnt(1)
	v_cndmask_b32_e32 v34, 0, v34, vcc
	v_cmp_gt_u32_e32 vcc, v65, v25
	v_cndmask_b32_e64 v25, v34, 0, vcc
	v_add_u32_e32 v23, v25, v23
	s_waitcnt lgkmcnt(0)
	v_cndmask_b32_e64 v25, v35, 0, vcc
	v_cmp_eq_u32_e32 vcc, 0, v26
	v_cndmask_b32_e32 v23, 0, v23, vcc
	v_subrev_u32_e32 v30, 64, v30
	v_add3_u32 v22, v22, v26, v25
	v_add_u32_e32 v23, v23, v27
.LBB720_63:                             ; =>This Loop Header: Depth=1
                                        ;     Child Loop BB720_66 Depth 2
	v_cmp_ne_u16_sdwa s[20:21], v24, v38 src0_sel:BYTE_0 src1_sel:DWORD
	v_mov_b32_e32 v27, v23
	v_cndmask_b32_e64 v23, 0, 1, s[20:21]
	;;#ASMSTART
	;;#ASMEND
	v_cmp_ne_u32_e32 vcc, 0, v23
	s_cmp_lg_u64 vcc, exec
	v_mov_b32_e32 v26, v22
	s_cbranch_scc1 .LBB720_68
; %bb.64:                               ;   in Loop: Header=BB720_63 Depth=1
	v_lshlrev_b64 v[22:23], 4, v[30:31]
	v_mov_b32_e32 v24, s25
	v_add_co_u32_e32 v34, vcc, s24, v22
	v_addc_co_u32_e32 v35, vcc, v24, v23, vcc
	;;#ASMSTART
	global_load_dwordx4 v[22:25], v[34:35] off glc	
s_waitcnt vmcnt(0)
	;;#ASMEND
	v_and_b32_e32 v25, 0xff, v23
	v_and_b32_e32 v66, 0xff00, v23
	v_or3_b32 v25, 0, v25, v66
	v_or3_b32 v22, v22, 0, 0
	v_and_b32_e32 v66, 0xff000000, v23
	v_and_b32_e32 v23, 0xff0000, v23
	v_or3_b32 v23, v25, v23, v66
	v_or3_b32 v22, v22, 0, 0
	v_cmp_eq_u16_sdwa s[44:45], v24, v31 src0_sel:BYTE_0 src1_sel:DWORD
	s_and_saveexec_b64 s[20:21], s[44:45]
	s_cbranch_execz .LBB720_62
; %bb.65:                               ;   in Loop: Header=BB720_63 Depth=1
	s_mov_b64 s[44:45], 0
.LBB720_66:                             ;   Parent Loop BB720_63 Depth=1
                                        ; =>  This Inner Loop Header: Depth=2
	;;#ASMSTART
	global_load_dwordx4 v[22:25], v[34:35] off glc	
s_waitcnt vmcnt(0)
	;;#ASMEND
	v_cmp_ne_u16_sdwa s[48:49], v24, v31 src0_sel:BYTE_0 src1_sel:DWORD
	s_or_b64 s[44:45], s[48:49], s[44:45]
	s_andn2_b64 exec, exec, s[44:45]
	s_cbranch_execnz .LBB720_66
; %bb.67:                               ;   in Loop: Header=BB720_63 Depth=1
	s_or_b64 exec, exec, s[44:45]
	s_branch .LBB720_62
.LBB720_68:                             ;   in Loop: Header=BB720_63 Depth=1
                                        ; implicit-def: $vgpr23
                                        ; implicit-def: $vgpr22
                                        ; implicit-def: $vgpr24
	s_cbranch_execz .LBB720_63
; %bb.69:
	s_and_saveexec_b64 s[20:21], s[16:17]
	s_cbranch_execz .LBB720_71
; %bb.70:
	s_cmp_eq_u32 s7, 0
	s_cselect_b64 vcc, -1, 0
	s_mov_b32 s45, 0
	v_cndmask_b32_e32 v22, 0, v27, vcc
	s_add_i32 s44, s6, 64
	v_add_u32_e32 v22, s46, v22
	s_lshl_b64 s[44:45], s[44:45], 4
	s_add_u32 s44, s24, s44
	v_and_b32_e32 v23, 0xff000000, v22
	v_and_b32_e32 v24, 0xff0000, v22
	s_addc_u32 s45, s25, s45
	v_or_b32_e32 v23, v24, v23
	v_and_b32_e32 v24, 0xff00, v22
	v_and_b32_e32 v22, 0xff, v22
	v_add_u32_e32 v30, s7, v26
	v_mov_b32_e32 v33, 0
	v_or3_b32 v31, v23, v24, v22
	v_mov_b32_e32 v32, 2
	v_pk_mov_b32 v[22:23], s[44:45], s[44:45] op_sel:[0,1]
	;;#ASMSTART
	global_store_dwordx4 v[22:23], v[30:33] off	
s_waitcnt vmcnt(0)
	;;#ASMEND
	v_mov_b32_e32 v24, s7
	v_mov_b32_e32 v25, s46
	ds_write_b128 v33, v[24:27] offset:4096
.LBB720_71:
	s_or_b64 exec, exec, s[20:21]
	v_cmp_eq_u32_e32 vcc, 0, v0
	s_and_b64 exec, exec, vcc
	s_cbranch_execz .LBB720_73
; %bb.72:
	v_mov_b32_e32 v22, 0
	ds_write_b64 v22, v[26:27] offset:4136
.LBB720_73:
	s_or_b64 exec, exec, s[36:37]
	v_mov_b32_e32 v24, 0
	s_waitcnt lgkmcnt(0)
	s_barrier
	ds_read_b64 v[22:23], v24 offset:4136
	v_cndmask_b32_e64 v26, v36, v28, s[16:17]
	v_cmp_eq_u32_e32 vcc, 0, v26
	v_cndmask_b32_e64 v25, v37, v29, s[16:17]
	s_waitcnt lgkmcnt(0)
	v_cndmask_b32_e32 v27, 0, v23, vcc
	v_add_u32_e32 v25, v27, v25
	v_cmp_eq_u32_e32 vcc, 0, v0
	v_cndmask_b32_e32 v47, v25, v23, vcc
	v_cndmask_b32_e64 v23, v26, 0, vcc
	v_cmp_eq_u32_e32 vcc, 0, v62
	v_add_u32_e32 v46, v22, v23
	v_cndmask_b32_e32 v22, 0, v47, vcc
	v_add_u32_e32 v45, v22, v48
	v_cndmask_b32_e64 v22, 0, v45, s[14:15]
	v_add_u32_e32 v43, v22, v48
	v_cndmask_b32_e64 v22, 0, v43, s[12:13]
	v_add_u32_e32 v41, v22, v48
	v_cndmask_b32_e64 v22, 0, v41, s[10:11]
	v_add_u32_e32 v39, v22, v48
	v_cndmask_b32_e64 v22, 0, v39, s[8:9]
	v_add_u32_e32 v37, v22, v48
	v_cndmask_b32_e64 v22, 0, v37, s[18:19]
	v_add_u32_e32 v35, v22, v48
	v_add_u32_e32 v44, v46, v62
	v_cndmask_b32_e64 v22, 0, v35, s[4:5]
	v_add_u32_e32 v42, v44, v61
	v_add_u32_e32 v33, v22, v48
	s_barrier
	ds_read_b128 v[22:25], v24 offset:4096
	v_add_u32_e32 v40, v42, v60
	v_add_u32_e32 v38, v40, v59
	;; [unrolled: 1-line block ×4, first 2 shown]
	v_cndmask_b32_e64 v26, 0, v33, s[2:3]
	v_add_u32_e32 v32, v34, v56
	v_add_u32_e32 v29, v26, v48
	s_waitcnt lgkmcnt(0)
	v_cmp_eq_u32_e32 vcc, 0, v22
	v_add_u32_e32 v28, v32, v55
	v_cndmask_b32_e64 v26, 0, v29, s[0:1]
	v_cndmask_b32_e32 v25, 0, v25, vcc
	v_add_u32_e32 v30, v28, v54
	v_add_u32_e32 v31, v26, v48
	;; [unrolled: 1-line block ×3, first 2 shown]
	s_branch .LBB720_86
.LBB720_74:
                                        ; implicit-def: $vgpr22
                                        ; implicit-def: $vgpr26
                                        ; implicit-def: $vgpr30_vgpr31
                                        ; implicit-def: $vgpr28_vgpr29
                                        ; implicit-def: $vgpr32_vgpr33
                                        ; implicit-def: $vgpr34_vgpr35
                                        ; implicit-def: $vgpr46_vgpr47
                                        ; implicit-def: $vgpr44_vgpr45
                                        ; implicit-def: $vgpr42_vgpr43
                                        ; implicit-def: $vgpr40_vgpr41
                                        ; implicit-def: $vgpr38_vgpr39
                                        ; implicit-def: $vgpr36_vgpr37
	s_cbranch_execz .LBB720_86
; %bb.75:
	s_and_b64 s[0:1], s[26:27], exec
	s_cselect_b32 s1, 0, s43
	s_cselect_b32 s0, 0, s42
	s_cmp_eq_u64 s[0:1], 0
	v_mov_b32_e32 v26, v48
	s_cbranch_scc1 .LBB720_77
; %bb.76:
	v_mov_b32_e32 v22, 0
	global_load_dword v26, v22, s[0:1]
.LBB720_77:
	v_cmp_eq_u32_e64 s[0:1], 0, v61
	v_cndmask_b32_e64 v22, 0, v48, s[0:1]
	v_add_u32_e32 v22, v22, v48
	v_cmp_eq_u32_e64 s[2:3], 0, v60
	v_cndmask_b32_e64 v22, 0, v22, s[2:3]
	v_add_u32_e32 v22, v22, v48
	;; [unrolled: 3-line block ×7, first 2 shown]
	v_cmp_eq_u32_e32 vcc, 0, v54
	v_cndmask_b32_e32 v22, 0, v22, vcc
	v_add3_u32 v23, v53, v58, v57
	v_add_u32_e32 v22, v22, v48
	v_cmp_eq_u32_e64 s[14:15], 0, v1
	v_add3_u32 v23, v23, v56, v55
	v_cndmask_b32_e64 v22, 0, v22, s[14:15]
	v_add3_u32 v23, v23, v54, v1
	v_add_u32_e32 v22, v22, v49
	v_mbcnt_hi_u32_b32 v27, -1, v52
	v_and_b32_e32 v24, 15, v27
	v_mov_b32_dpp v28, v22 row_shr:1 row_mask:0xf bank_mask:0xf
	v_cmp_eq_u32_e64 s[14:15], 0, v23
	v_mov_b32_dpp v25, v23 row_shr:1 row_mask:0xf bank_mask:0xf
	v_cndmask_b32_e64 v28, 0, v28, s[14:15]
	v_cmp_eq_u32_e64 s[14:15], 0, v24
	v_cndmask_b32_e64 v25, v25, 0, s[14:15]
	v_add_u32_e32 v23, v25, v23
	v_cndmask_b32_e64 v25, v28, 0, s[14:15]
	v_add_u32_e32 v22, v25, v22
	v_cmp_eq_u32_e64 s[14:15], 0, v23
	v_mov_b32_dpp v25, v23 row_shr:2 row_mask:0xf bank_mask:0xf
	v_cmp_lt_u32_e64 s[16:17], 1, v24
	v_mov_b32_dpp v28, v22 row_shr:2 row_mask:0xf bank_mask:0xf
	v_cndmask_b32_e64 v25, 0, v25, s[16:17]
	s_and_b64 s[14:15], s[16:17], s[14:15]
	v_cndmask_b32_e64 v28, 0, v28, s[14:15]
	v_add_u32_e32 v23, v23, v25
	v_add_u32_e32 v22, v28, v22
	v_cmp_eq_u32_e64 s[14:15], 0, v23
	v_mov_b32_dpp v25, v23 row_shr:4 row_mask:0xf bank_mask:0xf
	v_cmp_lt_u32_e64 s[16:17], 3, v24
	v_mov_b32_dpp v28, v22 row_shr:4 row_mask:0xf bank_mask:0xf
	v_cndmask_b32_e64 v25, 0, v25, s[16:17]
	s_and_b64 s[14:15], s[16:17], s[14:15]
	v_cndmask_b32_e64 v28, 0, v28, s[14:15]
	v_add_u32_e32 v23, v25, v23
	v_add_u32_e32 v22, v22, v28
	v_cmp_eq_u32_e64 s[14:15], 0, v23
	v_cmp_lt_u32_e64 s[16:17], 7, v24
	v_mov_b32_dpp v25, v23 row_shr:8 row_mask:0xf bank_mask:0xf
	v_mov_b32_dpp v28, v22 row_shr:8 row_mask:0xf bank_mask:0xf
	s_and_b64 s[14:15], s[16:17], s[14:15]
	v_cndmask_b32_e64 v24, 0, v25, s[16:17]
	v_cndmask_b32_e64 v25, 0, v28, s[14:15]
	v_add_u32_e32 v22, v25, v22
	v_add_u32_e32 v23, v24, v23
	v_bfe_i32 v28, v27, 4, 1
	v_mov_b32_dpp v25, v22 row_bcast:15 row_mask:0xf bank_mask:0xf
	v_mov_b32_dpp v24, v23 row_bcast:15 row_mask:0xf bank_mask:0xf
	v_cmp_eq_u32_e64 s[14:15], 0, v23
	v_cndmask_b32_e64 v25, 0, v25, s[14:15]
	v_and_b32_e32 v24, v28, v24
	v_add_u32_e32 v23, v24, v23
	v_and_b32_e32 v24, v28, v25
	v_add_u32_e32 v24, v24, v22
	v_mov_b32_dpp v22, v23 row_bcast:31 row_mask:0xf bank_mask:0xf
	v_cmp_eq_u32_e64 s[14:15], 0, v23
	v_cmp_lt_u32_e64 s[16:17], 31, v27
	v_mov_b32_dpp v25, v24 row_bcast:31 row_mask:0xf bank_mask:0xf
	v_cndmask_b32_e64 v22, 0, v22, s[16:17]
	s_and_b64 s[14:15], s[16:17], s[14:15]
	v_add_u32_e32 v22, v22, v23
	v_cndmask_b32_e64 v23, 0, v25, s[14:15]
	v_add_u32_e32 v23, v23, v24
	v_cmp_eq_u32_e64 s[14:15], v51, v0
	v_lshlrev_b32_e32 v25, 3, v50
	s_and_saveexec_b64 s[16:17], s[14:15]
	s_cbranch_execz .LBB720_79
; %bb.78:
	ds_write_b64 v25, v[22:23] offset:4112
.LBB720_79:
	s_or_b64 exec, exec, s[16:17]
	v_cmp_gt_u32_e64 s[14:15], 4, v0
	s_waitcnt lgkmcnt(0)
	s_barrier
	s_and_saveexec_b64 s[18:19], s[14:15]
	s_cbranch_execz .LBB720_81
; %bb.80:
	v_lshlrev_b32_e32 v24, 3, v0
	ds_read_b64 v[28:29], v24 offset:4112
	v_and_b32_e32 v30, 3, v27
	v_cmp_lt_u32_e64 s[16:17], 1, v30
	s_waitcnt lgkmcnt(0)
	v_mov_b32_dpp v32, v29 row_shr:1 row_mask:0xf bank_mask:0xf
	v_cmp_eq_u32_e64 s[14:15], 0, v28
	v_mov_b32_dpp v31, v28 row_shr:1 row_mask:0xf bank_mask:0xf
	v_cndmask_b32_e64 v32, 0, v32, s[14:15]
	v_cmp_eq_u32_e64 s[14:15], 0, v30
	v_cndmask_b32_e64 v31, v31, 0, s[14:15]
	v_add_u32_e32 v28, v31, v28
	v_cndmask_b32_e64 v31, v32, 0, s[14:15]
	v_add_u32_e32 v29, v31, v29
	v_cmp_eq_u32_e64 s[14:15], 0, v28
	v_mov_b32_dpp v31, v28 row_shr:2 row_mask:0xf bank_mask:0xf
	v_mov_b32_dpp v32, v29 row_shr:2 row_mask:0xf bank_mask:0xf
	v_cndmask_b32_e64 v30, 0, v31, s[16:17]
	s_and_b64 s[14:15], s[16:17], s[14:15]
	v_add_u32_e32 v28, v30, v28
	v_cndmask_b32_e64 v30, 0, v32, s[14:15]
	v_add_u32_e32 v29, v30, v29
	ds_write_b64 v24, v[28:29] offset:4112
.LBB720_81:
	s_or_b64 exec, exec, s[18:19]
	v_cmp_lt_u32_e64 s[14:15], 63, v0
	v_mov_b32_e32 v29, 0
	v_mov_b32_e32 v24, 0
	s_waitcnt vmcnt(0)
	v_mov_b32_e32 v28, v26
	s_waitcnt lgkmcnt(0)
	s_barrier
	s_and_saveexec_b64 s[16:17], s[14:15]
	s_cbranch_execz .LBB720_83
; %bb.82:
	ds_read_b64 v[24:25], v25 offset:4104
	s_waitcnt lgkmcnt(0)
	v_cmp_eq_u32_e64 s[14:15], 0, v24
	v_cndmask_b32_e64 v28, 0, v26, s[14:15]
	v_add_u32_e32 v28, v28, v25
.LBB720_83:
	s_or_b64 exec, exec, s[16:17]
	v_cmp_eq_u32_e64 s[14:15], 0, v22
	v_add_u32_e32 v25, v24, v22
	v_cndmask_b32_e64 v22, 0, v28, s[14:15]
	v_add_u32_e32 v22, v22, v23
	v_add_u32_e32 v23, -1, v27
	v_and_b32_e32 v30, 64, v27
	v_cmp_lt_i32_e64 s[14:15], v23, v30
	v_cndmask_b32_e64 v23, v23, v27, s[14:15]
	v_lshlrev_b32_e32 v23, 2, v23
	ds_bpermute_b32 v25, v23, v25
	ds_bpermute_b32 v22, v23, v22
	v_cmp_eq_u32_e64 s[14:15], 0, v27
	v_cmp_eq_u32_e64 s[16:17], 0, v62
	s_waitcnt lgkmcnt(1)
	v_cndmask_b32_e64 v23, v25, v24, s[14:15]
	s_waitcnt lgkmcnt(0)
	v_cndmask_b32_e64 v22, v22, v28, s[14:15]
	v_cmp_eq_u32_e64 s[14:15], 0, v0
	v_cndmask_b32_e64 v47, v22, v26, s[14:15]
	v_cndmask_b32_e64 v22, 0, v47, s[16:17]
	v_add_u32_e32 v45, v22, v48
	v_cndmask_b32_e64 v22, 0, v45, s[0:1]
	v_add_u32_e32 v43, v22, v48
	;; [unrolled: 2-line block ×5, first 2 shown]
	v_cndmask_b32_e64 v22, 0, v37, s[8:9]
	v_cndmask_b32_e64 v46, v23, 0, s[14:15]
	v_add_u32_e32 v35, v22, v48
	v_add_u32_e32 v44, v46, v62
	v_cndmask_b32_e64 v22, 0, v35, s[10:11]
	v_add_u32_e32 v42, v44, v61
	v_add_u32_e32 v33, v22, v48
	ds_read_b64 v[22:23], v29 offset:4136
	v_add_u32_e32 v40, v42, v60
	v_add_u32_e32 v38, v40, v59
	;; [unrolled: 1-line block ×3, first 2 shown]
	v_cndmask_b32_e64 v24, 0, v33, s[12:13]
	v_add_u32_e32 v34, v36, v57
	v_add_u32_e32 v29, v24, v48
	;; [unrolled: 1-line block ×3, first 2 shown]
	v_cndmask_b32_e32 v24, 0, v29, vcc
	s_waitcnt lgkmcnt(0)
	v_cmp_eq_u32_e32 vcc, 0, v22
	v_add_u32_e32 v28, v32, v55
	v_add_u32_e32 v31, v24, v48
	v_cndmask_b32_e32 v24, 0, v26, vcc
	v_add_u32_e32 v30, v28, v54
	v_add_u32_e32 v26, v24, v23
	s_and_saveexec_b64 s[0:1], s[14:15]
	s_cbranch_execz .LBB720_85
; %bb.84:
	s_add_u32 s2, s24, 0x400
	v_and_b32_e32 v23, 0xff000000, v26
	v_and_b32_e32 v24, 0xff0000, v26
	s_addc_u32 s3, s25, 0
	v_or_b32_e32 v23, v24, v23
	v_and_b32_e32 v24, 0xff00, v26
	v_and_b32_e32 v27, 0xff, v26
	v_mov_b32_e32 v25, 0
	v_or3_b32 v23, v23, v24, v27
	v_mov_b32_e32 v24, 2
	v_pk_mov_b32 v[48:49], s[2:3], s[2:3] op_sel:[0,1]
	;;#ASMSTART
	global_store_dwordx4 v[48:49], v[22:25] off	
s_waitcnt vmcnt(0)
	;;#ASMEND
.LBB720_85:
	s_or_b64 exec, exec, s[0:1]
	v_mov_b32_e32 v24, 0
.LBB720_86:
	s_and_b64 s[0:1], s[26:27], exec
	s_cselect_b32 s1, 0, s39
	s_cselect_b32 s0, 0, s38
	s_cmp_eq_u64 s[0:1], 0
	v_pk_mov_b32 v[48:49], 0, 0
	s_waitcnt lgkmcnt(0)
	s_barrier
	s_cbranch_scc1 .LBB720_88
; %bb.87:
	v_mov_b32_e32 v23, 0
	global_load_dwordx2 v[48:49], v23, s[0:1]
.LBB720_88:
	s_waitcnt vmcnt(0)
	v_lshlrev_b64 v[50:51], 3, v[48:49]
	v_mov_b32_e32 v23, s29
	v_add_co_u32_e32 v27, vcc, s28, v50
	v_mov_b32_e32 v25, 0
	v_addc_co_u32_e32 v63, vcc, v23, v51, vcc
	v_lshlrev_b64 v[52:53], 3, v[24:25]
	v_add_co_u32_e32 v23, vcc, v27, v52
	v_addc_co_u32_e32 v25, vcc, v63, v53, vcc
	v_cmp_eq_u32_e32 vcc, 0, v62
	v_cndmask_b32_e64 v27, 1, 2, vcc
	v_cmp_eq_u32_e32 vcc, 0, v61
	v_cndmask_b32_e64 v63, 1, 2, vcc
	v_cmp_eq_u32_e32 vcc, 0, v60
	v_and_b32_e32 v27, v63, v27
	v_cndmask_b32_e64 v63, 1, 2, vcc
	v_cmp_eq_u32_e32 vcc, 0, v59
	v_and_b32_e32 v27, v27, v63
	;; [unrolled: 3-line block ×8, first 2 shown]
	v_cndmask_b32_e64 v63, 1, 2, vcc
	s_movk_i32 s20, 0x100
	v_and_b32_e32 v27, v27, v63
	v_cmp_gt_u32_e32 vcc, s20, v22
	v_cmp_ne_u32_e64 s[18:19], 0, v62
	v_cmp_ne_u32_e64 s[16:17], 0, v61
	;; [unrolled: 1-line block ×10, first 2 shown]
	s_mov_b64 s[24:25], -1
	v_cmp_gt_i16_e64 s[20:21], 2, v27
	s_cbranch_vccz .LBB720_95
; %bb.89:
	s_and_saveexec_b64 s[24:25], s[20:21]
	s_cbranch_execz .LBB720_94
; %bb.90:
	v_cmp_ne_u16_e32 vcc, 1, v27
	s_mov_b64 s[26:27], 0
	s_and_saveexec_b64 s[20:21], vcc
	s_xor_b64 s[20:21], exec, s[20:21]
	s_cbranch_execnz .LBB720_127
; %bb.91:
	s_andn2_saveexec_b64 s[20:21], s[20:21]
	s_cbranch_execnz .LBB720_138
.LBB720_92:
	s_or_b64 exec, exec, s[20:21]
	s_and_b64 exec, exec, s[26:27]
	s_cbranch_execz .LBB720_94
.LBB720_93:
	v_sub_u32_e32 v64, v30, v24
	v_mov_b32_e32 v65, 0
	v_lshlrev_b64 v[64:65], 3, v[64:65]
	v_add_co_u32_e32 v64, vcc, v23, v64
	v_addc_co_u32_e32 v65, vcc, v25, v65, vcc
	global_store_dwordx2 v[64:65], v[8:9], off
.LBB720_94:
	s_or_b64 exec, exec, s[24:25]
	s_mov_b64 s[24:25], 0
.LBB720_95:
	s_and_b64 vcc, exec, s[24:25]
	s_cbranch_vccz .LBB720_105
; %bb.96:
	v_cmp_gt_i16_e32 vcc, 2, v27
	s_and_saveexec_b64 s[20:21], vcc
	s_cbranch_execz .LBB720_101
; %bb.97:
	v_cmp_ne_u16_e32 vcc, 1, v27
	s_mov_b64 s[26:27], 0
	s_and_saveexec_b64 s[24:25], vcc
	s_xor_b64 s[24:25], exec, s[24:25]
	s_cbranch_execnz .LBB720_139
; %bb.98:
	s_andn2_saveexec_b64 s[0:1], s[24:25]
	s_cbranch_execnz .LBB720_150
.LBB720_99:
	s_or_b64 exec, exec, s[0:1]
	s_and_b64 exec, exec, s[26:27]
	s_cbranch_execz .LBB720_101
.LBB720_100:
	v_sub_u32_e32 v2, v30, v24
	v_lshlrev_b32_e32 v2, 3, v2
	ds_write_b64 v2, v[8:9]
.LBB720_101:
	s_or_b64 exec, exec, s[20:21]
	v_cmp_lt_u32_e32 vcc, v0, v22
	s_waitcnt lgkmcnt(0)
	s_barrier
	s_and_saveexec_b64 s[0:1], vcc
	s_cbranch_execz .LBB720_104
; %bb.102:
	v_lshlrev_b32_e32 v4, 3, v0
	s_mov_b64 s[2:3], 0
	v_mov_b32_e32 v3, 0
	v_mov_b32_e32 v2, v0
.LBB720_103:                            ; =>This Inner Loop Header: Depth=1
	ds_read_b64 v[6:7], v4
	v_lshlrev_b64 v[8:9], 3, v[2:3]
	v_add_co_u32_e32 v8, vcc, v23, v8
	v_add_u32_e32 v2, 0x100, v2
	v_addc_co_u32_e32 v9, vcc, v25, v9, vcc
	v_cmp_ge_u32_e32 vcc, v2, v22
	v_add_u32_e32 v4, 0x800, v4
	s_or_b64 s[2:3], vcc, s[2:3]
	s_waitcnt lgkmcnt(0)
	global_store_dwordx2 v[8:9], v[6:7], off
	s_andn2_b64 exec, exec, s[2:3]
	s_cbranch_execnz .LBB720_103
.LBB720_104:
	s_or_b64 exec, exec, s[0:1]
.LBB720_105:
	s_cmpk_lg_i32 s33, 0xa00
	s_cselect_b64 s[0:1], -1, 0
	v_cndmask_b32_e64 v2, 0, 1, s[40:41]
	s_and_b64 s[0:1], s[34:35], s[0:1]
	v_cmp_eq_u32_e32 vcc, 0, v0
	v_sub_u32_e32 v3, v22, v2
	v_cndmask_b32_e64 v4, 0, 1, s[0:1]
	s_and_b64 s[0:1], vcc, s[40:41]
	v_add_u32_e32 v4, v3, v4
	v_cndmask_b32_e64 v3, v62, 0, s[0:1]
	s_mul_hi_u32 s0, s33, 0xcccccccd
	s_lshr_b32 s0, s0, 3
	v_mad_i32_i24 v5, v0, -10, s33
	v_cmp_eq_u32_e32 vcc, s0, v0
	v_cmp_ne_u32_e64 s[0:1], 0, v5
	v_cndmask_b32_e64 v6, 1, v3, s[0:1]
	v_cmp_ne_u32_e64 s[0:1], 1, v5
	v_cndmask_b32_e64 v7, 1, v61, s[0:1]
	;; [unrolled: 2-line block ×10, first 2 shown]
	s_and_b64 vcc, s[34:35], vcc
	v_cndmask_b32_e32 v15, v1, v5, vcc
	v_cndmask_b32_e32 v14, v54, v14, vcc
	;; [unrolled: 1-line block ×10, first 2 shown]
	v_mov_b32_e32 v1, s31
	v_add_co_u32_e32 v5, vcc, s30, v50
	v_addc_co_u32_e32 v6, vcc, v1, v51, vcc
	v_add_co_u32_e32 v1, vcc, v5, v52
	v_addc_co_u32_e32 v5, vcc, v6, v53, vcc
	v_lshlrev_b32_e32 v6, 3, v2
	v_add_co_u32_e32 v6, vcc, v6, v1
	v_addc_co_u32_e32 v7, vcc, 0, v5, vcc
	v_add_co_u32_e32 v6, vcc, -8, v6
	v_addc_co_u32_e32 v7, vcc, -1, v7, vcc
	v_cmp_eq_u32_e32 vcc, 0, v3
	v_cmp_ne_u32_e64 s[18:19], 0, v3
	v_cndmask_b32_e64 v3, 1, 2, vcc
	v_cmp_eq_u32_e32 vcc, 0, v16
	v_cmp_ne_u32_e64 s[16:17], 0, v16
	v_cndmask_b32_e64 v16, 1, 2, vcc
	v_cmp_eq_u32_e32 vcc, 0, v8
	v_and_b32_e32 v3, v16, v3
	v_cmp_ne_u32_e64 s[14:15], 0, v8
	v_cndmask_b32_e64 v8, 1, 2, vcc
	v_cmp_eq_u32_e32 vcc, 0, v9
	v_and_b32_e32 v3, v3, v8
	v_cndmask_b32_e64 v8, 1, 2, vcc
	v_cmp_eq_u32_e32 vcc, 0, v10
	v_and_b32_e32 v3, v3, v8
	;; [unrolled: 3-line block ×7, first 2 shown]
	v_cndmask_b32_e64 v8, 1, 2, vcc
	s_movk_i32 s20, 0x100
	v_and_b32_e32 v3, v3, v8
	v_cmp_gt_u32_e32 vcc, s20, v4
	v_add_u32_e32 v2, v24, v2
	v_cmp_ne_u32_e64 s[12:13], 0, v9
	v_cmp_ne_u32_e64 s[10:11], 0, v10
	;; [unrolled: 1-line block ×7, first 2 shown]
	s_mov_b64 s[24:25], -1
	v_cmp_gt_i16_e64 s[20:21], 2, v3
	s_barrier
	s_cbranch_vccz .LBB720_112
; %bb.106:
	s_and_saveexec_b64 s[24:25], s[20:21]
	s_cbranch_execz .LBB720_111
; %bb.107:
	v_cmp_ne_u16_e32 vcc, 1, v3
	s_mov_b64 s[26:27], 0
	s_and_saveexec_b64 s[20:21], vcc
	s_xor_b64 s[20:21], exec, s[20:21]
	s_cbranch_execnz .LBB720_151
; %bb.108:
	s_andn2_saveexec_b64 s[20:21], s[20:21]
	s_cbranch_execnz .LBB720_162
.LBB720_109:
	s_or_b64 exec, exec, s[20:21]
	s_and_b64 exec, exec, s[26:27]
	s_cbranch_execz .LBB720_111
.LBB720_110:
	v_mov_b32_e32 v9, 0
	v_sub_u32_e32 v10, v30, v2
	v_mov_b32_e32 v11, v9
	v_lshlrev_b64 v[10:11], 3, v[10:11]
	v_add_co_u32_e32 v10, vcc, v6, v10
	v_mov_b32_e32 v8, v31
	v_addc_co_u32_e32 v11, vcc, v7, v11, vcc
	global_store_dwordx2 v[10:11], v[8:9], off
.LBB720_111:
	s_or_b64 exec, exec, s[24:25]
	s_mov_b64 s[24:25], 0
.LBB720_112:
	s_and_b64 vcc, exec, s[24:25]
	s_cbranch_vccz .LBB720_122
; %bb.113:
	v_cmp_gt_i16_e32 vcc, 2, v3
	s_and_saveexec_b64 s[20:21], vcc
	s_cbranch_execz .LBB720_118
; %bb.114:
	v_cmp_ne_u16_e32 vcc, 1, v3
	s_mov_b64 s[26:27], 0
	s_and_saveexec_b64 s[24:25], vcc
	s_xor_b64 s[24:25], exec, s[24:25]
	s_cbranch_execnz .LBB720_163
; %bb.115:
	s_andn2_saveexec_b64 s[0:1], s[24:25]
	s_cbranch_execnz .LBB720_174
.LBB720_116:
	s_or_b64 exec, exec, s[0:1]
	s_and_b64 exec, exec, s[26:27]
	s_cbranch_execz .LBB720_118
.LBB720_117:
	v_sub_u32_e32 v2, v30, v2
	v_lshlrev_b32_e32 v2, 2, v2
	ds_write_b32 v2, v31
.LBB720_118:
	s_or_b64 exec, exec, s[20:21]
	v_cmp_lt_u32_e32 vcc, v0, v4
	s_waitcnt lgkmcnt(0)
	s_barrier
	s_and_saveexec_b64 s[0:1], vcc
	s_cbranch_execz .LBB720_121
; %bb.119:
	v_lshlrev_b32_e32 v8, 2, v0
	s_mov_b64 s[2:3], 0
	v_mov_b32_e32 v3, 0
	v_mov_b32_e32 v2, v0
.LBB720_120:                            ; =>This Inner Loop Header: Depth=1
	ds_read_b32 v10, v8
	v_lshlrev_b64 v[12:13], 3, v[2:3]
	v_add_co_u32_e32 v12, vcc, v6, v12
	v_add_u32_e32 v2, 0x100, v2
	v_addc_co_u32_e32 v13, vcc, v7, v13, vcc
	v_cmp_ge_u32_e32 vcc, v2, v4
	v_mov_b32_e32 v11, v3
	v_add_u32_e32 v8, 0x400, v8
	s_or_b64 s[2:3], vcc, s[2:3]
	s_waitcnt lgkmcnt(0)
	global_store_dwordx2 v[12:13], v[10:11], off
	s_andn2_b64 exec, exec, s[2:3]
	s_cbranch_execnz .LBB720_120
.LBB720_121:
	s_or_b64 exec, exec, s[0:1]
.LBB720_122:
	s_movk_i32 s0, 0xff
	v_cmp_eq_u32_e32 vcc, s0, v0
	s_and_b64 s[0:1], vcc, s[34:35]
	s_and_saveexec_b64 s[2:3], s[0:1]
	s_cbranch_execz .LBB720_125
; %bb.123:
	v_add_co_u32_e32 v0, vcc, v22, v24
	v_addc_co_u32_e64 v3, s[0:1], 0, 0, vcc
	v_add_co_u32_e32 v2, vcc, v0, v48
	v_mov_b32_e32 v23, 0
	v_addc_co_u32_e32 v3, vcc, v3, v49, vcc
	s_cmpk_lg_i32 s33, 0xa00
	global_store_dwordx2 v23, v[2:3], s[22:23]
	s_cbranch_scc1 .LBB720_125
; %bb.124:
	v_lshlrev_b64 v[2:3], 3, v[22:23]
	v_add_co_u32_e32 v0, vcc, v1, v2
	v_mov_b32_e32 v27, v23
	v_addc_co_u32_e32 v1, vcc, v5, v3, vcc
	global_store_dwordx2 v[0:1], v[26:27], off offset:-8
.LBB720_125:
	s_endpgm
.LBB720_126:
	s_or_b64 exec, exec, s[2:3]
	v_mov_b32_e32 v62, s7
	s_and_saveexec_b64 s[2:3], s[30:31]
	s_cbranch_execnz .LBB720_46
	s_branch .LBB720_47
.LBB720_127:
	s_and_saveexec_b64 s[26:27], s[18:19]
	s_cbranch_execnz .LBB720_175
; %bb.128:
	s_or_b64 exec, exec, s[26:27]
	s_and_saveexec_b64 s[26:27], s[16:17]
	s_cbranch_execnz .LBB720_176
.LBB720_129:
	s_or_b64 exec, exec, s[26:27]
	s_and_saveexec_b64 s[26:27], s[14:15]
	s_cbranch_execnz .LBB720_177
.LBB720_130:
	s_or_b64 exec, exec, s[26:27]
	s_and_saveexec_b64 s[26:27], s[12:13]
	s_cbranch_execnz .LBB720_178
.LBB720_131:
	s_or_b64 exec, exec, s[26:27]
	s_and_saveexec_b64 s[26:27], s[10:11]
	s_cbranch_execnz .LBB720_179
.LBB720_132:
	s_or_b64 exec, exec, s[26:27]
	s_and_saveexec_b64 s[26:27], s[8:9]
	s_cbranch_execnz .LBB720_180
.LBB720_133:
	s_or_b64 exec, exec, s[26:27]
	s_and_saveexec_b64 s[26:27], s[6:7]
	s_cbranch_execnz .LBB720_181
.LBB720_134:
	s_or_b64 exec, exec, s[26:27]
	s_and_saveexec_b64 s[26:27], s[4:5]
	s_cbranch_execnz .LBB720_182
.LBB720_135:
	s_or_b64 exec, exec, s[26:27]
	s_and_saveexec_b64 s[26:27], s[2:3]
	s_cbranch_execz .LBB720_137
.LBB720_136:
	v_sub_u32_e32 v64, v28, v24
	v_mov_b32_e32 v65, 0
	v_lshlrev_b64 v[64:65], 3, v[64:65]
	v_add_co_u32_e32 v64, vcc, v23, v64
	v_addc_co_u32_e32 v65, vcc, v25, v65, vcc
	global_store_dwordx2 v[64:65], v[6:7], off
.LBB720_137:
	s_or_b64 exec, exec, s[26:27]
	s_and_b64 s[26:27], s[0:1], exec
	s_andn2_saveexec_b64 s[20:21], s[20:21]
	s_cbranch_execz .LBB720_92
.LBB720_138:
	v_sub_u32_e32 v64, v46, v24
	v_mov_b32_e32 v65, 0
	v_lshlrev_b64 v[66:67], 3, v[64:65]
	v_add_co_u32_e32 v66, vcc, v23, v66
	v_addc_co_u32_e32 v67, vcc, v25, v67, vcc
	v_sub_u32_e32 v64, v44, v24
	global_store_dwordx2 v[66:67], v[18:19], off
	v_lshlrev_b64 v[66:67], 3, v[64:65]
	v_add_co_u32_e32 v66, vcc, v23, v66
	v_addc_co_u32_e32 v67, vcc, v25, v67, vcc
	v_sub_u32_e32 v64, v42, v24
	global_store_dwordx2 v[66:67], v[20:21], off
	;; [unrolled: 5-line block ×7, first 2 shown]
	v_lshlrev_b64 v[66:67], 3, v[64:65]
	v_add_co_u32_e32 v66, vcc, v23, v66
	v_sub_u32_e32 v64, v28, v24
	v_addc_co_u32_e32 v67, vcc, v25, v67, vcc
	v_lshlrev_b64 v[64:65], 3, v[64:65]
	v_add_co_u32_e32 v64, vcc, v23, v64
	v_addc_co_u32_e32 v65, vcc, v25, v65, vcc
	s_or_b64 s[26:27], s[26:27], exec
	global_store_dwordx2 v[66:67], v[4:5], off
	global_store_dwordx2 v[64:65], v[6:7], off
	s_or_b64 exec, exec, s[20:21]
	s_and_b64 exec, exec, s[26:27]
	s_cbranch_execnz .LBB720_93
	s_branch .LBB720_94
.LBB720_139:
	s_and_saveexec_b64 s[26:27], s[18:19]
	s_cbranch_execnz .LBB720_183
; %bb.140:
	s_or_b64 exec, exec, s[26:27]
	s_and_saveexec_b64 s[18:19], s[16:17]
	s_cbranch_execnz .LBB720_184
.LBB720_141:
	s_or_b64 exec, exec, s[18:19]
	s_and_saveexec_b64 s[16:17], s[14:15]
	s_cbranch_execnz .LBB720_185
.LBB720_142:
	s_or_b64 exec, exec, s[16:17]
	s_and_saveexec_b64 s[14:15], s[12:13]
	s_cbranch_execnz .LBB720_186
.LBB720_143:
	s_or_b64 exec, exec, s[14:15]
	s_and_saveexec_b64 s[12:13], s[10:11]
	s_cbranch_execnz .LBB720_187
.LBB720_144:
	s_or_b64 exec, exec, s[12:13]
	s_and_saveexec_b64 s[10:11], s[8:9]
	s_cbranch_execnz .LBB720_188
.LBB720_145:
	s_or_b64 exec, exec, s[10:11]
	s_and_saveexec_b64 s[8:9], s[6:7]
	s_cbranch_execnz .LBB720_189
.LBB720_146:
	s_or_b64 exec, exec, s[8:9]
	s_and_saveexec_b64 s[6:7], s[4:5]
	s_cbranch_execnz .LBB720_190
.LBB720_147:
	s_or_b64 exec, exec, s[6:7]
	s_and_saveexec_b64 s[4:5], s[2:3]
	s_cbranch_execz .LBB720_149
.LBB720_148:
	v_sub_u32_e32 v2, v28, v24
	v_lshlrev_b32_e32 v2, 3, v2
	ds_write_b64 v2, v[6:7]
.LBB720_149:
	s_or_b64 exec, exec, s[4:5]
	s_and_b64 s[26:27], s[0:1], exec
                                        ; implicit-def: $vgpr4_vgpr5
                                        ; implicit-def: $vgpr12_vgpr13
                                        ; implicit-def: $vgpr16_vgpr17
                                        ; implicit-def: $vgpr20_vgpr21
	s_andn2_saveexec_b64 s[0:1], s[24:25]
	s_cbranch_execz .LBB720_99
.LBB720_150:
	v_sub_u32_e32 v27, v46, v24
	v_lshlrev_b32_e32 v27, 3, v27
	ds_write_b64 v27, v[18:19]
	v_sub_u32_e32 v18, v44, v24
	v_lshlrev_b32_e32 v18, 3, v18
	ds_write_b64 v18, v[20:21]
	v_sub_u32_e32 v18, v42, v24
	v_lshlrev_b32_e32 v18, 3, v18
	ds_write_b64 v18, v[14:15]
	v_sub_u32_e32 v14, v40, v24
	v_lshlrev_b32_e32 v14, 3, v14
	ds_write_b64 v14, v[16:17]
	v_sub_u32_e32 v14, v38, v24
	v_lshlrev_b32_e32 v14, 3, v14
	ds_write_b64 v14, v[10:11]
	v_sub_u32_e32 v10, v36, v24
	v_lshlrev_b32_e32 v10, 3, v10
	ds_write_b64 v10, v[12:13]
	v_sub_u32_e32 v10, v34, v24
	v_lshlrev_b32_e32 v10, 3, v10
	ds_write_b64 v10, v[2:3]
	v_sub_u32_e32 v2, v32, v24
	v_lshlrev_b32_e32 v2, 3, v2
	ds_write_b64 v2, v[4:5]
	v_sub_u32_e32 v2, v28, v24
	v_lshlrev_b32_e32 v2, 3, v2
	s_or_b64 s[26:27], s[26:27], exec
	ds_write_b64 v2, v[6:7]
	s_or_b64 exec, exec, s[0:1]
	s_and_b64 exec, exec, s[26:27]
	s_cbranch_execnz .LBB720_100
	s_branch .LBB720_101
.LBB720_151:
	s_and_saveexec_b64 s[26:27], s[18:19]
	s_cbranch_execnz .LBB720_191
; %bb.152:
	s_or_b64 exec, exec, s[26:27]
	s_and_saveexec_b64 s[26:27], s[16:17]
	s_cbranch_execnz .LBB720_192
.LBB720_153:
	s_or_b64 exec, exec, s[26:27]
	s_and_saveexec_b64 s[26:27], s[14:15]
	s_cbranch_execnz .LBB720_193
.LBB720_154:
	s_or_b64 exec, exec, s[26:27]
	s_and_saveexec_b64 s[26:27], s[12:13]
	s_cbranch_execnz .LBB720_194
.LBB720_155:
	s_or_b64 exec, exec, s[26:27]
	s_and_saveexec_b64 s[26:27], s[10:11]
	s_cbranch_execnz .LBB720_195
.LBB720_156:
	s_or_b64 exec, exec, s[26:27]
	s_and_saveexec_b64 s[26:27], s[8:9]
	s_cbranch_execnz .LBB720_196
.LBB720_157:
	s_or_b64 exec, exec, s[26:27]
	s_and_saveexec_b64 s[26:27], s[6:7]
	s_cbranch_execnz .LBB720_197
.LBB720_158:
	s_or_b64 exec, exec, s[26:27]
	s_and_saveexec_b64 s[26:27], s[4:5]
	s_cbranch_execnz .LBB720_198
.LBB720_159:
	s_or_b64 exec, exec, s[26:27]
	s_and_saveexec_b64 s[26:27], s[2:3]
	s_cbranch_execz .LBB720_161
.LBB720_160:
	v_sub_u32_e32 v8, v28, v2
	v_mov_b32_e32 v9, 0
	v_lshlrev_b64 v[10:11], 3, v[8:9]
	v_add_co_u32_e32 v10, vcc, v6, v10
	v_addc_co_u32_e32 v11, vcc, v7, v11, vcc
	v_mov_b32_e32 v8, v29
	global_store_dwordx2 v[10:11], v[8:9], off
.LBB720_161:
	s_or_b64 exec, exec, s[26:27]
	s_and_b64 s[26:27], s[0:1], exec
	s_andn2_saveexec_b64 s[20:21], s[20:21]
	s_cbranch_execz .LBB720_109
.LBB720_162:
	v_mov_b32_e32 v9, 0
	v_sub_u32_e32 v10, v46, v2
	v_mov_b32_e32 v11, v9
	v_lshlrev_b64 v[10:11], 3, v[10:11]
	v_add_co_u32_e32 v10, vcc, v6, v10
	v_mov_b32_e32 v8, v47
	v_addc_co_u32_e32 v11, vcc, v7, v11, vcc
	global_store_dwordx2 v[10:11], v[8:9], off
	v_sub_u32_e32 v10, v44, v2
	v_mov_b32_e32 v11, v9
	v_lshlrev_b64 v[10:11], 3, v[10:11]
	v_add_co_u32_e32 v10, vcc, v6, v10
	v_mov_b32_e32 v8, v45
	v_addc_co_u32_e32 v11, vcc, v7, v11, vcc
	global_store_dwordx2 v[10:11], v[8:9], off
	;; [unrolled: 7-line block ×8, first 2 shown]
	v_sub_u32_e32 v10, v28, v2
	v_mov_b32_e32 v11, v9
	v_lshlrev_b64 v[10:11], 3, v[10:11]
	v_add_co_u32_e32 v10, vcc, v6, v10
	v_mov_b32_e32 v8, v29
	v_addc_co_u32_e32 v11, vcc, v7, v11, vcc
	s_or_b64 s[26:27], s[26:27], exec
	global_store_dwordx2 v[10:11], v[8:9], off
	s_or_b64 exec, exec, s[20:21]
	s_and_b64 exec, exec, s[26:27]
	s_cbranch_execnz .LBB720_110
	s_branch .LBB720_111
.LBB720_163:
	s_and_saveexec_b64 s[26:27], s[18:19]
	s_cbranch_execnz .LBB720_199
; %bb.164:
	s_or_b64 exec, exec, s[26:27]
	s_and_saveexec_b64 s[18:19], s[16:17]
	s_cbranch_execnz .LBB720_200
.LBB720_165:
	s_or_b64 exec, exec, s[18:19]
	s_and_saveexec_b64 s[16:17], s[14:15]
	s_cbranch_execnz .LBB720_201
.LBB720_166:
	s_or_b64 exec, exec, s[16:17]
	s_and_saveexec_b64 s[14:15], s[12:13]
	s_cbranch_execnz .LBB720_202
.LBB720_167:
	s_or_b64 exec, exec, s[14:15]
	s_and_saveexec_b64 s[12:13], s[10:11]
	s_cbranch_execnz .LBB720_203
.LBB720_168:
	s_or_b64 exec, exec, s[12:13]
	s_and_saveexec_b64 s[10:11], s[8:9]
	s_cbranch_execnz .LBB720_204
.LBB720_169:
	s_or_b64 exec, exec, s[10:11]
	s_and_saveexec_b64 s[8:9], s[6:7]
	s_cbranch_execnz .LBB720_205
.LBB720_170:
	s_or_b64 exec, exec, s[8:9]
	s_and_saveexec_b64 s[6:7], s[4:5]
	s_cbranch_execnz .LBB720_206
.LBB720_171:
	s_or_b64 exec, exec, s[6:7]
	s_and_saveexec_b64 s[4:5], s[2:3]
	s_cbranch_execz .LBB720_173
.LBB720_172:
	v_sub_u32_e32 v3, v28, v2
	v_lshlrev_b32_e32 v3, 2, v3
	ds_write_b32 v3, v29
.LBB720_173:
	s_or_b64 exec, exec, s[4:5]
	s_and_b64 s[26:27], s[0:1], exec
                                        ; implicit-def: $vgpr28_vgpr29
                                        ; implicit-def: $vgpr32_vgpr33
                                        ; implicit-def: $vgpr34_vgpr35
                                        ; implicit-def: $vgpr46_vgpr47
                                        ; implicit-def: $vgpr44_vgpr45
                                        ; implicit-def: $vgpr42_vgpr43
                                        ; implicit-def: $vgpr40_vgpr41
                                        ; implicit-def: $vgpr38_vgpr39
                                        ; implicit-def: $vgpr36_vgpr37
	s_andn2_saveexec_b64 s[0:1], s[24:25]
	s_cbranch_execz .LBB720_116
.LBB720_174:
	v_sub_u32_e32 v3, v46, v2
	v_lshlrev_b32_e32 v3, 2, v3
	ds_write_b32 v3, v47
	v_sub_u32_e32 v3, v44, v2
	v_lshlrev_b32_e32 v3, 2, v3
	ds_write_b32 v3, v45
	;; [unrolled: 3-line block ×8, first 2 shown]
	v_sub_u32_e32 v3, v28, v2
	v_lshlrev_b32_e32 v3, 2, v3
	s_or_b64 s[26:27], s[26:27], exec
	ds_write_b32 v3, v29
	s_or_b64 exec, exec, s[0:1]
	s_and_b64 exec, exec, s[26:27]
	s_cbranch_execnz .LBB720_117
	s_branch .LBB720_118
.LBB720_175:
	v_sub_u32_e32 v64, v46, v24
	v_mov_b32_e32 v65, 0
	v_lshlrev_b64 v[64:65], 3, v[64:65]
	v_add_co_u32_e32 v64, vcc, v23, v64
	v_addc_co_u32_e32 v65, vcc, v25, v65, vcc
	global_store_dwordx2 v[64:65], v[18:19], off
	s_or_b64 exec, exec, s[26:27]
	s_and_saveexec_b64 s[26:27], s[16:17]
	s_cbranch_execz .LBB720_129
.LBB720_176:
	v_sub_u32_e32 v64, v44, v24
	v_mov_b32_e32 v65, 0
	v_lshlrev_b64 v[64:65], 3, v[64:65]
	v_add_co_u32_e32 v64, vcc, v23, v64
	v_addc_co_u32_e32 v65, vcc, v25, v65, vcc
	global_store_dwordx2 v[64:65], v[20:21], off
	s_or_b64 exec, exec, s[26:27]
	s_and_saveexec_b64 s[26:27], s[14:15]
	s_cbranch_execz .LBB720_130
.LBB720_177:
	v_sub_u32_e32 v64, v42, v24
	v_mov_b32_e32 v65, 0
	v_lshlrev_b64 v[64:65], 3, v[64:65]
	v_add_co_u32_e32 v64, vcc, v23, v64
	v_addc_co_u32_e32 v65, vcc, v25, v65, vcc
	global_store_dwordx2 v[64:65], v[14:15], off
	s_or_b64 exec, exec, s[26:27]
	s_and_saveexec_b64 s[26:27], s[12:13]
	s_cbranch_execz .LBB720_131
.LBB720_178:
	v_sub_u32_e32 v64, v40, v24
	v_mov_b32_e32 v65, 0
	v_lshlrev_b64 v[64:65], 3, v[64:65]
	v_add_co_u32_e32 v64, vcc, v23, v64
	v_addc_co_u32_e32 v65, vcc, v25, v65, vcc
	global_store_dwordx2 v[64:65], v[16:17], off
	s_or_b64 exec, exec, s[26:27]
	s_and_saveexec_b64 s[26:27], s[10:11]
	s_cbranch_execz .LBB720_132
.LBB720_179:
	v_sub_u32_e32 v64, v38, v24
	v_mov_b32_e32 v65, 0
	v_lshlrev_b64 v[64:65], 3, v[64:65]
	v_add_co_u32_e32 v64, vcc, v23, v64
	v_addc_co_u32_e32 v65, vcc, v25, v65, vcc
	global_store_dwordx2 v[64:65], v[10:11], off
	s_or_b64 exec, exec, s[26:27]
	s_and_saveexec_b64 s[26:27], s[8:9]
	s_cbranch_execz .LBB720_133
.LBB720_180:
	v_sub_u32_e32 v64, v36, v24
	v_mov_b32_e32 v65, 0
	v_lshlrev_b64 v[64:65], 3, v[64:65]
	v_add_co_u32_e32 v64, vcc, v23, v64
	v_addc_co_u32_e32 v65, vcc, v25, v65, vcc
	global_store_dwordx2 v[64:65], v[12:13], off
	s_or_b64 exec, exec, s[26:27]
	s_and_saveexec_b64 s[26:27], s[6:7]
	s_cbranch_execz .LBB720_134
.LBB720_181:
	v_sub_u32_e32 v64, v34, v24
	v_mov_b32_e32 v65, 0
	v_lshlrev_b64 v[64:65], 3, v[64:65]
	v_add_co_u32_e32 v64, vcc, v23, v64
	v_addc_co_u32_e32 v65, vcc, v25, v65, vcc
	global_store_dwordx2 v[64:65], v[2:3], off
	s_or_b64 exec, exec, s[26:27]
	s_and_saveexec_b64 s[26:27], s[4:5]
	s_cbranch_execz .LBB720_135
.LBB720_182:
	v_sub_u32_e32 v64, v32, v24
	v_mov_b32_e32 v65, 0
	v_lshlrev_b64 v[64:65], 3, v[64:65]
	v_add_co_u32_e32 v64, vcc, v23, v64
	v_addc_co_u32_e32 v65, vcc, v25, v65, vcc
	global_store_dwordx2 v[64:65], v[4:5], off
	s_or_b64 exec, exec, s[26:27]
	s_and_saveexec_b64 s[26:27], s[2:3]
	s_cbranch_execnz .LBB720_136
	s_branch .LBB720_137
.LBB720_183:
	v_sub_u32_e32 v27, v46, v24
	v_lshlrev_b32_e32 v27, 3, v27
	ds_write_b64 v27, v[18:19]
	s_or_b64 exec, exec, s[26:27]
	s_and_saveexec_b64 s[18:19], s[16:17]
	s_cbranch_execz .LBB720_141
.LBB720_184:
	v_sub_u32_e32 v18, v44, v24
	v_lshlrev_b32_e32 v18, 3, v18
	ds_write_b64 v18, v[20:21]
	s_or_b64 exec, exec, s[18:19]
	s_and_saveexec_b64 s[16:17], s[14:15]
	s_cbranch_execz .LBB720_142
.LBB720_185:
	v_sub_u32_e32 v18, v42, v24
	v_lshlrev_b32_e32 v18, 3, v18
	ds_write_b64 v18, v[14:15]
	s_or_b64 exec, exec, s[16:17]
	s_and_saveexec_b64 s[14:15], s[12:13]
	s_cbranch_execz .LBB720_143
.LBB720_186:
	v_sub_u32_e32 v14, v40, v24
	v_lshlrev_b32_e32 v14, 3, v14
	ds_write_b64 v14, v[16:17]
	s_or_b64 exec, exec, s[14:15]
	s_and_saveexec_b64 s[12:13], s[10:11]
	s_cbranch_execz .LBB720_144
.LBB720_187:
	v_sub_u32_e32 v14, v38, v24
	v_lshlrev_b32_e32 v14, 3, v14
	ds_write_b64 v14, v[10:11]
	s_or_b64 exec, exec, s[12:13]
	s_and_saveexec_b64 s[10:11], s[8:9]
	s_cbranch_execz .LBB720_145
.LBB720_188:
	v_sub_u32_e32 v10, v36, v24
	v_lshlrev_b32_e32 v10, 3, v10
	ds_write_b64 v10, v[12:13]
	s_or_b64 exec, exec, s[10:11]
	s_and_saveexec_b64 s[8:9], s[6:7]
	s_cbranch_execz .LBB720_146
.LBB720_189:
	v_sub_u32_e32 v10, v34, v24
	v_lshlrev_b32_e32 v10, 3, v10
	ds_write_b64 v10, v[2:3]
	s_or_b64 exec, exec, s[8:9]
	s_and_saveexec_b64 s[6:7], s[4:5]
	s_cbranch_execz .LBB720_147
.LBB720_190:
	v_sub_u32_e32 v2, v32, v24
	v_lshlrev_b32_e32 v2, 3, v2
	ds_write_b64 v2, v[4:5]
	s_or_b64 exec, exec, s[6:7]
	s_and_saveexec_b64 s[4:5], s[2:3]
	s_cbranch_execnz .LBB720_148
	s_branch .LBB720_149
.LBB720_191:
	v_sub_u32_e32 v8, v46, v2
	v_mov_b32_e32 v9, 0
	v_lshlrev_b64 v[10:11], 3, v[8:9]
	v_add_co_u32_e32 v10, vcc, v6, v10
	v_addc_co_u32_e32 v11, vcc, v7, v11, vcc
	v_mov_b32_e32 v8, v47
	global_store_dwordx2 v[10:11], v[8:9], off
	s_or_b64 exec, exec, s[26:27]
	s_and_saveexec_b64 s[26:27], s[16:17]
	s_cbranch_execz .LBB720_153
.LBB720_192:
	v_sub_u32_e32 v8, v44, v2
	v_mov_b32_e32 v9, 0
	v_lshlrev_b64 v[10:11], 3, v[8:9]
	v_add_co_u32_e32 v10, vcc, v6, v10
	v_addc_co_u32_e32 v11, vcc, v7, v11, vcc
	v_mov_b32_e32 v8, v45
	global_store_dwordx2 v[10:11], v[8:9], off
	s_or_b64 exec, exec, s[26:27]
	s_and_saveexec_b64 s[26:27], s[14:15]
	s_cbranch_execz .LBB720_154
.LBB720_193:
	v_sub_u32_e32 v8, v42, v2
	v_mov_b32_e32 v9, 0
	v_lshlrev_b64 v[10:11], 3, v[8:9]
	v_add_co_u32_e32 v10, vcc, v6, v10
	v_addc_co_u32_e32 v11, vcc, v7, v11, vcc
	v_mov_b32_e32 v8, v43
	global_store_dwordx2 v[10:11], v[8:9], off
	s_or_b64 exec, exec, s[26:27]
	s_and_saveexec_b64 s[26:27], s[12:13]
	s_cbranch_execz .LBB720_155
.LBB720_194:
	v_sub_u32_e32 v8, v40, v2
	v_mov_b32_e32 v9, 0
	v_lshlrev_b64 v[10:11], 3, v[8:9]
	v_add_co_u32_e32 v10, vcc, v6, v10
	v_addc_co_u32_e32 v11, vcc, v7, v11, vcc
	v_mov_b32_e32 v8, v41
	global_store_dwordx2 v[10:11], v[8:9], off
	s_or_b64 exec, exec, s[26:27]
	s_and_saveexec_b64 s[26:27], s[10:11]
	s_cbranch_execz .LBB720_156
.LBB720_195:
	v_sub_u32_e32 v8, v38, v2
	v_mov_b32_e32 v9, 0
	v_lshlrev_b64 v[10:11], 3, v[8:9]
	v_add_co_u32_e32 v10, vcc, v6, v10
	v_addc_co_u32_e32 v11, vcc, v7, v11, vcc
	v_mov_b32_e32 v8, v39
	global_store_dwordx2 v[10:11], v[8:9], off
	s_or_b64 exec, exec, s[26:27]
	s_and_saveexec_b64 s[26:27], s[8:9]
	s_cbranch_execz .LBB720_157
.LBB720_196:
	v_sub_u32_e32 v8, v36, v2
	v_mov_b32_e32 v9, 0
	v_lshlrev_b64 v[10:11], 3, v[8:9]
	v_add_co_u32_e32 v10, vcc, v6, v10
	v_addc_co_u32_e32 v11, vcc, v7, v11, vcc
	v_mov_b32_e32 v8, v37
	global_store_dwordx2 v[10:11], v[8:9], off
	s_or_b64 exec, exec, s[26:27]
	s_and_saveexec_b64 s[26:27], s[6:7]
	s_cbranch_execz .LBB720_158
.LBB720_197:
	v_sub_u32_e32 v8, v34, v2
	v_mov_b32_e32 v9, 0
	v_lshlrev_b64 v[10:11], 3, v[8:9]
	v_add_co_u32_e32 v10, vcc, v6, v10
	v_addc_co_u32_e32 v11, vcc, v7, v11, vcc
	v_mov_b32_e32 v8, v35
	global_store_dwordx2 v[10:11], v[8:9], off
	s_or_b64 exec, exec, s[26:27]
	s_and_saveexec_b64 s[26:27], s[4:5]
	s_cbranch_execz .LBB720_159
.LBB720_198:
	v_sub_u32_e32 v8, v32, v2
	v_mov_b32_e32 v9, 0
	v_lshlrev_b64 v[10:11], 3, v[8:9]
	v_add_co_u32_e32 v10, vcc, v6, v10
	v_addc_co_u32_e32 v11, vcc, v7, v11, vcc
	v_mov_b32_e32 v8, v33
	global_store_dwordx2 v[10:11], v[8:9], off
	s_or_b64 exec, exec, s[26:27]
	s_and_saveexec_b64 s[26:27], s[2:3]
	s_cbranch_execnz .LBB720_160
	s_branch .LBB720_161
.LBB720_199:
	v_sub_u32_e32 v3, v46, v2
	v_lshlrev_b32_e32 v3, 2, v3
	ds_write_b32 v3, v47
	s_or_b64 exec, exec, s[26:27]
	s_and_saveexec_b64 s[18:19], s[16:17]
	s_cbranch_execz .LBB720_165
.LBB720_200:
	v_sub_u32_e32 v3, v44, v2
	v_lshlrev_b32_e32 v3, 2, v3
	ds_write_b32 v3, v45
	s_or_b64 exec, exec, s[18:19]
	s_and_saveexec_b64 s[16:17], s[14:15]
	s_cbranch_execz .LBB720_166
.LBB720_201:
	v_sub_u32_e32 v3, v42, v2
	v_lshlrev_b32_e32 v3, 2, v3
	ds_write_b32 v3, v43
	s_or_b64 exec, exec, s[16:17]
	s_and_saveexec_b64 s[14:15], s[12:13]
	s_cbranch_execz .LBB720_167
.LBB720_202:
	v_sub_u32_e32 v3, v40, v2
	v_lshlrev_b32_e32 v3, 2, v3
	ds_write_b32 v3, v41
	s_or_b64 exec, exec, s[14:15]
	s_and_saveexec_b64 s[12:13], s[10:11]
	s_cbranch_execz .LBB720_168
.LBB720_203:
	v_sub_u32_e32 v3, v38, v2
	v_lshlrev_b32_e32 v3, 2, v3
	ds_write_b32 v3, v39
	s_or_b64 exec, exec, s[12:13]
	s_and_saveexec_b64 s[10:11], s[8:9]
	s_cbranch_execz .LBB720_169
.LBB720_204:
	v_sub_u32_e32 v3, v36, v2
	v_lshlrev_b32_e32 v3, 2, v3
	ds_write_b32 v3, v37
	s_or_b64 exec, exec, s[10:11]
	s_and_saveexec_b64 s[8:9], s[6:7]
	s_cbranch_execz .LBB720_170
.LBB720_205:
	v_sub_u32_e32 v3, v34, v2
	v_lshlrev_b32_e32 v3, 2, v3
	ds_write_b32 v3, v35
	s_or_b64 exec, exec, s[8:9]
	s_and_saveexec_b64 s[6:7], s[4:5]
	s_cbranch_execz .LBB720_171
.LBB720_206:
	v_sub_u32_e32 v3, v32, v2
	v_lshlrev_b32_e32 v3, 2, v3
	ds_write_b32 v3, v33
	s_or_b64 exec, exec, s[6:7]
	s_and_saveexec_b64 s[4:5], s[2:3]
	s_cbranch_execnz .LBB720_172
	s_branch .LBB720_173
	.section	.rodata,"a",@progbits
	.p2align	6, 0x0
	.amdhsa_kernel _ZN7rocprim17ROCPRIM_400000_NS6detail17trampoline_kernelINS0_14default_configENS1_33run_length_encode_config_selectorImjNS0_4plusIjEEEEZZNS1_33reduce_by_key_impl_wrapped_configILNS1_25lookback_scan_determinismE0ES3_S7_PKmNS0_17constant_iteratorIjlEEPmPlSF_S6_NS0_8equal_toImEEEE10hipError_tPvRmT2_T3_mT4_T5_T6_T7_T8_P12ihipStream_tbENKUlT_T0_E_clISt17integral_constantIbLb0EESZ_EEDaSU_SV_EUlSU_E_NS1_11comp_targetILNS1_3genE4ELNS1_11target_archE910ELNS1_3gpuE8ELNS1_3repE0EEENS1_30default_config_static_selectorELNS0_4arch9wavefront6targetE1EEEvT1_
		.amdhsa_group_segment_fixed_size 20480
		.amdhsa_private_segment_fixed_size 0
		.amdhsa_kernarg_size 128
		.amdhsa_user_sgpr_count 6
		.amdhsa_user_sgpr_private_segment_buffer 1
		.amdhsa_user_sgpr_dispatch_ptr 0
		.amdhsa_user_sgpr_queue_ptr 0
		.amdhsa_user_sgpr_kernarg_segment_ptr 1
		.amdhsa_user_sgpr_dispatch_id 0
		.amdhsa_user_sgpr_flat_scratch_init 0
		.amdhsa_user_sgpr_kernarg_preload_length 0
		.amdhsa_user_sgpr_kernarg_preload_offset 0
		.amdhsa_user_sgpr_private_segment_size 0
		.amdhsa_uses_dynamic_stack 0
		.amdhsa_system_sgpr_private_segment_wavefront_offset 0
		.amdhsa_system_sgpr_workgroup_id_x 1
		.amdhsa_system_sgpr_workgroup_id_y 0
		.amdhsa_system_sgpr_workgroup_id_z 0
		.amdhsa_system_sgpr_workgroup_info 0
		.amdhsa_system_vgpr_workitem_id 0
		.amdhsa_next_free_vgpr 68
		.amdhsa_next_free_sgpr 54
		.amdhsa_accum_offset 68
		.amdhsa_reserve_vcc 1
		.amdhsa_reserve_flat_scratch 0
		.amdhsa_float_round_mode_32 0
		.amdhsa_float_round_mode_16_64 0
		.amdhsa_float_denorm_mode_32 3
		.amdhsa_float_denorm_mode_16_64 3
		.amdhsa_dx10_clamp 1
		.amdhsa_ieee_mode 1
		.amdhsa_fp16_overflow 0
		.amdhsa_tg_split 0
		.amdhsa_exception_fp_ieee_invalid_op 0
		.amdhsa_exception_fp_denorm_src 0
		.amdhsa_exception_fp_ieee_div_zero 0
		.amdhsa_exception_fp_ieee_overflow 0
		.amdhsa_exception_fp_ieee_underflow 0
		.amdhsa_exception_fp_ieee_inexact 0
		.amdhsa_exception_int_div_zero 0
	.end_amdhsa_kernel
	.section	.text._ZN7rocprim17ROCPRIM_400000_NS6detail17trampoline_kernelINS0_14default_configENS1_33run_length_encode_config_selectorImjNS0_4plusIjEEEEZZNS1_33reduce_by_key_impl_wrapped_configILNS1_25lookback_scan_determinismE0ES3_S7_PKmNS0_17constant_iteratorIjlEEPmPlSF_S6_NS0_8equal_toImEEEE10hipError_tPvRmT2_T3_mT4_T5_T6_T7_T8_P12ihipStream_tbENKUlT_T0_E_clISt17integral_constantIbLb0EESZ_EEDaSU_SV_EUlSU_E_NS1_11comp_targetILNS1_3genE4ELNS1_11target_archE910ELNS1_3gpuE8ELNS1_3repE0EEENS1_30default_config_static_selectorELNS0_4arch9wavefront6targetE1EEEvT1_,"axG",@progbits,_ZN7rocprim17ROCPRIM_400000_NS6detail17trampoline_kernelINS0_14default_configENS1_33run_length_encode_config_selectorImjNS0_4plusIjEEEEZZNS1_33reduce_by_key_impl_wrapped_configILNS1_25lookback_scan_determinismE0ES3_S7_PKmNS0_17constant_iteratorIjlEEPmPlSF_S6_NS0_8equal_toImEEEE10hipError_tPvRmT2_T3_mT4_T5_T6_T7_T8_P12ihipStream_tbENKUlT_T0_E_clISt17integral_constantIbLb0EESZ_EEDaSU_SV_EUlSU_E_NS1_11comp_targetILNS1_3genE4ELNS1_11target_archE910ELNS1_3gpuE8ELNS1_3repE0EEENS1_30default_config_static_selectorELNS0_4arch9wavefront6targetE1EEEvT1_,comdat
.Lfunc_end720:
	.size	_ZN7rocprim17ROCPRIM_400000_NS6detail17trampoline_kernelINS0_14default_configENS1_33run_length_encode_config_selectorImjNS0_4plusIjEEEEZZNS1_33reduce_by_key_impl_wrapped_configILNS1_25lookback_scan_determinismE0ES3_S7_PKmNS0_17constant_iteratorIjlEEPmPlSF_S6_NS0_8equal_toImEEEE10hipError_tPvRmT2_T3_mT4_T5_T6_T7_T8_P12ihipStream_tbENKUlT_T0_E_clISt17integral_constantIbLb0EESZ_EEDaSU_SV_EUlSU_E_NS1_11comp_targetILNS1_3genE4ELNS1_11target_archE910ELNS1_3gpuE8ELNS1_3repE0EEENS1_30default_config_static_selectorELNS0_4arch9wavefront6targetE1EEEvT1_, .Lfunc_end720-_ZN7rocprim17ROCPRIM_400000_NS6detail17trampoline_kernelINS0_14default_configENS1_33run_length_encode_config_selectorImjNS0_4plusIjEEEEZZNS1_33reduce_by_key_impl_wrapped_configILNS1_25lookback_scan_determinismE0ES3_S7_PKmNS0_17constant_iteratorIjlEEPmPlSF_S6_NS0_8equal_toImEEEE10hipError_tPvRmT2_T3_mT4_T5_T6_T7_T8_P12ihipStream_tbENKUlT_T0_E_clISt17integral_constantIbLb0EESZ_EEDaSU_SV_EUlSU_E_NS1_11comp_targetILNS1_3genE4ELNS1_11target_archE910ELNS1_3gpuE8ELNS1_3repE0EEENS1_30default_config_static_selectorELNS0_4arch9wavefront6targetE1EEEvT1_
                                        ; -- End function
	.section	.AMDGPU.csdata,"",@progbits
; Kernel info:
; codeLenInByte = 10888
; NumSgprs: 58
; NumVgprs: 68
; NumAgprs: 0
; TotalNumVgprs: 68
; ScratchSize: 0
; MemoryBound: 0
; FloatMode: 240
; IeeeMode: 1
; LDSByteSize: 20480 bytes/workgroup (compile time only)
; SGPRBlocks: 7
; VGPRBlocks: 8
; NumSGPRsForWavesPerEU: 58
; NumVGPRsForWavesPerEU: 68
; AccumOffset: 68
; Occupancy: 3
; WaveLimiterHint : 1
; COMPUTE_PGM_RSRC2:SCRATCH_EN: 0
; COMPUTE_PGM_RSRC2:USER_SGPR: 6
; COMPUTE_PGM_RSRC2:TRAP_HANDLER: 0
; COMPUTE_PGM_RSRC2:TGID_X_EN: 1
; COMPUTE_PGM_RSRC2:TGID_Y_EN: 0
; COMPUTE_PGM_RSRC2:TGID_Z_EN: 0
; COMPUTE_PGM_RSRC2:TIDIG_COMP_CNT: 0
; COMPUTE_PGM_RSRC3_GFX90A:ACCUM_OFFSET: 16
; COMPUTE_PGM_RSRC3_GFX90A:TG_SPLIT: 0
	.section	.text._ZN7rocprim17ROCPRIM_400000_NS6detail17trampoline_kernelINS0_14default_configENS1_33run_length_encode_config_selectorImjNS0_4plusIjEEEEZZNS1_33reduce_by_key_impl_wrapped_configILNS1_25lookback_scan_determinismE0ES3_S7_PKmNS0_17constant_iteratorIjlEEPmPlSF_S6_NS0_8equal_toImEEEE10hipError_tPvRmT2_T3_mT4_T5_T6_T7_T8_P12ihipStream_tbENKUlT_T0_E_clISt17integral_constantIbLb0EESZ_EEDaSU_SV_EUlSU_E_NS1_11comp_targetILNS1_3genE3ELNS1_11target_archE908ELNS1_3gpuE7ELNS1_3repE0EEENS1_30default_config_static_selectorELNS0_4arch9wavefront6targetE1EEEvT1_,"axG",@progbits,_ZN7rocprim17ROCPRIM_400000_NS6detail17trampoline_kernelINS0_14default_configENS1_33run_length_encode_config_selectorImjNS0_4plusIjEEEEZZNS1_33reduce_by_key_impl_wrapped_configILNS1_25lookback_scan_determinismE0ES3_S7_PKmNS0_17constant_iteratorIjlEEPmPlSF_S6_NS0_8equal_toImEEEE10hipError_tPvRmT2_T3_mT4_T5_T6_T7_T8_P12ihipStream_tbENKUlT_T0_E_clISt17integral_constantIbLb0EESZ_EEDaSU_SV_EUlSU_E_NS1_11comp_targetILNS1_3genE3ELNS1_11target_archE908ELNS1_3gpuE7ELNS1_3repE0EEENS1_30default_config_static_selectorELNS0_4arch9wavefront6targetE1EEEvT1_,comdat
	.protected	_ZN7rocprim17ROCPRIM_400000_NS6detail17trampoline_kernelINS0_14default_configENS1_33run_length_encode_config_selectorImjNS0_4plusIjEEEEZZNS1_33reduce_by_key_impl_wrapped_configILNS1_25lookback_scan_determinismE0ES3_S7_PKmNS0_17constant_iteratorIjlEEPmPlSF_S6_NS0_8equal_toImEEEE10hipError_tPvRmT2_T3_mT4_T5_T6_T7_T8_P12ihipStream_tbENKUlT_T0_E_clISt17integral_constantIbLb0EESZ_EEDaSU_SV_EUlSU_E_NS1_11comp_targetILNS1_3genE3ELNS1_11target_archE908ELNS1_3gpuE7ELNS1_3repE0EEENS1_30default_config_static_selectorELNS0_4arch9wavefront6targetE1EEEvT1_ ; -- Begin function _ZN7rocprim17ROCPRIM_400000_NS6detail17trampoline_kernelINS0_14default_configENS1_33run_length_encode_config_selectorImjNS0_4plusIjEEEEZZNS1_33reduce_by_key_impl_wrapped_configILNS1_25lookback_scan_determinismE0ES3_S7_PKmNS0_17constant_iteratorIjlEEPmPlSF_S6_NS0_8equal_toImEEEE10hipError_tPvRmT2_T3_mT4_T5_T6_T7_T8_P12ihipStream_tbENKUlT_T0_E_clISt17integral_constantIbLb0EESZ_EEDaSU_SV_EUlSU_E_NS1_11comp_targetILNS1_3genE3ELNS1_11target_archE908ELNS1_3gpuE7ELNS1_3repE0EEENS1_30default_config_static_selectorELNS0_4arch9wavefront6targetE1EEEvT1_
	.globl	_ZN7rocprim17ROCPRIM_400000_NS6detail17trampoline_kernelINS0_14default_configENS1_33run_length_encode_config_selectorImjNS0_4plusIjEEEEZZNS1_33reduce_by_key_impl_wrapped_configILNS1_25lookback_scan_determinismE0ES3_S7_PKmNS0_17constant_iteratorIjlEEPmPlSF_S6_NS0_8equal_toImEEEE10hipError_tPvRmT2_T3_mT4_T5_T6_T7_T8_P12ihipStream_tbENKUlT_T0_E_clISt17integral_constantIbLb0EESZ_EEDaSU_SV_EUlSU_E_NS1_11comp_targetILNS1_3genE3ELNS1_11target_archE908ELNS1_3gpuE7ELNS1_3repE0EEENS1_30default_config_static_selectorELNS0_4arch9wavefront6targetE1EEEvT1_
	.p2align	8
	.type	_ZN7rocprim17ROCPRIM_400000_NS6detail17trampoline_kernelINS0_14default_configENS1_33run_length_encode_config_selectorImjNS0_4plusIjEEEEZZNS1_33reduce_by_key_impl_wrapped_configILNS1_25lookback_scan_determinismE0ES3_S7_PKmNS0_17constant_iteratorIjlEEPmPlSF_S6_NS0_8equal_toImEEEE10hipError_tPvRmT2_T3_mT4_T5_T6_T7_T8_P12ihipStream_tbENKUlT_T0_E_clISt17integral_constantIbLb0EESZ_EEDaSU_SV_EUlSU_E_NS1_11comp_targetILNS1_3genE3ELNS1_11target_archE908ELNS1_3gpuE7ELNS1_3repE0EEENS1_30default_config_static_selectorELNS0_4arch9wavefront6targetE1EEEvT1_,@function
_ZN7rocprim17ROCPRIM_400000_NS6detail17trampoline_kernelINS0_14default_configENS1_33run_length_encode_config_selectorImjNS0_4plusIjEEEEZZNS1_33reduce_by_key_impl_wrapped_configILNS1_25lookback_scan_determinismE0ES3_S7_PKmNS0_17constant_iteratorIjlEEPmPlSF_S6_NS0_8equal_toImEEEE10hipError_tPvRmT2_T3_mT4_T5_T6_T7_T8_P12ihipStream_tbENKUlT_T0_E_clISt17integral_constantIbLb0EESZ_EEDaSU_SV_EUlSU_E_NS1_11comp_targetILNS1_3genE3ELNS1_11target_archE908ELNS1_3gpuE7ELNS1_3repE0EEENS1_30default_config_static_selectorELNS0_4arch9wavefront6targetE1EEEvT1_: ; @_ZN7rocprim17ROCPRIM_400000_NS6detail17trampoline_kernelINS0_14default_configENS1_33run_length_encode_config_selectorImjNS0_4plusIjEEEEZZNS1_33reduce_by_key_impl_wrapped_configILNS1_25lookback_scan_determinismE0ES3_S7_PKmNS0_17constant_iteratorIjlEEPmPlSF_S6_NS0_8equal_toImEEEE10hipError_tPvRmT2_T3_mT4_T5_T6_T7_T8_P12ihipStream_tbENKUlT_T0_E_clISt17integral_constantIbLb0EESZ_EEDaSU_SV_EUlSU_E_NS1_11comp_targetILNS1_3genE3ELNS1_11target_archE908ELNS1_3gpuE7ELNS1_3repE0EEENS1_30default_config_static_selectorELNS0_4arch9wavefront6targetE1EEEvT1_
; %bb.0:
	.section	.rodata,"a",@progbits
	.p2align	6, 0x0
	.amdhsa_kernel _ZN7rocprim17ROCPRIM_400000_NS6detail17trampoline_kernelINS0_14default_configENS1_33run_length_encode_config_selectorImjNS0_4plusIjEEEEZZNS1_33reduce_by_key_impl_wrapped_configILNS1_25lookback_scan_determinismE0ES3_S7_PKmNS0_17constant_iteratorIjlEEPmPlSF_S6_NS0_8equal_toImEEEE10hipError_tPvRmT2_T3_mT4_T5_T6_T7_T8_P12ihipStream_tbENKUlT_T0_E_clISt17integral_constantIbLb0EESZ_EEDaSU_SV_EUlSU_E_NS1_11comp_targetILNS1_3genE3ELNS1_11target_archE908ELNS1_3gpuE7ELNS1_3repE0EEENS1_30default_config_static_selectorELNS0_4arch9wavefront6targetE1EEEvT1_
		.amdhsa_group_segment_fixed_size 0
		.amdhsa_private_segment_fixed_size 0
		.amdhsa_kernarg_size 128
		.amdhsa_user_sgpr_count 6
		.amdhsa_user_sgpr_private_segment_buffer 1
		.amdhsa_user_sgpr_dispatch_ptr 0
		.amdhsa_user_sgpr_queue_ptr 0
		.amdhsa_user_sgpr_kernarg_segment_ptr 1
		.amdhsa_user_sgpr_dispatch_id 0
		.amdhsa_user_sgpr_flat_scratch_init 0
		.amdhsa_user_sgpr_kernarg_preload_length 0
		.amdhsa_user_sgpr_kernarg_preload_offset 0
		.amdhsa_user_sgpr_private_segment_size 0
		.amdhsa_uses_dynamic_stack 0
		.amdhsa_system_sgpr_private_segment_wavefront_offset 0
		.amdhsa_system_sgpr_workgroup_id_x 1
		.amdhsa_system_sgpr_workgroup_id_y 0
		.amdhsa_system_sgpr_workgroup_id_z 0
		.amdhsa_system_sgpr_workgroup_info 0
		.amdhsa_system_vgpr_workitem_id 0
		.amdhsa_next_free_vgpr 1
		.amdhsa_next_free_sgpr 0
		.amdhsa_accum_offset 4
		.amdhsa_reserve_vcc 0
		.amdhsa_reserve_flat_scratch 0
		.amdhsa_float_round_mode_32 0
		.amdhsa_float_round_mode_16_64 0
		.amdhsa_float_denorm_mode_32 3
		.amdhsa_float_denorm_mode_16_64 3
		.amdhsa_dx10_clamp 1
		.amdhsa_ieee_mode 1
		.amdhsa_fp16_overflow 0
		.amdhsa_tg_split 0
		.amdhsa_exception_fp_ieee_invalid_op 0
		.amdhsa_exception_fp_denorm_src 0
		.amdhsa_exception_fp_ieee_div_zero 0
		.amdhsa_exception_fp_ieee_overflow 0
		.amdhsa_exception_fp_ieee_underflow 0
		.amdhsa_exception_fp_ieee_inexact 0
		.amdhsa_exception_int_div_zero 0
	.end_amdhsa_kernel
	.section	.text._ZN7rocprim17ROCPRIM_400000_NS6detail17trampoline_kernelINS0_14default_configENS1_33run_length_encode_config_selectorImjNS0_4plusIjEEEEZZNS1_33reduce_by_key_impl_wrapped_configILNS1_25lookback_scan_determinismE0ES3_S7_PKmNS0_17constant_iteratorIjlEEPmPlSF_S6_NS0_8equal_toImEEEE10hipError_tPvRmT2_T3_mT4_T5_T6_T7_T8_P12ihipStream_tbENKUlT_T0_E_clISt17integral_constantIbLb0EESZ_EEDaSU_SV_EUlSU_E_NS1_11comp_targetILNS1_3genE3ELNS1_11target_archE908ELNS1_3gpuE7ELNS1_3repE0EEENS1_30default_config_static_selectorELNS0_4arch9wavefront6targetE1EEEvT1_,"axG",@progbits,_ZN7rocprim17ROCPRIM_400000_NS6detail17trampoline_kernelINS0_14default_configENS1_33run_length_encode_config_selectorImjNS0_4plusIjEEEEZZNS1_33reduce_by_key_impl_wrapped_configILNS1_25lookback_scan_determinismE0ES3_S7_PKmNS0_17constant_iteratorIjlEEPmPlSF_S6_NS0_8equal_toImEEEE10hipError_tPvRmT2_T3_mT4_T5_T6_T7_T8_P12ihipStream_tbENKUlT_T0_E_clISt17integral_constantIbLb0EESZ_EEDaSU_SV_EUlSU_E_NS1_11comp_targetILNS1_3genE3ELNS1_11target_archE908ELNS1_3gpuE7ELNS1_3repE0EEENS1_30default_config_static_selectorELNS0_4arch9wavefront6targetE1EEEvT1_,comdat
.Lfunc_end721:
	.size	_ZN7rocprim17ROCPRIM_400000_NS6detail17trampoline_kernelINS0_14default_configENS1_33run_length_encode_config_selectorImjNS0_4plusIjEEEEZZNS1_33reduce_by_key_impl_wrapped_configILNS1_25lookback_scan_determinismE0ES3_S7_PKmNS0_17constant_iteratorIjlEEPmPlSF_S6_NS0_8equal_toImEEEE10hipError_tPvRmT2_T3_mT4_T5_T6_T7_T8_P12ihipStream_tbENKUlT_T0_E_clISt17integral_constantIbLb0EESZ_EEDaSU_SV_EUlSU_E_NS1_11comp_targetILNS1_3genE3ELNS1_11target_archE908ELNS1_3gpuE7ELNS1_3repE0EEENS1_30default_config_static_selectorELNS0_4arch9wavefront6targetE1EEEvT1_, .Lfunc_end721-_ZN7rocprim17ROCPRIM_400000_NS6detail17trampoline_kernelINS0_14default_configENS1_33run_length_encode_config_selectorImjNS0_4plusIjEEEEZZNS1_33reduce_by_key_impl_wrapped_configILNS1_25lookback_scan_determinismE0ES3_S7_PKmNS0_17constant_iteratorIjlEEPmPlSF_S6_NS0_8equal_toImEEEE10hipError_tPvRmT2_T3_mT4_T5_T6_T7_T8_P12ihipStream_tbENKUlT_T0_E_clISt17integral_constantIbLb0EESZ_EEDaSU_SV_EUlSU_E_NS1_11comp_targetILNS1_3genE3ELNS1_11target_archE908ELNS1_3gpuE7ELNS1_3repE0EEENS1_30default_config_static_selectorELNS0_4arch9wavefront6targetE1EEEvT1_
                                        ; -- End function
	.section	.AMDGPU.csdata,"",@progbits
; Kernel info:
; codeLenInByte = 0
; NumSgprs: 4
; NumVgprs: 0
; NumAgprs: 0
; TotalNumVgprs: 0
; ScratchSize: 0
; MemoryBound: 0
; FloatMode: 240
; IeeeMode: 1
; LDSByteSize: 0 bytes/workgroup (compile time only)
; SGPRBlocks: 0
; VGPRBlocks: 0
; NumSGPRsForWavesPerEU: 4
; NumVGPRsForWavesPerEU: 1
; AccumOffset: 4
; Occupancy: 8
; WaveLimiterHint : 0
; COMPUTE_PGM_RSRC2:SCRATCH_EN: 0
; COMPUTE_PGM_RSRC2:USER_SGPR: 6
; COMPUTE_PGM_RSRC2:TRAP_HANDLER: 0
; COMPUTE_PGM_RSRC2:TGID_X_EN: 1
; COMPUTE_PGM_RSRC2:TGID_Y_EN: 0
; COMPUTE_PGM_RSRC2:TGID_Z_EN: 0
; COMPUTE_PGM_RSRC2:TIDIG_COMP_CNT: 0
; COMPUTE_PGM_RSRC3_GFX90A:ACCUM_OFFSET: 0
; COMPUTE_PGM_RSRC3_GFX90A:TG_SPLIT: 0
	.section	.text._ZN7rocprim17ROCPRIM_400000_NS6detail17trampoline_kernelINS0_14default_configENS1_33run_length_encode_config_selectorImjNS0_4plusIjEEEEZZNS1_33reduce_by_key_impl_wrapped_configILNS1_25lookback_scan_determinismE0ES3_S7_PKmNS0_17constant_iteratorIjlEEPmPlSF_S6_NS0_8equal_toImEEEE10hipError_tPvRmT2_T3_mT4_T5_T6_T7_T8_P12ihipStream_tbENKUlT_T0_E_clISt17integral_constantIbLb0EESZ_EEDaSU_SV_EUlSU_E_NS1_11comp_targetILNS1_3genE2ELNS1_11target_archE906ELNS1_3gpuE6ELNS1_3repE0EEENS1_30default_config_static_selectorELNS0_4arch9wavefront6targetE1EEEvT1_,"axG",@progbits,_ZN7rocprim17ROCPRIM_400000_NS6detail17trampoline_kernelINS0_14default_configENS1_33run_length_encode_config_selectorImjNS0_4plusIjEEEEZZNS1_33reduce_by_key_impl_wrapped_configILNS1_25lookback_scan_determinismE0ES3_S7_PKmNS0_17constant_iteratorIjlEEPmPlSF_S6_NS0_8equal_toImEEEE10hipError_tPvRmT2_T3_mT4_T5_T6_T7_T8_P12ihipStream_tbENKUlT_T0_E_clISt17integral_constantIbLb0EESZ_EEDaSU_SV_EUlSU_E_NS1_11comp_targetILNS1_3genE2ELNS1_11target_archE906ELNS1_3gpuE6ELNS1_3repE0EEENS1_30default_config_static_selectorELNS0_4arch9wavefront6targetE1EEEvT1_,comdat
	.protected	_ZN7rocprim17ROCPRIM_400000_NS6detail17trampoline_kernelINS0_14default_configENS1_33run_length_encode_config_selectorImjNS0_4plusIjEEEEZZNS1_33reduce_by_key_impl_wrapped_configILNS1_25lookback_scan_determinismE0ES3_S7_PKmNS0_17constant_iteratorIjlEEPmPlSF_S6_NS0_8equal_toImEEEE10hipError_tPvRmT2_T3_mT4_T5_T6_T7_T8_P12ihipStream_tbENKUlT_T0_E_clISt17integral_constantIbLb0EESZ_EEDaSU_SV_EUlSU_E_NS1_11comp_targetILNS1_3genE2ELNS1_11target_archE906ELNS1_3gpuE6ELNS1_3repE0EEENS1_30default_config_static_selectorELNS0_4arch9wavefront6targetE1EEEvT1_ ; -- Begin function _ZN7rocprim17ROCPRIM_400000_NS6detail17trampoline_kernelINS0_14default_configENS1_33run_length_encode_config_selectorImjNS0_4plusIjEEEEZZNS1_33reduce_by_key_impl_wrapped_configILNS1_25lookback_scan_determinismE0ES3_S7_PKmNS0_17constant_iteratorIjlEEPmPlSF_S6_NS0_8equal_toImEEEE10hipError_tPvRmT2_T3_mT4_T5_T6_T7_T8_P12ihipStream_tbENKUlT_T0_E_clISt17integral_constantIbLb0EESZ_EEDaSU_SV_EUlSU_E_NS1_11comp_targetILNS1_3genE2ELNS1_11target_archE906ELNS1_3gpuE6ELNS1_3repE0EEENS1_30default_config_static_selectorELNS0_4arch9wavefront6targetE1EEEvT1_
	.globl	_ZN7rocprim17ROCPRIM_400000_NS6detail17trampoline_kernelINS0_14default_configENS1_33run_length_encode_config_selectorImjNS0_4plusIjEEEEZZNS1_33reduce_by_key_impl_wrapped_configILNS1_25lookback_scan_determinismE0ES3_S7_PKmNS0_17constant_iteratorIjlEEPmPlSF_S6_NS0_8equal_toImEEEE10hipError_tPvRmT2_T3_mT4_T5_T6_T7_T8_P12ihipStream_tbENKUlT_T0_E_clISt17integral_constantIbLb0EESZ_EEDaSU_SV_EUlSU_E_NS1_11comp_targetILNS1_3genE2ELNS1_11target_archE906ELNS1_3gpuE6ELNS1_3repE0EEENS1_30default_config_static_selectorELNS0_4arch9wavefront6targetE1EEEvT1_
	.p2align	8
	.type	_ZN7rocprim17ROCPRIM_400000_NS6detail17trampoline_kernelINS0_14default_configENS1_33run_length_encode_config_selectorImjNS0_4plusIjEEEEZZNS1_33reduce_by_key_impl_wrapped_configILNS1_25lookback_scan_determinismE0ES3_S7_PKmNS0_17constant_iteratorIjlEEPmPlSF_S6_NS0_8equal_toImEEEE10hipError_tPvRmT2_T3_mT4_T5_T6_T7_T8_P12ihipStream_tbENKUlT_T0_E_clISt17integral_constantIbLb0EESZ_EEDaSU_SV_EUlSU_E_NS1_11comp_targetILNS1_3genE2ELNS1_11target_archE906ELNS1_3gpuE6ELNS1_3repE0EEENS1_30default_config_static_selectorELNS0_4arch9wavefront6targetE1EEEvT1_,@function
_ZN7rocprim17ROCPRIM_400000_NS6detail17trampoline_kernelINS0_14default_configENS1_33run_length_encode_config_selectorImjNS0_4plusIjEEEEZZNS1_33reduce_by_key_impl_wrapped_configILNS1_25lookback_scan_determinismE0ES3_S7_PKmNS0_17constant_iteratorIjlEEPmPlSF_S6_NS0_8equal_toImEEEE10hipError_tPvRmT2_T3_mT4_T5_T6_T7_T8_P12ihipStream_tbENKUlT_T0_E_clISt17integral_constantIbLb0EESZ_EEDaSU_SV_EUlSU_E_NS1_11comp_targetILNS1_3genE2ELNS1_11target_archE906ELNS1_3gpuE6ELNS1_3repE0EEENS1_30default_config_static_selectorELNS0_4arch9wavefront6targetE1EEEvT1_: ; @_ZN7rocprim17ROCPRIM_400000_NS6detail17trampoline_kernelINS0_14default_configENS1_33run_length_encode_config_selectorImjNS0_4plusIjEEEEZZNS1_33reduce_by_key_impl_wrapped_configILNS1_25lookback_scan_determinismE0ES3_S7_PKmNS0_17constant_iteratorIjlEEPmPlSF_S6_NS0_8equal_toImEEEE10hipError_tPvRmT2_T3_mT4_T5_T6_T7_T8_P12ihipStream_tbENKUlT_T0_E_clISt17integral_constantIbLb0EESZ_EEDaSU_SV_EUlSU_E_NS1_11comp_targetILNS1_3genE2ELNS1_11target_archE906ELNS1_3gpuE6ELNS1_3repE0EEENS1_30default_config_static_selectorELNS0_4arch9wavefront6targetE1EEEvT1_
; %bb.0:
	.section	.rodata,"a",@progbits
	.p2align	6, 0x0
	.amdhsa_kernel _ZN7rocprim17ROCPRIM_400000_NS6detail17trampoline_kernelINS0_14default_configENS1_33run_length_encode_config_selectorImjNS0_4plusIjEEEEZZNS1_33reduce_by_key_impl_wrapped_configILNS1_25lookback_scan_determinismE0ES3_S7_PKmNS0_17constant_iteratorIjlEEPmPlSF_S6_NS0_8equal_toImEEEE10hipError_tPvRmT2_T3_mT4_T5_T6_T7_T8_P12ihipStream_tbENKUlT_T0_E_clISt17integral_constantIbLb0EESZ_EEDaSU_SV_EUlSU_E_NS1_11comp_targetILNS1_3genE2ELNS1_11target_archE906ELNS1_3gpuE6ELNS1_3repE0EEENS1_30default_config_static_selectorELNS0_4arch9wavefront6targetE1EEEvT1_
		.amdhsa_group_segment_fixed_size 0
		.amdhsa_private_segment_fixed_size 0
		.amdhsa_kernarg_size 128
		.amdhsa_user_sgpr_count 6
		.amdhsa_user_sgpr_private_segment_buffer 1
		.amdhsa_user_sgpr_dispatch_ptr 0
		.amdhsa_user_sgpr_queue_ptr 0
		.amdhsa_user_sgpr_kernarg_segment_ptr 1
		.amdhsa_user_sgpr_dispatch_id 0
		.amdhsa_user_sgpr_flat_scratch_init 0
		.amdhsa_user_sgpr_kernarg_preload_length 0
		.amdhsa_user_sgpr_kernarg_preload_offset 0
		.amdhsa_user_sgpr_private_segment_size 0
		.amdhsa_uses_dynamic_stack 0
		.amdhsa_system_sgpr_private_segment_wavefront_offset 0
		.amdhsa_system_sgpr_workgroup_id_x 1
		.amdhsa_system_sgpr_workgroup_id_y 0
		.amdhsa_system_sgpr_workgroup_id_z 0
		.amdhsa_system_sgpr_workgroup_info 0
		.amdhsa_system_vgpr_workitem_id 0
		.amdhsa_next_free_vgpr 1
		.amdhsa_next_free_sgpr 0
		.amdhsa_accum_offset 4
		.amdhsa_reserve_vcc 0
		.amdhsa_reserve_flat_scratch 0
		.amdhsa_float_round_mode_32 0
		.amdhsa_float_round_mode_16_64 0
		.amdhsa_float_denorm_mode_32 3
		.amdhsa_float_denorm_mode_16_64 3
		.amdhsa_dx10_clamp 1
		.amdhsa_ieee_mode 1
		.amdhsa_fp16_overflow 0
		.amdhsa_tg_split 0
		.amdhsa_exception_fp_ieee_invalid_op 0
		.amdhsa_exception_fp_denorm_src 0
		.amdhsa_exception_fp_ieee_div_zero 0
		.amdhsa_exception_fp_ieee_overflow 0
		.amdhsa_exception_fp_ieee_underflow 0
		.amdhsa_exception_fp_ieee_inexact 0
		.amdhsa_exception_int_div_zero 0
	.end_amdhsa_kernel
	.section	.text._ZN7rocprim17ROCPRIM_400000_NS6detail17trampoline_kernelINS0_14default_configENS1_33run_length_encode_config_selectorImjNS0_4plusIjEEEEZZNS1_33reduce_by_key_impl_wrapped_configILNS1_25lookback_scan_determinismE0ES3_S7_PKmNS0_17constant_iteratorIjlEEPmPlSF_S6_NS0_8equal_toImEEEE10hipError_tPvRmT2_T3_mT4_T5_T6_T7_T8_P12ihipStream_tbENKUlT_T0_E_clISt17integral_constantIbLb0EESZ_EEDaSU_SV_EUlSU_E_NS1_11comp_targetILNS1_3genE2ELNS1_11target_archE906ELNS1_3gpuE6ELNS1_3repE0EEENS1_30default_config_static_selectorELNS0_4arch9wavefront6targetE1EEEvT1_,"axG",@progbits,_ZN7rocprim17ROCPRIM_400000_NS6detail17trampoline_kernelINS0_14default_configENS1_33run_length_encode_config_selectorImjNS0_4plusIjEEEEZZNS1_33reduce_by_key_impl_wrapped_configILNS1_25lookback_scan_determinismE0ES3_S7_PKmNS0_17constant_iteratorIjlEEPmPlSF_S6_NS0_8equal_toImEEEE10hipError_tPvRmT2_T3_mT4_T5_T6_T7_T8_P12ihipStream_tbENKUlT_T0_E_clISt17integral_constantIbLb0EESZ_EEDaSU_SV_EUlSU_E_NS1_11comp_targetILNS1_3genE2ELNS1_11target_archE906ELNS1_3gpuE6ELNS1_3repE0EEENS1_30default_config_static_selectorELNS0_4arch9wavefront6targetE1EEEvT1_,comdat
.Lfunc_end722:
	.size	_ZN7rocprim17ROCPRIM_400000_NS6detail17trampoline_kernelINS0_14default_configENS1_33run_length_encode_config_selectorImjNS0_4plusIjEEEEZZNS1_33reduce_by_key_impl_wrapped_configILNS1_25lookback_scan_determinismE0ES3_S7_PKmNS0_17constant_iteratorIjlEEPmPlSF_S6_NS0_8equal_toImEEEE10hipError_tPvRmT2_T3_mT4_T5_T6_T7_T8_P12ihipStream_tbENKUlT_T0_E_clISt17integral_constantIbLb0EESZ_EEDaSU_SV_EUlSU_E_NS1_11comp_targetILNS1_3genE2ELNS1_11target_archE906ELNS1_3gpuE6ELNS1_3repE0EEENS1_30default_config_static_selectorELNS0_4arch9wavefront6targetE1EEEvT1_, .Lfunc_end722-_ZN7rocprim17ROCPRIM_400000_NS6detail17trampoline_kernelINS0_14default_configENS1_33run_length_encode_config_selectorImjNS0_4plusIjEEEEZZNS1_33reduce_by_key_impl_wrapped_configILNS1_25lookback_scan_determinismE0ES3_S7_PKmNS0_17constant_iteratorIjlEEPmPlSF_S6_NS0_8equal_toImEEEE10hipError_tPvRmT2_T3_mT4_T5_T6_T7_T8_P12ihipStream_tbENKUlT_T0_E_clISt17integral_constantIbLb0EESZ_EEDaSU_SV_EUlSU_E_NS1_11comp_targetILNS1_3genE2ELNS1_11target_archE906ELNS1_3gpuE6ELNS1_3repE0EEENS1_30default_config_static_selectorELNS0_4arch9wavefront6targetE1EEEvT1_
                                        ; -- End function
	.section	.AMDGPU.csdata,"",@progbits
; Kernel info:
; codeLenInByte = 0
; NumSgprs: 4
; NumVgprs: 0
; NumAgprs: 0
; TotalNumVgprs: 0
; ScratchSize: 0
; MemoryBound: 0
; FloatMode: 240
; IeeeMode: 1
; LDSByteSize: 0 bytes/workgroup (compile time only)
; SGPRBlocks: 0
; VGPRBlocks: 0
; NumSGPRsForWavesPerEU: 4
; NumVGPRsForWavesPerEU: 1
; AccumOffset: 4
; Occupancy: 8
; WaveLimiterHint : 0
; COMPUTE_PGM_RSRC2:SCRATCH_EN: 0
; COMPUTE_PGM_RSRC2:USER_SGPR: 6
; COMPUTE_PGM_RSRC2:TRAP_HANDLER: 0
; COMPUTE_PGM_RSRC2:TGID_X_EN: 1
; COMPUTE_PGM_RSRC2:TGID_Y_EN: 0
; COMPUTE_PGM_RSRC2:TGID_Z_EN: 0
; COMPUTE_PGM_RSRC2:TIDIG_COMP_CNT: 0
; COMPUTE_PGM_RSRC3_GFX90A:ACCUM_OFFSET: 0
; COMPUTE_PGM_RSRC3_GFX90A:TG_SPLIT: 0
	.section	.text._ZN7rocprim17ROCPRIM_400000_NS6detail17trampoline_kernelINS0_14default_configENS1_33run_length_encode_config_selectorImjNS0_4plusIjEEEEZZNS1_33reduce_by_key_impl_wrapped_configILNS1_25lookback_scan_determinismE0ES3_S7_PKmNS0_17constant_iteratorIjlEEPmPlSF_S6_NS0_8equal_toImEEEE10hipError_tPvRmT2_T3_mT4_T5_T6_T7_T8_P12ihipStream_tbENKUlT_T0_E_clISt17integral_constantIbLb0EESZ_EEDaSU_SV_EUlSU_E_NS1_11comp_targetILNS1_3genE10ELNS1_11target_archE1201ELNS1_3gpuE5ELNS1_3repE0EEENS1_30default_config_static_selectorELNS0_4arch9wavefront6targetE1EEEvT1_,"axG",@progbits,_ZN7rocprim17ROCPRIM_400000_NS6detail17trampoline_kernelINS0_14default_configENS1_33run_length_encode_config_selectorImjNS0_4plusIjEEEEZZNS1_33reduce_by_key_impl_wrapped_configILNS1_25lookback_scan_determinismE0ES3_S7_PKmNS0_17constant_iteratorIjlEEPmPlSF_S6_NS0_8equal_toImEEEE10hipError_tPvRmT2_T3_mT4_T5_T6_T7_T8_P12ihipStream_tbENKUlT_T0_E_clISt17integral_constantIbLb0EESZ_EEDaSU_SV_EUlSU_E_NS1_11comp_targetILNS1_3genE10ELNS1_11target_archE1201ELNS1_3gpuE5ELNS1_3repE0EEENS1_30default_config_static_selectorELNS0_4arch9wavefront6targetE1EEEvT1_,comdat
	.protected	_ZN7rocprim17ROCPRIM_400000_NS6detail17trampoline_kernelINS0_14default_configENS1_33run_length_encode_config_selectorImjNS0_4plusIjEEEEZZNS1_33reduce_by_key_impl_wrapped_configILNS1_25lookback_scan_determinismE0ES3_S7_PKmNS0_17constant_iteratorIjlEEPmPlSF_S6_NS0_8equal_toImEEEE10hipError_tPvRmT2_T3_mT4_T5_T6_T7_T8_P12ihipStream_tbENKUlT_T0_E_clISt17integral_constantIbLb0EESZ_EEDaSU_SV_EUlSU_E_NS1_11comp_targetILNS1_3genE10ELNS1_11target_archE1201ELNS1_3gpuE5ELNS1_3repE0EEENS1_30default_config_static_selectorELNS0_4arch9wavefront6targetE1EEEvT1_ ; -- Begin function _ZN7rocprim17ROCPRIM_400000_NS6detail17trampoline_kernelINS0_14default_configENS1_33run_length_encode_config_selectorImjNS0_4plusIjEEEEZZNS1_33reduce_by_key_impl_wrapped_configILNS1_25lookback_scan_determinismE0ES3_S7_PKmNS0_17constant_iteratorIjlEEPmPlSF_S6_NS0_8equal_toImEEEE10hipError_tPvRmT2_T3_mT4_T5_T6_T7_T8_P12ihipStream_tbENKUlT_T0_E_clISt17integral_constantIbLb0EESZ_EEDaSU_SV_EUlSU_E_NS1_11comp_targetILNS1_3genE10ELNS1_11target_archE1201ELNS1_3gpuE5ELNS1_3repE0EEENS1_30default_config_static_selectorELNS0_4arch9wavefront6targetE1EEEvT1_
	.globl	_ZN7rocprim17ROCPRIM_400000_NS6detail17trampoline_kernelINS0_14default_configENS1_33run_length_encode_config_selectorImjNS0_4plusIjEEEEZZNS1_33reduce_by_key_impl_wrapped_configILNS1_25lookback_scan_determinismE0ES3_S7_PKmNS0_17constant_iteratorIjlEEPmPlSF_S6_NS0_8equal_toImEEEE10hipError_tPvRmT2_T3_mT4_T5_T6_T7_T8_P12ihipStream_tbENKUlT_T0_E_clISt17integral_constantIbLb0EESZ_EEDaSU_SV_EUlSU_E_NS1_11comp_targetILNS1_3genE10ELNS1_11target_archE1201ELNS1_3gpuE5ELNS1_3repE0EEENS1_30default_config_static_selectorELNS0_4arch9wavefront6targetE1EEEvT1_
	.p2align	8
	.type	_ZN7rocprim17ROCPRIM_400000_NS6detail17trampoline_kernelINS0_14default_configENS1_33run_length_encode_config_selectorImjNS0_4plusIjEEEEZZNS1_33reduce_by_key_impl_wrapped_configILNS1_25lookback_scan_determinismE0ES3_S7_PKmNS0_17constant_iteratorIjlEEPmPlSF_S6_NS0_8equal_toImEEEE10hipError_tPvRmT2_T3_mT4_T5_T6_T7_T8_P12ihipStream_tbENKUlT_T0_E_clISt17integral_constantIbLb0EESZ_EEDaSU_SV_EUlSU_E_NS1_11comp_targetILNS1_3genE10ELNS1_11target_archE1201ELNS1_3gpuE5ELNS1_3repE0EEENS1_30default_config_static_selectorELNS0_4arch9wavefront6targetE1EEEvT1_,@function
_ZN7rocprim17ROCPRIM_400000_NS6detail17trampoline_kernelINS0_14default_configENS1_33run_length_encode_config_selectorImjNS0_4plusIjEEEEZZNS1_33reduce_by_key_impl_wrapped_configILNS1_25lookback_scan_determinismE0ES3_S7_PKmNS0_17constant_iteratorIjlEEPmPlSF_S6_NS0_8equal_toImEEEE10hipError_tPvRmT2_T3_mT4_T5_T6_T7_T8_P12ihipStream_tbENKUlT_T0_E_clISt17integral_constantIbLb0EESZ_EEDaSU_SV_EUlSU_E_NS1_11comp_targetILNS1_3genE10ELNS1_11target_archE1201ELNS1_3gpuE5ELNS1_3repE0EEENS1_30default_config_static_selectorELNS0_4arch9wavefront6targetE1EEEvT1_: ; @_ZN7rocprim17ROCPRIM_400000_NS6detail17trampoline_kernelINS0_14default_configENS1_33run_length_encode_config_selectorImjNS0_4plusIjEEEEZZNS1_33reduce_by_key_impl_wrapped_configILNS1_25lookback_scan_determinismE0ES3_S7_PKmNS0_17constant_iteratorIjlEEPmPlSF_S6_NS0_8equal_toImEEEE10hipError_tPvRmT2_T3_mT4_T5_T6_T7_T8_P12ihipStream_tbENKUlT_T0_E_clISt17integral_constantIbLb0EESZ_EEDaSU_SV_EUlSU_E_NS1_11comp_targetILNS1_3genE10ELNS1_11target_archE1201ELNS1_3gpuE5ELNS1_3repE0EEENS1_30default_config_static_selectorELNS0_4arch9wavefront6targetE1EEEvT1_
; %bb.0:
	.section	.rodata,"a",@progbits
	.p2align	6, 0x0
	.amdhsa_kernel _ZN7rocprim17ROCPRIM_400000_NS6detail17trampoline_kernelINS0_14default_configENS1_33run_length_encode_config_selectorImjNS0_4plusIjEEEEZZNS1_33reduce_by_key_impl_wrapped_configILNS1_25lookback_scan_determinismE0ES3_S7_PKmNS0_17constant_iteratorIjlEEPmPlSF_S6_NS0_8equal_toImEEEE10hipError_tPvRmT2_T3_mT4_T5_T6_T7_T8_P12ihipStream_tbENKUlT_T0_E_clISt17integral_constantIbLb0EESZ_EEDaSU_SV_EUlSU_E_NS1_11comp_targetILNS1_3genE10ELNS1_11target_archE1201ELNS1_3gpuE5ELNS1_3repE0EEENS1_30default_config_static_selectorELNS0_4arch9wavefront6targetE1EEEvT1_
		.amdhsa_group_segment_fixed_size 0
		.amdhsa_private_segment_fixed_size 0
		.amdhsa_kernarg_size 128
		.amdhsa_user_sgpr_count 6
		.amdhsa_user_sgpr_private_segment_buffer 1
		.amdhsa_user_sgpr_dispatch_ptr 0
		.amdhsa_user_sgpr_queue_ptr 0
		.amdhsa_user_sgpr_kernarg_segment_ptr 1
		.amdhsa_user_sgpr_dispatch_id 0
		.amdhsa_user_sgpr_flat_scratch_init 0
		.amdhsa_user_sgpr_kernarg_preload_length 0
		.amdhsa_user_sgpr_kernarg_preload_offset 0
		.amdhsa_user_sgpr_private_segment_size 0
		.amdhsa_uses_dynamic_stack 0
		.amdhsa_system_sgpr_private_segment_wavefront_offset 0
		.amdhsa_system_sgpr_workgroup_id_x 1
		.amdhsa_system_sgpr_workgroup_id_y 0
		.amdhsa_system_sgpr_workgroup_id_z 0
		.amdhsa_system_sgpr_workgroup_info 0
		.amdhsa_system_vgpr_workitem_id 0
		.amdhsa_next_free_vgpr 1
		.amdhsa_next_free_sgpr 0
		.amdhsa_accum_offset 4
		.amdhsa_reserve_vcc 0
		.amdhsa_reserve_flat_scratch 0
		.amdhsa_float_round_mode_32 0
		.amdhsa_float_round_mode_16_64 0
		.amdhsa_float_denorm_mode_32 3
		.amdhsa_float_denorm_mode_16_64 3
		.amdhsa_dx10_clamp 1
		.amdhsa_ieee_mode 1
		.amdhsa_fp16_overflow 0
		.amdhsa_tg_split 0
		.amdhsa_exception_fp_ieee_invalid_op 0
		.amdhsa_exception_fp_denorm_src 0
		.amdhsa_exception_fp_ieee_div_zero 0
		.amdhsa_exception_fp_ieee_overflow 0
		.amdhsa_exception_fp_ieee_underflow 0
		.amdhsa_exception_fp_ieee_inexact 0
		.amdhsa_exception_int_div_zero 0
	.end_amdhsa_kernel
	.section	.text._ZN7rocprim17ROCPRIM_400000_NS6detail17trampoline_kernelINS0_14default_configENS1_33run_length_encode_config_selectorImjNS0_4plusIjEEEEZZNS1_33reduce_by_key_impl_wrapped_configILNS1_25lookback_scan_determinismE0ES3_S7_PKmNS0_17constant_iteratorIjlEEPmPlSF_S6_NS0_8equal_toImEEEE10hipError_tPvRmT2_T3_mT4_T5_T6_T7_T8_P12ihipStream_tbENKUlT_T0_E_clISt17integral_constantIbLb0EESZ_EEDaSU_SV_EUlSU_E_NS1_11comp_targetILNS1_3genE10ELNS1_11target_archE1201ELNS1_3gpuE5ELNS1_3repE0EEENS1_30default_config_static_selectorELNS0_4arch9wavefront6targetE1EEEvT1_,"axG",@progbits,_ZN7rocprim17ROCPRIM_400000_NS6detail17trampoline_kernelINS0_14default_configENS1_33run_length_encode_config_selectorImjNS0_4plusIjEEEEZZNS1_33reduce_by_key_impl_wrapped_configILNS1_25lookback_scan_determinismE0ES3_S7_PKmNS0_17constant_iteratorIjlEEPmPlSF_S6_NS0_8equal_toImEEEE10hipError_tPvRmT2_T3_mT4_T5_T6_T7_T8_P12ihipStream_tbENKUlT_T0_E_clISt17integral_constantIbLb0EESZ_EEDaSU_SV_EUlSU_E_NS1_11comp_targetILNS1_3genE10ELNS1_11target_archE1201ELNS1_3gpuE5ELNS1_3repE0EEENS1_30default_config_static_selectorELNS0_4arch9wavefront6targetE1EEEvT1_,comdat
.Lfunc_end723:
	.size	_ZN7rocprim17ROCPRIM_400000_NS6detail17trampoline_kernelINS0_14default_configENS1_33run_length_encode_config_selectorImjNS0_4plusIjEEEEZZNS1_33reduce_by_key_impl_wrapped_configILNS1_25lookback_scan_determinismE0ES3_S7_PKmNS0_17constant_iteratorIjlEEPmPlSF_S6_NS0_8equal_toImEEEE10hipError_tPvRmT2_T3_mT4_T5_T6_T7_T8_P12ihipStream_tbENKUlT_T0_E_clISt17integral_constantIbLb0EESZ_EEDaSU_SV_EUlSU_E_NS1_11comp_targetILNS1_3genE10ELNS1_11target_archE1201ELNS1_3gpuE5ELNS1_3repE0EEENS1_30default_config_static_selectorELNS0_4arch9wavefront6targetE1EEEvT1_, .Lfunc_end723-_ZN7rocprim17ROCPRIM_400000_NS6detail17trampoline_kernelINS0_14default_configENS1_33run_length_encode_config_selectorImjNS0_4plusIjEEEEZZNS1_33reduce_by_key_impl_wrapped_configILNS1_25lookback_scan_determinismE0ES3_S7_PKmNS0_17constant_iteratorIjlEEPmPlSF_S6_NS0_8equal_toImEEEE10hipError_tPvRmT2_T3_mT4_T5_T6_T7_T8_P12ihipStream_tbENKUlT_T0_E_clISt17integral_constantIbLb0EESZ_EEDaSU_SV_EUlSU_E_NS1_11comp_targetILNS1_3genE10ELNS1_11target_archE1201ELNS1_3gpuE5ELNS1_3repE0EEENS1_30default_config_static_selectorELNS0_4arch9wavefront6targetE1EEEvT1_
                                        ; -- End function
	.section	.AMDGPU.csdata,"",@progbits
; Kernel info:
; codeLenInByte = 0
; NumSgprs: 4
; NumVgprs: 0
; NumAgprs: 0
; TotalNumVgprs: 0
; ScratchSize: 0
; MemoryBound: 0
; FloatMode: 240
; IeeeMode: 1
; LDSByteSize: 0 bytes/workgroup (compile time only)
; SGPRBlocks: 0
; VGPRBlocks: 0
; NumSGPRsForWavesPerEU: 4
; NumVGPRsForWavesPerEU: 1
; AccumOffset: 4
; Occupancy: 8
; WaveLimiterHint : 0
; COMPUTE_PGM_RSRC2:SCRATCH_EN: 0
; COMPUTE_PGM_RSRC2:USER_SGPR: 6
; COMPUTE_PGM_RSRC2:TRAP_HANDLER: 0
; COMPUTE_PGM_RSRC2:TGID_X_EN: 1
; COMPUTE_PGM_RSRC2:TGID_Y_EN: 0
; COMPUTE_PGM_RSRC2:TGID_Z_EN: 0
; COMPUTE_PGM_RSRC2:TIDIG_COMP_CNT: 0
; COMPUTE_PGM_RSRC3_GFX90A:ACCUM_OFFSET: 0
; COMPUTE_PGM_RSRC3_GFX90A:TG_SPLIT: 0
	.section	.text._ZN7rocprim17ROCPRIM_400000_NS6detail17trampoline_kernelINS0_14default_configENS1_33run_length_encode_config_selectorImjNS0_4plusIjEEEEZZNS1_33reduce_by_key_impl_wrapped_configILNS1_25lookback_scan_determinismE0ES3_S7_PKmNS0_17constant_iteratorIjlEEPmPlSF_S6_NS0_8equal_toImEEEE10hipError_tPvRmT2_T3_mT4_T5_T6_T7_T8_P12ihipStream_tbENKUlT_T0_E_clISt17integral_constantIbLb0EESZ_EEDaSU_SV_EUlSU_E_NS1_11comp_targetILNS1_3genE10ELNS1_11target_archE1200ELNS1_3gpuE4ELNS1_3repE0EEENS1_30default_config_static_selectorELNS0_4arch9wavefront6targetE1EEEvT1_,"axG",@progbits,_ZN7rocprim17ROCPRIM_400000_NS6detail17trampoline_kernelINS0_14default_configENS1_33run_length_encode_config_selectorImjNS0_4plusIjEEEEZZNS1_33reduce_by_key_impl_wrapped_configILNS1_25lookback_scan_determinismE0ES3_S7_PKmNS0_17constant_iteratorIjlEEPmPlSF_S6_NS0_8equal_toImEEEE10hipError_tPvRmT2_T3_mT4_T5_T6_T7_T8_P12ihipStream_tbENKUlT_T0_E_clISt17integral_constantIbLb0EESZ_EEDaSU_SV_EUlSU_E_NS1_11comp_targetILNS1_3genE10ELNS1_11target_archE1200ELNS1_3gpuE4ELNS1_3repE0EEENS1_30default_config_static_selectorELNS0_4arch9wavefront6targetE1EEEvT1_,comdat
	.protected	_ZN7rocprim17ROCPRIM_400000_NS6detail17trampoline_kernelINS0_14default_configENS1_33run_length_encode_config_selectorImjNS0_4plusIjEEEEZZNS1_33reduce_by_key_impl_wrapped_configILNS1_25lookback_scan_determinismE0ES3_S7_PKmNS0_17constant_iteratorIjlEEPmPlSF_S6_NS0_8equal_toImEEEE10hipError_tPvRmT2_T3_mT4_T5_T6_T7_T8_P12ihipStream_tbENKUlT_T0_E_clISt17integral_constantIbLb0EESZ_EEDaSU_SV_EUlSU_E_NS1_11comp_targetILNS1_3genE10ELNS1_11target_archE1200ELNS1_3gpuE4ELNS1_3repE0EEENS1_30default_config_static_selectorELNS0_4arch9wavefront6targetE1EEEvT1_ ; -- Begin function _ZN7rocprim17ROCPRIM_400000_NS6detail17trampoline_kernelINS0_14default_configENS1_33run_length_encode_config_selectorImjNS0_4plusIjEEEEZZNS1_33reduce_by_key_impl_wrapped_configILNS1_25lookback_scan_determinismE0ES3_S7_PKmNS0_17constant_iteratorIjlEEPmPlSF_S6_NS0_8equal_toImEEEE10hipError_tPvRmT2_T3_mT4_T5_T6_T7_T8_P12ihipStream_tbENKUlT_T0_E_clISt17integral_constantIbLb0EESZ_EEDaSU_SV_EUlSU_E_NS1_11comp_targetILNS1_3genE10ELNS1_11target_archE1200ELNS1_3gpuE4ELNS1_3repE0EEENS1_30default_config_static_selectorELNS0_4arch9wavefront6targetE1EEEvT1_
	.globl	_ZN7rocprim17ROCPRIM_400000_NS6detail17trampoline_kernelINS0_14default_configENS1_33run_length_encode_config_selectorImjNS0_4plusIjEEEEZZNS1_33reduce_by_key_impl_wrapped_configILNS1_25lookback_scan_determinismE0ES3_S7_PKmNS0_17constant_iteratorIjlEEPmPlSF_S6_NS0_8equal_toImEEEE10hipError_tPvRmT2_T3_mT4_T5_T6_T7_T8_P12ihipStream_tbENKUlT_T0_E_clISt17integral_constantIbLb0EESZ_EEDaSU_SV_EUlSU_E_NS1_11comp_targetILNS1_3genE10ELNS1_11target_archE1200ELNS1_3gpuE4ELNS1_3repE0EEENS1_30default_config_static_selectorELNS0_4arch9wavefront6targetE1EEEvT1_
	.p2align	8
	.type	_ZN7rocprim17ROCPRIM_400000_NS6detail17trampoline_kernelINS0_14default_configENS1_33run_length_encode_config_selectorImjNS0_4plusIjEEEEZZNS1_33reduce_by_key_impl_wrapped_configILNS1_25lookback_scan_determinismE0ES3_S7_PKmNS0_17constant_iteratorIjlEEPmPlSF_S6_NS0_8equal_toImEEEE10hipError_tPvRmT2_T3_mT4_T5_T6_T7_T8_P12ihipStream_tbENKUlT_T0_E_clISt17integral_constantIbLb0EESZ_EEDaSU_SV_EUlSU_E_NS1_11comp_targetILNS1_3genE10ELNS1_11target_archE1200ELNS1_3gpuE4ELNS1_3repE0EEENS1_30default_config_static_selectorELNS0_4arch9wavefront6targetE1EEEvT1_,@function
_ZN7rocprim17ROCPRIM_400000_NS6detail17trampoline_kernelINS0_14default_configENS1_33run_length_encode_config_selectorImjNS0_4plusIjEEEEZZNS1_33reduce_by_key_impl_wrapped_configILNS1_25lookback_scan_determinismE0ES3_S7_PKmNS0_17constant_iteratorIjlEEPmPlSF_S6_NS0_8equal_toImEEEE10hipError_tPvRmT2_T3_mT4_T5_T6_T7_T8_P12ihipStream_tbENKUlT_T0_E_clISt17integral_constantIbLb0EESZ_EEDaSU_SV_EUlSU_E_NS1_11comp_targetILNS1_3genE10ELNS1_11target_archE1200ELNS1_3gpuE4ELNS1_3repE0EEENS1_30default_config_static_selectorELNS0_4arch9wavefront6targetE1EEEvT1_: ; @_ZN7rocprim17ROCPRIM_400000_NS6detail17trampoline_kernelINS0_14default_configENS1_33run_length_encode_config_selectorImjNS0_4plusIjEEEEZZNS1_33reduce_by_key_impl_wrapped_configILNS1_25lookback_scan_determinismE0ES3_S7_PKmNS0_17constant_iteratorIjlEEPmPlSF_S6_NS0_8equal_toImEEEE10hipError_tPvRmT2_T3_mT4_T5_T6_T7_T8_P12ihipStream_tbENKUlT_T0_E_clISt17integral_constantIbLb0EESZ_EEDaSU_SV_EUlSU_E_NS1_11comp_targetILNS1_3genE10ELNS1_11target_archE1200ELNS1_3gpuE4ELNS1_3repE0EEENS1_30default_config_static_selectorELNS0_4arch9wavefront6targetE1EEEvT1_
; %bb.0:
	.section	.rodata,"a",@progbits
	.p2align	6, 0x0
	.amdhsa_kernel _ZN7rocprim17ROCPRIM_400000_NS6detail17trampoline_kernelINS0_14default_configENS1_33run_length_encode_config_selectorImjNS0_4plusIjEEEEZZNS1_33reduce_by_key_impl_wrapped_configILNS1_25lookback_scan_determinismE0ES3_S7_PKmNS0_17constant_iteratorIjlEEPmPlSF_S6_NS0_8equal_toImEEEE10hipError_tPvRmT2_T3_mT4_T5_T6_T7_T8_P12ihipStream_tbENKUlT_T0_E_clISt17integral_constantIbLb0EESZ_EEDaSU_SV_EUlSU_E_NS1_11comp_targetILNS1_3genE10ELNS1_11target_archE1200ELNS1_3gpuE4ELNS1_3repE0EEENS1_30default_config_static_selectorELNS0_4arch9wavefront6targetE1EEEvT1_
		.amdhsa_group_segment_fixed_size 0
		.amdhsa_private_segment_fixed_size 0
		.amdhsa_kernarg_size 128
		.amdhsa_user_sgpr_count 6
		.amdhsa_user_sgpr_private_segment_buffer 1
		.amdhsa_user_sgpr_dispatch_ptr 0
		.amdhsa_user_sgpr_queue_ptr 0
		.amdhsa_user_sgpr_kernarg_segment_ptr 1
		.amdhsa_user_sgpr_dispatch_id 0
		.amdhsa_user_sgpr_flat_scratch_init 0
		.amdhsa_user_sgpr_kernarg_preload_length 0
		.amdhsa_user_sgpr_kernarg_preload_offset 0
		.amdhsa_user_sgpr_private_segment_size 0
		.amdhsa_uses_dynamic_stack 0
		.amdhsa_system_sgpr_private_segment_wavefront_offset 0
		.amdhsa_system_sgpr_workgroup_id_x 1
		.amdhsa_system_sgpr_workgroup_id_y 0
		.amdhsa_system_sgpr_workgroup_id_z 0
		.amdhsa_system_sgpr_workgroup_info 0
		.amdhsa_system_vgpr_workitem_id 0
		.amdhsa_next_free_vgpr 1
		.amdhsa_next_free_sgpr 0
		.amdhsa_accum_offset 4
		.amdhsa_reserve_vcc 0
		.amdhsa_reserve_flat_scratch 0
		.amdhsa_float_round_mode_32 0
		.amdhsa_float_round_mode_16_64 0
		.amdhsa_float_denorm_mode_32 3
		.amdhsa_float_denorm_mode_16_64 3
		.amdhsa_dx10_clamp 1
		.amdhsa_ieee_mode 1
		.amdhsa_fp16_overflow 0
		.amdhsa_tg_split 0
		.amdhsa_exception_fp_ieee_invalid_op 0
		.amdhsa_exception_fp_denorm_src 0
		.amdhsa_exception_fp_ieee_div_zero 0
		.amdhsa_exception_fp_ieee_overflow 0
		.amdhsa_exception_fp_ieee_underflow 0
		.amdhsa_exception_fp_ieee_inexact 0
		.amdhsa_exception_int_div_zero 0
	.end_amdhsa_kernel
	.section	.text._ZN7rocprim17ROCPRIM_400000_NS6detail17trampoline_kernelINS0_14default_configENS1_33run_length_encode_config_selectorImjNS0_4plusIjEEEEZZNS1_33reduce_by_key_impl_wrapped_configILNS1_25lookback_scan_determinismE0ES3_S7_PKmNS0_17constant_iteratorIjlEEPmPlSF_S6_NS0_8equal_toImEEEE10hipError_tPvRmT2_T3_mT4_T5_T6_T7_T8_P12ihipStream_tbENKUlT_T0_E_clISt17integral_constantIbLb0EESZ_EEDaSU_SV_EUlSU_E_NS1_11comp_targetILNS1_3genE10ELNS1_11target_archE1200ELNS1_3gpuE4ELNS1_3repE0EEENS1_30default_config_static_selectorELNS0_4arch9wavefront6targetE1EEEvT1_,"axG",@progbits,_ZN7rocprim17ROCPRIM_400000_NS6detail17trampoline_kernelINS0_14default_configENS1_33run_length_encode_config_selectorImjNS0_4plusIjEEEEZZNS1_33reduce_by_key_impl_wrapped_configILNS1_25lookback_scan_determinismE0ES3_S7_PKmNS0_17constant_iteratorIjlEEPmPlSF_S6_NS0_8equal_toImEEEE10hipError_tPvRmT2_T3_mT4_T5_T6_T7_T8_P12ihipStream_tbENKUlT_T0_E_clISt17integral_constantIbLb0EESZ_EEDaSU_SV_EUlSU_E_NS1_11comp_targetILNS1_3genE10ELNS1_11target_archE1200ELNS1_3gpuE4ELNS1_3repE0EEENS1_30default_config_static_selectorELNS0_4arch9wavefront6targetE1EEEvT1_,comdat
.Lfunc_end724:
	.size	_ZN7rocprim17ROCPRIM_400000_NS6detail17trampoline_kernelINS0_14default_configENS1_33run_length_encode_config_selectorImjNS0_4plusIjEEEEZZNS1_33reduce_by_key_impl_wrapped_configILNS1_25lookback_scan_determinismE0ES3_S7_PKmNS0_17constant_iteratorIjlEEPmPlSF_S6_NS0_8equal_toImEEEE10hipError_tPvRmT2_T3_mT4_T5_T6_T7_T8_P12ihipStream_tbENKUlT_T0_E_clISt17integral_constantIbLb0EESZ_EEDaSU_SV_EUlSU_E_NS1_11comp_targetILNS1_3genE10ELNS1_11target_archE1200ELNS1_3gpuE4ELNS1_3repE0EEENS1_30default_config_static_selectorELNS0_4arch9wavefront6targetE1EEEvT1_, .Lfunc_end724-_ZN7rocprim17ROCPRIM_400000_NS6detail17trampoline_kernelINS0_14default_configENS1_33run_length_encode_config_selectorImjNS0_4plusIjEEEEZZNS1_33reduce_by_key_impl_wrapped_configILNS1_25lookback_scan_determinismE0ES3_S7_PKmNS0_17constant_iteratorIjlEEPmPlSF_S6_NS0_8equal_toImEEEE10hipError_tPvRmT2_T3_mT4_T5_T6_T7_T8_P12ihipStream_tbENKUlT_T0_E_clISt17integral_constantIbLb0EESZ_EEDaSU_SV_EUlSU_E_NS1_11comp_targetILNS1_3genE10ELNS1_11target_archE1200ELNS1_3gpuE4ELNS1_3repE0EEENS1_30default_config_static_selectorELNS0_4arch9wavefront6targetE1EEEvT1_
                                        ; -- End function
	.section	.AMDGPU.csdata,"",@progbits
; Kernel info:
; codeLenInByte = 0
; NumSgprs: 4
; NumVgprs: 0
; NumAgprs: 0
; TotalNumVgprs: 0
; ScratchSize: 0
; MemoryBound: 0
; FloatMode: 240
; IeeeMode: 1
; LDSByteSize: 0 bytes/workgroup (compile time only)
; SGPRBlocks: 0
; VGPRBlocks: 0
; NumSGPRsForWavesPerEU: 4
; NumVGPRsForWavesPerEU: 1
; AccumOffset: 4
; Occupancy: 8
; WaveLimiterHint : 0
; COMPUTE_PGM_RSRC2:SCRATCH_EN: 0
; COMPUTE_PGM_RSRC2:USER_SGPR: 6
; COMPUTE_PGM_RSRC2:TRAP_HANDLER: 0
; COMPUTE_PGM_RSRC2:TGID_X_EN: 1
; COMPUTE_PGM_RSRC2:TGID_Y_EN: 0
; COMPUTE_PGM_RSRC2:TGID_Z_EN: 0
; COMPUTE_PGM_RSRC2:TIDIG_COMP_CNT: 0
; COMPUTE_PGM_RSRC3_GFX90A:ACCUM_OFFSET: 0
; COMPUTE_PGM_RSRC3_GFX90A:TG_SPLIT: 0
	.section	.text._ZN7rocprim17ROCPRIM_400000_NS6detail17trampoline_kernelINS0_14default_configENS1_33run_length_encode_config_selectorImjNS0_4plusIjEEEEZZNS1_33reduce_by_key_impl_wrapped_configILNS1_25lookback_scan_determinismE0ES3_S7_PKmNS0_17constant_iteratorIjlEEPmPlSF_S6_NS0_8equal_toImEEEE10hipError_tPvRmT2_T3_mT4_T5_T6_T7_T8_P12ihipStream_tbENKUlT_T0_E_clISt17integral_constantIbLb0EESZ_EEDaSU_SV_EUlSU_E_NS1_11comp_targetILNS1_3genE9ELNS1_11target_archE1100ELNS1_3gpuE3ELNS1_3repE0EEENS1_30default_config_static_selectorELNS0_4arch9wavefront6targetE1EEEvT1_,"axG",@progbits,_ZN7rocprim17ROCPRIM_400000_NS6detail17trampoline_kernelINS0_14default_configENS1_33run_length_encode_config_selectorImjNS0_4plusIjEEEEZZNS1_33reduce_by_key_impl_wrapped_configILNS1_25lookback_scan_determinismE0ES3_S7_PKmNS0_17constant_iteratorIjlEEPmPlSF_S6_NS0_8equal_toImEEEE10hipError_tPvRmT2_T3_mT4_T5_T6_T7_T8_P12ihipStream_tbENKUlT_T0_E_clISt17integral_constantIbLb0EESZ_EEDaSU_SV_EUlSU_E_NS1_11comp_targetILNS1_3genE9ELNS1_11target_archE1100ELNS1_3gpuE3ELNS1_3repE0EEENS1_30default_config_static_selectorELNS0_4arch9wavefront6targetE1EEEvT1_,comdat
	.protected	_ZN7rocprim17ROCPRIM_400000_NS6detail17trampoline_kernelINS0_14default_configENS1_33run_length_encode_config_selectorImjNS0_4plusIjEEEEZZNS1_33reduce_by_key_impl_wrapped_configILNS1_25lookback_scan_determinismE0ES3_S7_PKmNS0_17constant_iteratorIjlEEPmPlSF_S6_NS0_8equal_toImEEEE10hipError_tPvRmT2_T3_mT4_T5_T6_T7_T8_P12ihipStream_tbENKUlT_T0_E_clISt17integral_constantIbLb0EESZ_EEDaSU_SV_EUlSU_E_NS1_11comp_targetILNS1_3genE9ELNS1_11target_archE1100ELNS1_3gpuE3ELNS1_3repE0EEENS1_30default_config_static_selectorELNS0_4arch9wavefront6targetE1EEEvT1_ ; -- Begin function _ZN7rocprim17ROCPRIM_400000_NS6detail17trampoline_kernelINS0_14default_configENS1_33run_length_encode_config_selectorImjNS0_4plusIjEEEEZZNS1_33reduce_by_key_impl_wrapped_configILNS1_25lookback_scan_determinismE0ES3_S7_PKmNS0_17constant_iteratorIjlEEPmPlSF_S6_NS0_8equal_toImEEEE10hipError_tPvRmT2_T3_mT4_T5_T6_T7_T8_P12ihipStream_tbENKUlT_T0_E_clISt17integral_constantIbLb0EESZ_EEDaSU_SV_EUlSU_E_NS1_11comp_targetILNS1_3genE9ELNS1_11target_archE1100ELNS1_3gpuE3ELNS1_3repE0EEENS1_30default_config_static_selectorELNS0_4arch9wavefront6targetE1EEEvT1_
	.globl	_ZN7rocprim17ROCPRIM_400000_NS6detail17trampoline_kernelINS0_14default_configENS1_33run_length_encode_config_selectorImjNS0_4plusIjEEEEZZNS1_33reduce_by_key_impl_wrapped_configILNS1_25lookback_scan_determinismE0ES3_S7_PKmNS0_17constant_iteratorIjlEEPmPlSF_S6_NS0_8equal_toImEEEE10hipError_tPvRmT2_T3_mT4_T5_T6_T7_T8_P12ihipStream_tbENKUlT_T0_E_clISt17integral_constantIbLb0EESZ_EEDaSU_SV_EUlSU_E_NS1_11comp_targetILNS1_3genE9ELNS1_11target_archE1100ELNS1_3gpuE3ELNS1_3repE0EEENS1_30default_config_static_selectorELNS0_4arch9wavefront6targetE1EEEvT1_
	.p2align	8
	.type	_ZN7rocprim17ROCPRIM_400000_NS6detail17trampoline_kernelINS0_14default_configENS1_33run_length_encode_config_selectorImjNS0_4plusIjEEEEZZNS1_33reduce_by_key_impl_wrapped_configILNS1_25lookback_scan_determinismE0ES3_S7_PKmNS0_17constant_iteratorIjlEEPmPlSF_S6_NS0_8equal_toImEEEE10hipError_tPvRmT2_T3_mT4_T5_T6_T7_T8_P12ihipStream_tbENKUlT_T0_E_clISt17integral_constantIbLb0EESZ_EEDaSU_SV_EUlSU_E_NS1_11comp_targetILNS1_3genE9ELNS1_11target_archE1100ELNS1_3gpuE3ELNS1_3repE0EEENS1_30default_config_static_selectorELNS0_4arch9wavefront6targetE1EEEvT1_,@function
_ZN7rocprim17ROCPRIM_400000_NS6detail17trampoline_kernelINS0_14default_configENS1_33run_length_encode_config_selectorImjNS0_4plusIjEEEEZZNS1_33reduce_by_key_impl_wrapped_configILNS1_25lookback_scan_determinismE0ES3_S7_PKmNS0_17constant_iteratorIjlEEPmPlSF_S6_NS0_8equal_toImEEEE10hipError_tPvRmT2_T3_mT4_T5_T6_T7_T8_P12ihipStream_tbENKUlT_T0_E_clISt17integral_constantIbLb0EESZ_EEDaSU_SV_EUlSU_E_NS1_11comp_targetILNS1_3genE9ELNS1_11target_archE1100ELNS1_3gpuE3ELNS1_3repE0EEENS1_30default_config_static_selectorELNS0_4arch9wavefront6targetE1EEEvT1_: ; @_ZN7rocprim17ROCPRIM_400000_NS6detail17trampoline_kernelINS0_14default_configENS1_33run_length_encode_config_selectorImjNS0_4plusIjEEEEZZNS1_33reduce_by_key_impl_wrapped_configILNS1_25lookback_scan_determinismE0ES3_S7_PKmNS0_17constant_iteratorIjlEEPmPlSF_S6_NS0_8equal_toImEEEE10hipError_tPvRmT2_T3_mT4_T5_T6_T7_T8_P12ihipStream_tbENKUlT_T0_E_clISt17integral_constantIbLb0EESZ_EEDaSU_SV_EUlSU_E_NS1_11comp_targetILNS1_3genE9ELNS1_11target_archE1100ELNS1_3gpuE3ELNS1_3repE0EEENS1_30default_config_static_selectorELNS0_4arch9wavefront6targetE1EEEvT1_
; %bb.0:
	.section	.rodata,"a",@progbits
	.p2align	6, 0x0
	.amdhsa_kernel _ZN7rocprim17ROCPRIM_400000_NS6detail17trampoline_kernelINS0_14default_configENS1_33run_length_encode_config_selectorImjNS0_4plusIjEEEEZZNS1_33reduce_by_key_impl_wrapped_configILNS1_25lookback_scan_determinismE0ES3_S7_PKmNS0_17constant_iteratorIjlEEPmPlSF_S6_NS0_8equal_toImEEEE10hipError_tPvRmT2_T3_mT4_T5_T6_T7_T8_P12ihipStream_tbENKUlT_T0_E_clISt17integral_constantIbLb0EESZ_EEDaSU_SV_EUlSU_E_NS1_11comp_targetILNS1_3genE9ELNS1_11target_archE1100ELNS1_3gpuE3ELNS1_3repE0EEENS1_30default_config_static_selectorELNS0_4arch9wavefront6targetE1EEEvT1_
		.amdhsa_group_segment_fixed_size 0
		.amdhsa_private_segment_fixed_size 0
		.amdhsa_kernarg_size 128
		.amdhsa_user_sgpr_count 6
		.amdhsa_user_sgpr_private_segment_buffer 1
		.amdhsa_user_sgpr_dispatch_ptr 0
		.amdhsa_user_sgpr_queue_ptr 0
		.amdhsa_user_sgpr_kernarg_segment_ptr 1
		.amdhsa_user_sgpr_dispatch_id 0
		.amdhsa_user_sgpr_flat_scratch_init 0
		.amdhsa_user_sgpr_kernarg_preload_length 0
		.amdhsa_user_sgpr_kernarg_preload_offset 0
		.amdhsa_user_sgpr_private_segment_size 0
		.amdhsa_uses_dynamic_stack 0
		.amdhsa_system_sgpr_private_segment_wavefront_offset 0
		.amdhsa_system_sgpr_workgroup_id_x 1
		.amdhsa_system_sgpr_workgroup_id_y 0
		.amdhsa_system_sgpr_workgroup_id_z 0
		.amdhsa_system_sgpr_workgroup_info 0
		.amdhsa_system_vgpr_workitem_id 0
		.amdhsa_next_free_vgpr 1
		.amdhsa_next_free_sgpr 0
		.amdhsa_accum_offset 4
		.amdhsa_reserve_vcc 0
		.amdhsa_reserve_flat_scratch 0
		.amdhsa_float_round_mode_32 0
		.amdhsa_float_round_mode_16_64 0
		.amdhsa_float_denorm_mode_32 3
		.amdhsa_float_denorm_mode_16_64 3
		.amdhsa_dx10_clamp 1
		.amdhsa_ieee_mode 1
		.amdhsa_fp16_overflow 0
		.amdhsa_tg_split 0
		.amdhsa_exception_fp_ieee_invalid_op 0
		.amdhsa_exception_fp_denorm_src 0
		.amdhsa_exception_fp_ieee_div_zero 0
		.amdhsa_exception_fp_ieee_overflow 0
		.amdhsa_exception_fp_ieee_underflow 0
		.amdhsa_exception_fp_ieee_inexact 0
		.amdhsa_exception_int_div_zero 0
	.end_amdhsa_kernel
	.section	.text._ZN7rocprim17ROCPRIM_400000_NS6detail17trampoline_kernelINS0_14default_configENS1_33run_length_encode_config_selectorImjNS0_4plusIjEEEEZZNS1_33reduce_by_key_impl_wrapped_configILNS1_25lookback_scan_determinismE0ES3_S7_PKmNS0_17constant_iteratorIjlEEPmPlSF_S6_NS0_8equal_toImEEEE10hipError_tPvRmT2_T3_mT4_T5_T6_T7_T8_P12ihipStream_tbENKUlT_T0_E_clISt17integral_constantIbLb0EESZ_EEDaSU_SV_EUlSU_E_NS1_11comp_targetILNS1_3genE9ELNS1_11target_archE1100ELNS1_3gpuE3ELNS1_3repE0EEENS1_30default_config_static_selectorELNS0_4arch9wavefront6targetE1EEEvT1_,"axG",@progbits,_ZN7rocprim17ROCPRIM_400000_NS6detail17trampoline_kernelINS0_14default_configENS1_33run_length_encode_config_selectorImjNS0_4plusIjEEEEZZNS1_33reduce_by_key_impl_wrapped_configILNS1_25lookback_scan_determinismE0ES3_S7_PKmNS0_17constant_iteratorIjlEEPmPlSF_S6_NS0_8equal_toImEEEE10hipError_tPvRmT2_T3_mT4_T5_T6_T7_T8_P12ihipStream_tbENKUlT_T0_E_clISt17integral_constantIbLb0EESZ_EEDaSU_SV_EUlSU_E_NS1_11comp_targetILNS1_3genE9ELNS1_11target_archE1100ELNS1_3gpuE3ELNS1_3repE0EEENS1_30default_config_static_selectorELNS0_4arch9wavefront6targetE1EEEvT1_,comdat
.Lfunc_end725:
	.size	_ZN7rocprim17ROCPRIM_400000_NS6detail17trampoline_kernelINS0_14default_configENS1_33run_length_encode_config_selectorImjNS0_4plusIjEEEEZZNS1_33reduce_by_key_impl_wrapped_configILNS1_25lookback_scan_determinismE0ES3_S7_PKmNS0_17constant_iteratorIjlEEPmPlSF_S6_NS0_8equal_toImEEEE10hipError_tPvRmT2_T3_mT4_T5_T6_T7_T8_P12ihipStream_tbENKUlT_T0_E_clISt17integral_constantIbLb0EESZ_EEDaSU_SV_EUlSU_E_NS1_11comp_targetILNS1_3genE9ELNS1_11target_archE1100ELNS1_3gpuE3ELNS1_3repE0EEENS1_30default_config_static_selectorELNS0_4arch9wavefront6targetE1EEEvT1_, .Lfunc_end725-_ZN7rocprim17ROCPRIM_400000_NS6detail17trampoline_kernelINS0_14default_configENS1_33run_length_encode_config_selectorImjNS0_4plusIjEEEEZZNS1_33reduce_by_key_impl_wrapped_configILNS1_25lookback_scan_determinismE0ES3_S7_PKmNS0_17constant_iteratorIjlEEPmPlSF_S6_NS0_8equal_toImEEEE10hipError_tPvRmT2_T3_mT4_T5_T6_T7_T8_P12ihipStream_tbENKUlT_T0_E_clISt17integral_constantIbLb0EESZ_EEDaSU_SV_EUlSU_E_NS1_11comp_targetILNS1_3genE9ELNS1_11target_archE1100ELNS1_3gpuE3ELNS1_3repE0EEENS1_30default_config_static_selectorELNS0_4arch9wavefront6targetE1EEEvT1_
                                        ; -- End function
	.section	.AMDGPU.csdata,"",@progbits
; Kernel info:
; codeLenInByte = 0
; NumSgprs: 4
; NumVgprs: 0
; NumAgprs: 0
; TotalNumVgprs: 0
; ScratchSize: 0
; MemoryBound: 0
; FloatMode: 240
; IeeeMode: 1
; LDSByteSize: 0 bytes/workgroup (compile time only)
; SGPRBlocks: 0
; VGPRBlocks: 0
; NumSGPRsForWavesPerEU: 4
; NumVGPRsForWavesPerEU: 1
; AccumOffset: 4
; Occupancy: 8
; WaveLimiterHint : 0
; COMPUTE_PGM_RSRC2:SCRATCH_EN: 0
; COMPUTE_PGM_RSRC2:USER_SGPR: 6
; COMPUTE_PGM_RSRC2:TRAP_HANDLER: 0
; COMPUTE_PGM_RSRC2:TGID_X_EN: 1
; COMPUTE_PGM_RSRC2:TGID_Y_EN: 0
; COMPUTE_PGM_RSRC2:TGID_Z_EN: 0
; COMPUTE_PGM_RSRC2:TIDIG_COMP_CNT: 0
; COMPUTE_PGM_RSRC3_GFX90A:ACCUM_OFFSET: 0
; COMPUTE_PGM_RSRC3_GFX90A:TG_SPLIT: 0
	.section	.text._ZN7rocprim17ROCPRIM_400000_NS6detail17trampoline_kernelINS0_14default_configENS1_33run_length_encode_config_selectorImjNS0_4plusIjEEEEZZNS1_33reduce_by_key_impl_wrapped_configILNS1_25lookback_scan_determinismE0ES3_S7_PKmNS0_17constant_iteratorIjlEEPmPlSF_S6_NS0_8equal_toImEEEE10hipError_tPvRmT2_T3_mT4_T5_T6_T7_T8_P12ihipStream_tbENKUlT_T0_E_clISt17integral_constantIbLb0EESZ_EEDaSU_SV_EUlSU_E_NS1_11comp_targetILNS1_3genE8ELNS1_11target_archE1030ELNS1_3gpuE2ELNS1_3repE0EEENS1_30default_config_static_selectorELNS0_4arch9wavefront6targetE1EEEvT1_,"axG",@progbits,_ZN7rocprim17ROCPRIM_400000_NS6detail17trampoline_kernelINS0_14default_configENS1_33run_length_encode_config_selectorImjNS0_4plusIjEEEEZZNS1_33reduce_by_key_impl_wrapped_configILNS1_25lookback_scan_determinismE0ES3_S7_PKmNS0_17constant_iteratorIjlEEPmPlSF_S6_NS0_8equal_toImEEEE10hipError_tPvRmT2_T3_mT4_T5_T6_T7_T8_P12ihipStream_tbENKUlT_T0_E_clISt17integral_constantIbLb0EESZ_EEDaSU_SV_EUlSU_E_NS1_11comp_targetILNS1_3genE8ELNS1_11target_archE1030ELNS1_3gpuE2ELNS1_3repE0EEENS1_30default_config_static_selectorELNS0_4arch9wavefront6targetE1EEEvT1_,comdat
	.protected	_ZN7rocprim17ROCPRIM_400000_NS6detail17trampoline_kernelINS0_14default_configENS1_33run_length_encode_config_selectorImjNS0_4plusIjEEEEZZNS1_33reduce_by_key_impl_wrapped_configILNS1_25lookback_scan_determinismE0ES3_S7_PKmNS0_17constant_iteratorIjlEEPmPlSF_S6_NS0_8equal_toImEEEE10hipError_tPvRmT2_T3_mT4_T5_T6_T7_T8_P12ihipStream_tbENKUlT_T0_E_clISt17integral_constantIbLb0EESZ_EEDaSU_SV_EUlSU_E_NS1_11comp_targetILNS1_3genE8ELNS1_11target_archE1030ELNS1_3gpuE2ELNS1_3repE0EEENS1_30default_config_static_selectorELNS0_4arch9wavefront6targetE1EEEvT1_ ; -- Begin function _ZN7rocprim17ROCPRIM_400000_NS6detail17trampoline_kernelINS0_14default_configENS1_33run_length_encode_config_selectorImjNS0_4plusIjEEEEZZNS1_33reduce_by_key_impl_wrapped_configILNS1_25lookback_scan_determinismE0ES3_S7_PKmNS0_17constant_iteratorIjlEEPmPlSF_S6_NS0_8equal_toImEEEE10hipError_tPvRmT2_T3_mT4_T5_T6_T7_T8_P12ihipStream_tbENKUlT_T0_E_clISt17integral_constantIbLb0EESZ_EEDaSU_SV_EUlSU_E_NS1_11comp_targetILNS1_3genE8ELNS1_11target_archE1030ELNS1_3gpuE2ELNS1_3repE0EEENS1_30default_config_static_selectorELNS0_4arch9wavefront6targetE1EEEvT1_
	.globl	_ZN7rocprim17ROCPRIM_400000_NS6detail17trampoline_kernelINS0_14default_configENS1_33run_length_encode_config_selectorImjNS0_4plusIjEEEEZZNS1_33reduce_by_key_impl_wrapped_configILNS1_25lookback_scan_determinismE0ES3_S7_PKmNS0_17constant_iteratorIjlEEPmPlSF_S6_NS0_8equal_toImEEEE10hipError_tPvRmT2_T3_mT4_T5_T6_T7_T8_P12ihipStream_tbENKUlT_T0_E_clISt17integral_constantIbLb0EESZ_EEDaSU_SV_EUlSU_E_NS1_11comp_targetILNS1_3genE8ELNS1_11target_archE1030ELNS1_3gpuE2ELNS1_3repE0EEENS1_30default_config_static_selectorELNS0_4arch9wavefront6targetE1EEEvT1_
	.p2align	8
	.type	_ZN7rocprim17ROCPRIM_400000_NS6detail17trampoline_kernelINS0_14default_configENS1_33run_length_encode_config_selectorImjNS0_4plusIjEEEEZZNS1_33reduce_by_key_impl_wrapped_configILNS1_25lookback_scan_determinismE0ES3_S7_PKmNS0_17constant_iteratorIjlEEPmPlSF_S6_NS0_8equal_toImEEEE10hipError_tPvRmT2_T3_mT4_T5_T6_T7_T8_P12ihipStream_tbENKUlT_T0_E_clISt17integral_constantIbLb0EESZ_EEDaSU_SV_EUlSU_E_NS1_11comp_targetILNS1_3genE8ELNS1_11target_archE1030ELNS1_3gpuE2ELNS1_3repE0EEENS1_30default_config_static_selectorELNS0_4arch9wavefront6targetE1EEEvT1_,@function
_ZN7rocprim17ROCPRIM_400000_NS6detail17trampoline_kernelINS0_14default_configENS1_33run_length_encode_config_selectorImjNS0_4plusIjEEEEZZNS1_33reduce_by_key_impl_wrapped_configILNS1_25lookback_scan_determinismE0ES3_S7_PKmNS0_17constant_iteratorIjlEEPmPlSF_S6_NS0_8equal_toImEEEE10hipError_tPvRmT2_T3_mT4_T5_T6_T7_T8_P12ihipStream_tbENKUlT_T0_E_clISt17integral_constantIbLb0EESZ_EEDaSU_SV_EUlSU_E_NS1_11comp_targetILNS1_3genE8ELNS1_11target_archE1030ELNS1_3gpuE2ELNS1_3repE0EEENS1_30default_config_static_selectorELNS0_4arch9wavefront6targetE1EEEvT1_: ; @_ZN7rocprim17ROCPRIM_400000_NS6detail17trampoline_kernelINS0_14default_configENS1_33run_length_encode_config_selectorImjNS0_4plusIjEEEEZZNS1_33reduce_by_key_impl_wrapped_configILNS1_25lookback_scan_determinismE0ES3_S7_PKmNS0_17constant_iteratorIjlEEPmPlSF_S6_NS0_8equal_toImEEEE10hipError_tPvRmT2_T3_mT4_T5_T6_T7_T8_P12ihipStream_tbENKUlT_T0_E_clISt17integral_constantIbLb0EESZ_EEDaSU_SV_EUlSU_E_NS1_11comp_targetILNS1_3genE8ELNS1_11target_archE1030ELNS1_3gpuE2ELNS1_3repE0EEENS1_30default_config_static_selectorELNS0_4arch9wavefront6targetE1EEEvT1_
; %bb.0:
	.section	.rodata,"a",@progbits
	.p2align	6, 0x0
	.amdhsa_kernel _ZN7rocprim17ROCPRIM_400000_NS6detail17trampoline_kernelINS0_14default_configENS1_33run_length_encode_config_selectorImjNS0_4plusIjEEEEZZNS1_33reduce_by_key_impl_wrapped_configILNS1_25lookback_scan_determinismE0ES3_S7_PKmNS0_17constant_iteratorIjlEEPmPlSF_S6_NS0_8equal_toImEEEE10hipError_tPvRmT2_T3_mT4_T5_T6_T7_T8_P12ihipStream_tbENKUlT_T0_E_clISt17integral_constantIbLb0EESZ_EEDaSU_SV_EUlSU_E_NS1_11comp_targetILNS1_3genE8ELNS1_11target_archE1030ELNS1_3gpuE2ELNS1_3repE0EEENS1_30default_config_static_selectorELNS0_4arch9wavefront6targetE1EEEvT1_
		.amdhsa_group_segment_fixed_size 0
		.amdhsa_private_segment_fixed_size 0
		.amdhsa_kernarg_size 128
		.amdhsa_user_sgpr_count 6
		.amdhsa_user_sgpr_private_segment_buffer 1
		.amdhsa_user_sgpr_dispatch_ptr 0
		.amdhsa_user_sgpr_queue_ptr 0
		.amdhsa_user_sgpr_kernarg_segment_ptr 1
		.amdhsa_user_sgpr_dispatch_id 0
		.amdhsa_user_sgpr_flat_scratch_init 0
		.amdhsa_user_sgpr_kernarg_preload_length 0
		.amdhsa_user_sgpr_kernarg_preload_offset 0
		.amdhsa_user_sgpr_private_segment_size 0
		.amdhsa_uses_dynamic_stack 0
		.amdhsa_system_sgpr_private_segment_wavefront_offset 0
		.amdhsa_system_sgpr_workgroup_id_x 1
		.amdhsa_system_sgpr_workgroup_id_y 0
		.amdhsa_system_sgpr_workgroup_id_z 0
		.amdhsa_system_sgpr_workgroup_info 0
		.amdhsa_system_vgpr_workitem_id 0
		.amdhsa_next_free_vgpr 1
		.amdhsa_next_free_sgpr 0
		.amdhsa_accum_offset 4
		.amdhsa_reserve_vcc 0
		.amdhsa_reserve_flat_scratch 0
		.amdhsa_float_round_mode_32 0
		.amdhsa_float_round_mode_16_64 0
		.amdhsa_float_denorm_mode_32 3
		.amdhsa_float_denorm_mode_16_64 3
		.amdhsa_dx10_clamp 1
		.amdhsa_ieee_mode 1
		.amdhsa_fp16_overflow 0
		.amdhsa_tg_split 0
		.amdhsa_exception_fp_ieee_invalid_op 0
		.amdhsa_exception_fp_denorm_src 0
		.amdhsa_exception_fp_ieee_div_zero 0
		.amdhsa_exception_fp_ieee_overflow 0
		.amdhsa_exception_fp_ieee_underflow 0
		.amdhsa_exception_fp_ieee_inexact 0
		.amdhsa_exception_int_div_zero 0
	.end_amdhsa_kernel
	.section	.text._ZN7rocprim17ROCPRIM_400000_NS6detail17trampoline_kernelINS0_14default_configENS1_33run_length_encode_config_selectorImjNS0_4plusIjEEEEZZNS1_33reduce_by_key_impl_wrapped_configILNS1_25lookback_scan_determinismE0ES3_S7_PKmNS0_17constant_iteratorIjlEEPmPlSF_S6_NS0_8equal_toImEEEE10hipError_tPvRmT2_T3_mT4_T5_T6_T7_T8_P12ihipStream_tbENKUlT_T0_E_clISt17integral_constantIbLb0EESZ_EEDaSU_SV_EUlSU_E_NS1_11comp_targetILNS1_3genE8ELNS1_11target_archE1030ELNS1_3gpuE2ELNS1_3repE0EEENS1_30default_config_static_selectorELNS0_4arch9wavefront6targetE1EEEvT1_,"axG",@progbits,_ZN7rocprim17ROCPRIM_400000_NS6detail17trampoline_kernelINS0_14default_configENS1_33run_length_encode_config_selectorImjNS0_4plusIjEEEEZZNS1_33reduce_by_key_impl_wrapped_configILNS1_25lookback_scan_determinismE0ES3_S7_PKmNS0_17constant_iteratorIjlEEPmPlSF_S6_NS0_8equal_toImEEEE10hipError_tPvRmT2_T3_mT4_T5_T6_T7_T8_P12ihipStream_tbENKUlT_T0_E_clISt17integral_constantIbLb0EESZ_EEDaSU_SV_EUlSU_E_NS1_11comp_targetILNS1_3genE8ELNS1_11target_archE1030ELNS1_3gpuE2ELNS1_3repE0EEENS1_30default_config_static_selectorELNS0_4arch9wavefront6targetE1EEEvT1_,comdat
.Lfunc_end726:
	.size	_ZN7rocprim17ROCPRIM_400000_NS6detail17trampoline_kernelINS0_14default_configENS1_33run_length_encode_config_selectorImjNS0_4plusIjEEEEZZNS1_33reduce_by_key_impl_wrapped_configILNS1_25lookback_scan_determinismE0ES3_S7_PKmNS0_17constant_iteratorIjlEEPmPlSF_S6_NS0_8equal_toImEEEE10hipError_tPvRmT2_T3_mT4_T5_T6_T7_T8_P12ihipStream_tbENKUlT_T0_E_clISt17integral_constantIbLb0EESZ_EEDaSU_SV_EUlSU_E_NS1_11comp_targetILNS1_3genE8ELNS1_11target_archE1030ELNS1_3gpuE2ELNS1_3repE0EEENS1_30default_config_static_selectorELNS0_4arch9wavefront6targetE1EEEvT1_, .Lfunc_end726-_ZN7rocprim17ROCPRIM_400000_NS6detail17trampoline_kernelINS0_14default_configENS1_33run_length_encode_config_selectorImjNS0_4plusIjEEEEZZNS1_33reduce_by_key_impl_wrapped_configILNS1_25lookback_scan_determinismE0ES3_S7_PKmNS0_17constant_iteratorIjlEEPmPlSF_S6_NS0_8equal_toImEEEE10hipError_tPvRmT2_T3_mT4_T5_T6_T7_T8_P12ihipStream_tbENKUlT_T0_E_clISt17integral_constantIbLb0EESZ_EEDaSU_SV_EUlSU_E_NS1_11comp_targetILNS1_3genE8ELNS1_11target_archE1030ELNS1_3gpuE2ELNS1_3repE0EEENS1_30default_config_static_selectorELNS0_4arch9wavefront6targetE1EEEvT1_
                                        ; -- End function
	.section	.AMDGPU.csdata,"",@progbits
; Kernel info:
; codeLenInByte = 0
; NumSgprs: 4
; NumVgprs: 0
; NumAgprs: 0
; TotalNumVgprs: 0
; ScratchSize: 0
; MemoryBound: 0
; FloatMode: 240
; IeeeMode: 1
; LDSByteSize: 0 bytes/workgroup (compile time only)
; SGPRBlocks: 0
; VGPRBlocks: 0
; NumSGPRsForWavesPerEU: 4
; NumVGPRsForWavesPerEU: 1
; AccumOffset: 4
; Occupancy: 8
; WaveLimiterHint : 0
; COMPUTE_PGM_RSRC2:SCRATCH_EN: 0
; COMPUTE_PGM_RSRC2:USER_SGPR: 6
; COMPUTE_PGM_RSRC2:TRAP_HANDLER: 0
; COMPUTE_PGM_RSRC2:TGID_X_EN: 1
; COMPUTE_PGM_RSRC2:TGID_Y_EN: 0
; COMPUTE_PGM_RSRC2:TGID_Z_EN: 0
; COMPUTE_PGM_RSRC2:TIDIG_COMP_CNT: 0
; COMPUTE_PGM_RSRC3_GFX90A:ACCUM_OFFSET: 0
; COMPUTE_PGM_RSRC3_GFX90A:TG_SPLIT: 0
	.section	.text._ZN7rocprim17ROCPRIM_400000_NS6detail17trampoline_kernelINS0_14default_configENS1_33run_length_encode_config_selectorImjNS0_4plusIjEEEEZZNS1_33reduce_by_key_impl_wrapped_configILNS1_25lookback_scan_determinismE0ES3_S7_PKmNS0_17constant_iteratorIjlEEPmPlSF_S6_NS0_8equal_toImEEEE10hipError_tPvRmT2_T3_mT4_T5_T6_T7_T8_P12ihipStream_tbENKUlT_T0_E_clISt17integral_constantIbLb1EESZ_EEDaSU_SV_EUlSU_E_NS1_11comp_targetILNS1_3genE0ELNS1_11target_archE4294967295ELNS1_3gpuE0ELNS1_3repE0EEENS1_30default_config_static_selectorELNS0_4arch9wavefront6targetE1EEEvT1_,"axG",@progbits,_ZN7rocprim17ROCPRIM_400000_NS6detail17trampoline_kernelINS0_14default_configENS1_33run_length_encode_config_selectorImjNS0_4plusIjEEEEZZNS1_33reduce_by_key_impl_wrapped_configILNS1_25lookback_scan_determinismE0ES3_S7_PKmNS0_17constant_iteratorIjlEEPmPlSF_S6_NS0_8equal_toImEEEE10hipError_tPvRmT2_T3_mT4_T5_T6_T7_T8_P12ihipStream_tbENKUlT_T0_E_clISt17integral_constantIbLb1EESZ_EEDaSU_SV_EUlSU_E_NS1_11comp_targetILNS1_3genE0ELNS1_11target_archE4294967295ELNS1_3gpuE0ELNS1_3repE0EEENS1_30default_config_static_selectorELNS0_4arch9wavefront6targetE1EEEvT1_,comdat
	.protected	_ZN7rocprim17ROCPRIM_400000_NS6detail17trampoline_kernelINS0_14default_configENS1_33run_length_encode_config_selectorImjNS0_4plusIjEEEEZZNS1_33reduce_by_key_impl_wrapped_configILNS1_25lookback_scan_determinismE0ES3_S7_PKmNS0_17constant_iteratorIjlEEPmPlSF_S6_NS0_8equal_toImEEEE10hipError_tPvRmT2_T3_mT4_T5_T6_T7_T8_P12ihipStream_tbENKUlT_T0_E_clISt17integral_constantIbLb1EESZ_EEDaSU_SV_EUlSU_E_NS1_11comp_targetILNS1_3genE0ELNS1_11target_archE4294967295ELNS1_3gpuE0ELNS1_3repE0EEENS1_30default_config_static_selectorELNS0_4arch9wavefront6targetE1EEEvT1_ ; -- Begin function _ZN7rocprim17ROCPRIM_400000_NS6detail17trampoline_kernelINS0_14default_configENS1_33run_length_encode_config_selectorImjNS0_4plusIjEEEEZZNS1_33reduce_by_key_impl_wrapped_configILNS1_25lookback_scan_determinismE0ES3_S7_PKmNS0_17constant_iteratorIjlEEPmPlSF_S6_NS0_8equal_toImEEEE10hipError_tPvRmT2_T3_mT4_T5_T6_T7_T8_P12ihipStream_tbENKUlT_T0_E_clISt17integral_constantIbLb1EESZ_EEDaSU_SV_EUlSU_E_NS1_11comp_targetILNS1_3genE0ELNS1_11target_archE4294967295ELNS1_3gpuE0ELNS1_3repE0EEENS1_30default_config_static_selectorELNS0_4arch9wavefront6targetE1EEEvT1_
	.globl	_ZN7rocprim17ROCPRIM_400000_NS6detail17trampoline_kernelINS0_14default_configENS1_33run_length_encode_config_selectorImjNS0_4plusIjEEEEZZNS1_33reduce_by_key_impl_wrapped_configILNS1_25lookback_scan_determinismE0ES3_S7_PKmNS0_17constant_iteratorIjlEEPmPlSF_S6_NS0_8equal_toImEEEE10hipError_tPvRmT2_T3_mT4_T5_T6_T7_T8_P12ihipStream_tbENKUlT_T0_E_clISt17integral_constantIbLb1EESZ_EEDaSU_SV_EUlSU_E_NS1_11comp_targetILNS1_3genE0ELNS1_11target_archE4294967295ELNS1_3gpuE0ELNS1_3repE0EEENS1_30default_config_static_selectorELNS0_4arch9wavefront6targetE1EEEvT1_
	.p2align	8
	.type	_ZN7rocprim17ROCPRIM_400000_NS6detail17trampoline_kernelINS0_14default_configENS1_33run_length_encode_config_selectorImjNS0_4plusIjEEEEZZNS1_33reduce_by_key_impl_wrapped_configILNS1_25lookback_scan_determinismE0ES3_S7_PKmNS0_17constant_iteratorIjlEEPmPlSF_S6_NS0_8equal_toImEEEE10hipError_tPvRmT2_T3_mT4_T5_T6_T7_T8_P12ihipStream_tbENKUlT_T0_E_clISt17integral_constantIbLb1EESZ_EEDaSU_SV_EUlSU_E_NS1_11comp_targetILNS1_3genE0ELNS1_11target_archE4294967295ELNS1_3gpuE0ELNS1_3repE0EEENS1_30default_config_static_selectorELNS0_4arch9wavefront6targetE1EEEvT1_,@function
_ZN7rocprim17ROCPRIM_400000_NS6detail17trampoline_kernelINS0_14default_configENS1_33run_length_encode_config_selectorImjNS0_4plusIjEEEEZZNS1_33reduce_by_key_impl_wrapped_configILNS1_25lookback_scan_determinismE0ES3_S7_PKmNS0_17constant_iteratorIjlEEPmPlSF_S6_NS0_8equal_toImEEEE10hipError_tPvRmT2_T3_mT4_T5_T6_T7_T8_P12ihipStream_tbENKUlT_T0_E_clISt17integral_constantIbLb1EESZ_EEDaSU_SV_EUlSU_E_NS1_11comp_targetILNS1_3genE0ELNS1_11target_archE4294967295ELNS1_3gpuE0ELNS1_3repE0EEENS1_30default_config_static_selectorELNS0_4arch9wavefront6targetE1EEEvT1_: ; @_ZN7rocprim17ROCPRIM_400000_NS6detail17trampoline_kernelINS0_14default_configENS1_33run_length_encode_config_selectorImjNS0_4plusIjEEEEZZNS1_33reduce_by_key_impl_wrapped_configILNS1_25lookback_scan_determinismE0ES3_S7_PKmNS0_17constant_iteratorIjlEEPmPlSF_S6_NS0_8equal_toImEEEE10hipError_tPvRmT2_T3_mT4_T5_T6_T7_T8_P12ihipStream_tbENKUlT_T0_E_clISt17integral_constantIbLb1EESZ_EEDaSU_SV_EUlSU_E_NS1_11comp_targetILNS1_3genE0ELNS1_11target_archE4294967295ELNS1_3gpuE0ELNS1_3repE0EEENS1_30default_config_static_selectorELNS0_4arch9wavefront6targetE1EEEvT1_
; %bb.0:
	.section	.rodata,"a",@progbits
	.p2align	6, 0x0
	.amdhsa_kernel _ZN7rocprim17ROCPRIM_400000_NS6detail17trampoline_kernelINS0_14default_configENS1_33run_length_encode_config_selectorImjNS0_4plusIjEEEEZZNS1_33reduce_by_key_impl_wrapped_configILNS1_25lookback_scan_determinismE0ES3_S7_PKmNS0_17constant_iteratorIjlEEPmPlSF_S6_NS0_8equal_toImEEEE10hipError_tPvRmT2_T3_mT4_T5_T6_T7_T8_P12ihipStream_tbENKUlT_T0_E_clISt17integral_constantIbLb1EESZ_EEDaSU_SV_EUlSU_E_NS1_11comp_targetILNS1_3genE0ELNS1_11target_archE4294967295ELNS1_3gpuE0ELNS1_3repE0EEENS1_30default_config_static_selectorELNS0_4arch9wavefront6targetE1EEEvT1_
		.amdhsa_group_segment_fixed_size 0
		.amdhsa_private_segment_fixed_size 0
		.amdhsa_kernarg_size 128
		.amdhsa_user_sgpr_count 6
		.amdhsa_user_sgpr_private_segment_buffer 1
		.amdhsa_user_sgpr_dispatch_ptr 0
		.amdhsa_user_sgpr_queue_ptr 0
		.amdhsa_user_sgpr_kernarg_segment_ptr 1
		.amdhsa_user_sgpr_dispatch_id 0
		.amdhsa_user_sgpr_flat_scratch_init 0
		.amdhsa_user_sgpr_kernarg_preload_length 0
		.amdhsa_user_sgpr_kernarg_preload_offset 0
		.amdhsa_user_sgpr_private_segment_size 0
		.amdhsa_uses_dynamic_stack 0
		.amdhsa_system_sgpr_private_segment_wavefront_offset 0
		.amdhsa_system_sgpr_workgroup_id_x 1
		.amdhsa_system_sgpr_workgroup_id_y 0
		.amdhsa_system_sgpr_workgroup_id_z 0
		.amdhsa_system_sgpr_workgroup_info 0
		.amdhsa_system_vgpr_workitem_id 0
		.amdhsa_next_free_vgpr 1
		.amdhsa_next_free_sgpr 0
		.amdhsa_accum_offset 4
		.amdhsa_reserve_vcc 0
		.amdhsa_reserve_flat_scratch 0
		.amdhsa_float_round_mode_32 0
		.amdhsa_float_round_mode_16_64 0
		.amdhsa_float_denorm_mode_32 3
		.amdhsa_float_denorm_mode_16_64 3
		.amdhsa_dx10_clamp 1
		.amdhsa_ieee_mode 1
		.amdhsa_fp16_overflow 0
		.amdhsa_tg_split 0
		.amdhsa_exception_fp_ieee_invalid_op 0
		.amdhsa_exception_fp_denorm_src 0
		.amdhsa_exception_fp_ieee_div_zero 0
		.amdhsa_exception_fp_ieee_overflow 0
		.amdhsa_exception_fp_ieee_underflow 0
		.amdhsa_exception_fp_ieee_inexact 0
		.amdhsa_exception_int_div_zero 0
	.end_amdhsa_kernel
	.section	.text._ZN7rocprim17ROCPRIM_400000_NS6detail17trampoline_kernelINS0_14default_configENS1_33run_length_encode_config_selectorImjNS0_4plusIjEEEEZZNS1_33reduce_by_key_impl_wrapped_configILNS1_25lookback_scan_determinismE0ES3_S7_PKmNS0_17constant_iteratorIjlEEPmPlSF_S6_NS0_8equal_toImEEEE10hipError_tPvRmT2_T3_mT4_T5_T6_T7_T8_P12ihipStream_tbENKUlT_T0_E_clISt17integral_constantIbLb1EESZ_EEDaSU_SV_EUlSU_E_NS1_11comp_targetILNS1_3genE0ELNS1_11target_archE4294967295ELNS1_3gpuE0ELNS1_3repE0EEENS1_30default_config_static_selectorELNS0_4arch9wavefront6targetE1EEEvT1_,"axG",@progbits,_ZN7rocprim17ROCPRIM_400000_NS6detail17trampoline_kernelINS0_14default_configENS1_33run_length_encode_config_selectorImjNS0_4plusIjEEEEZZNS1_33reduce_by_key_impl_wrapped_configILNS1_25lookback_scan_determinismE0ES3_S7_PKmNS0_17constant_iteratorIjlEEPmPlSF_S6_NS0_8equal_toImEEEE10hipError_tPvRmT2_T3_mT4_T5_T6_T7_T8_P12ihipStream_tbENKUlT_T0_E_clISt17integral_constantIbLb1EESZ_EEDaSU_SV_EUlSU_E_NS1_11comp_targetILNS1_3genE0ELNS1_11target_archE4294967295ELNS1_3gpuE0ELNS1_3repE0EEENS1_30default_config_static_selectorELNS0_4arch9wavefront6targetE1EEEvT1_,comdat
.Lfunc_end727:
	.size	_ZN7rocprim17ROCPRIM_400000_NS6detail17trampoline_kernelINS0_14default_configENS1_33run_length_encode_config_selectorImjNS0_4plusIjEEEEZZNS1_33reduce_by_key_impl_wrapped_configILNS1_25lookback_scan_determinismE0ES3_S7_PKmNS0_17constant_iteratorIjlEEPmPlSF_S6_NS0_8equal_toImEEEE10hipError_tPvRmT2_T3_mT4_T5_T6_T7_T8_P12ihipStream_tbENKUlT_T0_E_clISt17integral_constantIbLb1EESZ_EEDaSU_SV_EUlSU_E_NS1_11comp_targetILNS1_3genE0ELNS1_11target_archE4294967295ELNS1_3gpuE0ELNS1_3repE0EEENS1_30default_config_static_selectorELNS0_4arch9wavefront6targetE1EEEvT1_, .Lfunc_end727-_ZN7rocprim17ROCPRIM_400000_NS6detail17trampoline_kernelINS0_14default_configENS1_33run_length_encode_config_selectorImjNS0_4plusIjEEEEZZNS1_33reduce_by_key_impl_wrapped_configILNS1_25lookback_scan_determinismE0ES3_S7_PKmNS0_17constant_iteratorIjlEEPmPlSF_S6_NS0_8equal_toImEEEE10hipError_tPvRmT2_T3_mT4_T5_T6_T7_T8_P12ihipStream_tbENKUlT_T0_E_clISt17integral_constantIbLb1EESZ_EEDaSU_SV_EUlSU_E_NS1_11comp_targetILNS1_3genE0ELNS1_11target_archE4294967295ELNS1_3gpuE0ELNS1_3repE0EEENS1_30default_config_static_selectorELNS0_4arch9wavefront6targetE1EEEvT1_
                                        ; -- End function
	.section	.AMDGPU.csdata,"",@progbits
; Kernel info:
; codeLenInByte = 0
; NumSgprs: 4
; NumVgprs: 0
; NumAgprs: 0
; TotalNumVgprs: 0
; ScratchSize: 0
; MemoryBound: 0
; FloatMode: 240
; IeeeMode: 1
; LDSByteSize: 0 bytes/workgroup (compile time only)
; SGPRBlocks: 0
; VGPRBlocks: 0
; NumSGPRsForWavesPerEU: 4
; NumVGPRsForWavesPerEU: 1
; AccumOffset: 4
; Occupancy: 8
; WaveLimiterHint : 0
; COMPUTE_PGM_RSRC2:SCRATCH_EN: 0
; COMPUTE_PGM_RSRC2:USER_SGPR: 6
; COMPUTE_PGM_RSRC2:TRAP_HANDLER: 0
; COMPUTE_PGM_RSRC2:TGID_X_EN: 1
; COMPUTE_PGM_RSRC2:TGID_Y_EN: 0
; COMPUTE_PGM_RSRC2:TGID_Z_EN: 0
; COMPUTE_PGM_RSRC2:TIDIG_COMP_CNT: 0
; COMPUTE_PGM_RSRC3_GFX90A:ACCUM_OFFSET: 0
; COMPUTE_PGM_RSRC3_GFX90A:TG_SPLIT: 0
	.section	.text._ZN7rocprim17ROCPRIM_400000_NS6detail17trampoline_kernelINS0_14default_configENS1_33run_length_encode_config_selectorImjNS0_4plusIjEEEEZZNS1_33reduce_by_key_impl_wrapped_configILNS1_25lookback_scan_determinismE0ES3_S7_PKmNS0_17constant_iteratorIjlEEPmPlSF_S6_NS0_8equal_toImEEEE10hipError_tPvRmT2_T3_mT4_T5_T6_T7_T8_P12ihipStream_tbENKUlT_T0_E_clISt17integral_constantIbLb1EESZ_EEDaSU_SV_EUlSU_E_NS1_11comp_targetILNS1_3genE5ELNS1_11target_archE942ELNS1_3gpuE9ELNS1_3repE0EEENS1_30default_config_static_selectorELNS0_4arch9wavefront6targetE1EEEvT1_,"axG",@progbits,_ZN7rocprim17ROCPRIM_400000_NS6detail17trampoline_kernelINS0_14default_configENS1_33run_length_encode_config_selectorImjNS0_4plusIjEEEEZZNS1_33reduce_by_key_impl_wrapped_configILNS1_25lookback_scan_determinismE0ES3_S7_PKmNS0_17constant_iteratorIjlEEPmPlSF_S6_NS0_8equal_toImEEEE10hipError_tPvRmT2_T3_mT4_T5_T6_T7_T8_P12ihipStream_tbENKUlT_T0_E_clISt17integral_constantIbLb1EESZ_EEDaSU_SV_EUlSU_E_NS1_11comp_targetILNS1_3genE5ELNS1_11target_archE942ELNS1_3gpuE9ELNS1_3repE0EEENS1_30default_config_static_selectorELNS0_4arch9wavefront6targetE1EEEvT1_,comdat
	.protected	_ZN7rocprim17ROCPRIM_400000_NS6detail17trampoline_kernelINS0_14default_configENS1_33run_length_encode_config_selectorImjNS0_4plusIjEEEEZZNS1_33reduce_by_key_impl_wrapped_configILNS1_25lookback_scan_determinismE0ES3_S7_PKmNS0_17constant_iteratorIjlEEPmPlSF_S6_NS0_8equal_toImEEEE10hipError_tPvRmT2_T3_mT4_T5_T6_T7_T8_P12ihipStream_tbENKUlT_T0_E_clISt17integral_constantIbLb1EESZ_EEDaSU_SV_EUlSU_E_NS1_11comp_targetILNS1_3genE5ELNS1_11target_archE942ELNS1_3gpuE9ELNS1_3repE0EEENS1_30default_config_static_selectorELNS0_4arch9wavefront6targetE1EEEvT1_ ; -- Begin function _ZN7rocprim17ROCPRIM_400000_NS6detail17trampoline_kernelINS0_14default_configENS1_33run_length_encode_config_selectorImjNS0_4plusIjEEEEZZNS1_33reduce_by_key_impl_wrapped_configILNS1_25lookback_scan_determinismE0ES3_S7_PKmNS0_17constant_iteratorIjlEEPmPlSF_S6_NS0_8equal_toImEEEE10hipError_tPvRmT2_T3_mT4_T5_T6_T7_T8_P12ihipStream_tbENKUlT_T0_E_clISt17integral_constantIbLb1EESZ_EEDaSU_SV_EUlSU_E_NS1_11comp_targetILNS1_3genE5ELNS1_11target_archE942ELNS1_3gpuE9ELNS1_3repE0EEENS1_30default_config_static_selectorELNS0_4arch9wavefront6targetE1EEEvT1_
	.globl	_ZN7rocprim17ROCPRIM_400000_NS6detail17trampoline_kernelINS0_14default_configENS1_33run_length_encode_config_selectorImjNS0_4plusIjEEEEZZNS1_33reduce_by_key_impl_wrapped_configILNS1_25lookback_scan_determinismE0ES3_S7_PKmNS0_17constant_iteratorIjlEEPmPlSF_S6_NS0_8equal_toImEEEE10hipError_tPvRmT2_T3_mT4_T5_T6_T7_T8_P12ihipStream_tbENKUlT_T0_E_clISt17integral_constantIbLb1EESZ_EEDaSU_SV_EUlSU_E_NS1_11comp_targetILNS1_3genE5ELNS1_11target_archE942ELNS1_3gpuE9ELNS1_3repE0EEENS1_30default_config_static_selectorELNS0_4arch9wavefront6targetE1EEEvT1_
	.p2align	8
	.type	_ZN7rocprim17ROCPRIM_400000_NS6detail17trampoline_kernelINS0_14default_configENS1_33run_length_encode_config_selectorImjNS0_4plusIjEEEEZZNS1_33reduce_by_key_impl_wrapped_configILNS1_25lookback_scan_determinismE0ES3_S7_PKmNS0_17constant_iteratorIjlEEPmPlSF_S6_NS0_8equal_toImEEEE10hipError_tPvRmT2_T3_mT4_T5_T6_T7_T8_P12ihipStream_tbENKUlT_T0_E_clISt17integral_constantIbLb1EESZ_EEDaSU_SV_EUlSU_E_NS1_11comp_targetILNS1_3genE5ELNS1_11target_archE942ELNS1_3gpuE9ELNS1_3repE0EEENS1_30default_config_static_selectorELNS0_4arch9wavefront6targetE1EEEvT1_,@function
_ZN7rocprim17ROCPRIM_400000_NS6detail17trampoline_kernelINS0_14default_configENS1_33run_length_encode_config_selectorImjNS0_4plusIjEEEEZZNS1_33reduce_by_key_impl_wrapped_configILNS1_25lookback_scan_determinismE0ES3_S7_PKmNS0_17constant_iteratorIjlEEPmPlSF_S6_NS0_8equal_toImEEEE10hipError_tPvRmT2_T3_mT4_T5_T6_T7_T8_P12ihipStream_tbENKUlT_T0_E_clISt17integral_constantIbLb1EESZ_EEDaSU_SV_EUlSU_E_NS1_11comp_targetILNS1_3genE5ELNS1_11target_archE942ELNS1_3gpuE9ELNS1_3repE0EEENS1_30default_config_static_selectorELNS0_4arch9wavefront6targetE1EEEvT1_: ; @_ZN7rocprim17ROCPRIM_400000_NS6detail17trampoline_kernelINS0_14default_configENS1_33run_length_encode_config_selectorImjNS0_4plusIjEEEEZZNS1_33reduce_by_key_impl_wrapped_configILNS1_25lookback_scan_determinismE0ES3_S7_PKmNS0_17constant_iteratorIjlEEPmPlSF_S6_NS0_8equal_toImEEEE10hipError_tPvRmT2_T3_mT4_T5_T6_T7_T8_P12ihipStream_tbENKUlT_T0_E_clISt17integral_constantIbLb1EESZ_EEDaSU_SV_EUlSU_E_NS1_11comp_targetILNS1_3genE5ELNS1_11target_archE942ELNS1_3gpuE9ELNS1_3repE0EEENS1_30default_config_static_selectorELNS0_4arch9wavefront6targetE1EEEvT1_
; %bb.0:
	.section	.rodata,"a",@progbits
	.p2align	6, 0x0
	.amdhsa_kernel _ZN7rocprim17ROCPRIM_400000_NS6detail17trampoline_kernelINS0_14default_configENS1_33run_length_encode_config_selectorImjNS0_4plusIjEEEEZZNS1_33reduce_by_key_impl_wrapped_configILNS1_25lookback_scan_determinismE0ES3_S7_PKmNS0_17constant_iteratorIjlEEPmPlSF_S6_NS0_8equal_toImEEEE10hipError_tPvRmT2_T3_mT4_T5_T6_T7_T8_P12ihipStream_tbENKUlT_T0_E_clISt17integral_constantIbLb1EESZ_EEDaSU_SV_EUlSU_E_NS1_11comp_targetILNS1_3genE5ELNS1_11target_archE942ELNS1_3gpuE9ELNS1_3repE0EEENS1_30default_config_static_selectorELNS0_4arch9wavefront6targetE1EEEvT1_
		.amdhsa_group_segment_fixed_size 0
		.amdhsa_private_segment_fixed_size 0
		.amdhsa_kernarg_size 128
		.amdhsa_user_sgpr_count 6
		.amdhsa_user_sgpr_private_segment_buffer 1
		.amdhsa_user_sgpr_dispatch_ptr 0
		.amdhsa_user_sgpr_queue_ptr 0
		.amdhsa_user_sgpr_kernarg_segment_ptr 1
		.amdhsa_user_sgpr_dispatch_id 0
		.amdhsa_user_sgpr_flat_scratch_init 0
		.amdhsa_user_sgpr_kernarg_preload_length 0
		.amdhsa_user_sgpr_kernarg_preload_offset 0
		.amdhsa_user_sgpr_private_segment_size 0
		.amdhsa_uses_dynamic_stack 0
		.amdhsa_system_sgpr_private_segment_wavefront_offset 0
		.amdhsa_system_sgpr_workgroup_id_x 1
		.amdhsa_system_sgpr_workgroup_id_y 0
		.amdhsa_system_sgpr_workgroup_id_z 0
		.amdhsa_system_sgpr_workgroup_info 0
		.amdhsa_system_vgpr_workitem_id 0
		.amdhsa_next_free_vgpr 1
		.amdhsa_next_free_sgpr 0
		.amdhsa_accum_offset 4
		.amdhsa_reserve_vcc 0
		.amdhsa_reserve_flat_scratch 0
		.amdhsa_float_round_mode_32 0
		.amdhsa_float_round_mode_16_64 0
		.amdhsa_float_denorm_mode_32 3
		.amdhsa_float_denorm_mode_16_64 3
		.amdhsa_dx10_clamp 1
		.amdhsa_ieee_mode 1
		.amdhsa_fp16_overflow 0
		.amdhsa_tg_split 0
		.amdhsa_exception_fp_ieee_invalid_op 0
		.amdhsa_exception_fp_denorm_src 0
		.amdhsa_exception_fp_ieee_div_zero 0
		.amdhsa_exception_fp_ieee_overflow 0
		.amdhsa_exception_fp_ieee_underflow 0
		.amdhsa_exception_fp_ieee_inexact 0
		.amdhsa_exception_int_div_zero 0
	.end_amdhsa_kernel
	.section	.text._ZN7rocprim17ROCPRIM_400000_NS6detail17trampoline_kernelINS0_14default_configENS1_33run_length_encode_config_selectorImjNS0_4plusIjEEEEZZNS1_33reduce_by_key_impl_wrapped_configILNS1_25lookback_scan_determinismE0ES3_S7_PKmNS0_17constant_iteratorIjlEEPmPlSF_S6_NS0_8equal_toImEEEE10hipError_tPvRmT2_T3_mT4_T5_T6_T7_T8_P12ihipStream_tbENKUlT_T0_E_clISt17integral_constantIbLb1EESZ_EEDaSU_SV_EUlSU_E_NS1_11comp_targetILNS1_3genE5ELNS1_11target_archE942ELNS1_3gpuE9ELNS1_3repE0EEENS1_30default_config_static_selectorELNS0_4arch9wavefront6targetE1EEEvT1_,"axG",@progbits,_ZN7rocprim17ROCPRIM_400000_NS6detail17trampoline_kernelINS0_14default_configENS1_33run_length_encode_config_selectorImjNS0_4plusIjEEEEZZNS1_33reduce_by_key_impl_wrapped_configILNS1_25lookback_scan_determinismE0ES3_S7_PKmNS0_17constant_iteratorIjlEEPmPlSF_S6_NS0_8equal_toImEEEE10hipError_tPvRmT2_T3_mT4_T5_T6_T7_T8_P12ihipStream_tbENKUlT_T0_E_clISt17integral_constantIbLb1EESZ_EEDaSU_SV_EUlSU_E_NS1_11comp_targetILNS1_3genE5ELNS1_11target_archE942ELNS1_3gpuE9ELNS1_3repE0EEENS1_30default_config_static_selectorELNS0_4arch9wavefront6targetE1EEEvT1_,comdat
.Lfunc_end728:
	.size	_ZN7rocprim17ROCPRIM_400000_NS6detail17trampoline_kernelINS0_14default_configENS1_33run_length_encode_config_selectorImjNS0_4plusIjEEEEZZNS1_33reduce_by_key_impl_wrapped_configILNS1_25lookback_scan_determinismE0ES3_S7_PKmNS0_17constant_iteratorIjlEEPmPlSF_S6_NS0_8equal_toImEEEE10hipError_tPvRmT2_T3_mT4_T5_T6_T7_T8_P12ihipStream_tbENKUlT_T0_E_clISt17integral_constantIbLb1EESZ_EEDaSU_SV_EUlSU_E_NS1_11comp_targetILNS1_3genE5ELNS1_11target_archE942ELNS1_3gpuE9ELNS1_3repE0EEENS1_30default_config_static_selectorELNS0_4arch9wavefront6targetE1EEEvT1_, .Lfunc_end728-_ZN7rocprim17ROCPRIM_400000_NS6detail17trampoline_kernelINS0_14default_configENS1_33run_length_encode_config_selectorImjNS0_4plusIjEEEEZZNS1_33reduce_by_key_impl_wrapped_configILNS1_25lookback_scan_determinismE0ES3_S7_PKmNS0_17constant_iteratorIjlEEPmPlSF_S6_NS0_8equal_toImEEEE10hipError_tPvRmT2_T3_mT4_T5_T6_T7_T8_P12ihipStream_tbENKUlT_T0_E_clISt17integral_constantIbLb1EESZ_EEDaSU_SV_EUlSU_E_NS1_11comp_targetILNS1_3genE5ELNS1_11target_archE942ELNS1_3gpuE9ELNS1_3repE0EEENS1_30default_config_static_selectorELNS0_4arch9wavefront6targetE1EEEvT1_
                                        ; -- End function
	.section	.AMDGPU.csdata,"",@progbits
; Kernel info:
; codeLenInByte = 0
; NumSgprs: 4
; NumVgprs: 0
; NumAgprs: 0
; TotalNumVgprs: 0
; ScratchSize: 0
; MemoryBound: 0
; FloatMode: 240
; IeeeMode: 1
; LDSByteSize: 0 bytes/workgroup (compile time only)
; SGPRBlocks: 0
; VGPRBlocks: 0
; NumSGPRsForWavesPerEU: 4
; NumVGPRsForWavesPerEU: 1
; AccumOffset: 4
; Occupancy: 8
; WaveLimiterHint : 0
; COMPUTE_PGM_RSRC2:SCRATCH_EN: 0
; COMPUTE_PGM_RSRC2:USER_SGPR: 6
; COMPUTE_PGM_RSRC2:TRAP_HANDLER: 0
; COMPUTE_PGM_RSRC2:TGID_X_EN: 1
; COMPUTE_PGM_RSRC2:TGID_Y_EN: 0
; COMPUTE_PGM_RSRC2:TGID_Z_EN: 0
; COMPUTE_PGM_RSRC2:TIDIG_COMP_CNT: 0
; COMPUTE_PGM_RSRC3_GFX90A:ACCUM_OFFSET: 0
; COMPUTE_PGM_RSRC3_GFX90A:TG_SPLIT: 0
	.section	.text._ZN7rocprim17ROCPRIM_400000_NS6detail17trampoline_kernelINS0_14default_configENS1_33run_length_encode_config_selectorImjNS0_4plusIjEEEEZZNS1_33reduce_by_key_impl_wrapped_configILNS1_25lookback_scan_determinismE0ES3_S7_PKmNS0_17constant_iteratorIjlEEPmPlSF_S6_NS0_8equal_toImEEEE10hipError_tPvRmT2_T3_mT4_T5_T6_T7_T8_P12ihipStream_tbENKUlT_T0_E_clISt17integral_constantIbLb1EESZ_EEDaSU_SV_EUlSU_E_NS1_11comp_targetILNS1_3genE4ELNS1_11target_archE910ELNS1_3gpuE8ELNS1_3repE0EEENS1_30default_config_static_selectorELNS0_4arch9wavefront6targetE1EEEvT1_,"axG",@progbits,_ZN7rocprim17ROCPRIM_400000_NS6detail17trampoline_kernelINS0_14default_configENS1_33run_length_encode_config_selectorImjNS0_4plusIjEEEEZZNS1_33reduce_by_key_impl_wrapped_configILNS1_25lookback_scan_determinismE0ES3_S7_PKmNS0_17constant_iteratorIjlEEPmPlSF_S6_NS0_8equal_toImEEEE10hipError_tPvRmT2_T3_mT4_T5_T6_T7_T8_P12ihipStream_tbENKUlT_T0_E_clISt17integral_constantIbLb1EESZ_EEDaSU_SV_EUlSU_E_NS1_11comp_targetILNS1_3genE4ELNS1_11target_archE910ELNS1_3gpuE8ELNS1_3repE0EEENS1_30default_config_static_selectorELNS0_4arch9wavefront6targetE1EEEvT1_,comdat
	.protected	_ZN7rocprim17ROCPRIM_400000_NS6detail17trampoline_kernelINS0_14default_configENS1_33run_length_encode_config_selectorImjNS0_4plusIjEEEEZZNS1_33reduce_by_key_impl_wrapped_configILNS1_25lookback_scan_determinismE0ES3_S7_PKmNS0_17constant_iteratorIjlEEPmPlSF_S6_NS0_8equal_toImEEEE10hipError_tPvRmT2_T3_mT4_T5_T6_T7_T8_P12ihipStream_tbENKUlT_T0_E_clISt17integral_constantIbLb1EESZ_EEDaSU_SV_EUlSU_E_NS1_11comp_targetILNS1_3genE4ELNS1_11target_archE910ELNS1_3gpuE8ELNS1_3repE0EEENS1_30default_config_static_selectorELNS0_4arch9wavefront6targetE1EEEvT1_ ; -- Begin function _ZN7rocprim17ROCPRIM_400000_NS6detail17trampoline_kernelINS0_14default_configENS1_33run_length_encode_config_selectorImjNS0_4plusIjEEEEZZNS1_33reduce_by_key_impl_wrapped_configILNS1_25lookback_scan_determinismE0ES3_S7_PKmNS0_17constant_iteratorIjlEEPmPlSF_S6_NS0_8equal_toImEEEE10hipError_tPvRmT2_T3_mT4_T5_T6_T7_T8_P12ihipStream_tbENKUlT_T0_E_clISt17integral_constantIbLb1EESZ_EEDaSU_SV_EUlSU_E_NS1_11comp_targetILNS1_3genE4ELNS1_11target_archE910ELNS1_3gpuE8ELNS1_3repE0EEENS1_30default_config_static_selectorELNS0_4arch9wavefront6targetE1EEEvT1_
	.globl	_ZN7rocprim17ROCPRIM_400000_NS6detail17trampoline_kernelINS0_14default_configENS1_33run_length_encode_config_selectorImjNS0_4plusIjEEEEZZNS1_33reduce_by_key_impl_wrapped_configILNS1_25lookback_scan_determinismE0ES3_S7_PKmNS0_17constant_iteratorIjlEEPmPlSF_S6_NS0_8equal_toImEEEE10hipError_tPvRmT2_T3_mT4_T5_T6_T7_T8_P12ihipStream_tbENKUlT_T0_E_clISt17integral_constantIbLb1EESZ_EEDaSU_SV_EUlSU_E_NS1_11comp_targetILNS1_3genE4ELNS1_11target_archE910ELNS1_3gpuE8ELNS1_3repE0EEENS1_30default_config_static_selectorELNS0_4arch9wavefront6targetE1EEEvT1_
	.p2align	8
	.type	_ZN7rocprim17ROCPRIM_400000_NS6detail17trampoline_kernelINS0_14default_configENS1_33run_length_encode_config_selectorImjNS0_4plusIjEEEEZZNS1_33reduce_by_key_impl_wrapped_configILNS1_25lookback_scan_determinismE0ES3_S7_PKmNS0_17constant_iteratorIjlEEPmPlSF_S6_NS0_8equal_toImEEEE10hipError_tPvRmT2_T3_mT4_T5_T6_T7_T8_P12ihipStream_tbENKUlT_T0_E_clISt17integral_constantIbLb1EESZ_EEDaSU_SV_EUlSU_E_NS1_11comp_targetILNS1_3genE4ELNS1_11target_archE910ELNS1_3gpuE8ELNS1_3repE0EEENS1_30default_config_static_selectorELNS0_4arch9wavefront6targetE1EEEvT1_,@function
_ZN7rocprim17ROCPRIM_400000_NS6detail17trampoline_kernelINS0_14default_configENS1_33run_length_encode_config_selectorImjNS0_4plusIjEEEEZZNS1_33reduce_by_key_impl_wrapped_configILNS1_25lookback_scan_determinismE0ES3_S7_PKmNS0_17constant_iteratorIjlEEPmPlSF_S6_NS0_8equal_toImEEEE10hipError_tPvRmT2_T3_mT4_T5_T6_T7_T8_P12ihipStream_tbENKUlT_T0_E_clISt17integral_constantIbLb1EESZ_EEDaSU_SV_EUlSU_E_NS1_11comp_targetILNS1_3genE4ELNS1_11target_archE910ELNS1_3gpuE8ELNS1_3repE0EEENS1_30default_config_static_selectorELNS0_4arch9wavefront6targetE1EEEvT1_: ; @_ZN7rocprim17ROCPRIM_400000_NS6detail17trampoline_kernelINS0_14default_configENS1_33run_length_encode_config_selectorImjNS0_4plusIjEEEEZZNS1_33reduce_by_key_impl_wrapped_configILNS1_25lookback_scan_determinismE0ES3_S7_PKmNS0_17constant_iteratorIjlEEPmPlSF_S6_NS0_8equal_toImEEEE10hipError_tPvRmT2_T3_mT4_T5_T6_T7_T8_P12ihipStream_tbENKUlT_T0_E_clISt17integral_constantIbLb1EESZ_EEDaSU_SV_EUlSU_E_NS1_11comp_targetILNS1_3genE4ELNS1_11target_archE910ELNS1_3gpuE8ELNS1_3repE0EEENS1_30default_config_static_selectorELNS0_4arch9wavefront6targetE1EEEvT1_
; %bb.0:
	s_load_dword s12, s[4:5], 0x10
	s_load_dwordx4 s[36:39], s[4:5], 0x20
	s_load_dwordx2 s[34:35], s[4:5], 0x30
	s_load_dwordx2 s[40:41], s[4:5], 0x70
	s_load_dwordx4 s[20:23], s[4:5], 0x60
	s_load_dwordx8 s[24:31], s[4:5], 0x40
	v_cmp_ne_u32_e64 s[2:3], 0, v0
	v_cmp_eq_u32_e64 s[0:1], 0, v0
	s_and_saveexec_b64 s[6:7], s[0:1]
	s_cbranch_execz .LBB729_4
; %bb.1:
	s_mov_b64 s[10:11], exec
	v_mbcnt_lo_u32_b32 v1, s10, 0
	v_mbcnt_hi_u32_b32 v1, s11, v1
	v_cmp_eq_u32_e32 vcc, 0, v1
                                        ; implicit-def: $vgpr2
	s_and_saveexec_b64 s[8:9], vcc
	s_cbranch_execz .LBB729_3
; %bb.2:
	s_load_dwordx2 s[14:15], s[4:5], 0x78
	s_bcnt1_i32_b64 s10, s[10:11]
	v_mov_b32_e32 v2, 0
	v_mov_b32_e32 v3, s10
	s_waitcnt lgkmcnt(0)
	global_atomic_add v2, v2, v3, s[14:15] glc
.LBB729_3:
	s_or_b64 exec, exec, s[8:9]
	s_waitcnt vmcnt(0)
	v_readfirstlane_b32 s8, v2
	v_add_u32_e32 v1, s8, v1
	v_mov_b32_e32 v2, 0
	ds_write_b32 v2, v1
.LBB729_4:
	s_or_b64 exec, exec, s[6:7]
	s_load_dwordx4 s[4:7], s[4:5], 0x0
	v_mov_b32_e32 v3, 0
	s_waitcnt lgkmcnt(0)
	s_barrier
	ds_read_b32 v1, v3
	s_mul_i32 s8, s28, s27
	s_mul_hi_u32 s9, s28, s26
	s_add_i32 s8, s9, s8
	s_mul_i32 s9, s29, s26
	s_add_i32 s8, s8, s9
	s_lshl_b64 s[6:7], s[6:7], 3
	s_add_u32 s4, s4, s6
	s_mul_i32 s9, s28, s26
	s_addc_u32 s5, s5, s7
	s_waitcnt lgkmcnt(0)
	v_readfirstlane_b32 s48, v1
	s_add_u32 s42, s9, s48
	s_movk_i32 s6, 0xa00
	s_addc_u32 s43, s8, 0
	v_mul_lo_u32 v2, v1, s6
	s_add_u32 s6, s30, -1
	v_lshlrev_b64 v[2:3], 3, v[2:3]
	s_addc_u32 s7, s31, -1
	v_mov_b32_e32 v1, s5
	v_add_co_u32_e32 v30, vcc, s4, v2
	s_cmp_eq_u64 s[42:43], s[6:7]
	v_addc_co_u32_e32 v31, vcc, v1, v3, vcc
	s_cselect_b64 s[28:29], -1, 0
	s_cmp_lg_u64 s[42:43], s[6:7]
	s_mov_b64 s[8:9], -1
	s_cselect_b64 s[4:5], -1, 0
	s_mul_i32 s33, s6, 0xfffff600
	s_and_b64 vcc, exec, s[28:29]
	s_barrier
	s_cbranch_vccnz .LBB729_6
; %bb.5:
	v_lshlrev_b32_e32 v1, 3, v0
	v_add_co_u32_e32 v22, vcc, v30, v1
	v_addc_co_u32_e32 v23, vcc, 0, v31, vcc
	v_add_co_u32_e32 v2, vcc, 0x1000, v22
	v_readfirstlane_b32 s6, v30
	v_readfirstlane_b32 s7, v31
	v_addc_co_u32_e32 v3, vcc, 0, v23, vcc
	s_nop 3
	global_load_dwordx2 v[4:5], v1, s[6:7]
	global_load_dwordx2 v[6:7], v1, s[6:7] offset:2048
	global_load_dwordx2 v[8:9], v[2:3], off
	global_load_dwordx2 v[10:11], v[2:3], off offset:2048
	v_add_co_u32_e32 v2, vcc, 0x2000, v22
	v_addc_co_u32_e32 v3, vcc, 0, v23, vcc
	v_add_co_u32_e32 v12, vcc, 0x3000, v22
	v_addc_co_u32_e32 v13, vcc, 0, v23, vcc
	global_load_dwordx2 v[14:15], v[2:3], off
	global_load_dwordx2 v[16:17], v[2:3], off offset:2048
	global_load_dwordx2 v[18:19], v[12:13], off
	global_load_dwordx2 v[20:21], v[12:13], off offset:2048
	v_add_co_u32_e32 v2, vcc, 0x4000, v22
	v_addc_co_u32_e32 v3, vcc, 0, v23, vcc
	global_load_dwordx2 v[12:13], v[2:3], off
	global_load_dwordx2 v[22:23], v[2:3], off offset:2048
	s_movk_i32 s6, 0x48
	v_mad_u32_u24 v24, v0, s6, v1
	s_mov_b64 s[6:7], -1
	s_waitcnt vmcnt(8)
	ds_write2st64_b64 v1, v[4:5], v[6:7] offset1:4
	s_waitcnt vmcnt(6)
	ds_write2st64_b64 v1, v[8:9], v[10:11] offset0:8 offset1:12
	s_waitcnt vmcnt(4)
	ds_write2st64_b64 v1, v[14:15], v[16:17] offset0:16 offset1:20
	;; [unrolled: 2-line block ×4, first 2 shown]
	s_waitcnt lgkmcnt(0)
	s_barrier
	ds_read_b128 v[18:21], v24
	ds_read_b128 v[14:17], v24 offset:16
	ds_read_b128 v[10:13], v24 offset:32
	;; [unrolled: 1-line block ×4, first 2 shown]
	s_waitcnt lgkmcnt(4)
	v_mov_b32_e32 v26, v18
	v_mov_b32_e32 v27, v19
	s_waitcnt lgkmcnt(3)
	v_mov_b32_e32 v28, v14
	v_mov_b32_e32 v29, v15
	s_waitcnt lgkmcnt(2)
	v_mov_b32_e32 v22, v10
	v_mov_b32_e32 v23, v11
	s_waitcnt lgkmcnt(1)
	v_mov_b32_e32 v24, v2
	v_mov_b32_e32 v25, v3
	s_add_i32 s33, s33, s20
	s_cbranch_execz .LBB729_7
	s_branch .LBB729_28
.LBB729_6:
	s_mov_b64 s[6:7], 0
                                        ; implicit-def: $vgpr2_vgpr3
                                        ; implicit-def: $vgpr10_vgpr11
                                        ; implicit-def: $vgpr14_vgpr15
                                        ; implicit-def: $vgpr18_vgpr19
                                        ; implicit-def: $vgpr6_vgpr7
                                        ; implicit-def: $vgpr22_vgpr23_vgpr24_vgpr25
                                        ; implicit-def: $vgpr26_vgpr27_vgpr28_vgpr29
	s_add_i32 s33, s33, s20
	s_andn2_b64 vcc, exec, s[8:9]
	s_cbranch_vccnz .LBB729_28
.LBB729_7:
	v_cmp_gt_u32_e32 vcc, s33, v0
                                        ; implicit-def: $vgpr2_vgpr3
	s_and_saveexec_b64 s[6:7], vcc
	s_cbranch_execz .LBB729_9
; %bb.8:
	v_lshlrev_b32_e32 v1, 3, v0
	v_readfirstlane_b32 s8, v30
	v_readfirstlane_b32 s9, v31
	s_nop 4
	global_load_dwordx2 v[2:3], v1, s[8:9]
.LBB729_9:
	s_or_b64 exec, exec, s[6:7]
	v_or_b32_e32 v1, 0x100, v0
	v_cmp_gt_u32_e32 vcc, s33, v1
                                        ; implicit-def: $vgpr4_vgpr5
	s_and_saveexec_b64 s[6:7], vcc
	s_cbranch_execz .LBB729_11
; %bb.10:
	v_lshlrev_b32_e32 v1, 3, v0
	v_readfirstlane_b32 s8, v30
	v_readfirstlane_b32 s9, v31
	s_nop 4
	global_load_dwordx2 v[4:5], v1, s[8:9] offset:2048
.LBB729_11:
	s_or_b64 exec, exec, s[6:7]
	v_or_b32_e32 v1, 0x200, v0
	v_cmp_gt_u32_e32 vcc, s33, v1
                                        ; implicit-def: $vgpr6_vgpr7
	s_and_saveexec_b64 s[6:7], vcc
	s_cbranch_execz .LBB729_13
; %bb.12:
	v_lshlrev_b32_e32 v1, 3, v1
	v_readfirstlane_b32 s8, v30
	v_readfirstlane_b32 s9, v31
	s_waitcnt lgkmcnt(0)
	s_nop 3
	global_load_dwordx2 v[6:7], v1, s[8:9]
.LBB729_13:
	s_or_b64 exec, exec, s[6:7]
	v_or_b32_e32 v1, 0x300, v0
	v_cmp_gt_u32_e32 vcc, s33, v1
                                        ; implicit-def: $vgpr8_vgpr9
	s_and_saveexec_b64 s[6:7], vcc
	s_cbranch_execz .LBB729_15
; %bb.14:
	v_lshlrev_b32_e32 v1, 3, v1
	v_readfirstlane_b32 s8, v30
	v_readfirstlane_b32 s9, v31
	s_waitcnt lgkmcnt(0)
	s_nop 3
	global_load_dwordx2 v[8:9], v1, s[8:9]
.LBB729_15:
	s_or_b64 exec, exec, s[6:7]
	v_or_b32_e32 v1, 0x400, v0
	v_cmp_gt_u32_e32 vcc, s33, v1
                                        ; implicit-def: $vgpr10_vgpr11
	s_and_saveexec_b64 s[6:7], vcc
	s_cbranch_execz .LBB729_17
; %bb.16:
	v_lshlrev_b32_e32 v1, 3, v1
	v_readfirstlane_b32 s8, v30
	v_readfirstlane_b32 s9, v31
	s_nop 4
	global_load_dwordx2 v[10:11], v1, s[8:9]
.LBB729_17:
	s_or_b64 exec, exec, s[6:7]
	v_or_b32_e32 v1, 0x500, v0
	v_cmp_gt_u32_e32 vcc, s33, v1
                                        ; implicit-def: $vgpr12_vgpr13
	s_and_saveexec_b64 s[6:7], vcc
	s_cbranch_execz .LBB729_19
; %bb.18:
	v_lshlrev_b32_e32 v1, 3, v1
	v_readfirstlane_b32 s8, v30
	v_readfirstlane_b32 s9, v31
	s_nop 4
	global_load_dwordx2 v[12:13], v1, s[8:9]
.LBB729_19:
	s_or_b64 exec, exec, s[6:7]
	v_or_b32_e32 v1, 0x600, v0
	v_cmp_gt_u32_e32 vcc, s33, v1
                                        ; implicit-def: $vgpr14_vgpr15
	s_and_saveexec_b64 s[6:7], vcc
	s_cbranch_execz .LBB729_21
; %bb.20:
	v_lshlrev_b32_e32 v1, 3, v1
	v_readfirstlane_b32 s8, v30
	v_readfirstlane_b32 s9, v31
	s_nop 4
	global_load_dwordx2 v[14:15], v1, s[8:9]
.LBB729_21:
	s_or_b64 exec, exec, s[6:7]
	v_or_b32_e32 v1, 0x700, v0
	v_cmp_gt_u32_e32 vcc, s33, v1
                                        ; implicit-def: $vgpr16_vgpr17
	s_and_saveexec_b64 s[6:7], vcc
	s_cbranch_execz .LBB729_23
; %bb.22:
	v_lshlrev_b32_e32 v1, 3, v1
	v_readfirstlane_b32 s8, v30
	v_readfirstlane_b32 s9, v31
	s_nop 4
	global_load_dwordx2 v[16:17], v1, s[8:9]
.LBB729_23:
	s_or_b64 exec, exec, s[6:7]
	v_or_b32_e32 v1, 0x800, v0
	v_cmp_gt_u32_e32 vcc, s33, v1
                                        ; implicit-def: $vgpr18_vgpr19
	s_and_saveexec_b64 s[6:7], vcc
	s_cbranch_execz .LBB729_25
; %bb.24:
	v_lshlrev_b32_e32 v1, 3, v1
	v_readfirstlane_b32 s8, v30
	v_readfirstlane_b32 s9, v31
	s_nop 4
	global_load_dwordx2 v[18:19], v1, s[8:9]
.LBB729_25:
	s_or_b64 exec, exec, s[6:7]
	v_or_b32_e32 v1, 0x900, v0
	v_cmp_gt_u32_e32 vcc, s33, v1
                                        ; implicit-def: $vgpr20_vgpr21
	s_and_saveexec_b64 s[6:7], vcc
	s_cbranch_execz .LBB729_27
; %bb.26:
	v_lshlrev_b32_e32 v1, 3, v1
	v_readfirstlane_b32 s8, v30
	v_readfirstlane_b32 s9, v31
	s_nop 4
	global_load_dwordx2 v[20:21], v1, s[8:9]
.LBB729_27:
	s_or_b64 exec, exec, s[6:7]
	v_lshlrev_b32_e32 v1, 3, v0
	s_movk_i32 s6, 0x48
	s_waitcnt vmcnt(0)
	ds_write2st64_b64 v1, v[2:3], v[4:5] offset1:4
	s_waitcnt lgkmcnt(1)
	ds_write2st64_b64 v1, v[6:7], v[8:9] offset0:8 offset1:12
	ds_write2st64_b64 v1, v[10:11], v[12:13] offset0:16 offset1:20
	;; [unrolled: 1-line block ×4, first 2 shown]
	v_mad_u32_u24 v1, v0, s6, v1
	s_waitcnt lgkmcnt(0)
	s_barrier
	ds_read_b128 v[18:21], v1
	ds_read_b128 v[14:17], v1 offset:16
	ds_read_b128 v[10:13], v1 offset:32
	;; [unrolled: 1-line block ×4, first 2 shown]
	v_mad_u32_u24 v1, v0, 10, 9
	v_cmp_gt_u32_e64 s[6:7], s33, v1
	s_waitcnt lgkmcnt(4)
	v_mov_b32_e32 v26, v18
	v_mov_b32_e32 v27, v19
	s_waitcnt lgkmcnt(3)
	v_mov_b32_e32 v28, v14
	v_mov_b32_e32 v29, v15
	;; [unrolled: 3-line block ×4, first 2 shown]
.LBB729_28:
	v_mov_b32_e32 v48, s12
                                        ; implicit-def: $vgpr49
	s_and_saveexec_b64 s[8:9], s[6:7]
; %bb.29:
	v_mov_b32_e32 v49, s12
; %bb.30:
	s_or_b64 exec, exec, s[8:9]
	s_cmp_eq_u64 s[42:43], 0
	s_cselect_b64 s[30:31], -1, 0
	s_cmp_lg_u64 s[42:43], 0
	s_mov_b64 s[6:7], 0
	s_cselect_b64 s[44:45], -1, 0
	s_and_b64 vcc, exec, s[4:5]
	s_waitcnt lgkmcnt(0)
	s_barrier
	s_cbranch_vccz .LBB729_36
; %bb.31:
	s_and_b64 vcc, exec, s[44:45]
	s_cbranch_vccz .LBB729_37
; %bb.32:
	global_load_dwordx2 v[32:33], v[30:31], off offset:-8
	v_lshlrev_b32_e32 v1, 3, v0
	v_cmp_ne_u64_e32 vcc, v[6:7], v[8:9]
	v_cmp_ne_u64_e64 s[4:5], v[4:5], v[6:7]
	v_cmp_ne_u64_e64 s[6:7], v[2:3], v[4:5]
	;; [unrolled: 1-line block ×8, first 2 shown]
	ds_write_b64 v1, v[8:9]
	s_waitcnt lgkmcnt(0)
	s_barrier
	s_and_saveexec_b64 s[46:47], s[2:3]
	s_cbranch_execz .LBB729_34
; %bb.33:
	v_add_u32_e32 v1, -8, v1
	s_waitcnt vmcnt(0)
	ds_read_b64 v[32:33], v1
.LBB729_34:
	s_or_b64 exec, exec, s[46:47]
	v_cndmask_b32_e64 v1, 0, 1, vcc
	v_cndmask_b32_e64 v54, 0, 1, s[4:5]
	v_cndmask_b32_e64 v55, 0, 1, s[6:7]
	v_cndmask_b32_e64 v56, 0, 1, s[8:9]
	v_cndmask_b32_e64 v57, 0, 1, s[10:11]
	v_cndmask_b32_e64 v58, 0, 1, s[12:13]
	v_cndmask_b32_e64 v59, 0, 1, s[14:15]
	v_cndmask_b32_e64 v60, 0, 1, s[16:17]
	v_cndmask_b32_e64 v61, 0, 1, s[18:19]
	s_waitcnt vmcnt(0) lgkmcnt(0)
	v_cmp_ne_u64_e64 s[4:5], v[32:33], v[18:19]
	s_mov_b64 s[6:7], -1
.LBB729_35:
                                        ; implicit-def: $sgpr12
	s_branch .LBB729_49
.LBB729_36:
                                        ; implicit-def: $sgpr4_sgpr5
                                        ; implicit-def: $vgpr1
                                        ; implicit-def: $vgpr54
                                        ; implicit-def: $vgpr55
                                        ; implicit-def: $vgpr56
                                        ; implicit-def: $vgpr57
                                        ; implicit-def: $vgpr58
                                        ; implicit-def: $vgpr59
                                        ; implicit-def: $vgpr60
                                        ; implicit-def: $vgpr61
                                        ; implicit-def: $sgpr12
	s_cbranch_execnz .LBB729_41
	s_branch .LBB729_49
.LBB729_37:
                                        ; implicit-def: $sgpr4_sgpr5
                                        ; implicit-def: $vgpr1
                                        ; implicit-def: $vgpr54
                                        ; implicit-def: $vgpr55
                                        ; implicit-def: $vgpr56
                                        ; implicit-def: $vgpr57
                                        ; implicit-def: $vgpr58
                                        ; implicit-def: $vgpr59
                                        ; implicit-def: $vgpr60
                                        ; implicit-def: $vgpr61
	s_cbranch_execz .LBB729_35
; %bb.38:
	v_cmp_ne_u64_e32 vcc, v[6:7], v[8:9]
	v_cndmask_b32_e64 v1, 0, 1, vcc
	v_cmp_ne_u64_e32 vcc, v[20:21], v[26:27]
	v_cndmask_b32_e64 v61, 0, 1, vcc
	;; [unrolled: 2-line block ×8, first 2 shown]
	v_cmp_ne_u64_e32 vcc, v[6:7], v[4:5]
	v_lshlrev_b32_e32 v32, 3, v0
	v_cndmask_b32_e64 v54, 0, 1, vcc
	ds_write_b64 v32, v[8:9]
	s_waitcnt lgkmcnt(0)
	s_barrier
	s_waitcnt lgkmcnt(0)
                                        ; implicit-def: $sgpr4_sgpr5
	s_and_saveexec_b64 s[8:9], s[2:3]
	s_xor_b64 s[8:9], exec, s[8:9]
	s_cbranch_execz .LBB729_40
; %bb.39:
	v_add_u32_e32 v22, -8, v32
	ds_read_b64 v[22:23], v22
	s_or_b64 s[6:7], s[6:7], exec
	s_waitcnt lgkmcnt(0)
	v_cmp_ne_u64_e32 vcc, v[22:23], v[18:19]
	s_and_b64 s[4:5], vcc, exec
.LBB729_40:
	s_or_b64 exec, exec, s[8:9]
	s_mov_b32 s12, 1
	s_branch .LBB729_49
.LBB729_41:
	s_mul_hi_u32 s5, s42, 0xfffff600
	s_mul_i32 s4, s43, 0xfffff600
	s_sub_i32 s5, s5, s42
	s_add_i32 s5, s5, s4
	s_mul_i32 s4, s42, 0xfffff600
	s_add_u32 s8, s4, s20
	s_addc_u32 s9, s5, s21
	s_and_b64 vcc, exec, s[44:45]
	s_cbranch_vccz .LBB729_46
; %bb.42:
	global_load_dwordx2 v[22:23], v[30:31], off offset:-8
	v_mad_u32_u24 v26, v0, 10, 9
	v_mov_b32_e32 v27, 0
	v_cmp_gt_u64_e32 vcc, s[8:9], v[26:27]
	v_cmp_ne_u64_e64 s[4:5], v[6:7], v[8:9]
	v_mad_u32_u24 v26, v0, 10, 8
	s_and_b64 s[6:7], vcc, s[4:5]
	v_cmp_gt_u64_e32 vcc, s[8:9], v[26:27]
	v_cmp_ne_u64_e64 s[4:5], v[4:5], v[6:7]
	v_mad_u32_u24 v26, v0, 10, 7
	s_and_b64 s[10:11], vcc, s[4:5]
	;; [unrolled: 4-line block ×5, first 2 shown]
	v_cmp_gt_u64_e32 vcc, s[8:9], v[26:27]
	v_cmp_ne_u64_e64 s[4:5], v[16:17], v[10:11]
	v_mad_u32_u24 v26, v0, 10, 3
	v_mul_u32_u24_e32 v24, 10, v0
	s_and_b64 s[18:19], vcc, s[4:5]
	v_cmp_gt_u64_e32 vcc, s[8:9], v[26:27]
	v_cmp_ne_u64_e64 s[4:5], v[14:15], v[16:17]
	v_mad_u32_u24 v26, v0, 10, 2
	s_and_b64 s[20:21], vcc, s[4:5]
	v_cmp_gt_u64_e32 vcc, s[8:9], v[26:27]
	v_cmp_ne_u64_e64 s[4:5], v[20:21], v[14:15]
	v_or_b32_e32 v26, 1, v24
	s_and_b64 s[42:43], vcc, s[4:5]
	v_cmp_gt_u64_e32 vcc, s[8:9], v[26:27]
	v_cmp_ne_u64_e64 s[4:5], v[18:19], v[20:21]
	v_lshlrev_b32_e32 v1, 3, v0
	s_and_b64 s[4:5], vcc, s[4:5]
	ds_write_b64 v1, v[8:9]
	s_waitcnt lgkmcnt(0)
	s_barrier
	s_and_saveexec_b64 s[44:45], s[2:3]
	s_cbranch_execz .LBB729_44
; %bb.43:
	v_add_u32_e32 v1, -8, v1
	s_waitcnt vmcnt(0)
	ds_read_b64 v[22:23], v1
.LBB729_44:
	s_or_b64 exec, exec, s[44:45]
	v_mov_b32_e32 v25, v27
	v_cndmask_b32_e64 v61, 0, 1, s[4:5]
	v_cmp_gt_u64_e32 vcc, s[8:9], v[24:25]
	s_waitcnt vmcnt(0) lgkmcnt(0)
	v_cmp_ne_u64_e64 s[4:5], v[22:23], v[18:19]
	v_cndmask_b32_e64 v1, 0, 1, s[6:7]
	v_cndmask_b32_e64 v54, 0, 1, s[10:11]
	;; [unrolled: 1-line block ×8, first 2 shown]
	s_and_b64 s[4:5], vcc, s[4:5]
	s_mov_b64 s[6:7], -1
.LBB729_45:
                                        ; implicit-def: $sgpr12
	v_mov_b32_e32 v62, s12
	s_and_saveexec_b64 s[2:3], s[6:7]
	s_cbranch_execnz .LBB729_50
	s_branch .LBB729_51
.LBB729_46:
                                        ; implicit-def: $sgpr4_sgpr5
                                        ; implicit-def: $vgpr1
                                        ; implicit-def: $vgpr54
                                        ; implicit-def: $vgpr55
                                        ; implicit-def: $vgpr56
                                        ; implicit-def: $vgpr57
                                        ; implicit-def: $vgpr58
                                        ; implicit-def: $vgpr59
                                        ; implicit-def: $vgpr60
                                        ; implicit-def: $vgpr61
	s_cbranch_execz .LBB729_45
; %bb.47:
	v_mad_u32_u24 v24, v0, 10, 9
	v_mov_b32_e32 v25, 0
	v_cmp_gt_u64_e32 vcc, s[8:9], v[24:25]
	v_cmp_ne_u64_e64 s[4:5], v[6:7], v[8:9]
	s_and_b64 s[4:5], vcc, s[4:5]
	v_mad_u32_u24 v24, v0, 10, 8
	v_cndmask_b32_e64 v1, 0, 1, s[4:5]
	v_cmp_gt_u64_e32 vcc, s[8:9], v[24:25]
	v_cmp_ne_u64_e64 s[4:5], v[4:5], v[6:7]
	s_and_b64 s[4:5], vcc, s[4:5]
	v_mad_u32_u24 v24, v0, 10, 7
	v_cndmask_b32_e64 v54, 0, 1, s[4:5]
	;; [unrolled: 5-line block ×6, first 2 shown]
	v_cmp_gt_u64_e32 vcc, s[8:9], v[24:25]
	v_cmp_ne_u64_e64 s[4:5], v[14:15], v[16:17]
	s_and_b64 s[4:5], vcc, s[4:5]
	v_mad_u32_u24 v24, v0, 10, 2
	v_mul_u32_u24_e32 v22, 10, v0
	v_cndmask_b32_e64 v59, 0, 1, s[4:5]
	v_cmp_gt_u64_e32 vcc, s[8:9], v[24:25]
	v_cmp_ne_u64_e64 s[4:5], v[20:21], v[14:15]
	s_and_b64 s[4:5], vcc, s[4:5]
	v_or_b32_e32 v24, 1, v22
	v_cndmask_b32_e64 v60, 0, 1, s[4:5]
	v_cmp_gt_u64_e32 vcc, s[8:9], v[24:25]
	v_cmp_ne_u64_e64 s[4:5], v[18:19], v[20:21]
	s_and_b64 s[4:5], vcc, s[4:5]
	v_lshlrev_b32_e32 v23, 3, v0
	s_mov_b32 s12, 1
	v_cndmask_b32_e64 v61, 0, 1, s[4:5]
	ds_write_b64 v23, v[8:9]
	s_waitcnt lgkmcnt(0)
	s_barrier
	s_waitcnt lgkmcnt(0)
                                        ; implicit-def: $sgpr4_sgpr5
	s_and_saveexec_b64 s[10:11], s[2:3]
	s_cbranch_execz .LBB729_134
; %bb.48:
	v_add_u32_e32 v23, -8, v23
	ds_read_b64 v[26:27], v23
	v_mov_b32_e32 v23, v25
	v_cmp_gt_u64_e32 vcc, s[8:9], v[22:23]
	s_or_b64 s[6:7], s[6:7], exec
	s_waitcnt lgkmcnt(0)
	v_cmp_ne_u64_e64 s[2:3], v[26:27], v[18:19]
	s_and_b64 s[2:3], vcc, s[2:3]
	s_and_b64 s[4:5], s[2:3], exec
	s_or_b64 exec, exec, s[10:11]
.LBB729_49:
	v_mov_b32_e32 v62, s12
	s_and_saveexec_b64 s[2:3], s[6:7]
.LBB729_50:
	v_cndmask_b32_e64 v62, 0, 1, s[4:5]
.LBB729_51:
	s_or_b64 exec, exec, s[2:3]
	s_cmp_eq_u64 s[26:27], 0
	v_add_u32_e32 v22, v61, v62
	s_cselect_b64 s[26:27], -1, 0
	s_cmp_lg_u32 s48, 0
	v_cmp_eq_u32_e64 s[16:17], 0, v61
	v_cmp_eq_u32_e64 s[14:15], 0, v60
	v_add3_u32 v53, v22, v60, v59
	v_cmp_eq_u32_e64 s[12:13], 0, v59
	v_cmp_eq_u32_e64 s[10:11], 0, v58
	;; [unrolled: 1-line block ×6, first 2 shown]
	v_cmp_eq_u32_e32 vcc, 0, v1
	v_mbcnt_lo_u32_b32 v52, -1, 0
	v_lshrrev_b32_e32 v50, 6, v0
	v_or_b32_e32 v51, 63, v0
	s_cbranch_scc0 .LBB729_82
; %bb.52:
	v_cndmask_b32_e64 v22, 0, v48, s[16:17]
	v_add_u32_e32 v22, v22, v48
	v_cndmask_b32_e64 v22, 0, v22, s[14:15]
	v_add_u32_e32 v22, v22, v48
	;; [unrolled: 2-line block ×7, first 2 shown]
	v_cndmask_b32_e64 v22, 0, v22, s[2:3]
	v_add3_u32 v23, v53, v58, v57
	v_add_u32_e32 v22, v22, v48
	v_add3_u32 v23, v23, v56, v55
	v_cndmask_b32_e32 v22, 0, v22, vcc
	v_add3_u32 v23, v23, v54, v1
	v_add_u32_e32 v22, v22, v49
	v_mbcnt_hi_u32_b32 v31, -1, v52
	v_and_b32_e32 v24, 15, v31
	v_mov_b32_dpp v26, v22 row_shr:1 row_mask:0xf bank_mask:0xf
	v_cmp_eq_u32_e32 vcc, 0, v23
	v_mov_b32_dpp v25, v23 row_shr:1 row_mask:0xf bank_mask:0xf
	v_cndmask_b32_e32 v26, 0, v26, vcc
	v_cmp_eq_u32_e32 vcc, 0, v24
	v_cndmask_b32_e64 v25, v25, 0, vcc
	v_add_u32_e32 v23, v25, v23
	v_cndmask_b32_e64 v25, v26, 0, vcc
	v_add_u32_e32 v22, v25, v22
	v_cmp_eq_u32_e32 vcc, 0, v23
	v_mov_b32_dpp v25, v23 row_shr:2 row_mask:0xf bank_mask:0xf
	v_cmp_lt_u32_e64 s[18:19], 1, v24
	v_mov_b32_dpp v26, v22 row_shr:2 row_mask:0xf bank_mask:0xf
	v_cndmask_b32_e64 v25, 0, v25, s[18:19]
	s_and_b64 vcc, s[18:19], vcc
	v_cndmask_b32_e32 v26, 0, v26, vcc
	v_add_u32_e32 v23, v23, v25
	v_add_u32_e32 v22, v26, v22
	v_cmp_eq_u32_e32 vcc, 0, v23
	v_mov_b32_dpp v25, v23 row_shr:4 row_mask:0xf bank_mask:0xf
	v_cmp_lt_u32_e64 s[18:19], 3, v24
	v_mov_b32_dpp v26, v22 row_shr:4 row_mask:0xf bank_mask:0xf
	v_cndmask_b32_e64 v25, 0, v25, s[18:19]
	s_and_b64 vcc, s[18:19], vcc
	v_cndmask_b32_e32 v26, 0, v26, vcc
	v_add_u32_e32 v23, v25, v23
	v_add_u32_e32 v22, v22, v26
	v_cmp_eq_u32_e32 vcc, 0, v23
	v_cmp_lt_u32_e64 s[18:19], 7, v24
	v_mov_b32_dpp v25, v23 row_shr:8 row_mask:0xf bank_mask:0xf
	v_mov_b32_dpp v26, v22 row_shr:8 row_mask:0xf bank_mask:0xf
	s_and_b64 vcc, s[18:19], vcc
	v_cndmask_b32_e64 v24, 0, v25, s[18:19]
	v_cndmask_b32_e32 v25, 0, v26, vcc
	v_add_u32_e32 v22, v25, v22
	v_add_u32_e32 v23, v24, v23
	v_bfe_i32 v26, v31, 4, 1
	v_mov_b32_dpp v25, v22 row_bcast:15 row_mask:0xf bank_mask:0xf
	v_mov_b32_dpp v24, v23 row_bcast:15 row_mask:0xf bank_mask:0xf
	v_cmp_eq_u32_e32 vcc, 0, v23
	v_cndmask_b32_e32 v25, 0, v25, vcc
	v_and_b32_e32 v24, v26, v24
	v_add_u32_e32 v23, v24, v23
	v_and_b32_e32 v24, v26, v25
	v_add_u32_e32 v24, v24, v22
	v_mov_b32_dpp v22, v23 row_bcast:31 row_mask:0xf bank_mask:0xf
	v_cmp_eq_u32_e32 vcc, 0, v23
	v_cmp_lt_u32_e64 s[18:19], 31, v31
	v_mov_b32_dpp v25, v24 row_bcast:31 row_mask:0xf bank_mask:0xf
	v_cndmask_b32_e64 v22, 0, v22, s[18:19]
	s_and_b64 vcc, s[18:19], vcc
	v_add_u32_e32 v22, v22, v23
	v_cndmask_b32_e32 v23, 0, v25, vcc
	v_add_u32_e32 v23, v23, v24
	v_cmp_eq_u32_e32 vcc, v51, v0
	v_lshlrev_b32_e32 v24, 3, v50
	s_and_saveexec_b64 s[18:19], vcc
	s_cbranch_execz .LBB729_54
; %bb.53:
	ds_write_b64 v24, v[22:23] offset:4112
.LBB729_54:
	s_or_b64 exec, exec, s[18:19]
	v_cmp_gt_u32_e32 vcc, 4, v0
	s_waitcnt lgkmcnt(0)
	s_barrier
	s_and_saveexec_b64 s[20:21], vcc
	s_cbranch_execz .LBB729_56
; %bb.55:
	v_lshlrev_b32_e32 v25, 3, v0
	ds_read_b64 v[26:27], v25 offset:4112
	v_and_b32_e32 v28, 3, v31
	v_cmp_lt_u32_e64 s[18:19], 1, v28
	s_waitcnt lgkmcnt(0)
	v_mov_b32_dpp v30, v27 row_shr:1 row_mask:0xf bank_mask:0xf
	v_cmp_eq_u32_e32 vcc, 0, v26
	v_mov_b32_dpp v29, v26 row_shr:1 row_mask:0xf bank_mask:0xf
	v_cndmask_b32_e32 v30, 0, v30, vcc
	v_cmp_eq_u32_e32 vcc, 0, v28
	v_cndmask_b32_e64 v29, v29, 0, vcc
	v_add_u32_e32 v26, v29, v26
	v_cndmask_b32_e64 v29, v30, 0, vcc
	v_add_u32_e32 v27, v29, v27
	v_cmp_eq_u32_e32 vcc, 0, v26
	v_mov_b32_dpp v29, v26 row_shr:2 row_mask:0xf bank_mask:0xf
	v_mov_b32_dpp v30, v27 row_shr:2 row_mask:0xf bank_mask:0xf
	v_cndmask_b32_e64 v28, 0, v29, s[18:19]
	s_and_b64 vcc, s[18:19], vcc
	v_add_u32_e32 v26, v28, v26
	v_cndmask_b32_e32 v28, 0, v30, vcc
	v_add_u32_e32 v27, v28, v27
	ds_write_b64 v25, v[26:27] offset:4112
.LBB729_56:
	s_or_b64 exec, exec, s[20:21]
	v_cmp_gt_u32_e32 vcc, 64, v0
	v_cmp_lt_u32_e64 s[18:19], 63, v0
	v_mov_b32_e32 v28, 0
	v_mov_b32_e32 v29, 0
	s_waitcnt lgkmcnt(0)
	s_barrier
	s_and_saveexec_b64 s[20:21], s[18:19]
	s_cbranch_execz .LBB729_58
; %bb.57:
	ds_read_b64 v[28:29], v24 offset:4104
	v_cmp_eq_u32_e64 s[18:19], 0, v22
	s_waitcnt lgkmcnt(0)
	v_add_u32_e32 v24, v28, v22
	v_cndmask_b32_e64 v22, 0, v29, s[18:19]
	v_add_u32_e32 v23, v22, v23
	v_mov_b32_e32 v22, v24
.LBB729_58:
	s_or_b64 exec, exec, s[20:21]
	v_add_u32_e32 v24, -1, v31
	v_and_b32_e32 v25, 64, v31
	v_cmp_lt_i32_e64 s[18:19], v24, v25
	v_cndmask_b32_e64 v24, v24, v31, s[18:19]
	v_lshlrev_b32_e32 v24, 2, v24
	ds_bpermute_b32 v36, v24, v22
	ds_bpermute_b32 v37, v24, v23
	v_cmp_eq_u32_e64 s[18:19], 0, v31
	s_and_saveexec_b64 s[42:43], vcc
	s_cbranch_execz .LBB729_81
; %bb.59:
	v_mov_b32_e32 v27, 0
	ds_read_b64 v[22:23], v27 offset:4136
	s_waitcnt lgkmcnt(0)
	v_readfirstlane_b32 s46, v22
	v_readfirstlane_b32 s47, v23
	s_and_saveexec_b64 s[20:21], s[18:19]
	s_cbranch_execz .LBB729_61
; %bb.60:
	s_add_i32 s44, s48, 64
	s_mov_b32 s45, 0
	s_lshl_b64 s[50:51], s[44:45], 4
	s_add_u32 s50, s24, s50
	s_addc_u32 s51, s25, s51
	s_and_b32 s53, s47, 0xff000000
	s_mov_b32 s52, s45
	s_and_b32 s55, s47, 0xff0000
	s_mov_b32 s54, s45
	s_or_b64 s[52:53], s[54:55], s[52:53]
	s_and_b32 s55, s47, 0xff00
	s_or_b64 s[52:53], s[52:53], s[54:55]
	s_and_b32 s55, s47, 0xff
	s_or_b64 s[44:45], s[52:53], s[54:55]
	v_mov_b32_e32 v24, s46
	v_mov_b32_e32 v25, s45
	;; [unrolled: 1-line block ×3, first 2 shown]
	v_pk_mov_b32 v[22:23], s[50:51], s[50:51] op_sel:[0,1]
	;;#ASMSTART
	global_store_dwordx4 v[22:23], v[24:27] off	
s_waitcnt vmcnt(0)
	;;#ASMEND
.LBB729_61:
	s_or_b64 exec, exec, s[20:21]
	v_xad_u32 v30, v31, -1, s48
	v_add_u32_e32 v26, 64, v30
	v_lshlrev_b64 v[22:23], 4, v[26:27]
	v_mov_b32_e32 v24, s25
	v_add_co_u32_e32 v32, vcc, s24, v22
	v_addc_co_u32_e32 v33, vcc, v24, v23, vcc
	;;#ASMSTART
	global_load_dwordx4 v[22:25], v[32:33] off glc	
s_waitcnt vmcnt(0)
	;;#ASMEND
	v_and_b32_e32 v25, 0xff, v23
	v_and_b32_e32 v26, 0xff00, v23
	v_or3_b32 v25, 0, v25, v26
	v_or3_b32 v22, v22, 0, 0
	v_and_b32_e32 v26, 0xff000000, v23
	v_and_b32_e32 v23, 0xff0000, v23
	v_or3_b32 v23, v25, v23, v26
	v_or3_b32 v22, v22, 0, 0
	v_cmp_eq_u16_sdwa s[44:45], v24, v27 src0_sel:BYTE_0 src1_sel:DWORD
	s_and_saveexec_b64 s[20:21], s[44:45]
	s_cbranch_execz .LBB729_67
; %bb.62:
	s_mov_b32 s49, 1
	s_mov_b64 s[44:45], 0
	v_mov_b32_e32 v26, 0
.LBB729_63:                             ; =>This Loop Header: Depth=1
                                        ;     Child Loop BB729_64 Depth 2
	s_max_u32 s50, s49, 1
.LBB729_64:                             ;   Parent Loop BB729_63 Depth=1
                                        ; =>  This Inner Loop Header: Depth=2
	s_add_i32 s50, s50, -1
	s_cmp_eq_u32 s50, 0
	s_sleep 1
	s_cbranch_scc0 .LBB729_64
; %bb.65:                               ;   in Loop: Header=BB729_63 Depth=1
	s_cmp_lt_u32 s49, 32
	s_cselect_b64 s[50:51], -1, 0
	s_cmp_lg_u64 s[50:51], 0
	s_addc_u32 s49, s49, 0
	;;#ASMSTART
	global_load_dwordx4 v[22:25], v[32:33] off glc	
s_waitcnt vmcnt(0)
	;;#ASMEND
	v_cmp_ne_u16_sdwa s[50:51], v24, v26 src0_sel:BYTE_0 src1_sel:DWORD
	s_or_b64 s[44:45], s[50:51], s[44:45]
	s_andn2_b64 exec, exec, s[44:45]
	s_cbranch_execnz .LBB729_63
; %bb.66:
	s_or_b64 exec, exec, s[44:45]
.LBB729_67:
	s_or_b64 exec, exec, s[20:21]
	v_mov_b32_e32 v38, 2
	v_cmp_eq_u16_sdwa s[20:21], v24, v38 src0_sel:BYTE_0 src1_sel:DWORD
	v_lshlrev_b64 v[32:33], v31, -1
	v_and_b32_e32 v25, s21, v33
	v_and_b32_e32 v39, 63, v31
	v_or_b32_e32 v25, 0x80000000, v25
	v_cmp_ne_u32_e32 vcc, 63, v39
	v_and_b32_e32 v26, s20, v32
	v_ffbl_b32_e32 v25, v25
	v_addc_co_u32_e32 v27, vcc, 0, v31, vcc
	v_add_u32_e32 v25, 32, v25
	v_ffbl_b32_e32 v26, v26
	v_lshlrev_b32_e32 v40, 2, v27
	v_min_u32_e32 v25, v26, v25
	ds_bpermute_b32 v26, v40, v23
	v_cmp_eq_u32_e32 vcc, 0, v22
	v_cmp_lt_u32_e64 s[20:21], v39, v25
	ds_bpermute_b32 v27, v40, v22
	s_and_b64 vcc, s[20:21], vcc
	s_waitcnt lgkmcnt(1)
	v_cndmask_b32_e32 v26, 0, v26, vcc
	v_cmp_gt_u32_e32 vcc, 62, v39
	v_add_u32_e32 v23, v26, v23
	v_cndmask_b32_e64 v26, 0, 1, vcc
	v_lshlrev_b32_e32 v26, 1, v26
	v_add_lshl_u32 v41, v26, v31, 2
	s_waitcnt lgkmcnt(0)
	v_cndmask_b32_e64 v27, 0, v27, s[20:21]
	ds_bpermute_b32 v26, v41, v23
	v_add_u32_e32 v22, v27, v22
	ds_bpermute_b32 v27, v41, v22
	v_add_u32_e32 v42, 2, v39
	v_cmp_eq_u32_e32 vcc, 0, v22
	s_waitcnt lgkmcnt(1)
	v_cndmask_b32_e32 v26, 0, v26, vcc
	v_cmp_gt_u32_e32 vcc, v42, v25
	v_cndmask_b32_e64 v26, v26, 0, vcc
	v_add_u32_e32 v23, v26, v23
	s_waitcnt lgkmcnt(0)
	v_cndmask_b32_e64 v26, v27, 0, vcc
	v_cmp_gt_u32_e32 vcc, 60, v39
	v_cndmask_b32_e64 v27, 0, 1, vcc
	v_lshlrev_b32_e32 v27, 2, v27
	v_add_lshl_u32 v43, v27, v31, 2
	ds_bpermute_b32 v27, v43, v23
	v_add_u32_e32 v22, v22, v26
	ds_bpermute_b32 v26, v43, v22
	v_add_u32_e32 v44, 4, v39
	v_cmp_eq_u32_e32 vcc, 0, v22
	s_waitcnt lgkmcnt(1)
	v_cndmask_b32_e32 v27, 0, v27, vcc
	v_cmp_gt_u32_e32 vcc, v44, v25
	v_cndmask_b32_e64 v27, v27, 0, vcc
	s_waitcnt lgkmcnt(0)
	v_cndmask_b32_e64 v26, v26, 0, vcc
	v_cmp_gt_u32_e32 vcc, 56, v39
	v_add_u32_e32 v23, v23, v27
	v_cndmask_b32_e64 v27, 0, 1, vcc
	v_lshlrev_b32_e32 v27, 3, v27
	v_add_lshl_u32 v45, v27, v31, 2
	ds_bpermute_b32 v27, v45, v23
	v_add_u32_e32 v22, v22, v26
	ds_bpermute_b32 v26, v45, v22
	v_add_u32_e32 v46, 8, v39
	v_cmp_eq_u32_e32 vcc, 0, v22
	s_waitcnt lgkmcnt(1)
	v_cndmask_b32_e32 v27, 0, v27, vcc
	v_cmp_gt_u32_e32 vcc, v46, v25
	v_cndmask_b32_e64 v27, v27, 0, vcc
	s_waitcnt lgkmcnt(0)
	v_cndmask_b32_e64 v26, v26, 0, vcc
	v_cmp_gt_u32_e32 vcc, 48, v39
	v_add_u32_e32 v23, v23, v27
	;; [unrolled: 16-line block ×3, first 2 shown]
	v_cndmask_b32_e64 v27, 0, 1, vcc
	v_lshlrev_b32_e32 v27, 5, v27
	v_add_lshl_u32 v64, v27, v31, 2
	ds_bpermute_b32 v27, v64, v23
	v_add_u32_e32 v22, v22, v26
	ds_bpermute_b32 v26, v64, v22
	v_add_u32_e32 v65, 32, v39
	v_cmp_eq_u32_e32 vcc, 0, v22
	s_waitcnt lgkmcnt(1)
	v_cndmask_b32_e32 v27, 0, v27, vcc
	v_cmp_gt_u32_e32 vcc, v65, v25
	v_cndmask_b32_e64 v25, v27, 0, vcc
	v_add_u32_e32 v23, v25, v23
	s_waitcnt lgkmcnt(0)
	v_cndmask_b32_e64 v25, v26, 0, vcc
	v_add_u32_e32 v22, v25, v22
	v_mov_b32_e32 v31, 0
	s_branch .LBB729_69
.LBB729_68:                             ;   in Loop: Header=BB729_69 Depth=1
	s_or_b64 exec, exec, s[20:21]
	v_cmp_eq_u16_sdwa s[20:21], v24, v38 src0_sel:BYTE_0 src1_sel:DWORD
	v_and_b32_e32 v25, s21, v33
	v_or_b32_e32 v25, 0x80000000, v25
	v_and_b32_e32 v34, s20, v32
	v_ffbl_b32_e32 v25, v25
	v_add_u32_e32 v25, 32, v25
	v_ffbl_b32_e32 v34, v34
	v_min_u32_e32 v25, v34, v25
	ds_bpermute_b32 v34, v40, v23
	v_cmp_eq_u32_e32 vcc, 0, v22
	v_cmp_lt_u32_e64 s[20:21], v39, v25
	ds_bpermute_b32 v35, v40, v22
	s_and_b64 vcc, s[20:21], vcc
	s_waitcnt lgkmcnt(1)
	v_cndmask_b32_e32 v34, 0, v34, vcc
	v_add_u32_e32 v23, v34, v23
	ds_bpermute_b32 v34, v41, v23
	s_waitcnt lgkmcnt(1)
	v_cndmask_b32_e64 v35, 0, v35, s[20:21]
	v_add_u32_e32 v22, v35, v22
	v_cmp_eq_u32_e32 vcc, 0, v22
	ds_bpermute_b32 v35, v41, v22
	s_waitcnt lgkmcnt(1)
	v_cndmask_b32_e32 v34, 0, v34, vcc
	v_cmp_gt_u32_e32 vcc, v42, v25
	v_cndmask_b32_e64 v34, v34, 0, vcc
	v_add_u32_e32 v23, v34, v23
	ds_bpermute_b32 v34, v43, v23
	s_waitcnt lgkmcnt(1)
	v_cndmask_b32_e64 v35, v35, 0, vcc
	v_add_u32_e32 v22, v22, v35
	v_cmp_eq_u32_e32 vcc, 0, v22
	ds_bpermute_b32 v35, v43, v22
	s_waitcnt lgkmcnt(1)
	v_cndmask_b32_e32 v34, 0, v34, vcc
	v_cmp_gt_u32_e32 vcc, v44, v25
	v_cndmask_b32_e64 v34, v34, 0, vcc
	v_add_u32_e32 v23, v23, v34
	ds_bpermute_b32 v34, v45, v23
	s_waitcnt lgkmcnt(1)
	v_cndmask_b32_e64 v35, v35, 0, vcc
	v_add_u32_e32 v22, v22, v35
	ds_bpermute_b32 v35, v45, v22
	v_cmp_eq_u32_e32 vcc, 0, v22
	s_waitcnt lgkmcnt(1)
	v_cndmask_b32_e32 v34, 0, v34, vcc
	v_cmp_gt_u32_e32 vcc, v46, v25
	v_cndmask_b32_e64 v34, v34, 0, vcc
	v_add_u32_e32 v23, v23, v34
	ds_bpermute_b32 v34, v47, v23
	s_waitcnt lgkmcnt(1)
	v_cndmask_b32_e64 v35, v35, 0, vcc
	v_add_u32_e32 v22, v22, v35
	ds_bpermute_b32 v35, v47, v22
	v_cmp_eq_u32_e32 vcc, 0, v22
	;; [unrolled: 11-line block ×3, first 2 shown]
	s_waitcnt lgkmcnt(1)
	v_cndmask_b32_e32 v34, 0, v34, vcc
	v_cmp_gt_u32_e32 vcc, v65, v25
	v_cndmask_b32_e64 v25, v34, 0, vcc
	v_add_u32_e32 v23, v25, v23
	s_waitcnt lgkmcnt(0)
	v_cndmask_b32_e64 v25, v35, 0, vcc
	v_cmp_eq_u32_e32 vcc, 0, v26
	v_cndmask_b32_e32 v23, 0, v23, vcc
	v_subrev_u32_e32 v30, 64, v30
	v_add3_u32 v22, v22, v26, v25
	v_add_u32_e32 v23, v23, v27
.LBB729_69:                             ; =>This Loop Header: Depth=1
                                        ;     Child Loop BB729_72 Depth 2
                                        ;       Child Loop BB729_73 Depth 3
	v_cmp_ne_u16_sdwa s[20:21], v24, v38 src0_sel:BYTE_0 src1_sel:DWORD
	v_mov_b32_e32 v27, v23
	v_cndmask_b32_e64 v23, 0, 1, s[20:21]
	;;#ASMSTART
	;;#ASMEND
	v_cmp_ne_u32_e32 vcc, 0, v23
	s_cmp_lg_u64 vcc, exec
	v_mov_b32_e32 v26, v22
	s_cbranch_scc1 .LBB729_76
; %bb.70:                               ;   in Loop: Header=BB729_69 Depth=1
	v_lshlrev_b64 v[22:23], 4, v[30:31]
	v_mov_b32_e32 v24, s25
	v_add_co_u32_e32 v34, vcc, s24, v22
	v_addc_co_u32_e32 v35, vcc, v24, v23, vcc
	;;#ASMSTART
	global_load_dwordx4 v[22:25], v[34:35] off glc	
s_waitcnt vmcnt(0)
	;;#ASMEND
	v_and_b32_e32 v25, 0xff, v23
	v_and_b32_e32 v66, 0xff00, v23
	v_or3_b32 v25, 0, v25, v66
	v_or3_b32 v22, v22, 0, 0
	v_and_b32_e32 v66, 0xff000000, v23
	v_and_b32_e32 v23, 0xff0000, v23
	v_or3_b32 v23, v25, v23, v66
	v_or3_b32 v22, v22, 0, 0
	v_cmp_eq_u16_sdwa s[44:45], v24, v31 src0_sel:BYTE_0 src1_sel:DWORD
	s_and_saveexec_b64 s[20:21], s[44:45]
	s_cbranch_execz .LBB729_68
; %bb.71:                               ;   in Loop: Header=BB729_69 Depth=1
	s_mov_b32 s49, 1
	s_mov_b64 s[44:45], 0
.LBB729_72:                             ;   Parent Loop BB729_69 Depth=1
                                        ; =>  This Loop Header: Depth=2
                                        ;       Child Loop BB729_73 Depth 3
	s_max_u32 s50, s49, 1
.LBB729_73:                             ;   Parent Loop BB729_69 Depth=1
                                        ;     Parent Loop BB729_72 Depth=2
                                        ; =>    This Inner Loop Header: Depth=3
	s_add_i32 s50, s50, -1
	s_cmp_eq_u32 s50, 0
	s_sleep 1
	s_cbranch_scc0 .LBB729_73
; %bb.74:                               ;   in Loop: Header=BB729_72 Depth=2
	s_cmp_lt_u32 s49, 32
	s_cselect_b64 s[50:51], -1, 0
	s_cmp_lg_u64 s[50:51], 0
	s_addc_u32 s49, s49, 0
	;;#ASMSTART
	global_load_dwordx4 v[22:25], v[34:35] off glc	
s_waitcnt vmcnt(0)
	;;#ASMEND
	v_cmp_ne_u16_sdwa s[50:51], v24, v31 src0_sel:BYTE_0 src1_sel:DWORD
	s_or_b64 s[44:45], s[50:51], s[44:45]
	s_andn2_b64 exec, exec, s[44:45]
	s_cbranch_execnz .LBB729_72
; %bb.75:                               ;   in Loop: Header=BB729_69 Depth=1
	s_or_b64 exec, exec, s[44:45]
	s_branch .LBB729_68
.LBB729_76:                             ;   in Loop: Header=BB729_69 Depth=1
                                        ; implicit-def: $vgpr23
                                        ; implicit-def: $vgpr22
                                        ; implicit-def: $vgpr24
	s_cbranch_execz .LBB729_69
; %bb.77:
	s_and_saveexec_b64 s[20:21], s[18:19]
	s_cbranch_execz .LBB729_79
; %bb.78:
	s_cmp_eq_u32 s46, 0
	s_cselect_b64 vcc, -1, 0
	s_mov_b32 s45, 0
	v_cndmask_b32_e32 v22, 0, v27, vcc
	s_add_i32 s44, s48, 64
	v_add_u32_e32 v22, s47, v22
	s_lshl_b64 s[44:45], s[44:45], 4
	s_add_u32 s44, s24, s44
	v_and_b32_e32 v23, 0xff000000, v22
	v_and_b32_e32 v24, 0xff0000, v22
	s_addc_u32 s45, s25, s45
	v_or_b32_e32 v23, v24, v23
	v_and_b32_e32 v24, 0xff00, v22
	v_and_b32_e32 v22, 0xff, v22
	v_add_u32_e32 v30, s46, v26
	v_mov_b32_e32 v33, 0
	v_or3_b32 v31, v23, v24, v22
	v_mov_b32_e32 v32, 2
	v_pk_mov_b32 v[22:23], s[44:45], s[44:45] op_sel:[0,1]
	;;#ASMSTART
	global_store_dwordx4 v[22:23], v[30:33] off	
s_waitcnt vmcnt(0)
	;;#ASMEND
	v_mov_b32_e32 v24, s46
	v_mov_b32_e32 v25, s47
	ds_write_b128 v33, v[24:27] offset:4096
.LBB729_79:
	s_or_b64 exec, exec, s[20:21]
	s_and_b64 exec, exec, s[0:1]
	s_cbranch_execz .LBB729_81
; %bb.80:
	v_mov_b32_e32 v22, 0
	ds_write_b64 v22, v[26:27] offset:4136
.LBB729_81:
	s_or_b64 exec, exec, s[42:43]
	v_mov_b32_e32 v24, 0
	s_waitcnt lgkmcnt(0)
	s_barrier
	ds_read_b64 v[22:23], v24 offset:4136
	v_cndmask_b32_e64 v26, v36, v28, s[18:19]
	v_cmp_eq_u32_e32 vcc, 0, v26
	v_cndmask_b32_e64 v25, v37, v29, s[18:19]
	s_waitcnt lgkmcnt(0)
	v_cndmask_b32_e32 v27, 0, v23, vcc
	v_add_u32_e32 v25, v27, v25
	v_cndmask_b32_e64 v47, v25, v23, s[0:1]
	v_cndmask_b32_e64 v23, v26, 0, s[0:1]
	v_cmp_eq_u32_e32 vcc, 0, v62
	v_add_u32_e32 v46, v22, v23
	v_cndmask_b32_e32 v22, 0, v47, vcc
	v_add_u32_e32 v45, v22, v48
	v_cndmask_b32_e64 v22, 0, v45, s[16:17]
	v_add_u32_e32 v43, v22, v48
	v_cndmask_b32_e64 v22, 0, v43, s[14:15]
	;; [unrolled: 2-line block ×5, first 2 shown]
	v_add_u32_e32 v35, v22, v48
	v_add_u32_e32 v44, v46, v62
	v_cndmask_b32_e64 v22, 0, v35, s[6:7]
	v_add_u32_e32 v42, v44, v61
	v_add_u32_e32 v33, v22, v48
	s_barrier
	ds_read_b128 v[22:25], v24 offset:4096
	v_add_u32_e32 v40, v42, v60
	v_add_u32_e32 v38, v40, v59
	;; [unrolled: 1-line block ×4, first 2 shown]
	v_cndmask_b32_e64 v26, 0, v33, s[4:5]
	v_add_u32_e32 v32, v34, v56
	v_add_u32_e32 v29, v26, v48
	s_waitcnt lgkmcnt(0)
	v_cmp_eq_u32_e32 vcc, 0, v22
	v_add_u32_e32 v28, v32, v55
	v_cndmask_b32_e64 v26, 0, v29, s[2:3]
	v_cndmask_b32_e32 v25, 0, v25, vcc
	v_add_u32_e32 v30, v28, v54
	v_add_u32_e32 v31, v26, v48
	;; [unrolled: 1-line block ×3, first 2 shown]
	s_branch .LBB729_94
.LBB729_82:
                                        ; implicit-def: $vgpr22
                                        ; implicit-def: $vgpr26
                                        ; implicit-def: $vgpr30_vgpr31
                                        ; implicit-def: $vgpr28_vgpr29
                                        ; implicit-def: $vgpr32_vgpr33
                                        ; implicit-def: $vgpr34_vgpr35
                                        ; implicit-def: $vgpr46_vgpr47
                                        ; implicit-def: $vgpr44_vgpr45
                                        ; implicit-def: $vgpr42_vgpr43
                                        ; implicit-def: $vgpr40_vgpr41
                                        ; implicit-def: $vgpr38_vgpr39
                                        ; implicit-def: $vgpr36_vgpr37
	s_cbranch_execz .LBB729_94
; %bb.83:
	s_and_b64 s[2:3], s[26:27], exec
	s_cselect_b32 s3, 0, s41
	s_cselect_b32 s2, 0, s40
	s_cmp_eq_u64 s[2:3], 0
	v_mov_b32_e32 v26, v48
	s_cbranch_scc1 .LBB729_85
; %bb.84:
	v_mov_b32_e32 v22, 0
	global_load_dword v26, v22, s[2:3]
.LBB729_85:
	v_cmp_eq_u32_e64 s[2:3], 0, v61
	v_cndmask_b32_e64 v22, 0, v48, s[2:3]
	v_add_u32_e32 v22, v22, v48
	v_cmp_eq_u32_e64 s[4:5], 0, v60
	v_cndmask_b32_e64 v22, 0, v22, s[4:5]
	v_add_u32_e32 v22, v22, v48
	;; [unrolled: 3-line block ×7, first 2 shown]
	v_cmp_eq_u32_e32 vcc, 0, v54
	v_cndmask_b32_e32 v22, 0, v22, vcc
	v_add3_u32 v23, v53, v58, v57
	v_add_u32_e32 v22, v22, v48
	v_cmp_eq_u32_e64 s[16:17], 0, v1
	v_add3_u32 v23, v23, v56, v55
	v_cndmask_b32_e64 v22, 0, v22, s[16:17]
	v_add3_u32 v23, v23, v54, v1
	v_add_u32_e32 v22, v22, v49
	v_mbcnt_hi_u32_b32 v27, -1, v52
	v_and_b32_e32 v24, 15, v27
	v_mov_b32_dpp v28, v22 row_shr:1 row_mask:0xf bank_mask:0xf
	v_cmp_eq_u32_e64 s[16:17], 0, v23
	v_mov_b32_dpp v25, v23 row_shr:1 row_mask:0xf bank_mask:0xf
	v_cndmask_b32_e64 v28, 0, v28, s[16:17]
	v_cmp_eq_u32_e64 s[16:17], 0, v24
	v_cndmask_b32_e64 v25, v25, 0, s[16:17]
	v_add_u32_e32 v23, v25, v23
	v_cndmask_b32_e64 v25, v28, 0, s[16:17]
	v_add_u32_e32 v22, v25, v22
	v_cmp_eq_u32_e64 s[16:17], 0, v23
	v_mov_b32_dpp v25, v23 row_shr:2 row_mask:0xf bank_mask:0xf
	v_cmp_lt_u32_e64 s[18:19], 1, v24
	v_mov_b32_dpp v28, v22 row_shr:2 row_mask:0xf bank_mask:0xf
	v_cndmask_b32_e64 v25, 0, v25, s[18:19]
	s_and_b64 s[16:17], s[18:19], s[16:17]
	v_cndmask_b32_e64 v28, 0, v28, s[16:17]
	v_add_u32_e32 v23, v23, v25
	v_add_u32_e32 v22, v28, v22
	v_cmp_eq_u32_e64 s[16:17], 0, v23
	v_mov_b32_dpp v25, v23 row_shr:4 row_mask:0xf bank_mask:0xf
	v_cmp_lt_u32_e64 s[18:19], 3, v24
	v_mov_b32_dpp v28, v22 row_shr:4 row_mask:0xf bank_mask:0xf
	v_cndmask_b32_e64 v25, 0, v25, s[18:19]
	s_and_b64 s[16:17], s[18:19], s[16:17]
	v_cndmask_b32_e64 v28, 0, v28, s[16:17]
	v_add_u32_e32 v23, v25, v23
	v_add_u32_e32 v22, v22, v28
	v_cmp_eq_u32_e64 s[16:17], 0, v23
	v_cmp_lt_u32_e64 s[18:19], 7, v24
	v_mov_b32_dpp v25, v23 row_shr:8 row_mask:0xf bank_mask:0xf
	v_mov_b32_dpp v28, v22 row_shr:8 row_mask:0xf bank_mask:0xf
	s_and_b64 s[16:17], s[18:19], s[16:17]
	v_cndmask_b32_e64 v24, 0, v25, s[18:19]
	v_cndmask_b32_e64 v25, 0, v28, s[16:17]
	v_add_u32_e32 v22, v25, v22
	v_add_u32_e32 v23, v24, v23
	v_bfe_i32 v28, v27, 4, 1
	v_mov_b32_dpp v25, v22 row_bcast:15 row_mask:0xf bank_mask:0xf
	v_mov_b32_dpp v24, v23 row_bcast:15 row_mask:0xf bank_mask:0xf
	v_cmp_eq_u32_e64 s[16:17], 0, v23
	v_cndmask_b32_e64 v25, 0, v25, s[16:17]
	v_and_b32_e32 v24, v28, v24
	v_add_u32_e32 v23, v24, v23
	v_and_b32_e32 v24, v28, v25
	v_add_u32_e32 v24, v24, v22
	v_mov_b32_dpp v22, v23 row_bcast:31 row_mask:0xf bank_mask:0xf
	v_cmp_eq_u32_e64 s[16:17], 0, v23
	v_cmp_lt_u32_e64 s[18:19], 31, v27
	v_mov_b32_dpp v25, v24 row_bcast:31 row_mask:0xf bank_mask:0xf
	v_cndmask_b32_e64 v22, 0, v22, s[18:19]
	s_and_b64 s[16:17], s[18:19], s[16:17]
	v_add_u32_e32 v22, v22, v23
	v_cndmask_b32_e64 v23, 0, v25, s[16:17]
	v_add_u32_e32 v23, v23, v24
	v_cmp_eq_u32_e64 s[16:17], v51, v0
	s_and_saveexec_b64 s[18:19], s[16:17]
	s_cbranch_execz .LBB729_87
; %bb.86:
	v_lshlrev_b32_e32 v24, 3, v50
	ds_write_b64 v24, v[22:23] offset:4112
.LBB729_87:
	s_or_b64 exec, exec, s[18:19]
	v_cmp_gt_u32_e64 s[16:17], 4, v0
	s_waitcnt lgkmcnt(0)
	s_barrier
	s_and_saveexec_b64 s[20:21], s[16:17]
	s_cbranch_execz .LBB729_89
; %bb.88:
	v_lshlrev_b32_e32 v28, 3, v0
	ds_read_b64 v[24:25], v28 offset:4112
	v_and_b32_e32 v29, 3, v27
	v_cmp_lt_u32_e64 s[18:19], 1, v29
	s_waitcnt lgkmcnt(0)
	v_mov_b32_dpp v31, v25 row_shr:1 row_mask:0xf bank_mask:0xf
	v_cmp_eq_u32_e64 s[16:17], 0, v24
	v_mov_b32_dpp v30, v24 row_shr:1 row_mask:0xf bank_mask:0xf
	v_cndmask_b32_e64 v31, 0, v31, s[16:17]
	v_cmp_eq_u32_e64 s[16:17], 0, v29
	v_cndmask_b32_e64 v30, v30, 0, s[16:17]
	v_add_u32_e32 v24, v30, v24
	v_cndmask_b32_e64 v30, v31, 0, s[16:17]
	v_add_u32_e32 v25, v30, v25
	v_cmp_eq_u32_e64 s[16:17], 0, v24
	v_mov_b32_dpp v30, v24 row_shr:2 row_mask:0xf bank_mask:0xf
	v_mov_b32_dpp v31, v25 row_shr:2 row_mask:0xf bank_mask:0xf
	v_cndmask_b32_e64 v29, 0, v30, s[18:19]
	s_and_b64 s[16:17], s[18:19], s[16:17]
	v_add_u32_e32 v24, v29, v24
	v_cndmask_b32_e64 v29, 0, v31, s[16:17]
	v_add_u32_e32 v25, v29, v25
	ds_write_b64 v28, v[24:25] offset:4112
.LBB729_89:
	s_or_b64 exec, exec, s[20:21]
	v_cmp_lt_u32_e64 s[16:17], 63, v0
	v_mov_b32_e32 v29, 0
	v_mov_b32_e32 v24, 0
	s_waitcnt vmcnt(0)
	v_mov_b32_e32 v25, v26
	s_waitcnt lgkmcnt(0)
	s_barrier
	s_and_saveexec_b64 s[18:19], s[16:17]
	s_cbranch_execz .LBB729_91
; %bb.90:
	v_lshlrev_b32_e32 v24, 3, v50
	ds_read_b64 v[24:25], v24 offset:4104
	s_waitcnt lgkmcnt(0)
	v_cmp_eq_u32_e64 s[16:17], 0, v24
	v_cndmask_b32_e64 v28, 0, v26, s[16:17]
	v_add_u32_e32 v25, v28, v25
.LBB729_91:
	s_or_b64 exec, exec, s[18:19]
	v_cmp_eq_u32_e64 s[16:17], 0, v22
	v_add_u32_e32 v28, v24, v22
	v_cndmask_b32_e64 v22, 0, v25, s[16:17]
	v_add_u32_e32 v22, v22, v23
	v_add_u32_e32 v23, -1, v27
	v_and_b32_e32 v30, 64, v27
	v_cmp_lt_i32_e64 s[16:17], v23, v30
	v_cndmask_b32_e64 v23, v23, v27, s[16:17]
	v_lshlrev_b32_e32 v23, 2, v23
	ds_bpermute_b32 v22, v23, v22
	ds_bpermute_b32 v28, v23, v28
	v_cmp_eq_u32_e64 s[16:17], 0, v27
	s_waitcnt lgkmcnt(1)
	v_cndmask_b32_e64 v22, v22, v25, s[16:17]
	s_waitcnt lgkmcnt(0)
	v_cndmask_b32_e64 v23, v28, v24, s[16:17]
	v_cndmask_b32_e64 v47, v22, v26, s[0:1]
	v_cmp_eq_u32_e64 s[16:17], 0, v62
	v_cndmask_b32_e64 v22, 0, v47, s[16:17]
	v_add_u32_e32 v45, v22, v48
	v_cndmask_b32_e64 v22, 0, v45, s[2:3]
	v_add_u32_e32 v43, v22, v48
	;; [unrolled: 2-line block ×5, first 2 shown]
	v_cndmask_b32_e64 v22, 0, v37, s[10:11]
	v_cndmask_b32_e64 v46, v23, 0, s[0:1]
	v_add_u32_e32 v35, v22, v48
	v_add_u32_e32 v44, v46, v62
	v_cndmask_b32_e64 v22, 0, v35, s[12:13]
	v_add_u32_e32 v42, v44, v61
	v_add_u32_e32 v33, v22, v48
	ds_read_b64 v[22:23], v29 offset:4136
	v_add_u32_e32 v40, v42, v60
	v_add_u32_e32 v38, v40, v59
	v_add_u32_e32 v36, v38, v58
	v_cndmask_b32_e64 v24, 0, v33, s[14:15]
	v_add_u32_e32 v34, v36, v57
	v_add_u32_e32 v29, v24, v48
	;; [unrolled: 1-line block ×3, first 2 shown]
	v_cndmask_b32_e32 v24, 0, v29, vcc
	s_waitcnt lgkmcnt(0)
	v_cmp_eq_u32_e32 vcc, 0, v22
	v_add_u32_e32 v28, v32, v55
	v_add_u32_e32 v31, v24, v48
	v_cndmask_b32_e32 v24, 0, v26, vcc
	v_add_u32_e32 v30, v28, v54
	v_add_u32_e32 v26, v24, v23
	s_and_saveexec_b64 s[2:3], s[0:1]
	s_cbranch_execz .LBB729_93
; %bb.92:
	s_add_u32 s4, s24, 0x400
	v_and_b32_e32 v23, 0xff000000, v26
	v_and_b32_e32 v24, 0xff0000, v26
	s_addc_u32 s5, s25, 0
	v_or_b32_e32 v23, v24, v23
	v_and_b32_e32 v24, 0xff00, v26
	v_and_b32_e32 v27, 0xff, v26
	v_mov_b32_e32 v25, 0
	v_or3_b32 v23, v23, v24, v27
	v_mov_b32_e32 v24, 2
	v_pk_mov_b32 v[48:49], s[4:5], s[4:5] op_sel:[0,1]
	;;#ASMSTART
	global_store_dwordx4 v[48:49], v[22:25] off	
s_waitcnt vmcnt(0)
	;;#ASMEND
.LBB729_93:
	s_or_b64 exec, exec, s[2:3]
	v_mov_b32_e32 v24, 0
.LBB729_94:
	s_and_b64 s[2:3], s[26:27], exec
	s_cselect_b32 s3, 0, s23
	s_cselect_b32 s2, 0, s22
	s_cmp_eq_u64 s[2:3], 0
	v_pk_mov_b32 v[48:49], 0, 0
	s_barrier
	s_cbranch_scc1 .LBB729_96
; %bb.95:
	v_mov_b32_e32 v23, 0
	global_load_dwordx2 v[48:49], v23, s[2:3]
.LBB729_96:
	s_waitcnt vmcnt(0)
	v_lshlrev_b64 v[50:51], 3, v[48:49]
	v_mov_b32_e32 v23, s37
	v_add_co_u32_e32 v27, vcc, s36, v50
	v_mov_b32_e32 v25, 0
	v_addc_co_u32_e32 v63, vcc, v23, v51, vcc
	v_lshlrev_b64 v[52:53], 3, v[24:25]
	v_add_co_u32_e32 v23, vcc, v27, v52
	v_addc_co_u32_e32 v25, vcc, v63, v53, vcc
	v_cmp_eq_u32_e32 vcc, 0, v62
	v_cndmask_b32_e64 v27, 1, 2, vcc
	v_cmp_eq_u32_e32 vcc, 0, v61
	v_cndmask_b32_e64 v63, 1, 2, vcc
	v_cmp_eq_u32_e32 vcc, 0, v60
	v_and_b32_e32 v27, v63, v27
	v_cndmask_b32_e64 v63, 1, 2, vcc
	v_cmp_eq_u32_e32 vcc, 0, v59
	v_and_b32_e32 v27, v27, v63
	;; [unrolled: 3-line block ×8, first 2 shown]
	v_cndmask_b32_e64 v63, 1, 2, vcc
	s_movk_i32 s22, 0x100
	v_and_b32_e32 v27, v27, v63
	v_cmp_gt_u32_e32 vcc, s22, v22
	v_cmp_ne_u32_e64 s[20:21], 0, v62
	v_cmp_ne_u32_e64 s[18:19], 0, v61
	;; [unrolled: 1-line block ×10, first 2 shown]
	s_mov_b64 s[24:25], -1
	v_cmp_gt_i16_e64 s[22:23], 2, v27
	s_cbranch_vccz .LBB729_103
; %bb.97:
	s_and_saveexec_b64 s[24:25], s[22:23]
	s_cbranch_execz .LBB729_102
; %bb.98:
	v_cmp_ne_u16_e32 vcc, 1, v27
	s_mov_b64 s[26:27], 0
	s_and_saveexec_b64 s[22:23], vcc
	s_xor_b64 s[22:23], exec, s[22:23]
	s_cbranch_execnz .LBB729_135
; %bb.99:
	s_andn2_saveexec_b64 s[22:23], s[22:23]
	s_cbranch_execnz .LBB729_146
.LBB729_100:
	s_or_b64 exec, exec, s[22:23]
	s_and_b64 exec, exec, s[26:27]
	s_cbranch_execz .LBB729_102
.LBB729_101:
	v_sub_u32_e32 v64, v30, v24
	v_mov_b32_e32 v65, 0
	v_lshlrev_b64 v[64:65], 3, v[64:65]
	v_add_co_u32_e32 v64, vcc, v23, v64
	v_addc_co_u32_e32 v65, vcc, v25, v65, vcc
	global_store_dwordx2 v[64:65], v[8:9], off
.LBB729_102:
	s_or_b64 exec, exec, s[24:25]
	s_mov_b64 s[24:25], 0
.LBB729_103:
	s_and_b64 vcc, exec, s[24:25]
	s_cbranch_vccz .LBB729_113
; %bb.104:
	v_cmp_gt_i16_e32 vcc, 2, v27
	s_and_saveexec_b64 s[22:23], vcc
	s_cbranch_execz .LBB729_109
; %bb.105:
	v_cmp_ne_u16_e32 vcc, 1, v27
	s_mov_b64 s[26:27], 0
	s_and_saveexec_b64 s[24:25], vcc
	s_xor_b64 s[24:25], exec, s[24:25]
	s_cbranch_execnz .LBB729_147
; %bb.106:
	s_andn2_saveexec_b64 s[2:3], s[24:25]
	s_cbranch_execnz .LBB729_158
.LBB729_107:
	s_or_b64 exec, exec, s[2:3]
	s_and_b64 exec, exec, s[26:27]
	s_cbranch_execz .LBB729_109
.LBB729_108:
	v_sub_u32_e32 v2, v30, v24
	v_lshlrev_b32_e32 v2, 3, v2
	ds_write_b64 v2, v[8:9]
.LBB729_109:
	s_or_b64 exec, exec, s[22:23]
	v_cmp_lt_u32_e32 vcc, v0, v22
	s_waitcnt lgkmcnt(0)
	s_barrier
	s_and_saveexec_b64 s[2:3], vcc
	s_cbranch_execz .LBB729_112
; %bb.110:
	v_lshlrev_b32_e32 v4, 3, v0
	s_mov_b64 s[4:5], 0
	v_mov_b32_e32 v3, 0
	v_mov_b32_e32 v2, v0
.LBB729_111:                            ; =>This Inner Loop Header: Depth=1
	ds_read_b64 v[6:7], v4
	v_lshlrev_b64 v[8:9], 3, v[2:3]
	v_add_co_u32_e32 v8, vcc, v23, v8
	v_add_u32_e32 v2, 0x100, v2
	v_addc_co_u32_e32 v9, vcc, v25, v9, vcc
	v_cmp_ge_u32_e32 vcc, v2, v22
	v_add_u32_e32 v4, 0x800, v4
	s_or_b64 s[4:5], vcc, s[4:5]
	s_waitcnt lgkmcnt(0)
	global_store_dwordx2 v[8:9], v[6:7], off
	s_andn2_b64 exec, exec, s[4:5]
	s_cbranch_execnz .LBB729_111
.LBB729_112:
	s_or_b64 exec, exec, s[2:3]
.LBB729_113:
	s_cmpk_lg_i32 s33, 0xa00
	s_cselect_b64 s[2:3], -1, 0
	v_cndmask_b32_e64 v2, 0, 1, s[30:31]
	s_and_b64 s[2:3], s[2:3], s[28:29]
	v_sub_u32_e32 v3, v22, v2
	v_cndmask_b32_e64 v4, 0, 1, s[2:3]
	s_and_b64 s[0:1], s[0:1], s[30:31]
	v_add_u32_e32 v4, v3, v4
	v_cndmask_b32_e64 v3, v62, 0, s[0:1]
	s_mul_hi_u32 s0, s33, 0xcccccccd
	s_lshr_b32 s0, s0, 3
	v_mad_i32_i24 v5, v0, -10, s33
	v_cmp_eq_u32_e32 vcc, s0, v0
	v_cmp_ne_u32_e64 s[0:1], 0, v5
	v_cndmask_b32_e64 v6, 1, v3, s[0:1]
	v_cmp_ne_u32_e64 s[0:1], 1, v5
	v_cndmask_b32_e64 v7, 1, v61, s[0:1]
	;; [unrolled: 2-line block ×10, first 2 shown]
	s_and_b64 vcc, vcc, s[28:29]
	v_cndmask_b32_e32 v15, v1, v5, vcc
	v_cndmask_b32_e32 v14, v54, v14, vcc
	;; [unrolled: 1-line block ×10, first 2 shown]
	v_mov_b32_e32 v1, s39
	v_add_co_u32_e32 v5, vcc, s38, v50
	v_addc_co_u32_e32 v6, vcc, v1, v51, vcc
	v_add_co_u32_e32 v1, vcc, v5, v52
	v_addc_co_u32_e32 v5, vcc, v6, v53, vcc
	v_lshlrev_b32_e32 v6, 3, v2
	v_add_co_u32_e32 v6, vcc, v6, v1
	v_addc_co_u32_e32 v7, vcc, 0, v5, vcc
	v_add_co_u32_e32 v6, vcc, -8, v6
	v_addc_co_u32_e32 v7, vcc, -1, v7, vcc
	v_cmp_eq_u32_e32 vcc, 0, v3
	v_cmp_ne_u32_e64 s[18:19], 0, v3
	v_cndmask_b32_e64 v3, 1, 2, vcc
	v_cmp_eq_u32_e32 vcc, 0, v16
	v_cmp_ne_u32_e64 s[16:17], 0, v16
	v_cndmask_b32_e64 v16, 1, 2, vcc
	v_cmp_eq_u32_e32 vcc, 0, v8
	v_and_b32_e32 v3, v16, v3
	v_cmp_ne_u32_e64 s[14:15], 0, v8
	v_cndmask_b32_e64 v8, 1, 2, vcc
	v_cmp_eq_u32_e32 vcc, 0, v9
	v_and_b32_e32 v3, v3, v8
	v_cndmask_b32_e64 v8, 1, 2, vcc
	v_cmp_eq_u32_e32 vcc, 0, v10
	v_and_b32_e32 v3, v3, v8
	;; [unrolled: 3-line block ×7, first 2 shown]
	v_cndmask_b32_e64 v8, 1, 2, vcc
	s_movk_i32 s20, 0x100
	v_and_b32_e32 v3, v3, v8
	v_cmp_gt_u32_e32 vcc, s20, v4
	v_add_u32_e32 v2, v24, v2
	v_cmp_ne_u32_e64 s[12:13], 0, v9
	v_cmp_ne_u32_e64 s[10:11], 0, v10
	;; [unrolled: 1-line block ×7, first 2 shown]
	s_mov_b64 s[22:23], -1
	v_cmp_gt_i16_e64 s[20:21], 2, v3
	s_barrier
	s_cbranch_vccz .LBB729_120
; %bb.114:
	s_and_saveexec_b64 s[22:23], s[20:21]
	s_cbranch_execz .LBB729_119
; %bb.115:
	v_cmp_ne_u16_e32 vcc, 1, v3
	s_mov_b64 s[24:25], 0
	s_and_saveexec_b64 s[20:21], vcc
	s_xor_b64 s[20:21], exec, s[20:21]
	s_cbranch_execnz .LBB729_159
; %bb.116:
	s_andn2_saveexec_b64 s[20:21], s[20:21]
	s_cbranch_execnz .LBB729_170
.LBB729_117:
	s_or_b64 exec, exec, s[20:21]
	s_and_b64 exec, exec, s[24:25]
	s_cbranch_execz .LBB729_119
.LBB729_118:
	v_mov_b32_e32 v9, 0
	v_sub_u32_e32 v10, v30, v2
	v_mov_b32_e32 v11, v9
	v_lshlrev_b64 v[10:11], 3, v[10:11]
	v_add_co_u32_e32 v10, vcc, v6, v10
	v_mov_b32_e32 v8, v31
	v_addc_co_u32_e32 v11, vcc, v7, v11, vcc
	global_store_dwordx2 v[10:11], v[8:9], off
.LBB729_119:
	s_or_b64 exec, exec, s[22:23]
	s_mov_b64 s[22:23], 0
.LBB729_120:
	s_and_b64 vcc, exec, s[22:23]
	s_cbranch_vccz .LBB729_130
; %bb.121:
	v_cmp_gt_i16_e32 vcc, 2, v3
	s_and_saveexec_b64 s[20:21], vcc
	s_cbranch_execz .LBB729_126
; %bb.122:
	v_cmp_ne_u16_e32 vcc, 1, v3
	s_mov_b64 s[24:25], 0
	s_and_saveexec_b64 s[22:23], vcc
	s_xor_b64 s[22:23], exec, s[22:23]
	s_cbranch_execnz .LBB729_171
; %bb.123:
	s_andn2_saveexec_b64 s[0:1], s[22:23]
	s_cbranch_execnz .LBB729_182
.LBB729_124:
	s_or_b64 exec, exec, s[0:1]
	s_and_b64 exec, exec, s[24:25]
	s_cbranch_execz .LBB729_126
.LBB729_125:
	v_sub_u32_e32 v2, v30, v2
	v_lshlrev_b32_e32 v2, 2, v2
	ds_write_b32 v2, v31
.LBB729_126:
	s_or_b64 exec, exec, s[20:21]
	v_cmp_lt_u32_e32 vcc, v0, v4
	s_waitcnt lgkmcnt(0)
	s_barrier
	s_and_saveexec_b64 s[0:1], vcc
	s_cbranch_execz .LBB729_129
; %bb.127:
	v_lshlrev_b32_e32 v8, 2, v0
	s_mov_b64 s[2:3], 0
	v_mov_b32_e32 v3, 0
	v_mov_b32_e32 v2, v0
.LBB729_128:                            ; =>This Inner Loop Header: Depth=1
	ds_read_b32 v10, v8
	v_lshlrev_b64 v[12:13], 3, v[2:3]
	v_add_co_u32_e32 v12, vcc, v6, v12
	v_add_u32_e32 v2, 0x100, v2
	v_addc_co_u32_e32 v13, vcc, v7, v13, vcc
	v_cmp_ge_u32_e32 vcc, v2, v4
	v_mov_b32_e32 v11, v3
	v_add_u32_e32 v8, 0x400, v8
	s_or_b64 s[2:3], vcc, s[2:3]
	s_waitcnt lgkmcnt(0)
	global_store_dwordx2 v[12:13], v[10:11], off
	s_andn2_b64 exec, exec, s[2:3]
	s_cbranch_execnz .LBB729_128
.LBB729_129:
	s_or_b64 exec, exec, s[0:1]
.LBB729_130:
	s_movk_i32 s0, 0xff
	v_cmp_eq_u32_e32 vcc, s0, v0
	s_and_b64 s[0:1], vcc, s[28:29]
	s_and_saveexec_b64 s[2:3], s[0:1]
	s_cbranch_execz .LBB729_133
; %bb.131:
	v_add_co_u32_e32 v0, vcc, v22, v24
	v_addc_co_u32_e64 v3, s[0:1], 0, 0, vcc
	v_add_co_u32_e32 v2, vcc, v0, v48
	v_mov_b32_e32 v23, 0
	v_addc_co_u32_e32 v3, vcc, v3, v49, vcc
	s_cmpk_lg_i32 s33, 0xa00
	global_store_dwordx2 v23, v[2:3], s[34:35]
	s_cbranch_scc1 .LBB729_133
; %bb.132:
	v_lshlrev_b64 v[2:3], 3, v[22:23]
	v_add_co_u32_e32 v0, vcc, v1, v2
	v_mov_b32_e32 v27, v23
	v_addc_co_u32_e32 v1, vcc, v5, v3, vcc
	global_store_dwordx2 v[0:1], v[26:27], off offset:-8
.LBB729_133:
	s_endpgm
.LBB729_134:
	s_or_b64 exec, exec, s[10:11]
	v_mov_b32_e32 v62, s12
	s_and_saveexec_b64 s[2:3], s[6:7]
	s_cbranch_execnz .LBB729_50
	s_branch .LBB729_51
.LBB729_135:
	s_and_saveexec_b64 s[26:27], s[20:21]
	s_cbranch_execnz .LBB729_183
; %bb.136:
	s_or_b64 exec, exec, s[26:27]
	s_and_saveexec_b64 s[26:27], s[18:19]
	s_cbranch_execnz .LBB729_184
.LBB729_137:
	s_or_b64 exec, exec, s[26:27]
	s_and_saveexec_b64 s[26:27], s[16:17]
	s_cbranch_execnz .LBB729_185
.LBB729_138:
	s_or_b64 exec, exec, s[26:27]
	s_and_saveexec_b64 s[26:27], s[14:15]
	s_cbranch_execnz .LBB729_186
.LBB729_139:
	s_or_b64 exec, exec, s[26:27]
	s_and_saveexec_b64 s[26:27], s[12:13]
	s_cbranch_execnz .LBB729_187
.LBB729_140:
	s_or_b64 exec, exec, s[26:27]
	s_and_saveexec_b64 s[26:27], s[10:11]
	s_cbranch_execnz .LBB729_188
.LBB729_141:
	s_or_b64 exec, exec, s[26:27]
	s_and_saveexec_b64 s[26:27], s[8:9]
	s_cbranch_execnz .LBB729_189
.LBB729_142:
	s_or_b64 exec, exec, s[26:27]
	s_and_saveexec_b64 s[26:27], s[6:7]
	s_cbranch_execnz .LBB729_190
.LBB729_143:
	s_or_b64 exec, exec, s[26:27]
	s_and_saveexec_b64 s[26:27], s[4:5]
	s_cbranch_execz .LBB729_145
.LBB729_144:
	v_sub_u32_e32 v64, v28, v24
	v_mov_b32_e32 v65, 0
	v_lshlrev_b64 v[64:65], 3, v[64:65]
	v_add_co_u32_e32 v64, vcc, v23, v64
	v_addc_co_u32_e32 v65, vcc, v25, v65, vcc
	global_store_dwordx2 v[64:65], v[6:7], off
.LBB729_145:
	s_or_b64 exec, exec, s[26:27]
	s_and_b64 s[26:27], s[2:3], exec
	s_andn2_saveexec_b64 s[22:23], s[22:23]
	s_cbranch_execz .LBB729_100
.LBB729_146:
	v_sub_u32_e32 v64, v46, v24
	v_mov_b32_e32 v65, 0
	v_lshlrev_b64 v[66:67], 3, v[64:65]
	v_add_co_u32_e32 v66, vcc, v23, v66
	v_addc_co_u32_e32 v67, vcc, v25, v67, vcc
	v_sub_u32_e32 v64, v44, v24
	global_store_dwordx2 v[66:67], v[18:19], off
	v_lshlrev_b64 v[66:67], 3, v[64:65]
	v_add_co_u32_e32 v66, vcc, v23, v66
	v_addc_co_u32_e32 v67, vcc, v25, v67, vcc
	v_sub_u32_e32 v64, v42, v24
	global_store_dwordx2 v[66:67], v[20:21], off
	;; [unrolled: 5-line block ×7, first 2 shown]
	v_lshlrev_b64 v[66:67], 3, v[64:65]
	v_add_co_u32_e32 v66, vcc, v23, v66
	v_sub_u32_e32 v64, v28, v24
	v_addc_co_u32_e32 v67, vcc, v25, v67, vcc
	v_lshlrev_b64 v[64:65], 3, v[64:65]
	v_add_co_u32_e32 v64, vcc, v23, v64
	v_addc_co_u32_e32 v65, vcc, v25, v65, vcc
	s_or_b64 s[26:27], s[26:27], exec
	global_store_dwordx2 v[66:67], v[4:5], off
	global_store_dwordx2 v[64:65], v[6:7], off
	s_or_b64 exec, exec, s[22:23]
	s_and_b64 exec, exec, s[26:27]
	s_cbranch_execnz .LBB729_101
	s_branch .LBB729_102
.LBB729_147:
	s_and_saveexec_b64 s[26:27], s[20:21]
	s_cbranch_execnz .LBB729_191
; %bb.148:
	s_or_b64 exec, exec, s[26:27]
	s_and_saveexec_b64 s[20:21], s[18:19]
	s_cbranch_execnz .LBB729_192
.LBB729_149:
	s_or_b64 exec, exec, s[20:21]
	s_and_saveexec_b64 s[18:19], s[16:17]
	s_cbranch_execnz .LBB729_193
.LBB729_150:
	s_or_b64 exec, exec, s[18:19]
	s_and_saveexec_b64 s[16:17], s[14:15]
	s_cbranch_execnz .LBB729_194
.LBB729_151:
	s_or_b64 exec, exec, s[16:17]
	s_and_saveexec_b64 s[14:15], s[12:13]
	s_cbranch_execnz .LBB729_195
.LBB729_152:
	s_or_b64 exec, exec, s[14:15]
	s_and_saveexec_b64 s[12:13], s[10:11]
	s_cbranch_execnz .LBB729_196
.LBB729_153:
	s_or_b64 exec, exec, s[12:13]
	s_and_saveexec_b64 s[10:11], s[8:9]
	s_cbranch_execnz .LBB729_197
.LBB729_154:
	s_or_b64 exec, exec, s[10:11]
	s_and_saveexec_b64 s[8:9], s[6:7]
	s_cbranch_execnz .LBB729_198
.LBB729_155:
	s_or_b64 exec, exec, s[8:9]
	s_and_saveexec_b64 s[6:7], s[4:5]
	s_cbranch_execz .LBB729_157
.LBB729_156:
	v_sub_u32_e32 v2, v28, v24
	v_lshlrev_b32_e32 v2, 3, v2
	ds_write_b64 v2, v[6:7]
.LBB729_157:
	s_or_b64 exec, exec, s[6:7]
	s_and_b64 s[26:27], s[2:3], exec
                                        ; implicit-def: $vgpr4_vgpr5
                                        ; implicit-def: $vgpr12_vgpr13
                                        ; implicit-def: $vgpr16_vgpr17
                                        ; implicit-def: $vgpr20_vgpr21
	s_andn2_saveexec_b64 s[2:3], s[24:25]
	s_cbranch_execz .LBB729_107
.LBB729_158:
	v_sub_u32_e32 v27, v46, v24
	v_lshlrev_b32_e32 v27, 3, v27
	ds_write_b64 v27, v[18:19]
	v_sub_u32_e32 v18, v44, v24
	v_lshlrev_b32_e32 v18, 3, v18
	ds_write_b64 v18, v[20:21]
	;; [unrolled: 3-line block ×8, first 2 shown]
	v_sub_u32_e32 v2, v28, v24
	v_lshlrev_b32_e32 v2, 3, v2
	s_or_b64 s[26:27], s[26:27], exec
	ds_write_b64 v2, v[6:7]
	s_or_b64 exec, exec, s[2:3]
	s_and_b64 exec, exec, s[26:27]
	s_cbranch_execnz .LBB729_108
	s_branch .LBB729_109
.LBB729_159:
	s_and_saveexec_b64 s[24:25], s[18:19]
	s_cbranch_execnz .LBB729_199
; %bb.160:
	s_or_b64 exec, exec, s[24:25]
	s_and_saveexec_b64 s[24:25], s[16:17]
	s_cbranch_execnz .LBB729_200
.LBB729_161:
	s_or_b64 exec, exec, s[24:25]
	s_and_saveexec_b64 s[24:25], s[14:15]
	s_cbranch_execnz .LBB729_201
.LBB729_162:
	s_or_b64 exec, exec, s[24:25]
	s_and_saveexec_b64 s[24:25], s[12:13]
	s_cbranch_execnz .LBB729_202
.LBB729_163:
	s_or_b64 exec, exec, s[24:25]
	s_and_saveexec_b64 s[24:25], s[10:11]
	s_cbranch_execnz .LBB729_203
.LBB729_164:
	s_or_b64 exec, exec, s[24:25]
	s_and_saveexec_b64 s[24:25], s[8:9]
	s_cbranch_execnz .LBB729_204
.LBB729_165:
	s_or_b64 exec, exec, s[24:25]
	s_and_saveexec_b64 s[24:25], s[6:7]
	s_cbranch_execnz .LBB729_205
.LBB729_166:
	s_or_b64 exec, exec, s[24:25]
	s_and_saveexec_b64 s[24:25], s[4:5]
	s_cbranch_execnz .LBB729_206
.LBB729_167:
	s_or_b64 exec, exec, s[24:25]
	s_and_saveexec_b64 s[24:25], s[2:3]
	s_cbranch_execz .LBB729_169
.LBB729_168:
	v_sub_u32_e32 v8, v28, v2
	v_mov_b32_e32 v9, 0
	v_lshlrev_b64 v[10:11], 3, v[8:9]
	v_add_co_u32_e32 v10, vcc, v6, v10
	v_addc_co_u32_e32 v11, vcc, v7, v11, vcc
	v_mov_b32_e32 v8, v29
	global_store_dwordx2 v[10:11], v[8:9], off
.LBB729_169:
	s_or_b64 exec, exec, s[24:25]
	s_and_b64 s[24:25], s[0:1], exec
	s_andn2_saveexec_b64 s[20:21], s[20:21]
	s_cbranch_execz .LBB729_117
.LBB729_170:
	v_mov_b32_e32 v9, 0
	v_sub_u32_e32 v10, v46, v2
	v_mov_b32_e32 v11, v9
	v_lshlrev_b64 v[10:11], 3, v[10:11]
	v_add_co_u32_e32 v10, vcc, v6, v10
	v_mov_b32_e32 v8, v47
	v_addc_co_u32_e32 v11, vcc, v7, v11, vcc
	global_store_dwordx2 v[10:11], v[8:9], off
	v_sub_u32_e32 v10, v44, v2
	v_mov_b32_e32 v11, v9
	v_lshlrev_b64 v[10:11], 3, v[10:11]
	v_add_co_u32_e32 v10, vcc, v6, v10
	v_mov_b32_e32 v8, v45
	v_addc_co_u32_e32 v11, vcc, v7, v11, vcc
	global_store_dwordx2 v[10:11], v[8:9], off
	v_sub_u32_e32 v10, v42, v2
	v_mov_b32_e32 v11, v9
	v_lshlrev_b64 v[10:11], 3, v[10:11]
	v_add_co_u32_e32 v10, vcc, v6, v10
	v_mov_b32_e32 v8, v43
	v_addc_co_u32_e32 v11, vcc, v7, v11, vcc
	global_store_dwordx2 v[10:11], v[8:9], off
	v_sub_u32_e32 v10, v40, v2
	v_mov_b32_e32 v11, v9
	v_lshlrev_b64 v[10:11], 3, v[10:11]
	v_add_co_u32_e32 v10, vcc, v6, v10
	v_mov_b32_e32 v8, v41
	v_addc_co_u32_e32 v11, vcc, v7, v11, vcc
	global_store_dwordx2 v[10:11], v[8:9], off
	v_sub_u32_e32 v10, v38, v2
	v_mov_b32_e32 v11, v9
	v_lshlrev_b64 v[10:11], 3, v[10:11]
	v_add_co_u32_e32 v10, vcc, v6, v10
	v_mov_b32_e32 v8, v39
	v_addc_co_u32_e32 v11, vcc, v7, v11, vcc
	global_store_dwordx2 v[10:11], v[8:9], off
	v_sub_u32_e32 v10, v36, v2
	v_mov_b32_e32 v11, v9
	v_lshlrev_b64 v[10:11], 3, v[10:11]
	v_add_co_u32_e32 v10, vcc, v6, v10
	v_mov_b32_e32 v8, v37
	v_addc_co_u32_e32 v11, vcc, v7, v11, vcc
	global_store_dwordx2 v[10:11], v[8:9], off
	v_sub_u32_e32 v10, v34, v2
	v_mov_b32_e32 v11, v9
	v_lshlrev_b64 v[10:11], 3, v[10:11]
	v_add_co_u32_e32 v10, vcc, v6, v10
	v_mov_b32_e32 v8, v35
	v_addc_co_u32_e32 v11, vcc, v7, v11, vcc
	global_store_dwordx2 v[10:11], v[8:9], off
	v_sub_u32_e32 v10, v32, v2
	v_mov_b32_e32 v11, v9
	v_lshlrev_b64 v[10:11], 3, v[10:11]
	v_add_co_u32_e32 v10, vcc, v6, v10
	v_mov_b32_e32 v8, v33
	v_addc_co_u32_e32 v11, vcc, v7, v11, vcc
	global_store_dwordx2 v[10:11], v[8:9], off
	v_sub_u32_e32 v10, v28, v2
	v_mov_b32_e32 v11, v9
	v_lshlrev_b64 v[10:11], 3, v[10:11]
	v_add_co_u32_e32 v10, vcc, v6, v10
	v_mov_b32_e32 v8, v29
	v_addc_co_u32_e32 v11, vcc, v7, v11, vcc
	s_or_b64 s[24:25], s[24:25], exec
	global_store_dwordx2 v[10:11], v[8:9], off
	s_or_b64 exec, exec, s[20:21]
	s_and_b64 exec, exec, s[24:25]
	s_cbranch_execnz .LBB729_118
	s_branch .LBB729_119
.LBB729_171:
	s_and_saveexec_b64 s[24:25], s[18:19]
	s_cbranch_execnz .LBB729_207
; %bb.172:
	s_or_b64 exec, exec, s[24:25]
	s_and_saveexec_b64 s[18:19], s[16:17]
	s_cbranch_execnz .LBB729_208
.LBB729_173:
	s_or_b64 exec, exec, s[18:19]
	s_and_saveexec_b64 s[16:17], s[14:15]
	s_cbranch_execnz .LBB729_209
.LBB729_174:
	s_or_b64 exec, exec, s[16:17]
	s_and_saveexec_b64 s[14:15], s[12:13]
	s_cbranch_execnz .LBB729_210
.LBB729_175:
	s_or_b64 exec, exec, s[14:15]
	s_and_saveexec_b64 s[12:13], s[10:11]
	s_cbranch_execnz .LBB729_211
.LBB729_176:
	s_or_b64 exec, exec, s[12:13]
	s_and_saveexec_b64 s[10:11], s[8:9]
	s_cbranch_execnz .LBB729_212
.LBB729_177:
	s_or_b64 exec, exec, s[10:11]
	s_and_saveexec_b64 s[8:9], s[6:7]
	s_cbranch_execnz .LBB729_213
.LBB729_178:
	s_or_b64 exec, exec, s[8:9]
	s_and_saveexec_b64 s[6:7], s[4:5]
	s_cbranch_execnz .LBB729_214
.LBB729_179:
	s_or_b64 exec, exec, s[6:7]
	s_and_saveexec_b64 s[4:5], s[2:3]
	s_cbranch_execz .LBB729_181
.LBB729_180:
	v_sub_u32_e32 v3, v28, v2
	v_lshlrev_b32_e32 v3, 2, v3
	ds_write_b32 v3, v29
.LBB729_181:
	s_or_b64 exec, exec, s[4:5]
	s_and_b64 s[24:25], s[0:1], exec
                                        ; implicit-def: $vgpr28_vgpr29
                                        ; implicit-def: $vgpr32_vgpr33
                                        ; implicit-def: $vgpr34_vgpr35
                                        ; implicit-def: $vgpr46_vgpr47
                                        ; implicit-def: $vgpr44_vgpr45
                                        ; implicit-def: $vgpr42_vgpr43
                                        ; implicit-def: $vgpr40_vgpr41
                                        ; implicit-def: $vgpr38_vgpr39
                                        ; implicit-def: $vgpr36_vgpr37
	s_andn2_saveexec_b64 s[0:1], s[22:23]
	s_cbranch_execz .LBB729_124
.LBB729_182:
	v_sub_u32_e32 v3, v46, v2
	v_lshlrev_b32_e32 v3, 2, v3
	ds_write_b32 v3, v47
	v_sub_u32_e32 v3, v44, v2
	v_lshlrev_b32_e32 v3, 2, v3
	ds_write_b32 v3, v45
	;; [unrolled: 3-line block ×8, first 2 shown]
	v_sub_u32_e32 v3, v28, v2
	v_lshlrev_b32_e32 v3, 2, v3
	s_or_b64 s[24:25], s[24:25], exec
	ds_write_b32 v3, v29
	s_or_b64 exec, exec, s[0:1]
	s_and_b64 exec, exec, s[24:25]
	s_cbranch_execnz .LBB729_125
	s_branch .LBB729_126
.LBB729_183:
	v_sub_u32_e32 v64, v46, v24
	v_mov_b32_e32 v65, 0
	v_lshlrev_b64 v[64:65], 3, v[64:65]
	v_add_co_u32_e32 v64, vcc, v23, v64
	v_addc_co_u32_e32 v65, vcc, v25, v65, vcc
	global_store_dwordx2 v[64:65], v[18:19], off
	s_or_b64 exec, exec, s[26:27]
	s_and_saveexec_b64 s[26:27], s[18:19]
	s_cbranch_execz .LBB729_137
.LBB729_184:
	v_sub_u32_e32 v64, v44, v24
	v_mov_b32_e32 v65, 0
	v_lshlrev_b64 v[64:65], 3, v[64:65]
	v_add_co_u32_e32 v64, vcc, v23, v64
	v_addc_co_u32_e32 v65, vcc, v25, v65, vcc
	global_store_dwordx2 v[64:65], v[20:21], off
	s_or_b64 exec, exec, s[26:27]
	s_and_saveexec_b64 s[26:27], s[16:17]
	s_cbranch_execz .LBB729_138
.LBB729_185:
	v_sub_u32_e32 v64, v42, v24
	v_mov_b32_e32 v65, 0
	v_lshlrev_b64 v[64:65], 3, v[64:65]
	v_add_co_u32_e32 v64, vcc, v23, v64
	v_addc_co_u32_e32 v65, vcc, v25, v65, vcc
	global_store_dwordx2 v[64:65], v[14:15], off
	s_or_b64 exec, exec, s[26:27]
	s_and_saveexec_b64 s[26:27], s[14:15]
	s_cbranch_execz .LBB729_139
.LBB729_186:
	v_sub_u32_e32 v64, v40, v24
	v_mov_b32_e32 v65, 0
	v_lshlrev_b64 v[64:65], 3, v[64:65]
	v_add_co_u32_e32 v64, vcc, v23, v64
	v_addc_co_u32_e32 v65, vcc, v25, v65, vcc
	global_store_dwordx2 v[64:65], v[16:17], off
	s_or_b64 exec, exec, s[26:27]
	s_and_saveexec_b64 s[26:27], s[12:13]
	s_cbranch_execz .LBB729_140
.LBB729_187:
	v_sub_u32_e32 v64, v38, v24
	v_mov_b32_e32 v65, 0
	v_lshlrev_b64 v[64:65], 3, v[64:65]
	v_add_co_u32_e32 v64, vcc, v23, v64
	v_addc_co_u32_e32 v65, vcc, v25, v65, vcc
	global_store_dwordx2 v[64:65], v[10:11], off
	s_or_b64 exec, exec, s[26:27]
	s_and_saveexec_b64 s[26:27], s[10:11]
	s_cbranch_execz .LBB729_141
.LBB729_188:
	v_sub_u32_e32 v64, v36, v24
	v_mov_b32_e32 v65, 0
	v_lshlrev_b64 v[64:65], 3, v[64:65]
	v_add_co_u32_e32 v64, vcc, v23, v64
	v_addc_co_u32_e32 v65, vcc, v25, v65, vcc
	global_store_dwordx2 v[64:65], v[12:13], off
	s_or_b64 exec, exec, s[26:27]
	s_and_saveexec_b64 s[26:27], s[8:9]
	s_cbranch_execz .LBB729_142
.LBB729_189:
	v_sub_u32_e32 v64, v34, v24
	v_mov_b32_e32 v65, 0
	v_lshlrev_b64 v[64:65], 3, v[64:65]
	v_add_co_u32_e32 v64, vcc, v23, v64
	v_addc_co_u32_e32 v65, vcc, v25, v65, vcc
	global_store_dwordx2 v[64:65], v[2:3], off
	s_or_b64 exec, exec, s[26:27]
	s_and_saveexec_b64 s[26:27], s[6:7]
	s_cbranch_execz .LBB729_143
.LBB729_190:
	v_sub_u32_e32 v64, v32, v24
	v_mov_b32_e32 v65, 0
	v_lshlrev_b64 v[64:65], 3, v[64:65]
	v_add_co_u32_e32 v64, vcc, v23, v64
	v_addc_co_u32_e32 v65, vcc, v25, v65, vcc
	global_store_dwordx2 v[64:65], v[4:5], off
	s_or_b64 exec, exec, s[26:27]
	s_and_saveexec_b64 s[26:27], s[4:5]
	s_cbranch_execnz .LBB729_144
	s_branch .LBB729_145
.LBB729_191:
	v_sub_u32_e32 v27, v46, v24
	v_lshlrev_b32_e32 v27, 3, v27
	ds_write_b64 v27, v[18:19]
	s_or_b64 exec, exec, s[26:27]
	s_and_saveexec_b64 s[20:21], s[18:19]
	s_cbranch_execz .LBB729_149
.LBB729_192:
	v_sub_u32_e32 v18, v44, v24
	v_lshlrev_b32_e32 v18, 3, v18
	ds_write_b64 v18, v[20:21]
	s_or_b64 exec, exec, s[20:21]
	s_and_saveexec_b64 s[18:19], s[16:17]
	s_cbranch_execz .LBB729_150
.LBB729_193:
	v_sub_u32_e32 v18, v42, v24
	v_lshlrev_b32_e32 v18, 3, v18
	ds_write_b64 v18, v[14:15]
	s_or_b64 exec, exec, s[18:19]
	s_and_saveexec_b64 s[16:17], s[14:15]
	s_cbranch_execz .LBB729_151
.LBB729_194:
	v_sub_u32_e32 v14, v40, v24
	v_lshlrev_b32_e32 v14, 3, v14
	ds_write_b64 v14, v[16:17]
	s_or_b64 exec, exec, s[16:17]
	s_and_saveexec_b64 s[14:15], s[12:13]
	s_cbranch_execz .LBB729_152
.LBB729_195:
	v_sub_u32_e32 v14, v38, v24
	v_lshlrev_b32_e32 v14, 3, v14
	ds_write_b64 v14, v[10:11]
	s_or_b64 exec, exec, s[14:15]
	s_and_saveexec_b64 s[12:13], s[10:11]
	s_cbranch_execz .LBB729_153
.LBB729_196:
	v_sub_u32_e32 v10, v36, v24
	v_lshlrev_b32_e32 v10, 3, v10
	ds_write_b64 v10, v[12:13]
	s_or_b64 exec, exec, s[12:13]
	s_and_saveexec_b64 s[10:11], s[8:9]
	s_cbranch_execz .LBB729_154
.LBB729_197:
	v_sub_u32_e32 v10, v34, v24
	v_lshlrev_b32_e32 v10, 3, v10
	ds_write_b64 v10, v[2:3]
	s_or_b64 exec, exec, s[10:11]
	s_and_saveexec_b64 s[8:9], s[6:7]
	s_cbranch_execz .LBB729_155
.LBB729_198:
	v_sub_u32_e32 v2, v32, v24
	v_lshlrev_b32_e32 v2, 3, v2
	ds_write_b64 v2, v[4:5]
	s_or_b64 exec, exec, s[8:9]
	s_and_saveexec_b64 s[6:7], s[4:5]
	s_cbranch_execnz .LBB729_156
	s_branch .LBB729_157
.LBB729_199:
	v_sub_u32_e32 v8, v46, v2
	v_mov_b32_e32 v9, 0
	v_lshlrev_b64 v[10:11], 3, v[8:9]
	v_add_co_u32_e32 v10, vcc, v6, v10
	v_addc_co_u32_e32 v11, vcc, v7, v11, vcc
	v_mov_b32_e32 v8, v47
	global_store_dwordx2 v[10:11], v[8:9], off
	s_or_b64 exec, exec, s[24:25]
	s_and_saveexec_b64 s[24:25], s[16:17]
	s_cbranch_execz .LBB729_161
.LBB729_200:
	v_sub_u32_e32 v8, v44, v2
	v_mov_b32_e32 v9, 0
	v_lshlrev_b64 v[10:11], 3, v[8:9]
	v_add_co_u32_e32 v10, vcc, v6, v10
	v_addc_co_u32_e32 v11, vcc, v7, v11, vcc
	v_mov_b32_e32 v8, v45
	global_store_dwordx2 v[10:11], v[8:9], off
	s_or_b64 exec, exec, s[24:25]
	s_and_saveexec_b64 s[24:25], s[14:15]
	s_cbranch_execz .LBB729_162
.LBB729_201:
	v_sub_u32_e32 v8, v42, v2
	v_mov_b32_e32 v9, 0
	v_lshlrev_b64 v[10:11], 3, v[8:9]
	v_add_co_u32_e32 v10, vcc, v6, v10
	v_addc_co_u32_e32 v11, vcc, v7, v11, vcc
	v_mov_b32_e32 v8, v43
	global_store_dwordx2 v[10:11], v[8:9], off
	s_or_b64 exec, exec, s[24:25]
	s_and_saveexec_b64 s[24:25], s[12:13]
	s_cbranch_execz .LBB729_163
.LBB729_202:
	v_sub_u32_e32 v8, v40, v2
	v_mov_b32_e32 v9, 0
	v_lshlrev_b64 v[10:11], 3, v[8:9]
	v_add_co_u32_e32 v10, vcc, v6, v10
	v_addc_co_u32_e32 v11, vcc, v7, v11, vcc
	v_mov_b32_e32 v8, v41
	global_store_dwordx2 v[10:11], v[8:9], off
	s_or_b64 exec, exec, s[24:25]
	s_and_saveexec_b64 s[24:25], s[10:11]
	s_cbranch_execz .LBB729_164
.LBB729_203:
	v_sub_u32_e32 v8, v38, v2
	v_mov_b32_e32 v9, 0
	v_lshlrev_b64 v[10:11], 3, v[8:9]
	v_add_co_u32_e32 v10, vcc, v6, v10
	v_addc_co_u32_e32 v11, vcc, v7, v11, vcc
	v_mov_b32_e32 v8, v39
	global_store_dwordx2 v[10:11], v[8:9], off
	s_or_b64 exec, exec, s[24:25]
	s_and_saveexec_b64 s[24:25], s[8:9]
	s_cbranch_execz .LBB729_165
.LBB729_204:
	v_sub_u32_e32 v8, v36, v2
	v_mov_b32_e32 v9, 0
	v_lshlrev_b64 v[10:11], 3, v[8:9]
	v_add_co_u32_e32 v10, vcc, v6, v10
	v_addc_co_u32_e32 v11, vcc, v7, v11, vcc
	v_mov_b32_e32 v8, v37
	global_store_dwordx2 v[10:11], v[8:9], off
	s_or_b64 exec, exec, s[24:25]
	s_and_saveexec_b64 s[24:25], s[6:7]
	s_cbranch_execz .LBB729_166
.LBB729_205:
	v_sub_u32_e32 v8, v34, v2
	v_mov_b32_e32 v9, 0
	v_lshlrev_b64 v[10:11], 3, v[8:9]
	v_add_co_u32_e32 v10, vcc, v6, v10
	v_addc_co_u32_e32 v11, vcc, v7, v11, vcc
	v_mov_b32_e32 v8, v35
	global_store_dwordx2 v[10:11], v[8:9], off
	s_or_b64 exec, exec, s[24:25]
	s_and_saveexec_b64 s[24:25], s[4:5]
	s_cbranch_execz .LBB729_167
.LBB729_206:
	v_sub_u32_e32 v8, v32, v2
	v_mov_b32_e32 v9, 0
	v_lshlrev_b64 v[10:11], 3, v[8:9]
	v_add_co_u32_e32 v10, vcc, v6, v10
	v_addc_co_u32_e32 v11, vcc, v7, v11, vcc
	v_mov_b32_e32 v8, v33
	global_store_dwordx2 v[10:11], v[8:9], off
	s_or_b64 exec, exec, s[24:25]
	s_and_saveexec_b64 s[24:25], s[2:3]
	s_cbranch_execnz .LBB729_168
	s_branch .LBB729_169
.LBB729_207:
	v_sub_u32_e32 v3, v46, v2
	v_lshlrev_b32_e32 v3, 2, v3
	ds_write_b32 v3, v47
	s_or_b64 exec, exec, s[24:25]
	s_and_saveexec_b64 s[18:19], s[16:17]
	s_cbranch_execz .LBB729_173
.LBB729_208:
	v_sub_u32_e32 v3, v44, v2
	v_lshlrev_b32_e32 v3, 2, v3
	ds_write_b32 v3, v45
	s_or_b64 exec, exec, s[18:19]
	s_and_saveexec_b64 s[16:17], s[14:15]
	s_cbranch_execz .LBB729_174
.LBB729_209:
	v_sub_u32_e32 v3, v42, v2
	v_lshlrev_b32_e32 v3, 2, v3
	ds_write_b32 v3, v43
	s_or_b64 exec, exec, s[16:17]
	s_and_saveexec_b64 s[14:15], s[12:13]
	s_cbranch_execz .LBB729_175
.LBB729_210:
	v_sub_u32_e32 v3, v40, v2
	v_lshlrev_b32_e32 v3, 2, v3
	ds_write_b32 v3, v41
	s_or_b64 exec, exec, s[14:15]
	s_and_saveexec_b64 s[12:13], s[10:11]
	s_cbranch_execz .LBB729_176
.LBB729_211:
	v_sub_u32_e32 v3, v38, v2
	v_lshlrev_b32_e32 v3, 2, v3
	ds_write_b32 v3, v39
	s_or_b64 exec, exec, s[12:13]
	s_and_saveexec_b64 s[10:11], s[8:9]
	s_cbranch_execz .LBB729_177
.LBB729_212:
	v_sub_u32_e32 v3, v36, v2
	v_lshlrev_b32_e32 v3, 2, v3
	ds_write_b32 v3, v37
	s_or_b64 exec, exec, s[10:11]
	s_and_saveexec_b64 s[8:9], s[6:7]
	s_cbranch_execz .LBB729_178
.LBB729_213:
	v_sub_u32_e32 v3, v34, v2
	v_lshlrev_b32_e32 v3, 2, v3
	ds_write_b32 v3, v35
	s_or_b64 exec, exec, s[8:9]
	s_and_saveexec_b64 s[6:7], s[4:5]
	s_cbranch_execz .LBB729_179
.LBB729_214:
	v_sub_u32_e32 v3, v32, v2
	v_lshlrev_b32_e32 v3, 2, v3
	ds_write_b32 v3, v33
	s_or_b64 exec, exec, s[6:7]
	s_and_saveexec_b64 s[4:5], s[2:3]
	s_cbranch_execnz .LBB729_180
	s_branch .LBB729_181
	.section	.rodata,"a",@progbits
	.p2align	6, 0x0
	.amdhsa_kernel _ZN7rocprim17ROCPRIM_400000_NS6detail17trampoline_kernelINS0_14default_configENS1_33run_length_encode_config_selectorImjNS0_4plusIjEEEEZZNS1_33reduce_by_key_impl_wrapped_configILNS1_25lookback_scan_determinismE0ES3_S7_PKmNS0_17constant_iteratorIjlEEPmPlSF_S6_NS0_8equal_toImEEEE10hipError_tPvRmT2_T3_mT4_T5_T6_T7_T8_P12ihipStream_tbENKUlT_T0_E_clISt17integral_constantIbLb1EESZ_EEDaSU_SV_EUlSU_E_NS1_11comp_targetILNS1_3genE4ELNS1_11target_archE910ELNS1_3gpuE8ELNS1_3repE0EEENS1_30default_config_static_selectorELNS0_4arch9wavefront6targetE1EEEvT1_
		.amdhsa_group_segment_fixed_size 20480
		.amdhsa_private_segment_fixed_size 0
		.amdhsa_kernarg_size 128
		.amdhsa_user_sgpr_count 6
		.amdhsa_user_sgpr_private_segment_buffer 1
		.amdhsa_user_sgpr_dispatch_ptr 0
		.amdhsa_user_sgpr_queue_ptr 0
		.amdhsa_user_sgpr_kernarg_segment_ptr 1
		.amdhsa_user_sgpr_dispatch_id 0
		.amdhsa_user_sgpr_flat_scratch_init 0
		.amdhsa_user_sgpr_kernarg_preload_length 0
		.amdhsa_user_sgpr_kernarg_preload_offset 0
		.amdhsa_user_sgpr_private_segment_size 0
		.amdhsa_uses_dynamic_stack 0
		.amdhsa_system_sgpr_private_segment_wavefront_offset 0
		.amdhsa_system_sgpr_workgroup_id_x 1
		.amdhsa_system_sgpr_workgroup_id_y 0
		.amdhsa_system_sgpr_workgroup_id_z 0
		.amdhsa_system_sgpr_workgroup_info 0
		.amdhsa_system_vgpr_workitem_id 0
		.amdhsa_next_free_vgpr 68
		.amdhsa_next_free_sgpr 56
		.amdhsa_accum_offset 68
		.amdhsa_reserve_vcc 1
		.amdhsa_reserve_flat_scratch 0
		.amdhsa_float_round_mode_32 0
		.amdhsa_float_round_mode_16_64 0
		.amdhsa_float_denorm_mode_32 3
		.amdhsa_float_denorm_mode_16_64 3
		.amdhsa_dx10_clamp 1
		.amdhsa_ieee_mode 1
		.amdhsa_fp16_overflow 0
		.amdhsa_tg_split 0
		.amdhsa_exception_fp_ieee_invalid_op 0
		.amdhsa_exception_fp_denorm_src 0
		.amdhsa_exception_fp_ieee_div_zero 0
		.amdhsa_exception_fp_ieee_overflow 0
		.amdhsa_exception_fp_ieee_underflow 0
		.amdhsa_exception_fp_ieee_inexact 0
		.amdhsa_exception_int_div_zero 0
	.end_amdhsa_kernel
	.section	.text._ZN7rocprim17ROCPRIM_400000_NS6detail17trampoline_kernelINS0_14default_configENS1_33run_length_encode_config_selectorImjNS0_4plusIjEEEEZZNS1_33reduce_by_key_impl_wrapped_configILNS1_25lookback_scan_determinismE0ES3_S7_PKmNS0_17constant_iteratorIjlEEPmPlSF_S6_NS0_8equal_toImEEEE10hipError_tPvRmT2_T3_mT4_T5_T6_T7_T8_P12ihipStream_tbENKUlT_T0_E_clISt17integral_constantIbLb1EESZ_EEDaSU_SV_EUlSU_E_NS1_11comp_targetILNS1_3genE4ELNS1_11target_archE910ELNS1_3gpuE8ELNS1_3repE0EEENS1_30default_config_static_selectorELNS0_4arch9wavefront6targetE1EEEvT1_,"axG",@progbits,_ZN7rocprim17ROCPRIM_400000_NS6detail17trampoline_kernelINS0_14default_configENS1_33run_length_encode_config_selectorImjNS0_4plusIjEEEEZZNS1_33reduce_by_key_impl_wrapped_configILNS1_25lookback_scan_determinismE0ES3_S7_PKmNS0_17constant_iteratorIjlEEPmPlSF_S6_NS0_8equal_toImEEEE10hipError_tPvRmT2_T3_mT4_T5_T6_T7_T8_P12ihipStream_tbENKUlT_T0_E_clISt17integral_constantIbLb1EESZ_EEDaSU_SV_EUlSU_E_NS1_11comp_targetILNS1_3genE4ELNS1_11target_archE910ELNS1_3gpuE8ELNS1_3repE0EEENS1_30default_config_static_selectorELNS0_4arch9wavefront6targetE1EEEvT1_,comdat
.Lfunc_end729:
	.size	_ZN7rocprim17ROCPRIM_400000_NS6detail17trampoline_kernelINS0_14default_configENS1_33run_length_encode_config_selectorImjNS0_4plusIjEEEEZZNS1_33reduce_by_key_impl_wrapped_configILNS1_25lookback_scan_determinismE0ES3_S7_PKmNS0_17constant_iteratorIjlEEPmPlSF_S6_NS0_8equal_toImEEEE10hipError_tPvRmT2_T3_mT4_T5_T6_T7_T8_P12ihipStream_tbENKUlT_T0_E_clISt17integral_constantIbLb1EESZ_EEDaSU_SV_EUlSU_E_NS1_11comp_targetILNS1_3genE4ELNS1_11target_archE910ELNS1_3gpuE8ELNS1_3repE0EEENS1_30default_config_static_selectorELNS0_4arch9wavefront6targetE1EEEvT1_, .Lfunc_end729-_ZN7rocprim17ROCPRIM_400000_NS6detail17trampoline_kernelINS0_14default_configENS1_33run_length_encode_config_selectorImjNS0_4plusIjEEEEZZNS1_33reduce_by_key_impl_wrapped_configILNS1_25lookback_scan_determinismE0ES3_S7_PKmNS0_17constant_iteratorIjlEEPmPlSF_S6_NS0_8equal_toImEEEE10hipError_tPvRmT2_T3_mT4_T5_T6_T7_T8_P12ihipStream_tbENKUlT_T0_E_clISt17integral_constantIbLb1EESZ_EEDaSU_SV_EUlSU_E_NS1_11comp_targetILNS1_3genE4ELNS1_11target_archE910ELNS1_3gpuE8ELNS1_3repE0EEENS1_30default_config_static_selectorELNS0_4arch9wavefront6targetE1EEEvT1_
                                        ; -- End function
	.section	.AMDGPU.csdata,"",@progbits
; Kernel info:
; codeLenInByte = 11188
; NumSgprs: 60
; NumVgprs: 68
; NumAgprs: 0
; TotalNumVgprs: 68
; ScratchSize: 0
; MemoryBound: 0
; FloatMode: 240
; IeeeMode: 1
; LDSByteSize: 20480 bytes/workgroup (compile time only)
; SGPRBlocks: 7
; VGPRBlocks: 8
; NumSGPRsForWavesPerEU: 60
; NumVGPRsForWavesPerEU: 68
; AccumOffset: 68
; Occupancy: 3
; WaveLimiterHint : 1
; COMPUTE_PGM_RSRC2:SCRATCH_EN: 0
; COMPUTE_PGM_RSRC2:USER_SGPR: 6
; COMPUTE_PGM_RSRC2:TRAP_HANDLER: 0
; COMPUTE_PGM_RSRC2:TGID_X_EN: 1
; COMPUTE_PGM_RSRC2:TGID_Y_EN: 0
; COMPUTE_PGM_RSRC2:TGID_Z_EN: 0
; COMPUTE_PGM_RSRC2:TIDIG_COMP_CNT: 0
; COMPUTE_PGM_RSRC3_GFX90A:ACCUM_OFFSET: 16
; COMPUTE_PGM_RSRC3_GFX90A:TG_SPLIT: 0
	.section	.text._ZN7rocprim17ROCPRIM_400000_NS6detail17trampoline_kernelINS0_14default_configENS1_33run_length_encode_config_selectorImjNS0_4plusIjEEEEZZNS1_33reduce_by_key_impl_wrapped_configILNS1_25lookback_scan_determinismE0ES3_S7_PKmNS0_17constant_iteratorIjlEEPmPlSF_S6_NS0_8equal_toImEEEE10hipError_tPvRmT2_T3_mT4_T5_T6_T7_T8_P12ihipStream_tbENKUlT_T0_E_clISt17integral_constantIbLb1EESZ_EEDaSU_SV_EUlSU_E_NS1_11comp_targetILNS1_3genE3ELNS1_11target_archE908ELNS1_3gpuE7ELNS1_3repE0EEENS1_30default_config_static_selectorELNS0_4arch9wavefront6targetE1EEEvT1_,"axG",@progbits,_ZN7rocprim17ROCPRIM_400000_NS6detail17trampoline_kernelINS0_14default_configENS1_33run_length_encode_config_selectorImjNS0_4plusIjEEEEZZNS1_33reduce_by_key_impl_wrapped_configILNS1_25lookback_scan_determinismE0ES3_S7_PKmNS0_17constant_iteratorIjlEEPmPlSF_S6_NS0_8equal_toImEEEE10hipError_tPvRmT2_T3_mT4_T5_T6_T7_T8_P12ihipStream_tbENKUlT_T0_E_clISt17integral_constantIbLb1EESZ_EEDaSU_SV_EUlSU_E_NS1_11comp_targetILNS1_3genE3ELNS1_11target_archE908ELNS1_3gpuE7ELNS1_3repE0EEENS1_30default_config_static_selectorELNS0_4arch9wavefront6targetE1EEEvT1_,comdat
	.protected	_ZN7rocprim17ROCPRIM_400000_NS6detail17trampoline_kernelINS0_14default_configENS1_33run_length_encode_config_selectorImjNS0_4plusIjEEEEZZNS1_33reduce_by_key_impl_wrapped_configILNS1_25lookback_scan_determinismE0ES3_S7_PKmNS0_17constant_iteratorIjlEEPmPlSF_S6_NS0_8equal_toImEEEE10hipError_tPvRmT2_T3_mT4_T5_T6_T7_T8_P12ihipStream_tbENKUlT_T0_E_clISt17integral_constantIbLb1EESZ_EEDaSU_SV_EUlSU_E_NS1_11comp_targetILNS1_3genE3ELNS1_11target_archE908ELNS1_3gpuE7ELNS1_3repE0EEENS1_30default_config_static_selectorELNS0_4arch9wavefront6targetE1EEEvT1_ ; -- Begin function _ZN7rocprim17ROCPRIM_400000_NS6detail17trampoline_kernelINS0_14default_configENS1_33run_length_encode_config_selectorImjNS0_4plusIjEEEEZZNS1_33reduce_by_key_impl_wrapped_configILNS1_25lookback_scan_determinismE0ES3_S7_PKmNS0_17constant_iteratorIjlEEPmPlSF_S6_NS0_8equal_toImEEEE10hipError_tPvRmT2_T3_mT4_T5_T6_T7_T8_P12ihipStream_tbENKUlT_T0_E_clISt17integral_constantIbLb1EESZ_EEDaSU_SV_EUlSU_E_NS1_11comp_targetILNS1_3genE3ELNS1_11target_archE908ELNS1_3gpuE7ELNS1_3repE0EEENS1_30default_config_static_selectorELNS0_4arch9wavefront6targetE1EEEvT1_
	.globl	_ZN7rocprim17ROCPRIM_400000_NS6detail17trampoline_kernelINS0_14default_configENS1_33run_length_encode_config_selectorImjNS0_4plusIjEEEEZZNS1_33reduce_by_key_impl_wrapped_configILNS1_25lookback_scan_determinismE0ES3_S7_PKmNS0_17constant_iteratorIjlEEPmPlSF_S6_NS0_8equal_toImEEEE10hipError_tPvRmT2_T3_mT4_T5_T6_T7_T8_P12ihipStream_tbENKUlT_T0_E_clISt17integral_constantIbLb1EESZ_EEDaSU_SV_EUlSU_E_NS1_11comp_targetILNS1_3genE3ELNS1_11target_archE908ELNS1_3gpuE7ELNS1_3repE0EEENS1_30default_config_static_selectorELNS0_4arch9wavefront6targetE1EEEvT1_
	.p2align	8
	.type	_ZN7rocprim17ROCPRIM_400000_NS6detail17trampoline_kernelINS0_14default_configENS1_33run_length_encode_config_selectorImjNS0_4plusIjEEEEZZNS1_33reduce_by_key_impl_wrapped_configILNS1_25lookback_scan_determinismE0ES3_S7_PKmNS0_17constant_iteratorIjlEEPmPlSF_S6_NS0_8equal_toImEEEE10hipError_tPvRmT2_T3_mT4_T5_T6_T7_T8_P12ihipStream_tbENKUlT_T0_E_clISt17integral_constantIbLb1EESZ_EEDaSU_SV_EUlSU_E_NS1_11comp_targetILNS1_3genE3ELNS1_11target_archE908ELNS1_3gpuE7ELNS1_3repE0EEENS1_30default_config_static_selectorELNS0_4arch9wavefront6targetE1EEEvT1_,@function
_ZN7rocprim17ROCPRIM_400000_NS6detail17trampoline_kernelINS0_14default_configENS1_33run_length_encode_config_selectorImjNS0_4plusIjEEEEZZNS1_33reduce_by_key_impl_wrapped_configILNS1_25lookback_scan_determinismE0ES3_S7_PKmNS0_17constant_iteratorIjlEEPmPlSF_S6_NS0_8equal_toImEEEE10hipError_tPvRmT2_T3_mT4_T5_T6_T7_T8_P12ihipStream_tbENKUlT_T0_E_clISt17integral_constantIbLb1EESZ_EEDaSU_SV_EUlSU_E_NS1_11comp_targetILNS1_3genE3ELNS1_11target_archE908ELNS1_3gpuE7ELNS1_3repE0EEENS1_30default_config_static_selectorELNS0_4arch9wavefront6targetE1EEEvT1_: ; @_ZN7rocprim17ROCPRIM_400000_NS6detail17trampoline_kernelINS0_14default_configENS1_33run_length_encode_config_selectorImjNS0_4plusIjEEEEZZNS1_33reduce_by_key_impl_wrapped_configILNS1_25lookback_scan_determinismE0ES3_S7_PKmNS0_17constant_iteratorIjlEEPmPlSF_S6_NS0_8equal_toImEEEE10hipError_tPvRmT2_T3_mT4_T5_T6_T7_T8_P12ihipStream_tbENKUlT_T0_E_clISt17integral_constantIbLb1EESZ_EEDaSU_SV_EUlSU_E_NS1_11comp_targetILNS1_3genE3ELNS1_11target_archE908ELNS1_3gpuE7ELNS1_3repE0EEENS1_30default_config_static_selectorELNS0_4arch9wavefront6targetE1EEEvT1_
; %bb.0:
	.section	.rodata,"a",@progbits
	.p2align	6, 0x0
	.amdhsa_kernel _ZN7rocprim17ROCPRIM_400000_NS6detail17trampoline_kernelINS0_14default_configENS1_33run_length_encode_config_selectorImjNS0_4plusIjEEEEZZNS1_33reduce_by_key_impl_wrapped_configILNS1_25lookback_scan_determinismE0ES3_S7_PKmNS0_17constant_iteratorIjlEEPmPlSF_S6_NS0_8equal_toImEEEE10hipError_tPvRmT2_T3_mT4_T5_T6_T7_T8_P12ihipStream_tbENKUlT_T0_E_clISt17integral_constantIbLb1EESZ_EEDaSU_SV_EUlSU_E_NS1_11comp_targetILNS1_3genE3ELNS1_11target_archE908ELNS1_3gpuE7ELNS1_3repE0EEENS1_30default_config_static_selectorELNS0_4arch9wavefront6targetE1EEEvT1_
		.amdhsa_group_segment_fixed_size 0
		.amdhsa_private_segment_fixed_size 0
		.amdhsa_kernarg_size 128
		.amdhsa_user_sgpr_count 6
		.amdhsa_user_sgpr_private_segment_buffer 1
		.amdhsa_user_sgpr_dispatch_ptr 0
		.amdhsa_user_sgpr_queue_ptr 0
		.amdhsa_user_sgpr_kernarg_segment_ptr 1
		.amdhsa_user_sgpr_dispatch_id 0
		.amdhsa_user_sgpr_flat_scratch_init 0
		.amdhsa_user_sgpr_kernarg_preload_length 0
		.amdhsa_user_sgpr_kernarg_preload_offset 0
		.amdhsa_user_sgpr_private_segment_size 0
		.amdhsa_uses_dynamic_stack 0
		.amdhsa_system_sgpr_private_segment_wavefront_offset 0
		.amdhsa_system_sgpr_workgroup_id_x 1
		.amdhsa_system_sgpr_workgroup_id_y 0
		.amdhsa_system_sgpr_workgroup_id_z 0
		.amdhsa_system_sgpr_workgroup_info 0
		.amdhsa_system_vgpr_workitem_id 0
		.amdhsa_next_free_vgpr 1
		.amdhsa_next_free_sgpr 0
		.amdhsa_accum_offset 4
		.amdhsa_reserve_vcc 0
		.amdhsa_reserve_flat_scratch 0
		.amdhsa_float_round_mode_32 0
		.amdhsa_float_round_mode_16_64 0
		.amdhsa_float_denorm_mode_32 3
		.amdhsa_float_denorm_mode_16_64 3
		.amdhsa_dx10_clamp 1
		.amdhsa_ieee_mode 1
		.amdhsa_fp16_overflow 0
		.amdhsa_tg_split 0
		.amdhsa_exception_fp_ieee_invalid_op 0
		.amdhsa_exception_fp_denorm_src 0
		.amdhsa_exception_fp_ieee_div_zero 0
		.amdhsa_exception_fp_ieee_overflow 0
		.amdhsa_exception_fp_ieee_underflow 0
		.amdhsa_exception_fp_ieee_inexact 0
		.amdhsa_exception_int_div_zero 0
	.end_amdhsa_kernel
	.section	.text._ZN7rocprim17ROCPRIM_400000_NS6detail17trampoline_kernelINS0_14default_configENS1_33run_length_encode_config_selectorImjNS0_4plusIjEEEEZZNS1_33reduce_by_key_impl_wrapped_configILNS1_25lookback_scan_determinismE0ES3_S7_PKmNS0_17constant_iteratorIjlEEPmPlSF_S6_NS0_8equal_toImEEEE10hipError_tPvRmT2_T3_mT4_T5_T6_T7_T8_P12ihipStream_tbENKUlT_T0_E_clISt17integral_constantIbLb1EESZ_EEDaSU_SV_EUlSU_E_NS1_11comp_targetILNS1_3genE3ELNS1_11target_archE908ELNS1_3gpuE7ELNS1_3repE0EEENS1_30default_config_static_selectorELNS0_4arch9wavefront6targetE1EEEvT1_,"axG",@progbits,_ZN7rocprim17ROCPRIM_400000_NS6detail17trampoline_kernelINS0_14default_configENS1_33run_length_encode_config_selectorImjNS0_4plusIjEEEEZZNS1_33reduce_by_key_impl_wrapped_configILNS1_25lookback_scan_determinismE0ES3_S7_PKmNS0_17constant_iteratorIjlEEPmPlSF_S6_NS0_8equal_toImEEEE10hipError_tPvRmT2_T3_mT4_T5_T6_T7_T8_P12ihipStream_tbENKUlT_T0_E_clISt17integral_constantIbLb1EESZ_EEDaSU_SV_EUlSU_E_NS1_11comp_targetILNS1_3genE3ELNS1_11target_archE908ELNS1_3gpuE7ELNS1_3repE0EEENS1_30default_config_static_selectorELNS0_4arch9wavefront6targetE1EEEvT1_,comdat
.Lfunc_end730:
	.size	_ZN7rocprim17ROCPRIM_400000_NS6detail17trampoline_kernelINS0_14default_configENS1_33run_length_encode_config_selectorImjNS0_4plusIjEEEEZZNS1_33reduce_by_key_impl_wrapped_configILNS1_25lookback_scan_determinismE0ES3_S7_PKmNS0_17constant_iteratorIjlEEPmPlSF_S6_NS0_8equal_toImEEEE10hipError_tPvRmT2_T3_mT4_T5_T6_T7_T8_P12ihipStream_tbENKUlT_T0_E_clISt17integral_constantIbLb1EESZ_EEDaSU_SV_EUlSU_E_NS1_11comp_targetILNS1_3genE3ELNS1_11target_archE908ELNS1_3gpuE7ELNS1_3repE0EEENS1_30default_config_static_selectorELNS0_4arch9wavefront6targetE1EEEvT1_, .Lfunc_end730-_ZN7rocprim17ROCPRIM_400000_NS6detail17trampoline_kernelINS0_14default_configENS1_33run_length_encode_config_selectorImjNS0_4plusIjEEEEZZNS1_33reduce_by_key_impl_wrapped_configILNS1_25lookback_scan_determinismE0ES3_S7_PKmNS0_17constant_iteratorIjlEEPmPlSF_S6_NS0_8equal_toImEEEE10hipError_tPvRmT2_T3_mT4_T5_T6_T7_T8_P12ihipStream_tbENKUlT_T0_E_clISt17integral_constantIbLb1EESZ_EEDaSU_SV_EUlSU_E_NS1_11comp_targetILNS1_3genE3ELNS1_11target_archE908ELNS1_3gpuE7ELNS1_3repE0EEENS1_30default_config_static_selectorELNS0_4arch9wavefront6targetE1EEEvT1_
                                        ; -- End function
	.section	.AMDGPU.csdata,"",@progbits
; Kernel info:
; codeLenInByte = 0
; NumSgprs: 4
; NumVgprs: 0
; NumAgprs: 0
; TotalNumVgprs: 0
; ScratchSize: 0
; MemoryBound: 0
; FloatMode: 240
; IeeeMode: 1
; LDSByteSize: 0 bytes/workgroup (compile time only)
; SGPRBlocks: 0
; VGPRBlocks: 0
; NumSGPRsForWavesPerEU: 4
; NumVGPRsForWavesPerEU: 1
; AccumOffset: 4
; Occupancy: 8
; WaveLimiterHint : 0
; COMPUTE_PGM_RSRC2:SCRATCH_EN: 0
; COMPUTE_PGM_RSRC2:USER_SGPR: 6
; COMPUTE_PGM_RSRC2:TRAP_HANDLER: 0
; COMPUTE_PGM_RSRC2:TGID_X_EN: 1
; COMPUTE_PGM_RSRC2:TGID_Y_EN: 0
; COMPUTE_PGM_RSRC2:TGID_Z_EN: 0
; COMPUTE_PGM_RSRC2:TIDIG_COMP_CNT: 0
; COMPUTE_PGM_RSRC3_GFX90A:ACCUM_OFFSET: 0
; COMPUTE_PGM_RSRC3_GFX90A:TG_SPLIT: 0
	.section	.text._ZN7rocprim17ROCPRIM_400000_NS6detail17trampoline_kernelINS0_14default_configENS1_33run_length_encode_config_selectorImjNS0_4plusIjEEEEZZNS1_33reduce_by_key_impl_wrapped_configILNS1_25lookback_scan_determinismE0ES3_S7_PKmNS0_17constant_iteratorIjlEEPmPlSF_S6_NS0_8equal_toImEEEE10hipError_tPvRmT2_T3_mT4_T5_T6_T7_T8_P12ihipStream_tbENKUlT_T0_E_clISt17integral_constantIbLb1EESZ_EEDaSU_SV_EUlSU_E_NS1_11comp_targetILNS1_3genE2ELNS1_11target_archE906ELNS1_3gpuE6ELNS1_3repE0EEENS1_30default_config_static_selectorELNS0_4arch9wavefront6targetE1EEEvT1_,"axG",@progbits,_ZN7rocprim17ROCPRIM_400000_NS6detail17trampoline_kernelINS0_14default_configENS1_33run_length_encode_config_selectorImjNS0_4plusIjEEEEZZNS1_33reduce_by_key_impl_wrapped_configILNS1_25lookback_scan_determinismE0ES3_S7_PKmNS0_17constant_iteratorIjlEEPmPlSF_S6_NS0_8equal_toImEEEE10hipError_tPvRmT2_T3_mT4_T5_T6_T7_T8_P12ihipStream_tbENKUlT_T0_E_clISt17integral_constantIbLb1EESZ_EEDaSU_SV_EUlSU_E_NS1_11comp_targetILNS1_3genE2ELNS1_11target_archE906ELNS1_3gpuE6ELNS1_3repE0EEENS1_30default_config_static_selectorELNS0_4arch9wavefront6targetE1EEEvT1_,comdat
	.protected	_ZN7rocprim17ROCPRIM_400000_NS6detail17trampoline_kernelINS0_14default_configENS1_33run_length_encode_config_selectorImjNS0_4plusIjEEEEZZNS1_33reduce_by_key_impl_wrapped_configILNS1_25lookback_scan_determinismE0ES3_S7_PKmNS0_17constant_iteratorIjlEEPmPlSF_S6_NS0_8equal_toImEEEE10hipError_tPvRmT2_T3_mT4_T5_T6_T7_T8_P12ihipStream_tbENKUlT_T0_E_clISt17integral_constantIbLb1EESZ_EEDaSU_SV_EUlSU_E_NS1_11comp_targetILNS1_3genE2ELNS1_11target_archE906ELNS1_3gpuE6ELNS1_3repE0EEENS1_30default_config_static_selectorELNS0_4arch9wavefront6targetE1EEEvT1_ ; -- Begin function _ZN7rocprim17ROCPRIM_400000_NS6detail17trampoline_kernelINS0_14default_configENS1_33run_length_encode_config_selectorImjNS0_4plusIjEEEEZZNS1_33reduce_by_key_impl_wrapped_configILNS1_25lookback_scan_determinismE0ES3_S7_PKmNS0_17constant_iteratorIjlEEPmPlSF_S6_NS0_8equal_toImEEEE10hipError_tPvRmT2_T3_mT4_T5_T6_T7_T8_P12ihipStream_tbENKUlT_T0_E_clISt17integral_constantIbLb1EESZ_EEDaSU_SV_EUlSU_E_NS1_11comp_targetILNS1_3genE2ELNS1_11target_archE906ELNS1_3gpuE6ELNS1_3repE0EEENS1_30default_config_static_selectorELNS0_4arch9wavefront6targetE1EEEvT1_
	.globl	_ZN7rocprim17ROCPRIM_400000_NS6detail17trampoline_kernelINS0_14default_configENS1_33run_length_encode_config_selectorImjNS0_4plusIjEEEEZZNS1_33reduce_by_key_impl_wrapped_configILNS1_25lookback_scan_determinismE0ES3_S7_PKmNS0_17constant_iteratorIjlEEPmPlSF_S6_NS0_8equal_toImEEEE10hipError_tPvRmT2_T3_mT4_T5_T6_T7_T8_P12ihipStream_tbENKUlT_T0_E_clISt17integral_constantIbLb1EESZ_EEDaSU_SV_EUlSU_E_NS1_11comp_targetILNS1_3genE2ELNS1_11target_archE906ELNS1_3gpuE6ELNS1_3repE0EEENS1_30default_config_static_selectorELNS0_4arch9wavefront6targetE1EEEvT1_
	.p2align	8
	.type	_ZN7rocprim17ROCPRIM_400000_NS6detail17trampoline_kernelINS0_14default_configENS1_33run_length_encode_config_selectorImjNS0_4plusIjEEEEZZNS1_33reduce_by_key_impl_wrapped_configILNS1_25lookback_scan_determinismE0ES3_S7_PKmNS0_17constant_iteratorIjlEEPmPlSF_S6_NS0_8equal_toImEEEE10hipError_tPvRmT2_T3_mT4_T5_T6_T7_T8_P12ihipStream_tbENKUlT_T0_E_clISt17integral_constantIbLb1EESZ_EEDaSU_SV_EUlSU_E_NS1_11comp_targetILNS1_3genE2ELNS1_11target_archE906ELNS1_3gpuE6ELNS1_3repE0EEENS1_30default_config_static_selectorELNS0_4arch9wavefront6targetE1EEEvT1_,@function
_ZN7rocprim17ROCPRIM_400000_NS6detail17trampoline_kernelINS0_14default_configENS1_33run_length_encode_config_selectorImjNS0_4plusIjEEEEZZNS1_33reduce_by_key_impl_wrapped_configILNS1_25lookback_scan_determinismE0ES3_S7_PKmNS0_17constant_iteratorIjlEEPmPlSF_S6_NS0_8equal_toImEEEE10hipError_tPvRmT2_T3_mT4_T5_T6_T7_T8_P12ihipStream_tbENKUlT_T0_E_clISt17integral_constantIbLb1EESZ_EEDaSU_SV_EUlSU_E_NS1_11comp_targetILNS1_3genE2ELNS1_11target_archE906ELNS1_3gpuE6ELNS1_3repE0EEENS1_30default_config_static_selectorELNS0_4arch9wavefront6targetE1EEEvT1_: ; @_ZN7rocprim17ROCPRIM_400000_NS6detail17trampoline_kernelINS0_14default_configENS1_33run_length_encode_config_selectorImjNS0_4plusIjEEEEZZNS1_33reduce_by_key_impl_wrapped_configILNS1_25lookback_scan_determinismE0ES3_S7_PKmNS0_17constant_iteratorIjlEEPmPlSF_S6_NS0_8equal_toImEEEE10hipError_tPvRmT2_T3_mT4_T5_T6_T7_T8_P12ihipStream_tbENKUlT_T0_E_clISt17integral_constantIbLb1EESZ_EEDaSU_SV_EUlSU_E_NS1_11comp_targetILNS1_3genE2ELNS1_11target_archE906ELNS1_3gpuE6ELNS1_3repE0EEENS1_30default_config_static_selectorELNS0_4arch9wavefront6targetE1EEEvT1_
; %bb.0:
	.section	.rodata,"a",@progbits
	.p2align	6, 0x0
	.amdhsa_kernel _ZN7rocprim17ROCPRIM_400000_NS6detail17trampoline_kernelINS0_14default_configENS1_33run_length_encode_config_selectorImjNS0_4plusIjEEEEZZNS1_33reduce_by_key_impl_wrapped_configILNS1_25lookback_scan_determinismE0ES3_S7_PKmNS0_17constant_iteratorIjlEEPmPlSF_S6_NS0_8equal_toImEEEE10hipError_tPvRmT2_T3_mT4_T5_T6_T7_T8_P12ihipStream_tbENKUlT_T0_E_clISt17integral_constantIbLb1EESZ_EEDaSU_SV_EUlSU_E_NS1_11comp_targetILNS1_3genE2ELNS1_11target_archE906ELNS1_3gpuE6ELNS1_3repE0EEENS1_30default_config_static_selectorELNS0_4arch9wavefront6targetE1EEEvT1_
		.amdhsa_group_segment_fixed_size 0
		.amdhsa_private_segment_fixed_size 0
		.amdhsa_kernarg_size 128
		.amdhsa_user_sgpr_count 6
		.amdhsa_user_sgpr_private_segment_buffer 1
		.amdhsa_user_sgpr_dispatch_ptr 0
		.amdhsa_user_sgpr_queue_ptr 0
		.amdhsa_user_sgpr_kernarg_segment_ptr 1
		.amdhsa_user_sgpr_dispatch_id 0
		.amdhsa_user_sgpr_flat_scratch_init 0
		.amdhsa_user_sgpr_kernarg_preload_length 0
		.amdhsa_user_sgpr_kernarg_preload_offset 0
		.amdhsa_user_sgpr_private_segment_size 0
		.amdhsa_uses_dynamic_stack 0
		.amdhsa_system_sgpr_private_segment_wavefront_offset 0
		.amdhsa_system_sgpr_workgroup_id_x 1
		.amdhsa_system_sgpr_workgroup_id_y 0
		.amdhsa_system_sgpr_workgroup_id_z 0
		.amdhsa_system_sgpr_workgroup_info 0
		.amdhsa_system_vgpr_workitem_id 0
		.amdhsa_next_free_vgpr 1
		.amdhsa_next_free_sgpr 0
		.amdhsa_accum_offset 4
		.amdhsa_reserve_vcc 0
		.amdhsa_reserve_flat_scratch 0
		.amdhsa_float_round_mode_32 0
		.amdhsa_float_round_mode_16_64 0
		.amdhsa_float_denorm_mode_32 3
		.amdhsa_float_denorm_mode_16_64 3
		.amdhsa_dx10_clamp 1
		.amdhsa_ieee_mode 1
		.amdhsa_fp16_overflow 0
		.amdhsa_tg_split 0
		.amdhsa_exception_fp_ieee_invalid_op 0
		.amdhsa_exception_fp_denorm_src 0
		.amdhsa_exception_fp_ieee_div_zero 0
		.amdhsa_exception_fp_ieee_overflow 0
		.amdhsa_exception_fp_ieee_underflow 0
		.amdhsa_exception_fp_ieee_inexact 0
		.amdhsa_exception_int_div_zero 0
	.end_amdhsa_kernel
	.section	.text._ZN7rocprim17ROCPRIM_400000_NS6detail17trampoline_kernelINS0_14default_configENS1_33run_length_encode_config_selectorImjNS0_4plusIjEEEEZZNS1_33reduce_by_key_impl_wrapped_configILNS1_25lookback_scan_determinismE0ES3_S7_PKmNS0_17constant_iteratorIjlEEPmPlSF_S6_NS0_8equal_toImEEEE10hipError_tPvRmT2_T3_mT4_T5_T6_T7_T8_P12ihipStream_tbENKUlT_T0_E_clISt17integral_constantIbLb1EESZ_EEDaSU_SV_EUlSU_E_NS1_11comp_targetILNS1_3genE2ELNS1_11target_archE906ELNS1_3gpuE6ELNS1_3repE0EEENS1_30default_config_static_selectorELNS0_4arch9wavefront6targetE1EEEvT1_,"axG",@progbits,_ZN7rocprim17ROCPRIM_400000_NS6detail17trampoline_kernelINS0_14default_configENS1_33run_length_encode_config_selectorImjNS0_4plusIjEEEEZZNS1_33reduce_by_key_impl_wrapped_configILNS1_25lookback_scan_determinismE0ES3_S7_PKmNS0_17constant_iteratorIjlEEPmPlSF_S6_NS0_8equal_toImEEEE10hipError_tPvRmT2_T3_mT4_T5_T6_T7_T8_P12ihipStream_tbENKUlT_T0_E_clISt17integral_constantIbLb1EESZ_EEDaSU_SV_EUlSU_E_NS1_11comp_targetILNS1_3genE2ELNS1_11target_archE906ELNS1_3gpuE6ELNS1_3repE0EEENS1_30default_config_static_selectorELNS0_4arch9wavefront6targetE1EEEvT1_,comdat
.Lfunc_end731:
	.size	_ZN7rocprim17ROCPRIM_400000_NS6detail17trampoline_kernelINS0_14default_configENS1_33run_length_encode_config_selectorImjNS0_4plusIjEEEEZZNS1_33reduce_by_key_impl_wrapped_configILNS1_25lookback_scan_determinismE0ES3_S7_PKmNS0_17constant_iteratorIjlEEPmPlSF_S6_NS0_8equal_toImEEEE10hipError_tPvRmT2_T3_mT4_T5_T6_T7_T8_P12ihipStream_tbENKUlT_T0_E_clISt17integral_constantIbLb1EESZ_EEDaSU_SV_EUlSU_E_NS1_11comp_targetILNS1_3genE2ELNS1_11target_archE906ELNS1_3gpuE6ELNS1_3repE0EEENS1_30default_config_static_selectorELNS0_4arch9wavefront6targetE1EEEvT1_, .Lfunc_end731-_ZN7rocprim17ROCPRIM_400000_NS6detail17trampoline_kernelINS0_14default_configENS1_33run_length_encode_config_selectorImjNS0_4plusIjEEEEZZNS1_33reduce_by_key_impl_wrapped_configILNS1_25lookback_scan_determinismE0ES3_S7_PKmNS0_17constant_iteratorIjlEEPmPlSF_S6_NS0_8equal_toImEEEE10hipError_tPvRmT2_T3_mT4_T5_T6_T7_T8_P12ihipStream_tbENKUlT_T0_E_clISt17integral_constantIbLb1EESZ_EEDaSU_SV_EUlSU_E_NS1_11comp_targetILNS1_3genE2ELNS1_11target_archE906ELNS1_3gpuE6ELNS1_3repE0EEENS1_30default_config_static_selectorELNS0_4arch9wavefront6targetE1EEEvT1_
                                        ; -- End function
	.section	.AMDGPU.csdata,"",@progbits
; Kernel info:
; codeLenInByte = 0
; NumSgprs: 4
; NumVgprs: 0
; NumAgprs: 0
; TotalNumVgprs: 0
; ScratchSize: 0
; MemoryBound: 0
; FloatMode: 240
; IeeeMode: 1
; LDSByteSize: 0 bytes/workgroup (compile time only)
; SGPRBlocks: 0
; VGPRBlocks: 0
; NumSGPRsForWavesPerEU: 4
; NumVGPRsForWavesPerEU: 1
; AccumOffset: 4
; Occupancy: 8
; WaveLimiterHint : 0
; COMPUTE_PGM_RSRC2:SCRATCH_EN: 0
; COMPUTE_PGM_RSRC2:USER_SGPR: 6
; COMPUTE_PGM_RSRC2:TRAP_HANDLER: 0
; COMPUTE_PGM_RSRC2:TGID_X_EN: 1
; COMPUTE_PGM_RSRC2:TGID_Y_EN: 0
; COMPUTE_PGM_RSRC2:TGID_Z_EN: 0
; COMPUTE_PGM_RSRC2:TIDIG_COMP_CNT: 0
; COMPUTE_PGM_RSRC3_GFX90A:ACCUM_OFFSET: 0
; COMPUTE_PGM_RSRC3_GFX90A:TG_SPLIT: 0
	.section	.text._ZN7rocprim17ROCPRIM_400000_NS6detail17trampoline_kernelINS0_14default_configENS1_33run_length_encode_config_selectorImjNS0_4plusIjEEEEZZNS1_33reduce_by_key_impl_wrapped_configILNS1_25lookback_scan_determinismE0ES3_S7_PKmNS0_17constant_iteratorIjlEEPmPlSF_S6_NS0_8equal_toImEEEE10hipError_tPvRmT2_T3_mT4_T5_T6_T7_T8_P12ihipStream_tbENKUlT_T0_E_clISt17integral_constantIbLb1EESZ_EEDaSU_SV_EUlSU_E_NS1_11comp_targetILNS1_3genE10ELNS1_11target_archE1201ELNS1_3gpuE5ELNS1_3repE0EEENS1_30default_config_static_selectorELNS0_4arch9wavefront6targetE1EEEvT1_,"axG",@progbits,_ZN7rocprim17ROCPRIM_400000_NS6detail17trampoline_kernelINS0_14default_configENS1_33run_length_encode_config_selectorImjNS0_4plusIjEEEEZZNS1_33reduce_by_key_impl_wrapped_configILNS1_25lookback_scan_determinismE0ES3_S7_PKmNS0_17constant_iteratorIjlEEPmPlSF_S6_NS0_8equal_toImEEEE10hipError_tPvRmT2_T3_mT4_T5_T6_T7_T8_P12ihipStream_tbENKUlT_T0_E_clISt17integral_constantIbLb1EESZ_EEDaSU_SV_EUlSU_E_NS1_11comp_targetILNS1_3genE10ELNS1_11target_archE1201ELNS1_3gpuE5ELNS1_3repE0EEENS1_30default_config_static_selectorELNS0_4arch9wavefront6targetE1EEEvT1_,comdat
	.protected	_ZN7rocprim17ROCPRIM_400000_NS6detail17trampoline_kernelINS0_14default_configENS1_33run_length_encode_config_selectorImjNS0_4plusIjEEEEZZNS1_33reduce_by_key_impl_wrapped_configILNS1_25lookback_scan_determinismE0ES3_S7_PKmNS0_17constant_iteratorIjlEEPmPlSF_S6_NS0_8equal_toImEEEE10hipError_tPvRmT2_T3_mT4_T5_T6_T7_T8_P12ihipStream_tbENKUlT_T0_E_clISt17integral_constantIbLb1EESZ_EEDaSU_SV_EUlSU_E_NS1_11comp_targetILNS1_3genE10ELNS1_11target_archE1201ELNS1_3gpuE5ELNS1_3repE0EEENS1_30default_config_static_selectorELNS0_4arch9wavefront6targetE1EEEvT1_ ; -- Begin function _ZN7rocprim17ROCPRIM_400000_NS6detail17trampoline_kernelINS0_14default_configENS1_33run_length_encode_config_selectorImjNS0_4plusIjEEEEZZNS1_33reduce_by_key_impl_wrapped_configILNS1_25lookback_scan_determinismE0ES3_S7_PKmNS0_17constant_iteratorIjlEEPmPlSF_S6_NS0_8equal_toImEEEE10hipError_tPvRmT2_T3_mT4_T5_T6_T7_T8_P12ihipStream_tbENKUlT_T0_E_clISt17integral_constantIbLb1EESZ_EEDaSU_SV_EUlSU_E_NS1_11comp_targetILNS1_3genE10ELNS1_11target_archE1201ELNS1_3gpuE5ELNS1_3repE0EEENS1_30default_config_static_selectorELNS0_4arch9wavefront6targetE1EEEvT1_
	.globl	_ZN7rocprim17ROCPRIM_400000_NS6detail17trampoline_kernelINS0_14default_configENS1_33run_length_encode_config_selectorImjNS0_4plusIjEEEEZZNS1_33reduce_by_key_impl_wrapped_configILNS1_25lookback_scan_determinismE0ES3_S7_PKmNS0_17constant_iteratorIjlEEPmPlSF_S6_NS0_8equal_toImEEEE10hipError_tPvRmT2_T3_mT4_T5_T6_T7_T8_P12ihipStream_tbENKUlT_T0_E_clISt17integral_constantIbLb1EESZ_EEDaSU_SV_EUlSU_E_NS1_11comp_targetILNS1_3genE10ELNS1_11target_archE1201ELNS1_3gpuE5ELNS1_3repE0EEENS1_30default_config_static_selectorELNS0_4arch9wavefront6targetE1EEEvT1_
	.p2align	8
	.type	_ZN7rocprim17ROCPRIM_400000_NS6detail17trampoline_kernelINS0_14default_configENS1_33run_length_encode_config_selectorImjNS0_4plusIjEEEEZZNS1_33reduce_by_key_impl_wrapped_configILNS1_25lookback_scan_determinismE0ES3_S7_PKmNS0_17constant_iteratorIjlEEPmPlSF_S6_NS0_8equal_toImEEEE10hipError_tPvRmT2_T3_mT4_T5_T6_T7_T8_P12ihipStream_tbENKUlT_T0_E_clISt17integral_constantIbLb1EESZ_EEDaSU_SV_EUlSU_E_NS1_11comp_targetILNS1_3genE10ELNS1_11target_archE1201ELNS1_3gpuE5ELNS1_3repE0EEENS1_30default_config_static_selectorELNS0_4arch9wavefront6targetE1EEEvT1_,@function
_ZN7rocprim17ROCPRIM_400000_NS6detail17trampoline_kernelINS0_14default_configENS1_33run_length_encode_config_selectorImjNS0_4plusIjEEEEZZNS1_33reduce_by_key_impl_wrapped_configILNS1_25lookback_scan_determinismE0ES3_S7_PKmNS0_17constant_iteratorIjlEEPmPlSF_S6_NS0_8equal_toImEEEE10hipError_tPvRmT2_T3_mT4_T5_T6_T7_T8_P12ihipStream_tbENKUlT_T0_E_clISt17integral_constantIbLb1EESZ_EEDaSU_SV_EUlSU_E_NS1_11comp_targetILNS1_3genE10ELNS1_11target_archE1201ELNS1_3gpuE5ELNS1_3repE0EEENS1_30default_config_static_selectorELNS0_4arch9wavefront6targetE1EEEvT1_: ; @_ZN7rocprim17ROCPRIM_400000_NS6detail17trampoline_kernelINS0_14default_configENS1_33run_length_encode_config_selectorImjNS0_4plusIjEEEEZZNS1_33reduce_by_key_impl_wrapped_configILNS1_25lookback_scan_determinismE0ES3_S7_PKmNS0_17constant_iteratorIjlEEPmPlSF_S6_NS0_8equal_toImEEEE10hipError_tPvRmT2_T3_mT4_T5_T6_T7_T8_P12ihipStream_tbENKUlT_T0_E_clISt17integral_constantIbLb1EESZ_EEDaSU_SV_EUlSU_E_NS1_11comp_targetILNS1_3genE10ELNS1_11target_archE1201ELNS1_3gpuE5ELNS1_3repE0EEENS1_30default_config_static_selectorELNS0_4arch9wavefront6targetE1EEEvT1_
; %bb.0:
	.section	.rodata,"a",@progbits
	.p2align	6, 0x0
	.amdhsa_kernel _ZN7rocprim17ROCPRIM_400000_NS6detail17trampoline_kernelINS0_14default_configENS1_33run_length_encode_config_selectorImjNS0_4plusIjEEEEZZNS1_33reduce_by_key_impl_wrapped_configILNS1_25lookback_scan_determinismE0ES3_S7_PKmNS0_17constant_iteratorIjlEEPmPlSF_S6_NS0_8equal_toImEEEE10hipError_tPvRmT2_T3_mT4_T5_T6_T7_T8_P12ihipStream_tbENKUlT_T0_E_clISt17integral_constantIbLb1EESZ_EEDaSU_SV_EUlSU_E_NS1_11comp_targetILNS1_3genE10ELNS1_11target_archE1201ELNS1_3gpuE5ELNS1_3repE0EEENS1_30default_config_static_selectorELNS0_4arch9wavefront6targetE1EEEvT1_
		.amdhsa_group_segment_fixed_size 0
		.amdhsa_private_segment_fixed_size 0
		.amdhsa_kernarg_size 128
		.amdhsa_user_sgpr_count 6
		.amdhsa_user_sgpr_private_segment_buffer 1
		.amdhsa_user_sgpr_dispatch_ptr 0
		.amdhsa_user_sgpr_queue_ptr 0
		.amdhsa_user_sgpr_kernarg_segment_ptr 1
		.amdhsa_user_sgpr_dispatch_id 0
		.amdhsa_user_sgpr_flat_scratch_init 0
		.amdhsa_user_sgpr_kernarg_preload_length 0
		.amdhsa_user_sgpr_kernarg_preload_offset 0
		.amdhsa_user_sgpr_private_segment_size 0
		.amdhsa_uses_dynamic_stack 0
		.amdhsa_system_sgpr_private_segment_wavefront_offset 0
		.amdhsa_system_sgpr_workgroup_id_x 1
		.amdhsa_system_sgpr_workgroup_id_y 0
		.amdhsa_system_sgpr_workgroup_id_z 0
		.amdhsa_system_sgpr_workgroup_info 0
		.amdhsa_system_vgpr_workitem_id 0
		.amdhsa_next_free_vgpr 1
		.amdhsa_next_free_sgpr 0
		.amdhsa_accum_offset 4
		.amdhsa_reserve_vcc 0
		.amdhsa_reserve_flat_scratch 0
		.amdhsa_float_round_mode_32 0
		.amdhsa_float_round_mode_16_64 0
		.amdhsa_float_denorm_mode_32 3
		.amdhsa_float_denorm_mode_16_64 3
		.amdhsa_dx10_clamp 1
		.amdhsa_ieee_mode 1
		.amdhsa_fp16_overflow 0
		.amdhsa_tg_split 0
		.amdhsa_exception_fp_ieee_invalid_op 0
		.amdhsa_exception_fp_denorm_src 0
		.amdhsa_exception_fp_ieee_div_zero 0
		.amdhsa_exception_fp_ieee_overflow 0
		.amdhsa_exception_fp_ieee_underflow 0
		.amdhsa_exception_fp_ieee_inexact 0
		.amdhsa_exception_int_div_zero 0
	.end_amdhsa_kernel
	.section	.text._ZN7rocprim17ROCPRIM_400000_NS6detail17trampoline_kernelINS0_14default_configENS1_33run_length_encode_config_selectorImjNS0_4plusIjEEEEZZNS1_33reduce_by_key_impl_wrapped_configILNS1_25lookback_scan_determinismE0ES3_S7_PKmNS0_17constant_iteratorIjlEEPmPlSF_S6_NS0_8equal_toImEEEE10hipError_tPvRmT2_T3_mT4_T5_T6_T7_T8_P12ihipStream_tbENKUlT_T0_E_clISt17integral_constantIbLb1EESZ_EEDaSU_SV_EUlSU_E_NS1_11comp_targetILNS1_3genE10ELNS1_11target_archE1201ELNS1_3gpuE5ELNS1_3repE0EEENS1_30default_config_static_selectorELNS0_4arch9wavefront6targetE1EEEvT1_,"axG",@progbits,_ZN7rocprim17ROCPRIM_400000_NS6detail17trampoline_kernelINS0_14default_configENS1_33run_length_encode_config_selectorImjNS0_4plusIjEEEEZZNS1_33reduce_by_key_impl_wrapped_configILNS1_25lookback_scan_determinismE0ES3_S7_PKmNS0_17constant_iteratorIjlEEPmPlSF_S6_NS0_8equal_toImEEEE10hipError_tPvRmT2_T3_mT4_T5_T6_T7_T8_P12ihipStream_tbENKUlT_T0_E_clISt17integral_constantIbLb1EESZ_EEDaSU_SV_EUlSU_E_NS1_11comp_targetILNS1_3genE10ELNS1_11target_archE1201ELNS1_3gpuE5ELNS1_3repE0EEENS1_30default_config_static_selectorELNS0_4arch9wavefront6targetE1EEEvT1_,comdat
.Lfunc_end732:
	.size	_ZN7rocprim17ROCPRIM_400000_NS6detail17trampoline_kernelINS0_14default_configENS1_33run_length_encode_config_selectorImjNS0_4plusIjEEEEZZNS1_33reduce_by_key_impl_wrapped_configILNS1_25lookback_scan_determinismE0ES3_S7_PKmNS0_17constant_iteratorIjlEEPmPlSF_S6_NS0_8equal_toImEEEE10hipError_tPvRmT2_T3_mT4_T5_T6_T7_T8_P12ihipStream_tbENKUlT_T0_E_clISt17integral_constantIbLb1EESZ_EEDaSU_SV_EUlSU_E_NS1_11comp_targetILNS1_3genE10ELNS1_11target_archE1201ELNS1_3gpuE5ELNS1_3repE0EEENS1_30default_config_static_selectorELNS0_4arch9wavefront6targetE1EEEvT1_, .Lfunc_end732-_ZN7rocprim17ROCPRIM_400000_NS6detail17trampoline_kernelINS0_14default_configENS1_33run_length_encode_config_selectorImjNS0_4plusIjEEEEZZNS1_33reduce_by_key_impl_wrapped_configILNS1_25lookback_scan_determinismE0ES3_S7_PKmNS0_17constant_iteratorIjlEEPmPlSF_S6_NS0_8equal_toImEEEE10hipError_tPvRmT2_T3_mT4_T5_T6_T7_T8_P12ihipStream_tbENKUlT_T0_E_clISt17integral_constantIbLb1EESZ_EEDaSU_SV_EUlSU_E_NS1_11comp_targetILNS1_3genE10ELNS1_11target_archE1201ELNS1_3gpuE5ELNS1_3repE0EEENS1_30default_config_static_selectorELNS0_4arch9wavefront6targetE1EEEvT1_
                                        ; -- End function
	.section	.AMDGPU.csdata,"",@progbits
; Kernel info:
; codeLenInByte = 0
; NumSgprs: 4
; NumVgprs: 0
; NumAgprs: 0
; TotalNumVgprs: 0
; ScratchSize: 0
; MemoryBound: 0
; FloatMode: 240
; IeeeMode: 1
; LDSByteSize: 0 bytes/workgroup (compile time only)
; SGPRBlocks: 0
; VGPRBlocks: 0
; NumSGPRsForWavesPerEU: 4
; NumVGPRsForWavesPerEU: 1
; AccumOffset: 4
; Occupancy: 8
; WaveLimiterHint : 0
; COMPUTE_PGM_RSRC2:SCRATCH_EN: 0
; COMPUTE_PGM_RSRC2:USER_SGPR: 6
; COMPUTE_PGM_RSRC2:TRAP_HANDLER: 0
; COMPUTE_PGM_RSRC2:TGID_X_EN: 1
; COMPUTE_PGM_RSRC2:TGID_Y_EN: 0
; COMPUTE_PGM_RSRC2:TGID_Z_EN: 0
; COMPUTE_PGM_RSRC2:TIDIG_COMP_CNT: 0
; COMPUTE_PGM_RSRC3_GFX90A:ACCUM_OFFSET: 0
; COMPUTE_PGM_RSRC3_GFX90A:TG_SPLIT: 0
	.section	.text._ZN7rocprim17ROCPRIM_400000_NS6detail17trampoline_kernelINS0_14default_configENS1_33run_length_encode_config_selectorImjNS0_4plusIjEEEEZZNS1_33reduce_by_key_impl_wrapped_configILNS1_25lookback_scan_determinismE0ES3_S7_PKmNS0_17constant_iteratorIjlEEPmPlSF_S6_NS0_8equal_toImEEEE10hipError_tPvRmT2_T3_mT4_T5_T6_T7_T8_P12ihipStream_tbENKUlT_T0_E_clISt17integral_constantIbLb1EESZ_EEDaSU_SV_EUlSU_E_NS1_11comp_targetILNS1_3genE10ELNS1_11target_archE1200ELNS1_3gpuE4ELNS1_3repE0EEENS1_30default_config_static_selectorELNS0_4arch9wavefront6targetE1EEEvT1_,"axG",@progbits,_ZN7rocprim17ROCPRIM_400000_NS6detail17trampoline_kernelINS0_14default_configENS1_33run_length_encode_config_selectorImjNS0_4plusIjEEEEZZNS1_33reduce_by_key_impl_wrapped_configILNS1_25lookback_scan_determinismE0ES3_S7_PKmNS0_17constant_iteratorIjlEEPmPlSF_S6_NS0_8equal_toImEEEE10hipError_tPvRmT2_T3_mT4_T5_T6_T7_T8_P12ihipStream_tbENKUlT_T0_E_clISt17integral_constantIbLb1EESZ_EEDaSU_SV_EUlSU_E_NS1_11comp_targetILNS1_3genE10ELNS1_11target_archE1200ELNS1_3gpuE4ELNS1_3repE0EEENS1_30default_config_static_selectorELNS0_4arch9wavefront6targetE1EEEvT1_,comdat
	.protected	_ZN7rocprim17ROCPRIM_400000_NS6detail17trampoline_kernelINS0_14default_configENS1_33run_length_encode_config_selectorImjNS0_4plusIjEEEEZZNS1_33reduce_by_key_impl_wrapped_configILNS1_25lookback_scan_determinismE0ES3_S7_PKmNS0_17constant_iteratorIjlEEPmPlSF_S6_NS0_8equal_toImEEEE10hipError_tPvRmT2_T3_mT4_T5_T6_T7_T8_P12ihipStream_tbENKUlT_T0_E_clISt17integral_constantIbLb1EESZ_EEDaSU_SV_EUlSU_E_NS1_11comp_targetILNS1_3genE10ELNS1_11target_archE1200ELNS1_3gpuE4ELNS1_3repE0EEENS1_30default_config_static_selectorELNS0_4arch9wavefront6targetE1EEEvT1_ ; -- Begin function _ZN7rocprim17ROCPRIM_400000_NS6detail17trampoline_kernelINS0_14default_configENS1_33run_length_encode_config_selectorImjNS0_4plusIjEEEEZZNS1_33reduce_by_key_impl_wrapped_configILNS1_25lookback_scan_determinismE0ES3_S7_PKmNS0_17constant_iteratorIjlEEPmPlSF_S6_NS0_8equal_toImEEEE10hipError_tPvRmT2_T3_mT4_T5_T6_T7_T8_P12ihipStream_tbENKUlT_T0_E_clISt17integral_constantIbLb1EESZ_EEDaSU_SV_EUlSU_E_NS1_11comp_targetILNS1_3genE10ELNS1_11target_archE1200ELNS1_3gpuE4ELNS1_3repE0EEENS1_30default_config_static_selectorELNS0_4arch9wavefront6targetE1EEEvT1_
	.globl	_ZN7rocprim17ROCPRIM_400000_NS6detail17trampoline_kernelINS0_14default_configENS1_33run_length_encode_config_selectorImjNS0_4plusIjEEEEZZNS1_33reduce_by_key_impl_wrapped_configILNS1_25lookback_scan_determinismE0ES3_S7_PKmNS0_17constant_iteratorIjlEEPmPlSF_S6_NS0_8equal_toImEEEE10hipError_tPvRmT2_T3_mT4_T5_T6_T7_T8_P12ihipStream_tbENKUlT_T0_E_clISt17integral_constantIbLb1EESZ_EEDaSU_SV_EUlSU_E_NS1_11comp_targetILNS1_3genE10ELNS1_11target_archE1200ELNS1_3gpuE4ELNS1_3repE0EEENS1_30default_config_static_selectorELNS0_4arch9wavefront6targetE1EEEvT1_
	.p2align	8
	.type	_ZN7rocprim17ROCPRIM_400000_NS6detail17trampoline_kernelINS0_14default_configENS1_33run_length_encode_config_selectorImjNS0_4plusIjEEEEZZNS1_33reduce_by_key_impl_wrapped_configILNS1_25lookback_scan_determinismE0ES3_S7_PKmNS0_17constant_iteratorIjlEEPmPlSF_S6_NS0_8equal_toImEEEE10hipError_tPvRmT2_T3_mT4_T5_T6_T7_T8_P12ihipStream_tbENKUlT_T0_E_clISt17integral_constantIbLb1EESZ_EEDaSU_SV_EUlSU_E_NS1_11comp_targetILNS1_3genE10ELNS1_11target_archE1200ELNS1_3gpuE4ELNS1_3repE0EEENS1_30default_config_static_selectorELNS0_4arch9wavefront6targetE1EEEvT1_,@function
_ZN7rocprim17ROCPRIM_400000_NS6detail17trampoline_kernelINS0_14default_configENS1_33run_length_encode_config_selectorImjNS0_4plusIjEEEEZZNS1_33reduce_by_key_impl_wrapped_configILNS1_25lookback_scan_determinismE0ES3_S7_PKmNS0_17constant_iteratorIjlEEPmPlSF_S6_NS0_8equal_toImEEEE10hipError_tPvRmT2_T3_mT4_T5_T6_T7_T8_P12ihipStream_tbENKUlT_T0_E_clISt17integral_constantIbLb1EESZ_EEDaSU_SV_EUlSU_E_NS1_11comp_targetILNS1_3genE10ELNS1_11target_archE1200ELNS1_3gpuE4ELNS1_3repE0EEENS1_30default_config_static_selectorELNS0_4arch9wavefront6targetE1EEEvT1_: ; @_ZN7rocprim17ROCPRIM_400000_NS6detail17trampoline_kernelINS0_14default_configENS1_33run_length_encode_config_selectorImjNS0_4plusIjEEEEZZNS1_33reduce_by_key_impl_wrapped_configILNS1_25lookback_scan_determinismE0ES3_S7_PKmNS0_17constant_iteratorIjlEEPmPlSF_S6_NS0_8equal_toImEEEE10hipError_tPvRmT2_T3_mT4_T5_T6_T7_T8_P12ihipStream_tbENKUlT_T0_E_clISt17integral_constantIbLb1EESZ_EEDaSU_SV_EUlSU_E_NS1_11comp_targetILNS1_3genE10ELNS1_11target_archE1200ELNS1_3gpuE4ELNS1_3repE0EEENS1_30default_config_static_selectorELNS0_4arch9wavefront6targetE1EEEvT1_
; %bb.0:
	.section	.rodata,"a",@progbits
	.p2align	6, 0x0
	.amdhsa_kernel _ZN7rocprim17ROCPRIM_400000_NS6detail17trampoline_kernelINS0_14default_configENS1_33run_length_encode_config_selectorImjNS0_4plusIjEEEEZZNS1_33reduce_by_key_impl_wrapped_configILNS1_25lookback_scan_determinismE0ES3_S7_PKmNS0_17constant_iteratorIjlEEPmPlSF_S6_NS0_8equal_toImEEEE10hipError_tPvRmT2_T3_mT4_T5_T6_T7_T8_P12ihipStream_tbENKUlT_T0_E_clISt17integral_constantIbLb1EESZ_EEDaSU_SV_EUlSU_E_NS1_11comp_targetILNS1_3genE10ELNS1_11target_archE1200ELNS1_3gpuE4ELNS1_3repE0EEENS1_30default_config_static_selectorELNS0_4arch9wavefront6targetE1EEEvT1_
		.amdhsa_group_segment_fixed_size 0
		.amdhsa_private_segment_fixed_size 0
		.amdhsa_kernarg_size 128
		.amdhsa_user_sgpr_count 6
		.amdhsa_user_sgpr_private_segment_buffer 1
		.amdhsa_user_sgpr_dispatch_ptr 0
		.amdhsa_user_sgpr_queue_ptr 0
		.amdhsa_user_sgpr_kernarg_segment_ptr 1
		.amdhsa_user_sgpr_dispatch_id 0
		.amdhsa_user_sgpr_flat_scratch_init 0
		.amdhsa_user_sgpr_kernarg_preload_length 0
		.amdhsa_user_sgpr_kernarg_preload_offset 0
		.amdhsa_user_sgpr_private_segment_size 0
		.amdhsa_uses_dynamic_stack 0
		.amdhsa_system_sgpr_private_segment_wavefront_offset 0
		.amdhsa_system_sgpr_workgroup_id_x 1
		.amdhsa_system_sgpr_workgroup_id_y 0
		.amdhsa_system_sgpr_workgroup_id_z 0
		.amdhsa_system_sgpr_workgroup_info 0
		.amdhsa_system_vgpr_workitem_id 0
		.amdhsa_next_free_vgpr 1
		.amdhsa_next_free_sgpr 0
		.amdhsa_accum_offset 4
		.amdhsa_reserve_vcc 0
		.amdhsa_reserve_flat_scratch 0
		.amdhsa_float_round_mode_32 0
		.amdhsa_float_round_mode_16_64 0
		.amdhsa_float_denorm_mode_32 3
		.amdhsa_float_denorm_mode_16_64 3
		.amdhsa_dx10_clamp 1
		.amdhsa_ieee_mode 1
		.amdhsa_fp16_overflow 0
		.amdhsa_tg_split 0
		.amdhsa_exception_fp_ieee_invalid_op 0
		.amdhsa_exception_fp_denorm_src 0
		.amdhsa_exception_fp_ieee_div_zero 0
		.amdhsa_exception_fp_ieee_overflow 0
		.amdhsa_exception_fp_ieee_underflow 0
		.amdhsa_exception_fp_ieee_inexact 0
		.amdhsa_exception_int_div_zero 0
	.end_amdhsa_kernel
	.section	.text._ZN7rocprim17ROCPRIM_400000_NS6detail17trampoline_kernelINS0_14default_configENS1_33run_length_encode_config_selectorImjNS0_4plusIjEEEEZZNS1_33reduce_by_key_impl_wrapped_configILNS1_25lookback_scan_determinismE0ES3_S7_PKmNS0_17constant_iteratorIjlEEPmPlSF_S6_NS0_8equal_toImEEEE10hipError_tPvRmT2_T3_mT4_T5_T6_T7_T8_P12ihipStream_tbENKUlT_T0_E_clISt17integral_constantIbLb1EESZ_EEDaSU_SV_EUlSU_E_NS1_11comp_targetILNS1_3genE10ELNS1_11target_archE1200ELNS1_3gpuE4ELNS1_3repE0EEENS1_30default_config_static_selectorELNS0_4arch9wavefront6targetE1EEEvT1_,"axG",@progbits,_ZN7rocprim17ROCPRIM_400000_NS6detail17trampoline_kernelINS0_14default_configENS1_33run_length_encode_config_selectorImjNS0_4plusIjEEEEZZNS1_33reduce_by_key_impl_wrapped_configILNS1_25lookback_scan_determinismE0ES3_S7_PKmNS0_17constant_iteratorIjlEEPmPlSF_S6_NS0_8equal_toImEEEE10hipError_tPvRmT2_T3_mT4_T5_T6_T7_T8_P12ihipStream_tbENKUlT_T0_E_clISt17integral_constantIbLb1EESZ_EEDaSU_SV_EUlSU_E_NS1_11comp_targetILNS1_3genE10ELNS1_11target_archE1200ELNS1_3gpuE4ELNS1_3repE0EEENS1_30default_config_static_selectorELNS0_4arch9wavefront6targetE1EEEvT1_,comdat
.Lfunc_end733:
	.size	_ZN7rocprim17ROCPRIM_400000_NS6detail17trampoline_kernelINS0_14default_configENS1_33run_length_encode_config_selectorImjNS0_4plusIjEEEEZZNS1_33reduce_by_key_impl_wrapped_configILNS1_25lookback_scan_determinismE0ES3_S7_PKmNS0_17constant_iteratorIjlEEPmPlSF_S6_NS0_8equal_toImEEEE10hipError_tPvRmT2_T3_mT4_T5_T6_T7_T8_P12ihipStream_tbENKUlT_T0_E_clISt17integral_constantIbLb1EESZ_EEDaSU_SV_EUlSU_E_NS1_11comp_targetILNS1_3genE10ELNS1_11target_archE1200ELNS1_3gpuE4ELNS1_3repE0EEENS1_30default_config_static_selectorELNS0_4arch9wavefront6targetE1EEEvT1_, .Lfunc_end733-_ZN7rocprim17ROCPRIM_400000_NS6detail17trampoline_kernelINS0_14default_configENS1_33run_length_encode_config_selectorImjNS0_4plusIjEEEEZZNS1_33reduce_by_key_impl_wrapped_configILNS1_25lookback_scan_determinismE0ES3_S7_PKmNS0_17constant_iteratorIjlEEPmPlSF_S6_NS0_8equal_toImEEEE10hipError_tPvRmT2_T3_mT4_T5_T6_T7_T8_P12ihipStream_tbENKUlT_T0_E_clISt17integral_constantIbLb1EESZ_EEDaSU_SV_EUlSU_E_NS1_11comp_targetILNS1_3genE10ELNS1_11target_archE1200ELNS1_3gpuE4ELNS1_3repE0EEENS1_30default_config_static_selectorELNS0_4arch9wavefront6targetE1EEEvT1_
                                        ; -- End function
	.section	.AMDGPU.csdata,"",@progbits
; Kernel info:
; codeLenInByte = 0
; NumSgprs: 4
; NumVgprs: 0
; NumAgprs: 0
; TotalNumVgprs: 0
; ScratchSize: 0
; MemoryBound: 0
; FloatMode: 240
; IeeeMode: 1
; LDSByteSize: 0 bytes/workgroup (compile time only)
; SGPRBlocks: 0
; VGPRBlocks: 0
; NumSGPRsForWavesPerEU: 4
; NumVGPRsForWavesPerEU: 1
; AccumOffset: 4
; Occupancy: 8
; WaveLimiterHint : 0
; COMPUTE_PGM_RSRC2:SCRATCH_EN: 0
; COMPUTE_PGM_RSRC2:USER_SGPR: 6
; COMPUTE_PGM_RSRC2:TRAP_HANDLER: 0
; COMPUTE_PGM_RSRC2:TGID_X_EN: 1
; COMPUTE_PGM_RSRC2:TGID_Y_EN: 0
; COMPUTE_PGM_RSRC2:TGID_Z_EN: 0
; COMPUTE_PGM_RSRC2:TIDIG_COMP_CNT: 0
; COMPUTE_PGM_RSRC3_GFX90A:ACCUM_OFFSET: 0
; COMPUTE_PGM_RSRC3_GFX90A:TG_SPLIT: 0
	.section	.text._ZN7rocprim17ROCPRIM_400000_NS6detail17trampoline_kernelINS0_14default_configENS1_33run_length_encode_config_selectorImjNS0_4plusIjEEEEZZNS1_33reduce_by_key_impl_wrapped_configILNS1_25lookback_scan_determinismE0ES3_S7_PKmNS0_17constant_iteratorIjlEEPmPlSF_S6_NS0_8equal_toImEEEE10hipError_tPvRmT2_T3_mT4_T5_T6_T7_T8_P12ihipStream_tbENKUlT_T0_E_clISt17integral_constantIbLb1EESZ_EEDaSU_SV_EUlSU_E_NS1_11comp_targetILNS1_3genE9ELNS1_11target_archE1100ELNS1_3gpuE3ELNS1_3repE0EEENS1_30default_config_static_selectorELNS0_4arch9wavefront6targetE1EEEvT1_,"axG",@progbits,_ZN7rocprim17ROCPRIM_400000_NS6detail17trampoline_kernelINS0_14default_configENS1_33run_length_encode_config_selectorImjNS0_4plusIjEEEEZZNS1_33reduce_by_key_impl_wrapped_configILNS1_25lookback_scan_determinismE0ES3_S7_PKmNS0_17constant_iteratorIjlEEPmPlSF_S6_NS0_8equal_toImEEEE10hipError_tPvRmT2_T3_mT4_T5_T6_T7_T8_P12ihipStream_tbENKUlT_T0_E_clISt17integral_constantIbLb1EESZ_EEDaSU_SV_EUlSU_E_NS1_11comp_targetILNS1_3genE9ELNS1_11target_archE1100ELNS1_3gpuE3ELNS1_3repE0EEENS1_30default_config_static_selectorELNS0_4arch9wavefront6targetE1EEEvT1_,comdat
	.protected	_ZN7rocprim17ROCPRIM_400000_NS6detail17trampoline_kernelINS0_14default_configENS1_33run_length_encode_config_selectorImjNS0_4plusIjEEEEZZNS1_33reduce_by_key_impl_wrapped_configILNS1_25lookback_scan_determinismE0ES3_S7_PKmNS0_17constant_iteratorIjlEEPmPlSF_S6_NS0_8equal_toImEEEE10hipError_tPvRmT2_T3_mT4_T5_T6_T7_T8_P12ihipStream_tbENKUlT_T0_E_clISt17integral_constantIbLb1EESZ_EEDaSU_SV_EUlSU_E_NS1_11comp_targetILNS1_3genE9ELNS1_11target_archE1100ELNS1_3gpuE3ELNS1_3repE0EEENS1_30default_config_static_selectorELNS0_4arch9wavefront6targetE1EEEvT1_ ; -- Begin function _ZN7rocprim17ROCPRIM_400000_NS6detail17trampoline_kernelINS0_14default_configENS1_33run_length_encode_config_selectorImjNS0_4plusIjEEEEZZNS1_33reduce_by_key_impl_wrapped_configILNS1_25lookback_scan_determinismE0ES3_S7_PKmNS0_17constant_iteratorIjlEEPmPlSF_S6_NS0_8equal_toImEEEE10hipError_tPvRmT2_T3_mT4_T5_T6_T7_T8_P12ihipStream_tbENKUlT_T0_E_clISt17integral_constantIbLb1EESZ_EEDaSU_SV_EUlSU_E_NS1_11comp_targetILNS1_3genE9ELNS1_11target_archE1100ELNS1_3gpuE3ELNS1_3repE0EEENS1_30default_config_static_selectorELNS0_4arch9wavefront6targetE1EEEvT1_
	.globl	_ZN7rocprim17ROCPRIM_400000_NS6detail17trampoline_kernelINS0_14default_configENS1_33run_length_encode_config_selectorImjNS0_4plusIjEEEEZZNS1_33reduce_by_key_impl_wrapped_configILNS1_25lookback_scan_determinismE0ES3_S7_PKmNS0_17constant_iteratorIjlEEPmPlSF_S6_NS0_8equal_toImEEEE10hipError_tPvRmT2_T3_mT4_T5_T6_T7_T8_P12ihipStream_tbENKUlT_T0_E_clISt17integral_constantIbLb1EESZ_EEDaSU_SV_EUlSU_E_NS1_11comp_targetILNS1_3genE9ELNS1_11target_archE1100ELNS1_3gpuE3ELNS1_3repE0EEENS1_30default_config_static_selectorELNS0_4arch9wavefront6targetE1EEEvT1_
	.p2align	8
	.type	_ZN7rocprim17ROCPRIM_400000_NS6detail17trampoline_kernelINS0_14default_configENS1_33run_length_encode_config_selectorImjNS0_4plusIjEEEEZZNS1_33reduce_by_key_impl_wrapped_configILNS1_25lookback_scan_determinismE0ES3_S7_PKmNS0_17constant_iteratorIjlEEPmPlSF_S6_NS0_8equal_toImEEEE10hipError_tPvRmT2_T3_mT4_T5_T6_T7_T8_P12ihipStream_tbENKUlT_T0_E_clISt17integral_constantIbLb1EESZ_EEDaSU_SV_EUlSU_E_NS1_11comp_targetILNS1_3genE9ELNS1_11target_archE1100ELNS1_3gpuE3ELNS1_3repE0EEENS1_30default_config_static_selectorELNS0_4arch9wavefront6targetE1EEEvT1_,@function
_ZN7rocprim17ROCPRIM_400000_NS6detail17trampoline_kernelINS0_14default_configENS1_33run_length_encode_config_selectorImjNS0_4plusIjEEEEZZNS1_33reduce_by_key_impl_wrapped_configILNS1_25lookback_scan_determinismE0ES3_S7_PKmNS0_17constant_iteratorIjlEEPmPlSF_S6_NS0_8equal_toImEEEE10hipError_tPvRmT2_T3_mT4_T5_T6_T7_T8_P12ihipStream_tbENKUlT_T0_E_clISt17integral_constantIbLb1EESZ_EEDaSU_SV_EUlSU_E_NS1_11comp_targetILNS1_3genE9ELNS1_11target_archE1100ELNS1_3gpuE3ELNS1_3repE0EEENS1_30default_config_static_selectorELNS0_4arch9wavefront6targetE1EEEvT1_: ; @_ZN7rocprim17ROCPRIM_400000_NS6detail17trampoline_kernelINS0_14default_configENS1_33run_length_encode_config_selectorImjNS0_4plusIjEEEEZZNS1_33reduce_by_key_impl_wrapped_configILNS1_25lookback_scan_determinismE0ES3_S7_PKmNS0_17constant_iteratorIjlEEPmPlSF_S6_NS0_8equal_toImEEEE10hipError_tPvRmT2_T3_mT4_T5_T6_T7_T8_P12ihipStream_tbENKUlT_T0_E_clISt17integral_constantIbLb1EESZ_EEDaSU_SV_EUlSU_E_NS1_11comp_targetILNS1_3genE9ELNS1_11target_archE1100ELNS1_3gpuE3ELNS1_3repE0EEENS1_30default_config_static_selectorELNS0_4arch9wavefront6targetE1EEEvT1_
; %bb.0:
	.section	.rodata,"a",@progbits
	.p2align	6, 0x0
	.amdhsa_kernel _ZN7rocprim17ROCPRIM_400000_NS6detail17trampoline_kernelINS0_14default_configENS1_33run_length_encode_config_selectorImjNS0_4plusIjEEEEZZNS1_33reduce_by_key_impl_wrapped_configILNS1_25lookback_scan_determinismE0ES3_S7_PKmNS0_17constant_iteratorIjlEEPmPlSF_S6_NS0_8equal_toImEEEE10hipError_tPvRmT2_T3_mT4_T5_T6_T7_T8_P12ihipStream_tbENKUlT_T0_E_clISt17integral_constantIbLb1EESZ_EEDaSU_SV_EUlSU_E_NS1_11comp_targetILNS1_3genE9ELNS1_11target_archE1100ELNS1_3gpuE3ELNS1_3repE0EEENS1_30default_config_static_selectorELNS0_4arch9wavefront6targetE1EEEvT1_
		.amdhsa_group_segment_fixed_size 0
		.amdhsa_private_segment_fixed_size 0
		.amdhsa_kernarg_size 128
		.amdhsa_user_sgpr_count 6
		.amdhsa_user_sgpr_private_segment_buffer 1
		.amdhsa_user_sgpr_dispatch_ptr 0
		.amdhsa_user_sgpr_queue_ptr 0
		.amdhsa_user_sgpr_kernarg_segment_ptr 1
		.amdhsa_user_sgpr_dispatch_id 0
		.amdhsa_user_sgpr_flat_scratch_init 0
		.amdhsa_user_sgpr_kernarg_preload_length 0
		.amdhsa_user_sgpr_kernarg_preload_offset 0
		.amdhsa_user_sgpr_private_segment_size 0
		.amdhsa_uses_dynamic_stack 0
		.amdhsa_system_sgpr_private_segment_wavefront_offset 0
		.amdhsa_system_sgpr_workgroup_id_x 1
		.amdhsa_system_sgpr_workgroup_id_y 0
		.amdhsa_system_sgpr_workgroup_id_z 0
		.amdhsa_system_sgpr_workgroup_info 0
		.amdhsa_system_vgpr_workitem_id 0
		.amdhsa_next_free_vgpr 1
		.amdhsa_next_free_sgpr 0
		.amdhsa_accum_offset 4
		.amdhsa_reserve_vcc 0
		.amdhsa_reserve_flat_scratch 0
		.amdhsa_float_round_mode_32 0
		.amdhsa_float_round_mode_16_64 0
		.amdhsa_float_denorm_mode_32 3
		.amdhsa_float_denorm_mode_16_64 3
		.amdhsa_dx10_clamp 1
		.amdhsa_ieee_mode 1
		.amdhsa_fp16_overflow 0
		.amdhsa_tg_split 0
		.amdhsa_exception_fp_ieee_invalid_op 0
		.amdhsa_exception_fp_denorm_src 0
		.amdhsa_exception_fp_ieee_div_zero 0
		.amdhsa_exception_fp_ieee_overflow 0
		.amdhsa_exception_fp_ieee_underflow 0
		.amdhsa_exception_fp_ieee_inexact 0
		.amdhsa_exception_int_div_zero 0
	.end_amdhsa_kernel
	.section	.text._ZN7rocprim17ROCPRIM_400000_NS6detail17trampoline_kernelINS0_14default_configENS1_33run_length_encode_config_selectorImjNS0_4plusIjEEEEZZNS1_33reduce_by_key_impl_wrapped_configILNS1_25lookback_scan_determinismE0ES3_S7_PKmNS0_17constant_iteratorIjlEEPmPlSF_S6_NS0_8equal_toImEEEE10hipError_tPvRmT2_T3_mT4_T5_T6_T7_T8_P12ihipStream_tbENKUlT_T0_E_clISt17integral_constantIbLb1EESZ_EEDaSU_SV_EUlSU_E_NS1_11comp_targetILNS1_3genE9ELNS1_11target_archE1100ELNS1_3gpuE3ELNS1_3repE0EEENS1_30default_config_static_selectorELNS0_4arch9wavefront6targetE1EEEvT1_,"axG",@progbits,_ZN7rocprim17ROCPRIM_400000_NS6detail17trampoline_kernelINS0_14default_configENS1_33run_length_encode_config_selectorImjNS0_4plusIjEEEEZZNS1_33reduce_by_key_impl_wrapped_configILNS1_25lookback_scan_determinismE0ES3_S7_PKmNS0_17constant_iteratorIjlEEPmPlSF_S6_NS0_8equal_toImEEEE10hipError_tPvRmT2_T3_mT4_T5_T6_T7_T8_P12ihipStream_tbENKUlT_T0_E_clISt17integral_constantIbLb1EESZ_EEDaSU_SV_EUlSU_E_NS1_11comp_targetILNS1_3genE9ELNS1_11target_archE1100ELNS1_3gpuE3ELNS1_3repE0EEENS1_30default_config_static_selectorELNS0_4arch9wavefront6targetE1EEEvT1_,comdat
.Lfunc_end734:
	.size	_ZN7rocprim17ROCPRIM_400000_NS6detail17trampoline_kernelINS0_14default_configENS1_33run_length_encode_config_selectorImjNS0_4plusIjEEEEZZNS1_33reduce_by_key_impl_wrapped_configILNS1_25lookback_scan_determinismE0ES3_S7_PKmNS0_17constant_iteratorIjlEEPmPlSF_S6_NS0_8equal_toImEEEE10hipError_tPvRmT2_T3_mT4_T5_T6_T7_T8_P12ihipStream_tbENKUlT_T0_E_clISt17integral_constantIbLb1EESZ_EEDaSU_SV_EUlSU_E_NS1_11comp_targetILNS1_3genE9ELNS1_11target_archE1100ELNS1_3gpuE3ELNS1_3repE0EEENS1_30default_config_static_selectorELNS0_4arch9wavefront6targetE1EEEvT1_, .Lfunc_end734-_ZN7rocprim17ROCPRIM_400000_NS6detail17trampoline_kernelINS0_14default_configENS1_33run_length_encode_config_selectorImjNS0_4plusIjEEEEZZNS1_33reduce_by_key_impl_wrapped_configILNS1_25lookback_scan_determinismE0ES3_S7_PKmNS0_17constant_iteratorIjlEEPmPlSF_S6_NS0_8equal_toImEEEE10hipError_tPvRmT2_T3_mT4_T5_T6_T7_T8_P12ihipStream_tbENKUlT_T0_E_clISt17integral_constantIbLb1EESZ_EEDaSU_SV_EUlSU_E_NS1_11comp_targetILNS1_3genE9ELNS1_11target_archE1100ELNS1_3gpuE3ELNS1_3repE0EEENS1_30default_config_static_selectorELNS0_4arch9wavefront6targetE1EEEvT1_
                                        ; -- End function
	.section	.AMDGPU.csdata,"",@progbits
; Kernel info:
; codeLenInByte = 0
; NumSgprs: 4
; NumVgprs: 0
; NumAgprs: 0
; TotalNumVgprs: 0
; ScratchSize: 0
; MemoryBound: 0
; FloatMode: 240
; IeeeMode: 1
; LDSByteSize: 0 bytes/workgroup (compile time only)
; SGPRBlocks: 0
; VGPRBlocks: 0
; NumSGPRsForWavesPerEU: 4
; NumVGPRsForWavesPerEU: 1
; AccumOffset: 4
; Occupancy: 8
; WaveLimiterHint : 0
; COMPUTE_PGM_RSRC2:SCRATCH_EN: 0
; COMPUTE_PGM_RSRC2:USER_SGPR: 6
; COMPUTE_PGM_RSRC2:TRAP_HANDLER: 0
; COMPUTE_PGM_RSRC2:TGID_X_EN: 1
; COMPUTE_PGM_RSRC2:TGID_Y_EN: 0
; COMPUTE_PGM_RSRC2:TGID_Z_EN: 0
; COMPUTE_PGM_RSRC2:TIDIG_COMP_CNT: 0
; COMPUTE_PGM_RSRC3_GFX90A:ACCUM_OFFSET: 0
; COMPUTE_PGM_RSRC3_GFX90A:TG_SPLIT: 0
	.section	.text._ZN7rocprim17ROCPRIM_400000_NS6detail17trampoline_kernelINS0_14default_configENS1_33run_length_encode_config_selectorImjNS0_4plusIjEEEEZZNS1_33reduce_by_key_impl_wrapped_configILNS1_25lookback_scan_determinismE0ES3_S7_PKmNS0_17constant_iteratorIjlEEPmPlSF_S6_NS0_8equal_toImEEEE10hipError_tPvRmT2_T3_mT4_T5_T6_T7_T8_P12ihipStream_tbENKUlT_T0_E_clISt17integral_constantIbLb1EESZ_EEDaSU_SV_EUlSU_E_NS1_11comp_targetILNS1_3genE8ELNS1_11target_archE1030ELNS1_3gpuE2ELNS1_3repE0EEENS1_30default_config_static_selectorELNS0_4arch9wavefront6targetE1EEEvT1_,"axG",@progbits,_ZN7rocprim17ROCPRIM_400000_NS6detail17trampoline_kernelINS0_14default_configENS1_33run_length_encode_config_selectorImjNS0_4plusIjEEEEZZNS1_33reduce_by_key_impl_wrapped_configILNS1_25lookback_scan_determinismE0ES3_S7_PKmNS0_17constant_iteratorIjlEEPmPlSF_S6_NS0_8equal_toImEEEE10hipError_tPvRmT2_T3_mT4_T5_T6_T7_T8_P12ihipStream_tbENKUlT_T0_E_clISt17integral_constantIbLb1EESZ_EEDaSU_SV_EUlSU_E_NS1_11comp_targetILNS1_3genE8ELNS1_11target_archE1030ELNS1_3gpuE2ELNS1_3repE0EEENS1_30default_config_static_selectorELNS0_4arch9wavefront6targetE1EEEvT1_,comdat
	.protected	_ZN7rocprim17ROCPRIM_400000_NS6detail17trampoline_kernelINS0_14default_configENS1_33run_length_encode_config_selectorImjNS0_4plusIjEEEEZZNS1_33reduce_by_key_impl_wrapped_configILNS1_25lookback_scan_determinismE0ES3_S7_PKmNS0_17constant_iteratorIjlEEPmPlSF_S6_NS0_8equal_toImEEEE10hipError_tPvRmT2_T3_mT4_T5_T6_T7_T8_P12ihipStream_tbENKUlT_T0_E_clISt17integral_constantIbLb1EESZ_EEDaSU_SV_EUlSU_E_NS1_11comp_targetILNS1_3genE8ELNS1_11target_archE1030ELNS1_3gpuE2ELNS1_3repE0EEENS1_30default_config_static_selectorELNS0_4arch9wavefront6targetE1EEEvT1_ ; -- Begin function _ZN7rocprim17ROCPRIM_400000_NS6detail17trampoline_kernelINS0_14default_configENS1_33run_length_encode_config_selectorImjNS0_4plusIjEEEEZZNS1_33reduce_by_key_impl_wrapped_configILNS1_25lookback_scan_determinismE0ES3_S7_PKmNS0_17constant_iteratorIjlEEPmPlSF_S6_NS0_8equal_toImEEEE10hipError_tPvRmT2_T3_mT4_T5_T6_T7_T8_P12ihipStream_tbENKUlT_T0_E_clISt17integral_constantIbLb1EESZ_EEDaSU_SV_EUlSU_E_NS1_11comp_targetILNS1_3genE8ELNS1_11target_archE1030ELNS1_3gpuE2ELNS1_3repE0EEENS1_30default_config_static_selectorELNS0_4arch9wavefront6targetE1EEEvT1_
	.globl	_ZN7rocprim17ROCPRIM_400000_NS6detail17trampoline_kernelINS0_14default_configENS1_33run_length_encode_config_selectorImjNS0_4plusIjEEEEZZNS1_33reduce_by_key_impl_wrapped_configILNS1_25lookback_scan_determinismE0ES3_S7_PKmNS0_17constant_iteratorIjlEEPmPlSF_S6_NS0_8equal_toImEEEE10hipError_tPvRmT2_T3_mT4_T5_T6_T7_T8_P12ihipStream_tbENKUlT_T0_E_clISt17integral_constantIbLb1EESZ_EEDaSU_SV_EUlSU_E_NS1_11comp_targetILNS1_3genE8ELNS1_11target_archE1030ELNS1_3gpuE2ELNS1_3repE0EEENS1_30default_config_static_selectorELNS0_4arch9wavefront6targetE1EEEvT1_
	.p2align	8
	.type	_ZN7rocprim17ROCPRIM_400000_NS6detail17trampoline_kernelINS0_14default_configENS1_33run_length_encode_config_selectorImjNS0_4plusIjEEEEZZNS1_33reduce_by_key_impl_wrapped_configILNS1_25lookback_scan_determinismE0ES3_S7_PKmNS0_17constant_iteratorIjlEEPmPlSF_S6_NS0_8equal_toImEEEE10hipError_tPvRmT2_T3_mT4_T5_T6_T7_T8_P12ihipStream_tbENKUlT_T0_E_clISt17integral_constantIbLb1EESZ_EEDaSU_SV_EUlSU_E_NS1_11comp_targetILNS1_3genE8ELNS1_11target_archE1030ELNS1_3gpuE2ELNS1_3repE0EEENS1_30default_config_static_selectorELNS0_4arch9wavefront6targetE1EEEvT1_,@function
_ZN7rocprim17ROCPRIM_400000_NS6detail17trampoline_kernelINS0_14default_configENS1_33run_length_encode_config_selectorImjNS0_4plusIjEEEEZZNS1_33reduce_by_key_impl_wrapped_configILNS1_25lookback_scan_determinismE0ES3_S7_PKmNS0_17constant_iteratorIjlEEPmPlSF_S6_NS0_8equal_toImEEEE10hipError_tPvRmT2_T3_mT4_T5_T6_T7_T8_P12ihipStream_tbENKUlT_T0_E_clISt17integral_constantIbLb1EESZ_EEDaSU_SV_EUlSU_E_NS1_11comp_targetILNS1_3genE8ELNS1_11target_archE1030ELNS1_3gpuE2ELNS1_3repE0EEENS1_30default_config_static_selectorELNS0_4arch9wavefront6targetE1EEEvT1_: ; @_ZN7rocprim17ROCPRIM_400000_NS6detail17trampoline_kernelINS0_14default_configENS1_33run_length_encode_config_selectorImjNS0_4plusIjEEEEZZNS1_33reduce_by_key_impl_wrapped_configILNS1_25lookback_scan_determinismE0ES3_S7_PKmNS0_17constant_iteratorIjlEEPmPlSF_S6_NS0_8equal_toImEEEE10hipError_tPvRmT2_T3_mT4_T5_T6_T7_T8_P12ihipStream_tbENKUlT_T0_E_clISt17integral_constantIbLb1EESZ_EEDaSU_SV_EUlSU_E_NS1_11comp_targetILNS1_3genE8ELNS1_11target_archE1030ELNS1_3gpuE2ELNS1_3repE0EEENS1_30default_config_static_selectorELNS0_4arch9wavefront6targetE1EEEvT1_
; %bb.0:
	.section	.rodata,"a",@progbits
	.p2align	6, 0x0
	.amdhsa_kernel _ZN7rocprim17ROCPRIM_400000_NS6detail17trampoline_kernelINS0_14default_configENS1_33run_length_encode_config_selectorImjNS0_4plusIjEEEEZZNS1_33reduce_by_key_impl_wrapped_configILNS1_25lookback_scan_determinismE0ES3_S7_PKmNS0_17constant_iteratorIjlEEPmPlSF_S6_NS0_8equal_toImEEEE10hipError_tPvRmT2_T3_mT4_T5_T6_T7_T8_P12ihipStream_tbENKUlT_T0_E_clISt17integral_constantIbLb1EESZ_EEDaSU_SV_EUlSU_E_NS1_11comp_targetILNS1_3genE8ELNS1_11target_archE1030ELNS1_3gpuE2ELNS1_3repE0EEENS1_30default_config_static_selectorELNS0_4arch9wavefront6targetE1EEEvT1_
		.amdhsa_group_segment_fixed_size 0
		.amdhsa_private_segment_fixed_size 0
		.amdhsa_kernarg_size 128
		.amdhsa_user_sgpr_count 6
		.amdhsa_user_sgpr_private_segment_buffer 1
		.amdhsa_user_sgpr_dispatch_ptr 0
		.amdhsa_user_sgpr_queue_ptr 0
		.amdhsa_user_sgpr_kernarg_segment_ptr 1
		.amdhsa_user_sgpr_dispatch_id 0
		.amdhsa_user_sgpr_flat_scratch_init 0
		.amdhsa_user_sgpr_kernarg_preload_length 0
		.amdhsa_user_sgpr_kernarg_preload_offset 0
		.amdhsa_user_sgpr_private_segment_size 0
		.amdhsa_uses_dynamic_stack 0
		.amdhsa_system_sgpr_private_segment_wavefront_offset 0
		.amdhsa_system_sgpr_workgroup_id_x 1
		.amdhsa_system_sgpr_workgroup_id_y 0
		.amdhsa_system_sgpr_workgroup_id_z 0
		.amdhsa_system_sgpr_workgroup_info 0
		.amdhsa_system_vgpr_workitem_id 0
		.amdhsa_next_free_vgpr 1
		.amdhsa_next_free_sgpr 0
		.amdhsa_accum_offset 4
		.amdhsa_reserve_vcc 0
		.amdhsa_reserve_flat_scratch 0
		.amdhsa_float_round_mode_32 0
		.amdhsa_float_round_mode_16_64 0
		.amdhsa_float_denorm_mode_32 3
		.amdhsa_float_denorm_mode_16_64 3
		.amdhsa_dx10_clamp 1
		.amdhsa_ieee_mode 1
		.amdhsa_fp16_overflow 0
		.amdhsa_tg_split 0
		.amdhsa_exception_fp_ieee_invalid_op 0
		.amdhsa_exception_fp_denorm_src 0
		.amdhsa_exception_fp_ieee_div_zero 0
		.amdhsa_exception_fp_ieee_overflow 0
		.amdhsa_exception_fp_ieee_underflow 0
		.amdhsa_exception_fp_ieee_inexact 0
		.amdhsa_exception_int_div_zero 0
	.end_amdhsa_kernel
	.section	.text._ZN7rocprim17ROCPRIM_400000_NS6detail17trampoline_kernelINS0_14default_configENS1_33run_length_encode_config_selectorImjNS0_4plusIjEEEEZZNS1_33reduce_by_key_impl_wrapped_configILNS1_25lookback_scan_determinismE0ES3_S7_PKmNS0_17constant_iteratorIjlEEPmPlSF_S6_NS0_8equal_toImEEEE10hipError_tPvRmT2_T3_mT4_T5_T6_T7_T8_P12ihipStream_tbENKUlT_T0_E_clISt17integral_constantIbLb1EESZ_EEDaSU_SV_EUlSU_E_NS1_11comp_targetILNS1_3genE8ELNS1_11target_archE1030ELNS1_3gpuE2ELNS1_3repE0EEENS1_30default_config_static_selectorELNS0_4arch9wavefront6targetE1EEEvT1_,"axG",@progbits,_ZN7rocprim17ROCPRIM_400000_NS6detail17trampoline_kernelINS0_14default_configENS1_33run_length_encode_config_selectorImjNS0_4plusIjEEEEZZNS1_33reduce_by_key_impl_wrapped_configILNS1_25lookback_scan_determinismE0ES3_S7_PKmNS0_17constant_iteratorIjlEEPmPlSF_S6_NS0_8equal_toImEEEE10hipError_tPvRmT2_T3_mT4_T5_T6_T7_T8_P12ihipStream_tbENKUlT_T0_E_clISt17integral_constantIbLb1EESZ_EEDaSU_SV_EUlSU_E_NS1_11comp_targetILNS1_3genE8ELNS1_11target_archE1030ELNS1_3gpuE2ELNS1_3repE0EEENS1_30default_config_static_selectorELNS0_4arch9wavefront6targetE1EEEvT1_,comdat
.Lfunc_end735:
	.size	_ZN7rocprim17ROCPRIM_400000_NS6detail17trampoline_kernelINS0_14default_configENS1_33run_length_encode_config_selectorImjNS0_4plusIjEEEEZZNS1_33reduce_by_key_impl_wrapped_configILNS1_25lookback_scan_determinismE0ES3_S7_PKmNS0_17constant_iteratorIjlEEPmPlSF_S6_NS0_8equal_toImEEEE10hipError_tPvRmT2_T3_mT4_T5_T6_T7_T8_P12ihipStream_tbENKUlT_T0_E_clISt17integral_constantIbLb1EESZ_EEDaSU_SV_EUlSU_E_NS1_11comp_targetILNS1_3genE8ELNS1_11target_archE1030ELNS1_3gpuE2ELNS1_3repE0EEENS1_30default_config_static_selectorELNS0_4arch9wavefront6targetE1EEEvT1_, .Lfunc_end735-_ZN7rocprim17ROCPRIM_400000_NS6detail17trampoline_kernelINS0_14default_configENS1_33run_length_encode_config_selectorImjNS0_4plusIjEEEEZZNS1_33reduce_by_key_impl_wrapped_configILNS1_25lookback_scan_determinismE0ES3_S7_PKmNS0_17constant_iteratorIjlEEPmPlSF_S6_NS0_8equal_toImEEEE10hipError_tPvRmT2_T3_mT4_T5_T6_T7_T8_P12ihipStream_tbENKUlT_T0_E_clISt17integral_constantIbLb1EESZ_EEDaSU_SV_EUlSU_E_NS1_11comp_targetILNS1_3genE8ELNS1_11target_archE1030ELNS1_3gpuE2ELNS1_3repE0EEENS1_30default_config_static_selectorELNS0_4arch9wavefront6targetE1EEEvT1_
                                        ; -- End function
	.section	.AMDGPU.csdata,"",@progbits
; Kernel info:
; codeLenInByte = 0
; NumSgprs: 4
; NumVgprs: 0
; NumAgprs: 0
; TotalNumVgprs: 0
; ScratchSize: 0
; MemoryBound: 0
; FloatMode: 240
; IeeeMode: 1
; LDSByteSize: 0 bytes/workgroup (compile time only)
; SGPRBlocks: 0
; VGPRBlocks: 0
; NumSGPRsForWavesPerEU: 4
; NumVGPRsForWavesPerEU: 1
; AccumOffset: 4
; Occupancy: 8
; WaveLimiterHint : 0
; COMPUTE_PGM_RSRC2:SCRATCH_EN: 0
; COMPUTE_PGM_RSRC2:USER_SGPR: 6
; COMPUTE_PGM_RSRC2:TRAP_HANDLER: 0
; COMPUTE_PGM_RSRC2:TGID_X_EN: 1
; COMPUTE_PGM_RSRC2:TGID_Y_EN: 0
; COMPUTE_PGM_RSRC2:TGID_Z_EN: 0
; COMPUTE_PGM_RSRC2:TIDIG_COMP_CNT: 0
; COMPUTE_PGM_RSRC3_GFX90A:ACCUM_OFFSET: 0
; COMPUTE_PGM_RSRC3_GFX90A:TG_SPLIT: 0
	.section	.text._ZN7rocprim17ROCPRIM_400000_NS6detail17trampoline_kernelINS0_14default_configENS1_33run_length_encode_config_selectorImjNS0_4plusIjEEEEZZNS1_33reduce_by_key_impl_wrapped_configILNS1_25lookback_scan_determinismE0ES3_S7_PKmNS0_17constant_iteratorIjlEEPmPlSF_S6_NS0_8equal_toImEEEE10hipError_tPvRmT2_T3_mT4_T5_T6_T7_T8_P12ihipStream_tbENKUlT_T0_E_clISt17integral_constantIbLb1EESY_IbLb0EEEEDaSU_SV_EUlSU_E_NS1_11comp_targetILNS1_3genE0ELNS1_11target_archE4294967295ELNS1_3gpuE0ELNS1_3repE0EEENS1_30default_config_static_selectorELNS0_4arch9wavefront6targetE1EEEvT1_,"axG",@progbits,_ZN7rocprim17ROCPRIM_400000_NS6detail17trampoline_kernelINS0_14default_configENS1_33run_length_encode_config_selectorImjNS0_4plusIjEEEEZZNS1_33reduce_by_key_impl_wrapped_configILNS1_25lookback_scan_determinismE0ES3_S7_PKmNS0_17constant_iteratorIjlEEPmPlSF_S6_NS0_8equal_toImEEEE10hipError_tPvRmT2_T3_mT4_T5_T6_T7_T8_P12ihipStream_tbENKUlT_T0_E_clISt17integral_constantIbLb1EESY_IbLb0EEEEDaSU_SV_EUlSU_E_NS1_11comp_targetILNS1_3genE0ELNS1_11target_archE4294967295ELNS1_3gpuE0ELNS1_3repE0EEENS1_30default_config_static_selectorELNS0_4arch9wavefront6targetE1EEEvT1_,comdat
	.protected	_ZN7rocprim17ROCPRIM_400000_NS6detail17trampoline_kernelINS0_14default_configENS1_33run_length_encode_config_selectorImjNS0_4plusIjEEEEZZNS1_33reduce_by_key_impl_wrapped_configILNS1_25lookback_scan_determinismE0ES3_S7_PKmNS0_17constant_iteratorIjlEEPmPlSF_S6_NS0_8equal_toImEEEE10hipError_tPvRmT2_T3_mT4_T5_T6_T7_T8_P12ihipStream_tbENKUlT_T0_E_clISt17integral_constantIbLb1EESY_IbLb0EEEEDaSU_SV_EUlSU_E_NS1_11comp_targetILNS1_3genE0ELNS1_11target_archE4294967295ELNS1_3gpuE0ELNS1_3repE0EEENS1_30default_config_static_selectorELNS0_4arch9wavefront6targetE1EEEvT1_ ; -- Begin function _ZN7rocprim17ROCPRIM_400000_NS6detail17trampoline_kernelINS0_14default_configENS1_33run_length_encode_config_selectorImjNS0_4plusIjEEEEZZNS1_33reduce_by_key_impl_wrapped_configILNS1_25lookback_scan_determinismE0ES3_S7_PKmNS0_17constant_iteratorIjlEEPmPlSF_S6_NS0_8equal_toImEEEE10hipError_tPvRmT2_T3_mT4_T5_T6_T7_T8_P12ihipStream_tbENKUlT_T0_E_clISt17integral_constantIbLb1EESY_IbLb0EEEEDaSU_SV_EUlSU_E_NS1_11comp_targetILNS1_3genE0ELNS1_11target_archE4294967295ELNS1_3gpuE0ELNS1_3repE0EEENS1_30default_config_static_selectorELNS0_4arch9wavefront6targetE1EEEvT1_
	.globl	_ZN7rocprim17ROCPRIM_400000_NS6detail17trampoline_kernelINS0_14default_configENS1_33run_length_encode_config_selectorImjNS0_4plusIjEEEEZZNS1_33reduce_by_key_impl_wrapped_configILNS1_25lookback_scan_determinismE0ES3_S7_PKmNS0_17constant_iteratorIjlEEPmPlSF_S6_NS0_8equal_toImEEEE10hipError_tPvRmT2_T3_mT4_T5_T6_T7_T8_P12ihipStream_tbENKUlT_T0_E_clISt17integral_constantIbLb1EESY_IbLb0EEEEDaSU_SV_EUlSU_E_NS1_11comp_targetILNS1_3genE0ELNS1_11target_archE4294967295ELNS1_3gpuE0ELNS1_3repE0EEENS1_30default_config_static_selectorELNS0_4arch9wavefront6targetE1EEEvT1_
	.p2align	8
	.type	_ZN7rocprim17ROCPRIM_400000_NS6detail17trampoline_kernelINS0_14default_configENS1_33run_length_encode_config_selectorImjNS0_4plusIjEEEEZZNS1_33reduce_by_key_impl_wrapped_configILNS1_25lookback_scan_determinismE0ES3_S7_PKmNS0_17constant_iteratorIjlEEPmPlSF_S6_NS0_8equal_toImEEEE10hipError_tPvRmT2_T3_mT4_T5_T6_T7_T8_P12ihipStream_tbENKUlT_T0_E_clISt17integral_constantIbLb1EESY_IbLb0EEEEDaSU_SV_EUlSU_E_NS1_11comp_targetILNS1_3genE0ELNS1_11target_archE4294967295ELNS1_3gpuE0ELNS1_3repE0EEENS1_30default_config_static_selectorELNS0_4arch9wavefront6targetE1EEEvT1_,@function
_ZN7rocprim17ROCPRIM_400000_NS6detail17trampoline_kernelINS0_14default_configENS1_33run_length_encode_config_selectorImjNS0_4plusIjEEEEZZNS1_33reduce_by_key_impl_wrapped_configILNS1_25lookback_scan_determinismE0ES3_S7_PKmNS0_17constant_iteratorIjlEEPmPlSF_S6_NS0_8equal_toImEEEE10hipError_tPvRmT2_T3_mT4_T5_T6_T7_T8_P12ihipStream_tbENKUlT_T0_E_clISt17integral_constantIbLb1EESY_IbLb0EEEEDaSU_SV_EUlSU_E_NS1_11comp_targetILNS1_3genE0ELNS1_11target_archE4294967295ELNS1_3gpuE0ELNS1_3repE0EEENS1_30default_config_static_selectorELNS0_4arch9wavefront6targetE1EEEvT1_: ; @_ZN7rocprim17ROCPRIM_400000_NS6detail17trampoline_kernelINS0_14default_configENS1_33run_length_encode_config_selectorImjNS0_4plusIjEEEEZZNS1_33reduce_by_key_impl_wrapped_configILNS1_25lookback_scan_determinismE0ES3_S7_PKmNS0_17constant_iteratorIjlEEPmPlSF_S6_NS0_8equal_toImEEEE10hipError_tPvRmT2_T3_mT4_T5_T6_T7_T8_P12ihipStream_tbENKUlT_T0_E_clISt17integral_constantIbLb1EESY_IbLb0EEEEDaSU_SV_EUlSU_E_NS1_11comp_targetILNS1_3genE0ELNS1_11target_archE4294967295ELNS1_3gpuE0ELNS1_3repE0EEENS1_30default_config_static_selectorELNS0_4arch9wavefront6targetE1EEEvT1_
; %bb.0:
	.section	.rodata,"a",@progbits
	.p2align	6, 0x0
	.amdhsa_kernel _ZN7rocprim17ROCPRIM_400000_NS6detail17trampoline_kernelINS0_14default_configENS1_33run_length_encode_config_selectorImjNS0_4plusIjEEEEZZNS1_33reduce_by_key_impl_wrapped_configILNS1_25lookback_scan_determinismE0ES3_S7_PKmNS0_17constant_iteratorIjlEEPmPlSF_S6_NS0_8equal_toImEEEE10hipError_tPvRmT2_T3_mT4_T5_T6_T7_T8_P12ihipStream_tbENKUlT_T0_E_clISt17integral_constantIbLb1EESY_IbLb0EEEEDaSU_SV_EUlSU_E_NS1_11comp_targetILNS1_3genE0ELNS1_11target_archE4294967295ELNS1_3gpuE0ELNS1_3repE0EEENS1_30default_config_static_selectorELNS0_4arch9wavefront6targetE1EEEvT1_
		.amdhsa_group_segment_fixed_size 0
		.amdhsa_private_segment_fixed_size 0
		.amdhsa_kernarg_size 128
		.amdhsa_user_sgpr_count 6
		.amdhsa_user_sgpr_private_segment_buffer 1
		.amdhsa_user_sgpr_dispatch_ptr 0
		.amdhsa_user_sgpr_queue_ptr 0
		.amdhsa_user_sgpr_kernarg_segment_ptr 1
		.amdhsa_user_sgpr_dispatch_id 0
		.amdhsa_user_sgpr_flat_scratch_init 0
		.amdhsa_user_sgpr_kernarg_preload_length 0
		.amdhsa_user_sgpr_kernarg_preload_offset 0
		.amdhsa_user_sgpr_private_segment_size 0
		.amdhsa_uses_dynamic_stack 0
		.amdhsa_system_sgpr_private_segment_wavefront_offset 0
		.amdhsa_system_sgpr_workgroup_id_x 1
		.amdhsa_system_sgpr_workgroup_id_y 0
		.amdhsa_system_sgpr_workgroup_id_z 0
		.amdhsa_system_sgpr_workgroup_info 0
		.amdhsa_system_vgpr_workitem_id 0
		.amdhsa_next_free_vgpr 1
		.amdhsa_next_free_sgpr 0
		.amdhsa_accum_offset 4
		.amdhsa_reserve_vcc 0
		.amdhsa_reserve_flat_scratch 0
		.amdhsa_float_round_mode_32 0
		.amdhsa_float_round_mode_16_64 0
		.amdhsa_float_denorm_mode_32 3
		.amdhsa_float_denorm_mode_16_64 3
		.amdhsa_dx10_clamp 1
		.amdhsa_ieee_mode 1
		.amdhsa_fp16_overflow 0
		.amdhsa_tg_split 0
		.amdhsa_exception_fp_ieee_invalid_op 0
		.amdhsa_exception_fp_denorm_src 0
		.amdhsa_exception_fp_ieee_div_zero 0
		.amdhsa_exception_fp_ieee_overflow 0
		.amdhsa_exception_fp_ieee_underflow 0
		.amdhsa_exception_fp_ieee_inexact 0
		.amdhsa_exception_int_div_zero 0
	.end_amdhsa_kernel
	.section	.text._ZN7rocprim17ROCPRIM_400000_NS6detail17trampoline_kernelINS0_14default_configENS1_33run_length_encode_config_selectorImjNS0_4plusIjEEEEZZNS1_33reduce_by_key_impl_wrapped_configILNS1_25lookback_scan_determinismE0ES3_S7_PKmNS0_17constant_iteratorIjlEEPmPlSF_S6_NS0_8equal_toImEEEE10hipError_tPvRmT2_T3_mT4_T5_T6_T7_T8_P12ihipStream_tbENKUlT_T0_E_clISt17integral_constantIbLb1EESY_IbLb0EEEEDaSU_SV_EUlSU_E_NS1_11comp_targetILNS1_3genE0ELNS1_11target_archE4294967295ELNS1_3gpuE0ELNS1_3repE0EEENS1_30default_config_static_selectorELNS0_4arch9wavefront6targetE1EEEvT1_,"axG",@progbits,_ZN7rocprim17ROCPRIM_400000_NS6detail17trampoline_kernelINS0_14default_configENS1_33run_length_encode_config_selectorImjNS0_4plusIjEEEEZZNS1_33reduce_by_key_impl_wrapped_configILNS1_25lookback_scan_determinismE0ES3_S7_PKmNS0_17constant_iteratorIjlEEPmPlSF_S6_NS0_8equal_toImEEEE10hipError_tPvRmT2_T3_mT4_T5_T6_T7_T8_P12ihipStream_tbENKUlT_T0_E_clISt17integral_constantIbLb1EESY_IbLb0EEEEDaSU_SV_EUlSU_E_NS1_11comp_targetILNS1_3genE0ELNS1_11target_archE4294967295ELNS1_3gpuE0ELNS1_3repE0EEENS1_30default_config_static_selectorELNS0_4arch9wavefront6targetE1EEEvT1_,comdat
.Lfunc_end736:
	.size	_ZN7rocprim17ROCPRIM_400000_NS6detail17trampoline_kernelINS0_14default_configENS1_33run_length_encode_config_selectorImjNS0_4plusIjEEEEZZNS1_33reduce_by_key_impl_wrapped_configILNS1_25lookback_scan_determinismE0ES3_S7_PKmNS0_17constant_iteratorIjlEEPmPlSF_S6_NS0_8equal_toImEEEE10hipError_tPvRmT2_T3_mT4_T5_T6_T7_T8_P12ihipStream_tbENKUlT_T0_E_clISt17integral_constantIbLb1EESY_IbLb0EEEEDaSU_SV_EUlSU_E_NS1_11comp_targetILNS1_3genE0ELNS1_11target_archE4294967295ELNS1_3gpuE0ELNS1_3repE0EEENS1_30default_config_static_selectorELNS0_4arch9wavefront6targetE1EEEvT1_, .Lfunc_end736-_ZN7rocprim17ROCPRIM_400000_NS6detail17trampoline_kernelINS0_14default_configENS1_33run_length_encode_config_selectorImjNS0_4plusIjEEEEZZNS1_33reduce_by_key_impl_wrapped_configILNS1_25lookback_scan_determinismE0ES3_S7_PKmNS0_17constant_iteratorIjlEEPmPlSF_S6_NS0_8equal_toImEEEE10hipError_tPvRmT2_T3_mT4_T5_T6_T7_T8_P12ihipStream_tbENKUlT_T0_E_clISt17integral_constantIbLb1EESY_IbLb0EEEEDaSU_SV_EUlSU_E_NS1_11comp_targetILNS1_3genE0ELNS1_11target_archE4294967295ELNS1_3gpuE0ELNS1_3repE0EEENS1_30default_config_static_selectorELNS0_4arch9wavefront6targetE1EEEvT1_
                                        ; -- End function
	.section	.AMDGPU.csdata,"",@progbits
; Kernel info:
; codeLenInByte = 0
; NumSgprs: 4
; NumVgprs: 0
; NumAgprs: 0
; TotalNumVgprs: 0
; ScratchSize: 0
; MemoryBound: 0
; FloatMode: 240
; IeeeMode: 1
; LDSByteSize: 0 bytes/workgroup (compile time only)
; SGPRBlocks: 0
; VGPRBlocks: 0
; NumSGPRsForWavesPerEU: 4
; NumVGPRsForWavesPerEU: 1
; AccumOffset: 4
; Occupancy: 8
; WaveLimiterHint : 0
; COMPUTE_PGM_RSRC2:SCRATCH_EN: 0
; COMPUTE_PGM_RSRC2:USER_SGPR: 6
; COMPUTE_PGM_RSRC2:TRAP_HANDLER: 0
; COMPUTE_PGM_RSRC2:TGID_X_EN: 1
; COMPUTE_PGM_RSRC2:TGID_Y_EN: 0
; COMPUTE_PGM_RSRC2:TGID_Z_EN: 0
; COMPUTE_PGM_RSRC2:TIDIG_COMP_CNT: 0
; COMPUTE_PGM_RSRC3_GFX90A:ACCUM_OFFSET: 0
; COMPUTE_PGM_RSRC3_GFX90A:TG_SPLIT: 0
	.section	.text._ZN7rocprim17ROCPRIM_400000_NS6detail17trampoline_kernelINS0_14default_configENS1_33run_length_encode_config_selectorImjNS0_4plusIjEEEEZZNS1_33reduce_by_key_impl_wrapped_configILNS1_25lookback_scan_determinismE0ES3_S7_PKmNS0_17constant_iteratorIjlEEPmPlSF_S6_NS0_8equal_toImEEEE10hipError_tPvRmT2_T3_mT4_T5_T6_T7_T8_P12ihipStream_tbENKUlT_T0_E_clISt17integral_constantIbLb1EESY_IbLb0EEEEDaSU_SV_EUlSU_E_NS1_11comp_targetILNS1_3genE5ELNS1_11target_archE942ELNS1_3gpuE9ELNS1_3repE0EEENS1_30default_config_static_selectorELNS0_4arch9wavefront6targetE1EEEvT1_,"axG",@progbits,_ZN7rocprim17ROCPRIM_400000_NS6detail17trampoline_kernelINS0_14default_configENS1_33run_length_encode_config_selectorImjNS0_4plusIjEEEEZZNS1_33reduce_by_key_impl_wrapped_configILNS1_25lookback_scan_determinismE0ES3_S7_PKmNS0_17constant_iteratorIjlEEPmPlSF_S6_NS0_8equal_toImEEEE10hipError_tPvRmT2_T3_mT4_T5_T6_T7_T8_P12ihipStream_tbENKUlT_T0_E_clISt17integral_constantIbLb1EESY_IbLb0EEEEDaSU_SV_EUlSU_E_NS1_11comp_targetILNS1_3genE5ELNS1_11target_archE942ELNS1_3gpuE9ELNS1_3repE0EEENS1_30default_config_static_selectorELNS0_4arch9wavefront6targetE1EEEvT1_,comdat
	.protected	_ZN7rocprim17ROCPRIM_400000_NS6detail17trampoline_kernelINS0_14default_configENS1_33run_length_encode_config_selectorImjNS0_4plusIjEEEEZZNS1_33reduce_by_key_impl_wrapped_configILNS1_25lookback_scan_determinismE0ES3_S7_PKmNS0_17constant_iteratorIjlEEPmPlSF_S6_NS0_8equal_toImEEEE10hipError_tPvRmT2_T3_mT4_T5_T6_T7_T8_P12ihipStream_tbENKUlT_T0_E_clISt17integral_constantIbLb1EESY_IbLb0EEEEDaSU_SV_EUlSU_E_NS1_11comp_targetILNS1_3genE5ELNS1_11target_archE942ELNS1_3gpuE9ELNS1_3repE0EEENS1_30default_config_static_selectorELNS0_4arch9wavefront6targetE1EEEvT1_ ; -- Begin function _ZN7rocprim17ROCPRIM_400000_NS6detail17trampoline_kernelINS0_14default_configENS1_33run_length_encode_config_selectorImjNS0_4plusIjEEEEZZNS1_33reduce_by_key_impl_wrapped_configILNS1_25lookback_scan_determinismE0ES3_S7_PKmNS0_17constant_iteratorIjlEEPmPlSF_S6_NS0_8equal_toImEEEE10hipError_tPvRmT2_T3_mT4_T5_T6_T7_T8_P12ihipStream_tbENKUlT_T0_E_clISt17integral_constantIbLb1EESY_IbLb0EEEEDaSU_SV_EUlSU_E_NS1_11comp_targetILNS1_3genE5ELNS1_11target_archE942ELNS1_3gpuE9ELNS1_3repE0EEENS1_30default_config_static_selectorELNS0_4arch9wavefront6targetE1EEEvT1_
	.globl	_ZN7rocprim17ROCPRIM_400000_NS6detail17trampoline_kernelINS0_14default_configENS1_33run_length_encode_config_selectorImjNS0_4plusIjEEEEZZNS1_33reduce_by_key_impl_wrapped_configILNS1_25lookback_scan_determinismE0ES3_S7_PKmNS0_17constant_iteratorIjlEEPmPlSF_S6_NS0_8equal_toImEEEE10hipError_tPvRmT2_T3_mT4_T5_T6_T7_T8_P12ihipStream_tbENKUlT_T0_E_clISt17integral_constantIbLb1EESY_IbLb0EEEEDaSU_SV_EUlSU_E_NS1_11comp_targetILNS1_3genE5ELNS1_11target_archE942ELNS1_3gpuE9ELNS1_3repE0EEENS1_30default_config_static_selectorELNS0_4arch9wavefront6targetE1EEEvT1_
	.p2align	8
	.type	_ZN7rocprim17ROCPRIM_400000_NS6detail17trampoline_kernelINS0_14default_configENS1_33run_length_encode_config_selectorImjNS0_4plusIjEEEEZZNS1_33reduce_by_key_impl_wrapped_configILNS1_25lookback_scan_determinismE0ES3_S7_PKmNS0_17constant_iteratorIjlEEPmPlSF_S6_NS0_8equal_toImEEEE10hipError_tPvRmT2_T3_mT4_T5_T6_T7_T8_P12ihipStream_tbENKUlT_T0_E_clISt17integral_constantIbLb1EESY_IbLb0EEEEDaSU_SV_EUlSU_E_NS1_11comp_targetILNS1_3genE5ELNS1_11target_archE942ELNS1_3gpuE9ELNS1_3repE0EEENS1_30default_config_static_selectorELNS0_4arch9wavefront6targetE1EEEvT1_,@function
_ZN7rocprim17ROCPRIM_400000_NS6detail17trampoline_kernelINS0_14default_configENS1_33run_length_encode_config_selectorImjNS0_4plusIjEEEEZZNS1_33reduce_by_key_impl_wrapped_configILNS1_25lookback_scan_determinismE0ES3_S7_PKmNS0_17constant_iteratorIjlEEPmPlSF_S6_NS0_8equal_toImEEEE10hipError_tPvRmT2_T3_mT4_T5_T6_T7_T8_P12ihipStream_tbENKUlT_T0_E_clISt17integral_constantIbLb1EESY_IbLb0EEEEDaSU_SV_EUlSU_E_NS1_11comp_targetILNS1_3genE5ELNS1_11target_archE942ELNS1_3gpuE9ELNS1_3repE0EEENS1_30default_config_static_selectorELNS0_4arch9wavefront6targetE1EEEvT1_: ; @_ZN7rocprim17ROCPRIM_400000_NS6detail17trampoline_kernelINS0_14default_configENS1_33run_length_encode_config_selectorImjNS0_4plusIjEEEEZZNS1_33reduce_by_key_impl_wrapped_configILNS1_25lookback_scan_determinismE0ES3_S7_PKmNS0_17constant_iteratorIjlEEPmPlSF_S6_NS0_8equal_toImEEEE10hipError_tPvRmT2_T3_mT4_T5_T6_T7_T8_P12ihipStream_tbENKUlT_T0_E_clISt17integral_constantIbLb1EESY_IbLb0EEEEDaSU_SV_EUlSU_E_NS1_11comp_targetILNS1_3genE5ELNS1_11target_archE942ELNS1_3gpuE9ELNS1_3repE0EEENS1_30default_config_static_selectorELNS0_4arch9wavefront6targetE1EEEvT1_
; %bb.0:
	.section	.rodata,"a",@progbits
	.p2align	6, 0x0
	.amdhsa_kernel _ZN7rocprim17ROCPRIM_400000_NS6detail17trampoline_kernelINS0_14default_configENS1_33run_length_encode_config_selectorImjNS0_4plusIjEEEEZZNS1_33reduce_by_key_impl_wrapped_configILNS1_25lookback_scan_determinismE0ES3_S7_PKmNS0_17constant_iteratorIjlEEPmPlSF_S6_NS0_8equal_toImEEEE10hipError_tPvRmT2_T3_mT4_T5_T6_T7_T8_P12ihipStream_tbENKUlT_T0_E_clISt17integral_constantIbLb1EESY_IbLb0EEEEDaSU_SV_EUlSU_E_NS1_11comp_targetILNS1_3genE5ELNS1_11target_archE942ELNS1_3gpuE9ELNS1_3repE0EEENS1_30default_config_static_selectorELNS0_4arch9wavefront6targetE1EEEvT1_
		.amdhsa_group_segment_fixed_size 0
		.amdhsa_private_segment_fixed_size 0
		.amdhsa_kernarg_size 128
		.amdhsa_user_sgpr_count 6
		.amdhsa_user_sgpr_private_segment_buffer 1
		.amdhsa_user_sgpr_dispatch_ptr 0
		.amdhsa_user_sgpr_queue_ptr 0
		.amdhsa_user_sgpr_kernarg_segment_ptr 1
		.amdhsa_user_sgpr_dispatch_id 0
		.amdhsa_user_sgpr_flat_scratch_init 0
		.amdhsa_user_sgpr_kernarg_preload_length 0
		.amdhsa_user_sgpr_kernarg_preload_offset 0
		.amdhsa_user_sgpr_private_segment_size 0
		.amdhsa_uses_dynamic_stack 0
		.amdhsa_system_sgpr_private_segment_wavefront_offset 0
		.amdhsa_system_sgpr_workgroup_id_x 1
		.amdhsa_system_sgpr_workgroup_id_y 0
		.amdhsa_system_sgpr_workgroup_id_z 0
		.amdhsa_system_sgpr_workgroup_info 0
		.amdhsa_system_vgpr_workitem_id 0
		.amdhsa_next_free_vgpr 1
		.amdhsa_next_free_sgpr 0
		.amdhsa_accum_offset 4
		.amdhsa_reserve_vcc 0
		.amdhsa_reserve_flat_scratch 0
		.amdhsa_float_round_mode_32 0
		.amdhsa_float_round_mode_16_64 0
		.amdhsa_float_denorm_mode_32 3
		.amdhsa_float_denorm_mode_16_64 3
		.amdhsa_dx10_clamp 1
		.amdhsa_ieee_mode 1
		.amdhsa_fp16_overflow 0
		.amdhsa_tg_split 0
		.amdhsa_exception_fp_ieee_invalid_op 0
		.amdhsa_exception_fp_denorm_src 0
		.amdhsa_exception_fp_ieee_div_zero 0
		.amdhsa_exception_fp_ieee_overflow 0
		.amdhsa_exception_fp_ieee_underflow 0
		.amdhsa_exception_fp_ieee_inexact 0
		.amdhsa_exception_int_div_zero 0
	.end_amdhsa_kernel
	.section	.text._ZN7rocprim17ROCPRIM_400000_NS6detail17trampoline_kernelINS0_14default_configENS1_33run_length_encode_config_selectorImjNS0_4plusIjEEEEZZNS1_33reduce_by_key_impl_wrapped_configILNS1_25lookback_scan_determinismE0ES3_S7_PKmNS0_17constant_iteratorIjlEEPmPlSF_S6_NS0_8equal_toImEEEE10hipError_tPvRmT2_T3_mT4_T5_T6_T7_T8_P12ihipStream_tbENKUlT_T0_E_clISt17integral_constantIbLb1EESY_IbLb0EEEEDaSU_SV_EUlSU_E_NS1_11comp_targetILNS1_3genE5ELNS1_11target_archE942ELNS1_3gpuE9ELNS1_3repE0EEENS1_30default_config_static_selectorELNS0_4arch9wavefront6targetE1EEEvT1_,"axG",@progbits,_ZN7rocprim17ROCPRIM_400000_NS6detail17trampoline_kernelINS0_14default_configENS1_33run_length_encode_config_selectorImjNS0_4plusIjEEEEZZNS1_33reduce_by_key_impl_wrapped_configILNS1_25lookback_scan_determinismE0ES3_S7_PKmNS0_17constant_iteratorIjlEEPmPlSF_S6_NS0_8equal_toImEEEE10hipError_tPvRmT2_T3_mT4_T5_T6_T7_T8_P12ihipStream_tbENKUlT_T0_E_clISt17integral_constantIbLb1EESY_IbLb0EEEEDaSU_SV_EUlSU_E_NS1_11comp_targetILNS1_3genE5ELNS1_11target_archE942ELNS1_3gpuE9ELNS1_3repE0EEENS1_30default_config_static_selectorELNS0_4arch9wavefront6targetE1EEEvT1_,comdat
.Lfunc_end737:
	.size	_ZN7rocprim17ROCPRIM_400000_NS6detail17trampoline_kernelINS0_14default_configENS1_33run_length_encode_config_selectorImjNS0_4plusIjEEEEZZNS1_33reduce_by_key_impl_wrapped_configILNS1_25lookback_scan_determinismE0ES3_S7_PKmNS0_17constant_iteratorIjlEEPmPlSF_S6_NS0_8equal_toImEEEE10hipError_tPvRmT2_T3_mT4_T5_T6_T7_T8_P12ihipStream_tbENKUlT_T0_E_clISt17integral_constantIbLb1EESY_IbLb0EEEEDaSU_SV_EUlSU_E_NS1_11comp_targetILNS1_3genE5ELNS1_11target_archE942ELNS1_3gpuE9ELNS1_3repE0EEENS1_30default_config_static_selectorELNS0_4arch9wavefront6targetE1EEEvT1_, .Lfunc_end737-_ZN7rocprim17ROCPRIM_400000_NS6detail17trampoline_kernelINS0_14default_configENS1_33run_length_encode_config_selectorImjNS0_4plusIjEEEEZZNS1_33reduce_by_key_impl_wrapped_configILNS1_25lookback_scan_determinismE0ES3_S7_PKmNS0_17constant_iteratorIjlEEPmPlSF_S6_NS0_8equal_toImEEEE10hipError_tPvRmT2_T3_mT4_T5_T6_T7_T8_P12ihipStream_tbENKUlT_T0_E_clISt17integral_constantIbLb1EESY_IbLb0EEEEDaSU_SV_EUlSU_E_NS1_11comp_targetILNS1_3genE5ELNS1_11target_archE942ELNS1_3gpuE9ELNS1_3repE0EEENS1_30default_config_static_selectorELNS0_4arch9wavefront6targetE1EEEvT1_
                                        ; -- End function
	.section	.AMDGPU.csdata,"",@progbits
; Kernel info:
; codeLenInByte = 0
; NumSgprs: 4
; NumVgprs: 0
; NumAgprs: 0
; TotalNumVgprs: 0
; ScratchSize: 0
; MemoryBound: 0
; FloatMode: 240
; IeeeMode: 1
; LDSByteSize: 0 bytes/workgroup (compile time only)
; SGPRBlocks: 0
; VGPRBlocks: 0
; NumSGPRsForWavesPerEU: 4
; NumVGPRsForWavesPerEU: 1
; AccumOffset: 4
; Occupancy: 8
; WaveLimiterHint : 0
; COMPUTE_PGM_RSRC2:SCRATCH_EN: 0
; COMPUTE_PGM_RSRC2:USER_SGPR: 6
; COMPUTE_PGM_RSRC2:TRAP_HANDLER: 0
; COMPUTE_PGM_RSRC2:TGID_X_EN: 1
; COMPUTE_PGM_RSRC2:TGID_Y_EN: 0
; COMPUTE_PGM_RSRC2:TGID_Z_EN: 0
; COMPUTE_PGM_RSRC2:TIDIG_COMP_CNT: 0
; COMPUTE_PGM_RSRC3_GFX90A:ACCUM_OFFSET: 0
; COMPUTE_PGM_RSRC3_GFX90A:TG_SPLIT: 0
	.section	.text._ZN7rocprim17ROCPRIM_400000_NS6detail17trampoline_kernelINS0_14default_configENS1_33run_length_encode_config_selectorImjNS0_4plusIjEEEEZZNS1_33reduce_by_key_impl_wrapped_configILNS1_25lookback_scan_determinismE0ES3_S7_PKmNS0_17constant_iteratorIjlEEPmPlSF_S6_NS0_8equal_toImEEEE10hipError_tPvRmT2_T3_mT4_T5_T6_T7_T8_P12ihipStream_tbENKUlT_T0_E_clISt17integral_constantIbLb1EESY_IbLb0EEEEDaSU_SV_EUlSU_E_NS1_11comp_targetILNS1_3genE4ELNS1_11target_archE910ELNS1_3gpuE8ELNS1_3repE0EEENS1_30default_config_static_selectorELNS0_4arch9wavefront6targetE1EEEvT1_,"axG",@progbits,_ZN7rocprim17ROCPRIM_400000_NS6detail17trampoline_kernelINS0_14default_configENS1_33run_length_encode_config_selectorImjNS0_4plusIjEEEEZZNS1_33reduce_by_key_impl_wrapped_configILNS1_25lookback_scan_determinismE0ES3_S7_PKmNS0_17constant_iteratorIjlEEPmPlSF_S6_NS0_8equal_toImEEEE10hipError_tPvRmT2_T3_mT4_T5_T6_T7_T8_P12ihipStream_tbENKUlT_T0_E_clISt17integral_constantIbLb1EESY_IbLb0EEEEDaSU_SV_EUlSU_E_NS1_11comp_targetILNS1_3genE4ELNS1_11target_archE910ELNS1_3gpuE8ELNS1_3repE0EEENS1_30default_config_static_selectorELNS0_4arch9wavefront6targetE1EEEvT1_,comdat
	.protected	_ZN7rocprim17ROCPRIM_400000_NS6detail17trampoline_kernelINS0_14default_configENS1_33run_length_encode_config_selectorImjNS0_4plusIjEEEEZZNS1_33reduce_by_key_impl_wrapped_configILNS1_25lookback_scan_determinismE0ES3_S7_PKmNS0_17constant_iteratorIjlEEPmPlSF_S6_NS0_8equal_toImEEEE10hipError_tPvRmT2_T3_mT4_T5_T6_T7_T8_P12ihipStream_tbENKUlT_T0_E_clISt17integral_constantIbLb1EESY_IbLb0EEEEDaSU_SV_EUlSU_E_NS1_11comp_targetILNS1_3genE4ELNS1_11target_archE910ELNS1_3gpuE8ELNS1_3repE0EEENS1_30default_config_static_selectorELNS0_4arch9wavefront6targetE1EEEvT1_ ; -- Begin function _ZN7rocprim17ROCPRIM_400000_NS6detail17trampoline_kernelINS0_14default_configENS1_33run_length_encode_config_selectorImjNS0_4plusIjEEEEZZNS1_33reduce_by_key_impl_wrapped_configILNS1_25lookback_scan_determinismE0ES3_S7_PKmNS0_17constant_iteratorIjlEEPmPlSF_S6_NS0_8equal_toImEEEE10hipError_tPvRmT2_T3_mT4_T5_T6_T7_T8_P12ihipStream_tbENKUlT_T0_E_clISt17integral_constantIbLb1EESY_IbLb0EEEEDaSU_SV_EUlSU_E_NS1_11comp_targetILNS1_3genE4ELNS1_11target_archE910ELNS1_3gpuE8ELNS1_3repE0EEENS1_30default_config_static_selectorELNS0_4arch9wavefront6targetE1EEEvT1_
	.globl	_ZN7rocprim17ROCPRIM_400000_NS6detail17trampoline_kernelINS0_14default_configENS1_33run_length_encode_config_selectorImjNS0_4plusIjEEEEZZNS1_33reduce_by_key_impl_wrapped_configILNS1_25lookback_scan_determinismE0ES3_S7_PKmNS0_17constant_iteratorIjlEEPmPlSF_S6_NS0_8equal_toImEEEE10hipError_tPvRmT2_T3_mT4_T5_T6_T7_T8_P12ihipStream_tbENKUlT_T0_E_clISt17integral_constantIbLb1EESY_IbLb0EEEEDaSU_SV_EUlSU_E_NS1_11comp_targetILNS1_3genE4ELNS1_11target_archE910ELNS1_3gpuE8ELNS1_3repE0EEENS1_30default_config_static_selectorELNS0_4arch9wavefront6targetE1EEEvT1_
	.p2align	8
	.type	_ZN7rocprim17ROCPRIM_400000_NS6detail17trampoline_kernelINS0_14default_configENS1_33run_length_encode_config_selectorImjNS0_4plusIjEEEEZZNS1_33reduce_by_key_impl_wrapped_configILNS1_25lookback_scan_determinismE0ES3_S7_PKmNS0_17constant_iteratorIjlEEPmPlSF_S6_NS0_8equal_toImEEEE10hipError_tPvRmT2_T3_mT4_T5_T6_T7_T8_P12ihipStream_tbENKUlT_T0_E_clISt17integral_constantIbLb1EESY_IbLb0EEEEDaSU_SV_EUlSU_E_NS1_11comp_targetILNS1_3genE4ELNS1_11target_archE910ELNS1_3gpuE8ELNS1_3repE0EEENS1_30default_config_static_selectorELNS0_4arch9wavefront6targetE1EEEvT1_,@function
_ZN7rocprim17ROCPRIM_400000_NS6detail17trampoline_kernelINS0_14default_configENS1_33run_length_encode_config_selectorImjNS0_4plusIjEEEEZZNS1_33reduce_by_key_impl_wrapped_configILNS1_25lookback_scan_determinismE0ES3_S7_PKmNS0_17constant_iteratorIjlEEPmPlSF_S6_NS0_8equal_toImEEEE10hipError_tPvRmT2_T3_mT4_T5_T6_T7_T8_P12ihipStream_tbENKUlT_T0_E_clISt17integral_constantIbLb1EESY_IbLb0EEEEDaSU_SV_EUlSU_E_NS1_11comp_targetILNS1_3genE4ELNS1_11target_archE910ELNS1_3gpuE8ELNS1_3repE0EEENS1_30default_config_static_selectorELNS0_4arch9wavefront6targetE1EEEvT1_: ; @_ZN7rocprim17ROCPRIM_400000_NS6detail17trampoline_kernelINS0_14default_configENS1_33run_length_encode_config_selectorImjNS0_4plusIjEEEEZZNS1_33reduce_by_key_impl_wrapped_configILNS1_25lookback_scan_determinismE0ES3_S7_PKmNS0_17constant_iteratorIjlEEPmPlSF_S6_NS0_8equal_toImEEEE10hipError_tPvRmT2_T3_mT4_T5_T6_T7_T8_P12ihipStream_tbENKUlT_T0_E_clISt17integral_constantIbLb1EESY_IbLb0EEEEDaSU_SV_EUlSU_E_NS1_11comp_targetILNS1_3genE4ELNS1_11target_archE910ELNS1_3gpuE8ELNS1_3repE0EEENS1_30default_config_static_selectorELNS0_4arch9wavefront6targetE1EEEvT1_
; %bb.0:
	s_load_dwordx8 s[24:31], s[4:5], 0x40
	s_load_dwordx4 s[0:3], s[4:5], 0x0
	s_load_dword s7, s[4:5], 0x10
	s_load_dwordx4 s[36:39], s[4:5], 0x60
	s_waitcnt lgkmcnt(0)
	s_mul_i32 s8, s28, s27
	s_mul_hi_u32 s9, s28, s26
	s_add_i32 s8, s9, s8
	s_mul_i32 s9, s29, s26
	s_add_i32 s8, s8, s9
	s_lshl_b64 s[2:3], s[2:3], 3
	s_add_u32 s2, s0, s2
	s_addc_u32 s3, s1, s3
	s_mul_i32 s0, s6, 0xa00
	s_mov_b32 s1, 0
	s_lshl_b64 s[0:1], s[0:1], 3
	s_mul_i32 s9, s28, s26
	s_add_u32 s28, s2, s0
	s_addc_u32 s29, s3, s1
	s_add_u32 s42, s9, s6
	s_addc_u32 s43, s8, 0
	s_add_u32 s2, s30, -1
	s_addc_u32 s3, s31, -1
	s_cmp_eq_u64 s[42:43], s[2:3]
	s_cselect_b64 s[22:23], -1, 0
	s_cmp_lg_u64 s[42:43], s[2:3]
	s_mov_b64 s[8:9], -1
	s_cselect_b64 s[0:1], -1, 0
	s_mul_i32 s33, s2, 0xfffff600
	s_and_b64 vcc, exec, s[22:23]
	s_cbranch_vccnz .LBB738_2
; %bb.1:
	v_lshlrev_b32_e32 v1, 3, v0
	v_mov_b32_e32 v2, s29
	v_add_co_u32_e32 v22, vcc, s28, v1
	v_addc_co_u32_e32 v23, vcc, 0, v2, vcc
	v_add_co_u32_e32 v2, vcc, 0x1000, v22
	v_addc_co_u32_e32 v3, vcc, 0, v23, vcc
	global_load_dwordx2 v[4:5], v1, s[28:29]
	global_load_dwordx2 v[6:7], v1, s[28:29] offset:2048
	global_load_dwordx2 v[8:9], v[2:3], off
	global_load_dwordx2 v[10:11], v[2:3], off offset:2048
	v_add_co_u32_e32 v2, vcc, 0x2000, v22
	v_addc_co_u32_e32 v3, vcc, 0, v23, vcc
	v_add_co_u32_e32 v12, vcc, 0x3000, v22
	v_addc_co_u32_e32 v13, vcc, 0, v23, vcc
	global_load_dwordx2 v[14:15], v[2:3], off
	global_load_dwordx2 v[16:17], v[2:3], off offset:2048
	global_load_dwordx2 v[18:19], v[12:13], off
	global_load_dwordx2 v[20:21], v[12:13], off offset:2048
	v_add_co_u32_e32 v2, vcc, 0x4000, v22
	v_addc_co_u32_e32 v3, vcc, 0, v23, vcc
	global_load_dwordx2 v[12:13], v[2:3], off
	global_load_dwordx2 v[22:23], v[2:3], off offset:2048
	s_movk_i32 s2, 0x48
	v_mad_u32_u24 v24, v0, s2, v1
	s_mov_b64 s[2:3], -1
	s_waitcnt vmcnt(8)
	ds_write2st64_b64 v1, v[4:5], v[6:7] offset1:4
	s_waitcnt vmcnt(6)
	ds_write2st64_b64 v1, v[8:9], v[10:11] offset0:8 offset1:12
	s_waitcnt vmcnt(4)
	ds_write2st64_b64 v1, v[14:15], v[16:17] offset0:16 offset1:20
	;; [unrolled: 2-line block ×4, first 2 shown]
	s_waitcnt lgkmcnt(0)
	s_barrier
	ds_read_b128 v[18:21], v24
	ds_read_b128 v[14:17], v24 offset:16
	ds_read_b128 v[10:13], v24 offset:32
	;; [unrolled: 1-line block ×4, first 2 shown]
	s_waitcnt lgkmcnt(4)
	v_mov_b32_e32 v26, v18
	v_mov_b32_e32 v27, v19
	s_waitcnt lgkmcnt(3)
	v_mov_b32_e32 v28, v14
	v_mov_b32_e32 v29, v15
	;; [unrolled: 3-line block ×4, first 2 shown]
	s_add_i32 s33, s33, s36
	s_cbranch_execz .LBB738_3
	s_branch .LBB738_24
.LBB738_2:
	s_mov_b64 s[2:3], 0
                                        ; implicit-def: $vgpr2_vgpr3
                                        ; implicit-def: $vgpr10_vgpr11
                                        ; implicit-def: $vgpr14_vgpr15
                                        ; implicit-def: $vgpr18_vgpr19
                                        ; implicit-def: $vgpr6_vgpr7
                                        ; implicit-def: $vgpr22_vgpr23_vgpr24_vgpr25
                                        ; implicit-def: $vgpr26_vgpr27_vgpr28_vgpr29
	s_add_i32 s33, s33, s36
	s_andn2_b64 vcc, exec, s[8:9]
	s_cbranch_vccnz .LBB738_24
.LBB738_3:
	v_cmp_gt_u32_e32 vcc, s33, v0
                                        ; implicit-def: $vgpr2_vgpr3
	s_and_saveexec_b64 s[2:3], vcc
	s_cbranch_execz .LBB738_5
; %bb.4:
	v_lshlrev_b32_e32 v1, 3, v0
	global_load_dwordx2 v[2:3], v1, s[28:29]
.LBB738_5:
	s_or_b64 exec, exec, s[2:3]
	v_or_b32_e32 v1, 0x100, v0
	v_cmp_gt_u32_e32 vcc, s33, v1
                                        ; implicit-def: $vgpr4_vgpr5
	s_and_saveexec_b64 s[2:3], vcc
	s_cbranch_execz .LBB738_7
; %bb.6:
	v_lshlrev_b32_e32 v1, 3, v0
	global_load_dwordx2 v[4:5], v1, s[28:29] offset:2048
.LBB738_7:
	s_or_b64 exec, exec, s[2:3]
	v_or_b32_e32 v1, 0x200, v0
	v_cmp_gt_u32_e32 vcc, s33, v1
                                        ; implicit-def: $vgpr6_vgpr7
	s_and_saveexec_b64 s[2:3], vcc
	s_cbranch_execz .LBB738_9
; %bb.8:
	v_lshlrev_b32_e32 v1, 3, v1
	s_waitcnt lgkmcnt(0)
	global_load_dwordx2 v[6:7], v1, s[28:29]
.LBB738_9:
	s_or_b64 exec, exec, s[2:3]
	v_or_b32_e32 v1, 0x300, v0
	v_cmp_gt_u32_e32 vcc, s33, v1
                                        ; implicit-def: $vgpr8_vgpr9
	s_and_saveexec_b64 s[2:3], vcc
	s_cbranch_execz .LBB738_11
; %bb.10:
	v_lshlrev_b32_e32 v1, 3, v1
	s_waitcnt lgkmcnt(0)
	global_load_dwordx2 v[8:9], v1, s[28:29]
.LBB738_11:
	s_or_b64 exec, exec, s[2:3]
	v_or_b32_e32 v1, 0x400, v0
	v_cmp_gt_u32_e32 vcc, s33, v1
                                        ; implicit-def: $vgpr10_vgpr11
	s_and_saveexec_b64 s[2:3], vcc
	s_cbranch_execz .LBB738_13
; %bb.12:
	v_lshlrev_b32_e32 v1, 3, v1
	global_load_dwordx2 v[10:11], v1, s[28:29]
.LBB738_13:
	s_or_b64 exec, exec, s[2:3]
	v_or_b32_e32 v1, 0x500, v0
	v_cmp_gt_u32_e32 vcc, s33, v1
                                        ; implicit-def: $vgpr12_vgpr13
	s_and_saveexec_b64 s[2:3], vcc
	s_cbranch_execz .LBB738_15
; %bb.14:
	v_lshlrev_b32_e32 v1, 3, v1
	global_load_dwordx2 v[12:13], v1, s[28:29]
.LBB738_15:
	s_or_b64 exec, exec, s[2:3]
	v_or_b32_e32 v1, 0x600, v0
	v_cmp_gt_u32_e32 vcc, s33, v1
                                        ; implicit-def: $vgpr14_vgpr15
	s_and_saveexec_b64 s[2:3], vcc
	s_cbranch_execz .LBB738_17
; %bb.16:
	v_lshlrev_b32_e32 v1, 3, v1
	global_load_dwordx2 v[14:15], v1, s[28:29]
.LBB738_17:
	s_or_b64 exec, exec, s[2:3]
	v_or_b32_e32 v1, 0x700, v0
	v_cmp_gt_u32_e32 vcc, s33, v1
                                        ; implicit-def: $vgpr16_vgpr17
	s_and_saveexec_b64 s[2:3], vcc
	s_cbranch_execz .LBB738_19
; %bb.18:
	v_lshlrev_b32_e32 v1, 3, v1
	global_load_dwordx2 v[16:17], v1, s[28:29]
.LBB738_19:
	s_or_b64 exec, exec, s[2:3]
	v_or_b32_e32 v1, 0x800, v0
	v_cmp_gt_u32_e32 vcc, s33, v1
                                        ; implicit-def: $vgpr18_vgpr19
	s_and_saveexec_b64 s[2:3], vcc
	s_cbranch_execz .LBB738_21
; %bb.20:
	v_lshlrev_b32_e32 v1, 3, v1
	global_load_dwordx2 v[18:19], v1, s[28:29]
.LBB738_21:
	s_or_b64 exec, exec, s[2:3]
	v_or_b32_e32 v1, 0x900, v0
	v_cmp_gt_u32_e32 vcc, s33, v1
                                        ; implicit-def: $vgpr20_vgpr21
	s_and_saveexec_b64 s[2:3], vcc
	s_cbranch_execz .LBB738_23
; %bb.22:
	v_lshlrev_b32_e32 v1, 3, v1
	global_load_dwordx2 v[20:21], v1, s[28:29]
.LBB738_23:
	s_or_b64 exec, exec, s[2:3]
	v_lshlrev_b32_e32 v1, 3, v0
	s_movk_i32 s2, 0x48
	s_waitcnt vmcnt(0)
	ds_write2st64_b64 v1, v[2:3], v[4:5] offset1:4
	s_waitcnt lgkmcnt(1)
	ds_write2st64_b64 v1, v[6:7], v[8:9] offset0:8 offset1:12
	ds_write2st64_b64 v1, v[10:11], v[12:13] offset0:16 offset1:20
	;; [unrolled: 1-line block ×4, first 2 shown]
	v_mad_u32_u24 v1, v0, s2, v1
	s_waitcnt lgkmcnt(0)
	s_barrier
	ds_read_b128 v[18:21], v1
	ds_read_b128 v[14:17], v1 offset:16
	ds_read_b128 v[10:13], v1 offset:32
	;; [unrolled: 1-line block ×4, first 2 shown]
	v_mad_u32_u24 v1, v0, 10, 9
	v_cmp_gt_u32_e64 s[2:3], s33, v1
	s_waitcnt lgkmcnt(4)
	v_mov_b32_e32 v26, v18
	v_mov_b32_e32 v27, v19
	s_waitcnt lgkmcnt(3)
	v_mov_b32_e32 v28, v14
	v_mov_b32_e32 v29, v15
	;; [unrolled: 3-line block ×4, first 2 shown]
.LBB738_24:
	v_mov_b32_e32 v48, s7
                                        ; implicit-def: $vgpr49
	s_and_saveexec_b64 s[8:9], s[2:3]
; %bb.25:
	v_mov_b32_e32 v49, s7
; %bb.26:
	s_or_b64 exec, exec, s[8:9]
	s_load_dwordx2 s[40:41], s[4:5], 0x70
	s_cmp_eq_u64 s[42:43], 0
	s_cselect_b64 s[34:35], -1, 0
	s_cmp_lg_u64 s[42:43], 0
	s_mov_b64 s[2:3], 0
	s_cselect_b64 s[30:31], -1, 0
	s_and_b64 vcc, exec, s[0:1]
	s_waitcnt lgkmcnt(0)
	s_barrier
	s_cbranch_vccz .LBB738_32
; %bb.27:
	s_and_b64 vcc, exec, s[30:31]
	s_cbranch_vccz .LBB738_33
; %bb.28:
	s_add_u32 s0, s28, -8
	s_addc_u32 s1, s29, -1
	s_load_dwordx2 s[44:45], s[0:1], 0x0
	v_lshlrev_b32_e32 v1, 3, v0
	v_cmp_ne_u64_e32 vcc, v[6:7], v[8:9]
	v_cmp_ne_u64_e64 s[0:1], v[4:5], v[6:7]
	v_cmp_ne_u64_e64 s[2:3], v[2:3], v[4:5]
	;; [unrolled: 1-line block ×8, first 2 shown]
	v_cmp_ne_u32_e64 s[20:21], 0, v0
	s_waitcnt lgkmcnt(0)
	v_pk_mov_b32 v[30:31], s[44:45], s[44:45] op_sel:[0,1]
	ds_write_b64 v1, v[8:9]
	s_waitcnt lgkmcnt(0)
	s_barrier
	s_and_saveexec_b64 s[44:45], s[20:21]
	s_cbranch_execz .LBB738_30
; %bb.29:
	v_add_u32_e32 v1, -8, v1
	ds_read_b64 v[30:31], v1
.LBB738_30:
	s_or_b64 exec, exec, s[44:45]
	v_cndmask_b32_e64 v1, 0, 1, vcc
	v_cndmask_b32_e64 v54, 0, 1, s[0:1]
	v_cndmask_b32_e64 v55, 0, 1, s[2:3]
	;; [unrolled: 1-line block ×8, first 2 shown]
	s_waitcnt lgkmcnt(0)
	v_cmp_ne_u64_e64 s[0:1], v[30:31], v[18:19]
	s_mov_b64 s[2:3], -1
.LBB738_31:
                                        ; implicit-def: $sgpr7
	s_branch .LBB738_45
.LBB738_32:
                                        ; implicit-def: $sgpr0_sgpr1
                                        ; implicit-def: $vgpr1
                                        ; implicit-def: $vgpr54
                                        ; implicit-def: $vgpr55
                                        ; implicit-def: $vgpr56
                                        ; implicit-def: $vgpr57
                                        ; implicit-def: $vgpr58
                                        ; implicit-def: $vgpr59
                                        ; implicit-def: $vgpr60
                                        ; implicit-def: $vgpr61
                                        ; implicit-def: $sgpr7
	s_cbranch_execnz .LBB738_37
	s_branch .LBB738_45
.LBB738_33:
                                        ; implicit-def: $sgpr0_sgpr1
                                        ; implicit-def: $vgpr1
                                        ; implicit-def: $vgpr54
                                        ; implicit-def: $vgpr55
                                        ; implicit-def: $vgpr56
                                        ; implicit-def: $vgpr57
                                        ; implicit-def: $vgpr58
                                        ; implicit-def: $vgpr59
                                        ; implicit-def: $vgpr60
                                        ; implicit-def: $vgpr61
	s_cbranch_execz .LBB738_31
; %bb.34:
	v_cmp_ne_u64_e32 vcc, v[6:7], v[8:9]
	v_cndmask_b32_e64 v1, 0, 1, vcc
	v_cmp_ne_u64_e32 vcc, v[20:21], v[26:27]
	v_cndmask_b32_e64 v61, 0, 1, vcc
	;; [unrolled: 2-line block ×8, first 2 shown]
	v_cmp_ne_u64_e32 vcc, v[6:7], v[4:5]
	v_lshlrev_b32_e32 v30, 3, v0
	v_cndmask_b32_e64 v54, 0, 1, vcc
	v_cmp_ne_u32_e32 vcc, 0, v0
	ds_write_b64 v30, v[8:9]
	s_waitcnt lgkmcnt(0)
	s_barrier
	s_waitcnt lgkmcnt(0)
                                        ; implicit-def: $sgpr0_sgpr1
	s_and_saveexec_b64 s[8:9], vcc
	s_xor_b64 s[8:9], exec, s[8:9]
	s_cbranch_execz .LBB738_36
; %bb.35:
	v_add_u32_e32 v22, -8, v30
	ds_read_b64 v[22:23], v22
	s_or_b64 s[2:3], s[2:3], exec
	s_waitcnt lgkmcnt(0)
	v_cmp_ne_u64_e32 vcc, v[22:23], v[18:19]
	s_and_b64 s[0:1], vcc, exec
.LBB738_36:
	s_or_b64 exec, exec, s[8:9]
	s_mov_b32 s7, 1
	s_branch .LBB738_45
.LBB738_37:
	s_mul_hi_u32 s1, s42, 0xfffff600
	s_mul_i32 s0, s43, 0xfffff600
	s_sub_i32 s1, s1, s42
	s_add_i32 s1, s1, s0
	s_mul_i32 s0, s42, 0xfffff600
	s_add_u32 s8, s0, s36
	s_addc_u32 s9, s1, s37
	s_and_b64 vcc, exec, s[30:31]
	s_cbranch_vccz .LBB738_42
; %bb.38:
	s_add_u32 s0, s28, -8
	s_addc_u32 s1, s29, -1
	v_mad_u32_u24 v24, v0, 10, 9
	v_mov_b32_e32 v25, 0
	s_load_dwordx2 s[30:31], s[0:1], 0x0
	v_cmp_gt_u64_e32 vcc, s[8:9], v[24:25]
	v_cmp_ne_u64_e64 s[0:1], v[6:7], v[8:9]
	v_mad_u32_u24 v24, v0, 10, 8
	s_and_b64 s[2:3], vcc, s[0:1]
	v_cmp_gt_u64_e32 vcc, s[8:9], v[24:25]
	v_cmp_ne_u64_e64 s[0:1], v[4:5], v[6:7]
	v_mad_u32_u24 v24, v0, 10, 7
	s_and_b64 s[10:11], vcc, s[0:1]
	;; [unrolled: 4-line block ×5, first 2 shown]
	v_cmp_gt_u64_e32 vcc, s[8:9], v[24:25]
	v_cmp_ne_u64_e64 s[0:1], v[16:17], v[10:11]
	v_mad_u32_u24 v24, v0, 10, 3
	v_mul_u32_u24_e32 v22, 10, v0
	s_and_b64 s[18:19], vcc, s[0:1]
	v_cmp_gt_u64_e32 vcc, s[8:9], v[24:25]
	v_cmp_ne_u64_e64 s[0:1], v[14:15], v[16:17]
	v_mad_u32_u24 v24, v0, 10, 2
	s_and_b64 s[20:21], vcc, s[0:1]
	v_cmp_gt_u64_e32 vcc, s[8:9], v[24:25]
	v_cmp_ne_u64_e64 s[0:1], v[20:21], v[14:15]
	v_or_b32_e32 v24, 1, v22
	s_and_b64 s[28:29], vcc, s[0:1]
	v_cmp_gt_u64_e32 vcc, s[8:9], v[24:25]
	v_cmp_ne_u64_e64 s[0:1], v[18:19], v[20:21]
	v_lshlrev_b32_e32 v1, 3, v0
	s_and_b64 s[0:1], vcc, s[0:1]
	v_cmp_ne_u32_e32 vcc, 0, v0
	s_waitcnt lgkmcnt(0)
	v_pk_mov_b32 v[26:27], s[30:31], s[30:31] op_sel:[0,1]
	ds_write_b64 v1, v[8:9]
	s_waitcnt lgkmcnt(0)
	s_barrier
	s_and_saveexec_b64 s[30:31], vcc
	s_cbranch_execz .LBB738_40
; %bb.39:
	v_add_u32_e32 v1, -8, v1
	ds_read_b64 v[26:27], v1
.LBB738_40:
	s_or_b64 exec, exec, s[30:31]
	v_mov_b32_e32 v23, v25
	v_cndmask_b32_e64 v61, 0, 1, s[0:1]
	v_cmp_gt_u64_e32 vcc, s[8:9], v[22:23]
	s_waitcnt lgkmcnt(0)
	v_cmp_ne_u64_e64 s[0:1], v[26:27], v[18:19]
	v_cndmask_b32_e64 v1, 0, 1, s[2:3]
	v_cndmask_b32_e64 v54, 0, 1, s[10:11]
	;; [unrolled: 1-line block ×8, first 2 shown]
	s_and_b64 s[0:1], vcc, s[0:1]
	s_mov_b64 s[2:3], -1
.LBB738_41:
                                        ; implicit-def: $sgpr7
	v_mov_b32_e32 v62, s7
	s_and_saveexec_b64 s[8:9], s[2:3]
	s_cbranch_execnz .LBB738_46
	s_branch .LBB738_47
.LBB738_42:
                                        ; implicit-def: $sgpr0_sgpr1
                                        ; implicit-def: $vgpr1
                                        ; implicit-def: $vgpr54
                                        ; implicit-def: $vgpr55
                                        ; implicit-def: $vgpr56
                                        ; implicit-def: $vgpr57
                                        ; implicit-def: $vgpr58
                                        ; implicit-def: $vgpr59
                                        ; implicit-def: $vgpr60
                                        ; implicit-def: $vgpr61
	s_cbranch_execz .LBB738_41
; %bb.43:
	v_mad_u32_u24 v24, v0, 10, 9
	v_mov_b32_e32 v25, 0
	v_cmp_gt_u64_e32 vcc, s[8:9], v[24:25]
	v_cmp_ne_u64_e64 s[0:1], v[6:7], v[8:9]
	s_and_b64 s[0:1], vcc, s[0:1]
	v_mad_u32_u24 v24, v0, 10, 8
	v_cndmask_b32_e64 v1, 0, 1, s[0:1]
	v_cmp_gt_u64_e32 vcc, s[8:9], v[24:25]
	v_cmp_ne_u64_e64 s[0:1], v[4:5], v[6:7]
	s_and_b64 s[0:1], vcc, s[0:1]
	v_mad_u32_u24 v24, v0, 10, 7
	v_cndmask_b32_e64 v54, 0, 1, s[0:1]
	;; [unrolled: 5-line block ×6, first 2 shown]
	v_cmp_gt_u64_e32 vcc, s[8:9], v[24:25]
	v_cmp_ne_u64_e64 s[0:1], v[14:15], v[16:17]
	s_and_b64 s[0:1], vcc, s[0:1]
	v_mad_u32_u24 v24, v0, 10, 2
	v_mul_u32_u24_e32 v22, 10, v0
	v_cndmask_b32_e64 v59, 0, 1, s[0:1]
	v_cmp_gt_u64_e32 vcc, s[8:9], v[24:25]
	v_cmp_ne_u64_e64 s[0:1], v[20:21], v[14:15]
	s_and_b64 s[0:1], vcc, s[0:1]
	v_or_b32_e32 v24, 1, v22
	v_cndmask_b32_e64 v60, 0, 1, s[0:1]
	v_cmp_gt_u64_e32 vcc, s[8:9], v[24:25]
	v_cmp_ne_u64_e64 s[0:1], v[18:19], v[20:21]
	s_and_b64 s[0:1], vcc, s[0:1]
	v_lshlrev_b32_e32 v23, 3, v0
	s_mov_b32 s7, 1
	v_cndmask_b32_e64 v61, 0, 1, s[0:1]
	v_cmp_ne_u32_e32 vcc, 0, v0
	ds_write_b64 v23, v[8:9]
	s_waitcnt lgkmcnt(0)
	s_barrier
	s_waitcnt lgkmcnt(0)
                                        ; implicit-def: $sgpr0_sgpr1
	s_and_saveexec_b64 s[10:11], vcc
	s_cbranch_execz .LBB738_130
; %bb.44:
	v_add_u32_e32 v23, -8, v23
	ds_read_b64 v[26:27], v23
	v_mov_b32_e32 v23, v25
	v_cmp_gt_u64_e32 vcc, s[8:9], v[22:23]
	s_or_b64 s[2:3], s[2:3], exec
	s_waitcnt lgkmcnt(0)
	v_cmp_ne_u64_e64 s[0:1], v[26:27], v[18:19]
	s_and_b64 s[0:1], vcc, s[0:1]
	s_and_b64 s[0:1], s[0:1], exec
	s_or_b64 exec, exec, s[10:11]
.LBB738_45:
	v_mov_b32_e32 v62, s7
	s_and_saveexec_b64 s[8:9], s[2:3]
.LBB738_46:
	v_cndmask_b32_e64 v62, 0, 1, s[0:1]
.LBB738_47:
	s_or_b64 exec, exec, s[8:9]
	s_load_dwordx4 s[28:31], s[4:5], 0x20
	s_load_dwordx2 s[36:37], s[4:5], 0x30
	s_cmp_eq_u64 s[26:27], 0
	v_add_u32_e32 v22, v61, v62
	s_cselect_b64 s[26:27], -1, 0
	s_cmp_lg_u32 s6, 0
	v_cmp_eq_u32_e64 s[14:15], 0, v61
	v_cmp_eq_u32_e64 s[12:13], 0, v60
	v_add3_u32 v53, v22, v60, v59
	v_cmp_eq_u32_e64 s[10:11], 0, v59
	v_cmp_eq_u32_e64 s[8:9], 0, v58
	;; [unrolled: 1-line block ×6, first 2 shown]
	v_cmp_eq_u32_e32 vcc, 0, v1
	v_mbcnt_lo_u32_b32 v52, -1, 0
	v_lshrrev_b32_e32 v50, 6, v0
	v_or_b32_e32 v51, 63, v0
	s_cbranch_scc0 .LBB738_78
; %bb.48:
	v_cndmask_b32_e64 v22, 0, v48, s[14:15]
	v_add_u32_e32 v22, v22, v48
	v_cndmask_b32_e64 v22, 0, v22, s[12:13]
	v_add_u32_e32 v22, v22, v48
	;; [unrolled: 2-line block ×7, first 2 shown]
	v_cndmask_b32_e64 v22, 0, v22, s[0:1]
	v_add3_u32 v23, v53, v58, v57
	v_add_u32_e32 v22, v22, v48
	v_add3_u32 v23, v23, v56, v55
	v_cndmask_b32_e32 v22, 0, v22, vcc
	v_add3_u32 v23, v23, v54, v1
	v_add_u32_e32 v22, v22, v49
	v_mbcnt_hi_u32_b32 v31, -1, v52
	v_and_b32_e32 v24, 15, v31
	v_mov_b32_dpp v26, v22 row_shr:1 row_mask:0xf bank_mask:0xf
	v_cmp_eq_u32_e32 vcc, 0, v23
	v_mov_b32_dpp v25, v23 row_shr:1 row_mask:0xf bank_mask:0xf
	v_cndmask_b32_e32 v26, 0, v26, vcc
	v_cmp_eq_u32_e32 vcc, 0, v24
	v_cndmask_b32_e64 v25, v25, 0, vcc
	v_add_u32_e32 v23, v25, v23
	v_cndmask_b32_e64 v25, v26, 0, vcc
	v_add_u32_e32 v22, v25, v22
	v_cmp_eq_u32_e32 vcc, 0, v23
	v_mov_b32_dpp v25, v23 row_shr:2 row_mask:0xf bank_mask:0xf
	v_cmp_lt_u32_e64 s[16:17], 1, v24
	v_mov_b32_dpp v26, v22 row_shr:2 row_mask:0xf bank_mask:0xf
	v_cndmask_b32_e64 v25, 0, v25, s[16:17]
	s_and_b64 vcc, s[16:17], vcc
	v_cndmask_b32_e32 v26, 0, v26, vcc
	v_add_u32_e32 v23, v23, v25
	v_add_u32_e32 v22, v26, v22
	v_cmp_eq_u32_e32 vcc, 0, v23
	v_mov_b32_dpp v25, v23 row_shr:4 row_mask:0xf bank_mask:0xf
	v_cmp_lt_u32_e64 s[16:17], 3, v24
	v_mov_b32_dpp v26, v22 row_shr:4 row_mask:0xf bank_mask:0xf
	v_cndmask_b32_e64 v25, 0, v25, s[16:17]
	s_and_b64 vcc, s[16:17], vcc
	v_cndmask_b32_e32 v26, 0, v26, vcc
	v_add_u32_e32 v23, v25, v23
	v_add_u32_e32 v22, v22, v26
	v_cmp_eq_u32_e32 vcc, 0, v23
	v_cmp_lt_u32_e64 s[16:17], 7, v24
	v_mov_b32_dpp v25, v23 row_shr:8 row_mask:0xf bank_mask:0xf
	v_mov_b32_dpp v26, v22 row_shr:8 row_mask:0xf bank_mask:0xf
	s_and_b64 vcc, s[16:17], vcc
	v_cndmask_b32_e64 v24, 0, v25, s[16:17]
	v_cndmask_b32_e32 v25, 0, v26, vcc
	v_add_u32_e32 v22, v25, v22
	v_add_u32_e32 v23, v24, v23
	v_bfe_i32 v26, v31, 4, 1
	v_mov_b32_dpp v25, v22 row_bcast:15 row_mask:0xf bank_mask:0xf
	v_mov_b32_dpp v24, v23 row_bcast:15 row_mask:0xf bank_mask:0xf
	v_cmp_eq_u32_e32 vcc, 0, v23
	v_cndmask_b32_e32 v25, 0, v25, vcc
	v_and_b32_e32 v24, v26, v24
	v_add_u32_e32 v23, v24, v23
	v_and_b32_e32 v24, v26, v25
	v_add_u32_e32 v24, v24, v22
	v_mov_b32_dpp v22, v23 row_bcast:31 row_mask:0xf bank_mask:0xf
	v_cmp_eq_u32_e32 vcc, 0, v23
	v_cmp_lt_u32_e64 s[16:17], 31, v31
	v_mov_b32_dpp v25, v24 row_bcast:31 row_mask:0xf bank_mask:0xf
	v_cndmask_b32_e64 v22, 0, v22, s[16:17]
	s_and_b64 vcc, s[16:17], vcc
	v_add_u32_e32 v22, v22, v23
	v_cndmask_b32_e32 v23, 0, v25, vcc
	v_add_u32_e32 v23, v23, v24
	v_cmp_eq_u32_e32 vcc, v51, v0
	v_lshlrev_b32_e32 v24, 3, v50
	s_and_saveexec_b64 s[16:17], vcc
	s_cbranch_execz .LBB738_50
; %bb.49:
	ds_write_b64 v24, v[22:23] offset:4112
.LBB738_50:
	s_or_b64 exec, exec, s[16:17]
	v_cmp_gt_u32_e32 vcc, 4, v0
	s_waitcnt lgkmcnt(0)
	s_barrier
	s_and_saveexec_b64 s[20:21], vcc
	s_cbranch_execz .LBB738_52
; %bb.51:
	v_lshlrev_b32_e32 v25, 3, v0
	ds_read_b64 v[26:27], v25 offset:4112
	v_and_b32_e32 v28, 3, v31
	v_cmp_lt_u32_e64 s[16:17], 1, v28
	s_waitcnt lgkmcnt(0)
	v_mov_b32_dpp v30, v27 row_shr:1 row_mask:0xf bank_mask:0xf
	v_cmp_eq_u32_e32 vcc, 0, v26
	v_mov_b32_dpp v29, v26 row_shr:1 row_mask:0xf bank_mask:0xf
	v_cndmask_b32_e32 v30, 0, v30, vcc
	v_cmp_eq_u32_e32 vcc, 0, v28
	v_cndmask_b32_e64 v29, v29, 0, vcc
	v_add_u32_e32 v26, v29, v26
	v_cndmask_b32_e64 v29, v30, 0, vcc
	v_add_u32_e32 v27, v29, v27
	v_cmp_eq_u32_e32 vcc, 0, v26
	v_mov_b32_dpp v29, v26 row_shr:2 row_mask:0xf bank_mask:0xf
	v_mov_b32_dpp v30, v27 row_shr:2 row_mask:0xf bank_mask:0xf
	v_cndmask_b32_e64 v28, 0, v29, s[16:17]
	s_and_b64 vcc, s[16:17], vcc
	v_add_u32_e32 v26, v28, v26
	v_cndmask_b32_e32 v28, 0, v30, vcc
	v_add_u32_e32 v27, v28, v27
	ds_write_b64 v25, v[26:27] offset:4112
.LBB738_52:
	s_or_b64 exec, exec, s[20:21]
	v_cmp_gt_u32_e32 vcc, 64, v0
	v_cmp_lt_u32_e64 s[16:17], 63, v0
	v_mov_b32_e32 v28, 0
	v_mov_b32_e32 v29, 0
	s_waitcnt lgkmcnt(0)
	s_barrier
	s_and_saveexec_b64 s[20:21], s[16:17]
	s_cbranch_execz .LBB738_54
; %bb.53:
	ds_read_b64 v[28:29], v24 offset:4104
	v_cmp_eq_u32_e64 s[16:17], 0, v22
	s_waitcnt lgkmcnt(0)
	v_add_u32_e32 v24, v28, v22
	v_cndmask_b32_e64 v22, 0, v29, s[16:17]
	v_add_u32_e32 v23, v22, v23
	v_mov_b32_e32 v22, v24
.LBB738_54:
	s_or_b64 exec, exec, s[20:21]
	v_add_u32_e32 v24, -1, v31
	v_and_b32_e32 v25, 64, v31
	v_cmp_lt_i32_e64 s[16:17], v24, v25
	v_cndmask_b32_e64 v24, v24, v31, s[16:17]
	v_lshlrev_b32_e32 v24, 2, v24
	ds_bpermute_b32 v36, v24, v22
	ds_bpermute_b32 v37, v24, v23
	v_cmp_eq_u32_e64 s[16:17], 0, v31
	s_and_saveexec_b64 s[42:43], vcc
	s_cbranch_execz .LBB738_77
; %bb.55:
	v_mov_b32_e32 v27, 0
	ds_read_b64 v[22:23], v27 offset:4136
	s_waitcnt lgkmcnt(0)
	v_readfirstlane_b32 s7, v22
	v_readfirstlane_b32 s46, v23
	s_and_saveexec_b64 s[20:21], s[16:17]
	s_cbranch_execz .LBB738_57
; %bb.56:
	s_add_i32 s44, s6, 64
	s_mov_b32 s45, 0
	s_lshl_b64 s[48:49], s[44:45], 4
	s_add_u32 s48, s24, s48
	s_addc_u32 s49, s25, s49
	s_and_b32 s51, s46, 0xff000000
	s_mov_b32 s50, s45
	s_and_b32 s53, s46, 0xff0000
	s_mov_b32 s52, s45
	s_or_b64 s[50:51], s[52:53], s[50:51]
	s_and_b32 s53, s46, 0xff00
	s_or_b64 s[50:51], s[50:51], s[52:53]
	s_and_b32 s53, s46, 0xff
	s_or_b64 s[44:45], s[50:51], s[52:53]
	v_mov_b32_e32 v24, s7
	v_mov_b32_e32 v25, s45
	;; [unrolled: 1-line block ×3, first 2 shown]
	v_pk_mov_b32 v[22:23], s[48:49], s[48:49] op_sel:[0,1]
	;;#ASMSTART
	global_store_dwordx4 v[22:23], v[24:27] off	
s_waitcnt vmcnt(0)
	;;#ASMEND
.LBB738_57:
	s_or_b64 exec, exec, s[20:21]
	v_xad_u32 v30, v31, -1, s6
	v_add_u32_e32 v26, 64, v30
	v_lshlrev_b64 v[22:23], 4, v[26:27]
	v_mov_b32_e32 v24, s25
	v_add_co_u32_e32 v32, vcc, s24, v22
	v_addc_co_u32_e32 v33, vcc, v24, v23, vcc
	;;#ASMSTART
	global_load_dwordx4 v[22:25], v[32:33] off glc	
s_waitcnt vmcnt(0)
	;;#ASMEND
	v_and_b32_e32 v25, 0xff, v23
	v_and_b32_e32 v26, 0xff00, v23
	v_or3_b32 v25, 0, v25, v26
	v_or3_b32 v22, v22, 0, 0
	v_and_b32_e32 v26, 0xff000000, v23
	v_and_b32_e32 v23, 0xff0000, v23
	v_or3_b32 v23, v25, v23, v26
	v_or3_b32 v22, v22, 0, 0
	v_cmp_eq_u16_sdwa s[44:45], v24, v27 src0_sel:BYTE_0 src1_sel:DWORD
	s_and_saveexec_b64 s[20:21], s[44:45]
	s_cbranch_execz .LBB738_63
; %bb.58:
	s_mov_b32 s47, 1
	s_mov_b64 s[44:45], 0
	v_mov_b32_e32 v26, 0
.LBB738_59:                             ; =>This Loop Header: Depth=1
                                        ;     Child Loop BB738_60 Depth 2
	s_max_u32 s48, s47, 1
.LBB738_60:                             ;   Parent Loop BB738_59 Depth=1
                                        ; =>  This Inner Loop Header: Depth=2
	s_add_i32 s48, s48, -1
	s_cmp_eq_u32 s48, 0
	s_sleep 1
	s_cbranch_scc0 .LBB738_60
; %bb.61:                               ;   in Loop: Header=BB738_59 Depth=1
	s_cmp_lt_u32 s47, 32
	s_cselect_b64 s[48:49], -1, 0
	s_cmp_lg_u64 s[48:49], 0
	s_addc_u32 s47, s47, 0
	;;#ASMSTART
	global_load_dwordx4 v[22:25], v[32:33] off glc	
s_waitcnt vmcnt(0)
	;;#ASMEND
	v_cmp_ne_u16_sdwa s[48:49], v24, v26 src0_sel:BYTE_0 src1_sel:DWORD
	s_or_b64 s[44:45], s[48:49], s[44:45]
	s_andn2_b64 exec, exec, s[44:45]
	s_cbranch_execnz .LBB738_59
; %bb.62:
	s_or_b64 exec, exec, s[44:45]
.LBB738_63:
	s_or_b64 exec, exec, s[20:21]
	v_mov_b32_e32 v38, 2
	v_cmp_eq_u16_sdwa s[20:21], v24, v38 src0_sel:BYTE_0 src1_sel:DWORD
	v_lshlrev_b64 v[32:33], v31, -1
	v_and_b32_e32 v25, s21, v33
	v_and_b32_e32 v39, 63, v31
	v_or_b32_e32 v25, 0x80000000, v25
	v_cmp_ne_u32_e32 vcc, 63, v39
	v_and_b32_e32 v26, s20, v32
	v_ffbl_b32_e32 v25, v25
	v_addc_co_u32_e32 v27, vcc, 0, v31, vcc
	v_add_u32_e32 v25, 32, v25
	v_ffbl_b32_e32 v26, v26
	v_lshlrev_b32_e32 v40, 2, v27
	v_min_u32_e32 v25, v26, v25
	ds_bpermute_b32 v26, v40, v23
	v_cmp_eq_u32_e32 vcc, 0, v22
	v_cmp_lt_u32_e64 s[20:21], v39, v25
	ds_bpermute_b32 v27, v40, v22
	s_and_b64 vcc, s[20:21], vcc
	s_waitcnt lgkmcnt(1)
	v_cndmask_b32_e32 v26, 0, v26, vcc
	v_cmp_gt_u32_e32 vcc, 62, v39
	v_add_u32_e32 v23, v26, v23
	v_cndmask_b32_e64 v26, 0, 1, vcc
	v_lshlrev_b32_e32 v26, 1, v26
	v_add_lshl_u32 v41, v26, v31, 2
	s_waitcnt lgkmcnt(0)
	v_cndmask_b32_e64 v27, 0, v27, s[20:21]
	ds_bpermute_b32 v26, v41, v23
	v_add_u32_e32 v22, v27, v22
	ds_bpermute_b32 v27, v41, v22
	v_add_u32_e32 v42, 2, v39
	v_cmp_eq_u32_e32 vcc, 0, v22
	s_waitcnt lgkmcnt(1)
	v_cndmask_b32_e32 v26, 0, v26, vcc
	v_cmp_gt_u32_e32 vcc, v42, v25
	v_cndmask_b32_e64 v26, v26, 0, vcc
	v_add_u32_e32 v23, v26, v23
	s_waitcnt lgkmcnt(0)
	v_cndmask_b32_e64 v26, v27, 0, vcc
	v_cmp_gt_u32_e32 vcc, 60, v39
	v_cndmask_b32_e64 v27, 0, 1, vcc
	v_lshlrev_b32_e32 v27, 2, v27
	v_add_lshl_u32 v43, v27, v31, 2
	ds_bpermute_b32 v27, v43, v23
	v_add_u32_e32 v22, v22, v26
	ds_bpermute_b32 v26, v43, v22
	v_add_u32_e32 v44, 4, v39
	v_cmp_eq_u32_e32 vcc, 0, v22
	s_waitcnt lgkmcnt(1)
	v_cndmask_b32_e32 v27, 0, v27, vcc
	v_cmp_gt_u32_e32 vcc, v44, v25
	v_cndmask_b32_e64 v27, v27, 0, vcc
	s_waitcnt lgkmcnt(0)
	v_cndmask_b32_e64 v26, v26, 0, vcc
	v_cmp_gt_u32_e32 vcc, 56, v39
	v_add_u32_e32 v23, v23, v27
	v_cndmask_b32_e64 v27, 0, 1, vcc
	v_lshlrev_b32_e32 v27, 3, v27
	v_add_lshl_u32 v45, v27, v31, 2
	ds_bpermute_b32 v27, v45, v23
	v_add_u32_e32 v22, v22, v26
	ds_bpermute_b32 v26, v45, v22
	v_add_u32_e32 v46, 8, v39
	v_cmp_eq_u32_e32 vcc, 0, v22
	s_waitcnt lgkmcnt(1)
	v_cndmask_b32_e32 v27, 0, v27, vcc
	v_cmp_gt_u32_e32 vcc, v46, v25
	v_cndmask_b32_e64 v27, v27, 0, vcc
	s_waitcnt lgkmcnt(0)
	v_cndmask_b32_e64 v26, v26, 0, vcc
	v_cmp_gt_u32_e32 vcc, 48, v39
	v_add_u32_e32 v23, v23, v27
	;; [unrolled: 16-line block ×3, first 2 shown]
	v_cndmask_b32_e64 v27, 0, 1, vcc
	v_lshlrev_b32_e32 v27, 5, v27
	v_add_lshl_u32 v64, v27, v31, 2
	ds_bpermute_b32 v27, v64, v23
	v_add_u32_e32 v22, v22, v26
	ds_bpermute_b32 v26, v64, v22
	v_add_u32_e32 v65, 32, v39
	v_cmp_eq_u32_e32 vcc, 0, v22
	s_waitcnt lgkmcnt(1)
	v_cndmask_b32_e32 v27, 0, v27, vcc
	v_cmp_gt_u32_e32 vcc, v65, v25
	v_cndmask_b32_e64 v25, v27, 0, vcc
	v_add_u32_e32 v23, v25, v23
	s_waitcnt lgkmcnt(0)
	v_cndmask_b32_e64 v25, v26, 0, vcc
	v_add_u32_e32 v22, v25, v22
	v_mov_b32_e32 v31, 0
	s_branch .LBB738_65
.LBB738_64:                             ;   in Loop: Header=BB738_65 Depth=1
	s_or_b64 exec, exec, s[20:21]
	v_cmp_eq_u16_sdwa s[20:21], v24, v38 src0_sel:BYTE_0 src1_sel:DWORD
	v_and_b32_e32 v25, s21, v33
	v_or_b32_e32 v25, 0x80000000, v25
	v_and_b32_e32 v34, s20, v32
	v_ffbl_b32_e32 v25, v25
	v_add_u32_e32 v25, 32, v25
	v_ffbl_b32_e32 v34, v34
	v_min_u32_e32 v25, v34, v25
	ds_bpermute_b32 v34, v40, v23
	v_cmp_eq_u32_e32 vcc, 0, v22
	v_cmp_lt_u32_e64 s[20:21], v39, v25
	ds_bpermute_b32 v35, v40, v22
	s_and_b64 vcc, s[20:21], vcc
	s_waitcnt lgkmcnt(1)
	v_cndmask_b32_e32 v34, 0, v34, vcc
	v_add_u32_e32 v23, v34, v23
	ds_bpermute_b32 v34, v41, v23
	s_waitcnt lgkmcnt(1)
	v_cndmask_b32_e64 v35, 0, v35, s[20:21]
	v_add_u32_e32 v22, v35, v22
	v_cmp_eq_u32_e32 vcc, 0, v22
	ds_bpermute_b32 v35, v41, v22
	s_waitcnt lgkmcnt(1)
	v_cndmask_b32_e32 v34, 0, v34, vcc
	v_cmp_gt_u32_e32 vcc, v42, v25
	v_cndmask_b32_e64 v34, v34, 0, vcc
	v_add_u32_e32 v23, v34, v23
	ds_bpermute_b32 v34, v43, v23
	s_waitcnt lgkmcnt(1)
	v_cndmask_b32_e64 v35, v35, 0, vcc
	v_add_u32_e32 v22, v22, v35
	v_cmp_eq_u32_e32 vcc, 0, v22
	ds_bpermute_b32 v35, v43, v22
	s_waitcnt lgkmcnt(1)
	v_cndmask_b32_e32 v34, 0, v34, vcc
	v_cmp_gt_u32_e32 vcc, v44, v25
	v_cndmask_b32_e64 v34, v34, 0, vcc
	v_add_u32_e32 v23, v23, v34
	ds_bpermute_b32 v34, v45, v23
	s_waitcnt lgkmcnt(1)
	v_cndmask_b32_e64 v35, v35, 0, vcc
	v_add_u32_e32 v22, v22, v35
	ds_bpermute_b32 v35, v45, v22
	v_cmp_eq_u32_e32 vcc, 0, v22
	s_waitcnt lgkmcnt(1)
	v_cndmask_b32_e32 v34, 0, v34, vcc
	v_cmp_gt_u32_e32 vcc, v46, v25
	v_cndmask_b32_e64 v34, v34, 0, vcc
	v_add_u32_e32 v23, v23, v34
	ds_bpermute_b32 v34, v47, v23
	s_waitcnt lgkmcnt(1)
	v_cndmask_b32_e64 v35, v35, 0, vcc
	v_add_u32_e32 v22, v22, v35
	ds_bpermute_b32 v35, v47, v22
	v_cmp_eq_u32_e32 vcc, 0, v22
	;; [unrolled: 11-line block ×3, first 2 shown]
	s_waitcnt lgkmcnt(1)
	v_cndmask_b32_e32 v34, 0, v34, vcc
	v_cmp_gt_u32_e32 vcc, v65, v25
	v_cndmask_b32_e64 v25, v34, 0, vcc
	v_add_u32_e32 v23, v25, v23
	s_waitcnt lgkmcnt(0)
	v_cndmask_b32_e64 v25, v35, 0, vcc
	v_cmp_eq_u32_e32 vcc, 0, v26
	v_cndmask_b32_e32 v23, 0, v23, vcc
	v_subrev_u32_e32 v30, 64, v30
	v_add3_u32 v22, v22, v26, v25
	v_add_u32_e32 v23, v23, v27
.LBB738_65:                             ; =>This Loop Header: Depth=1
                                        ;     Child Loop BB738_68 Depth 2
                                        ;       Child Loop BB738_69 Depth 3
	v_cmp_ne_u16_sdwa s[20:21], v24, v38 src0_sel:BYTE_0 src1_sel:DWORD
	v_mov_b32_e32 v27, v23
	v_cndmask_b32_e64 v23, 0, 1, s[20:21]
	;;#ASMSTART
	;;#ASMEND
	v_cmp_ne_u32_e32 vcc, 0, v23
	s_cmp_lg_u64 vcc, exec
	v_mov_b32_e32 v26, v22
	s_cbranch_scc1 .LBB738_72
; %bb.66:                               ;   in Loop: Header=BB738_65 Depth=1
	v_lshlrev_b64 v[22:23], 4, v[30:31]
	v_mov_b32_e32 v24, s25
	v_add_co_u32_e32 v34, vcc, s24, v22
	v_addc_co_u32_e32 v35, vcc, v24, v23, vcc
	;;#ASMSTART
	global_load_dwordx4 v[22:25], v[34:35] off glc	
s_waitcnt vmcnt(0)
	;;#ASMEND
	v_and_b32_e32 v25, 0xff, v23
	v_and_b32_e32 v66, 0xff00, v23
	v_or3_b32 v25, 0, v25, v66
	v_or3_b32 v22, v22, 0, 0
	v_and_b32_e32 v66, 0xff000000, v23
	v_and_b32_e32 v23, 0xff0000, v23
	v_or3_b32 v23, v25, v23, v66
	v_or3_b32 v22, v22, 0, 0
	v_cmp_eq_u16_sdwa s[44:45], v24, v31 src0_sel:BYTE_0 src1_sel:DWORD
	s_and_saveexec_b64 s[20:21], s[44:45]
	s_cbranch_execz .LBB738_64
; %bb.67:                               ;   in Loop: Header=BB738_65 Depth=1
	s_mov_b32 s47, 1
	s_mov_b64 s[44:45], 0
.LBB738_68:                             ;   Parent Loop BB738_65 Depth=1
                                        ; =>  This Loop Header: Depth=2
                                        ;       Child Loop BB738_69 Depth 3
	s_max_u32 s48, s47, 1
.LBB738_69:                             ;   Parent Loop BB738_65 Depth=1
                                        ;     Parent Loop BB738_68 Depth=2
                                        ; =>    This Inner Loop Header: Depth=3
	s_add_i32 s48, s48, -1
	s_cmp_eq_u32 s48, 0
	s_sleep 1
	s_cbranch_scc0 .LBB738_69
; %bb.70:                               ;   in Loop: Header=BB738_68 Depth=2
	s_cmp_lt_u32 s47, 32
	s_cselect_b64 s[48:49], -1, 0
	s_cmp_lg_u64 s[48:49], 0
	s_addc_u32 s47, s47, 0
	;;#ASMSTART
	global_load_dwordx4 v[22:25], v[34:35] off glc	
s_waitcnt vmcnt(0)
	;;#ASMEND
	v_cmp_ne_u16_sdwa s[48:49], v24, v31 src0_sel:BYTE_0 src1_sel:DWORD
	s_or_b64 s[44:45], s[48:49], s[44:45]
	s_andn2_b64 exec, exec, s[44:45]
	s_cbranch_execnz .LBB738_68
; %bb.71:                               ;   in Loop: Header=BB738_65 Depth=1
	s_or_b64 exec, exec, s[44:45]
	s_branch .LBB738_64
.LBB738_72:                             ;   in Loop: Header=BB738_65 Depth=1
                                        ; implicit-def: $vgpr23
                                        ; implicit-def: $vgpr22
                                        ; implicit-def: $vgpr24
	s_cbranch_execz .LBB738_65
; %bb.73:
	s_and_saveexec_b64 s[20:21], s[16:17]
	s_cbranch_execz .LBB738_75
; %bb.74:
	s_cmp_eq_u32 s7, 0
	s_cselect_b64 vcc, -1, 0
	s_mov_b32 s45, 0
	v_cndmask_b32_e32 v22, 0, v27, vcc
	s_add_i32 s44, s6, 64
	v_add_u32_e32 v22, s46, v22
	s_lshl_b64 s[44:45], s[44:45], 4
	s_add_u32 s44, s24, s44
	v_and_b32_e32 v23, 0xff000000, v22
	v_and_b32_e32 v24, 0xff0000, v22
	s_addc_u32 s45, s25, s45
	v_or_b32_e32 v23, v24, v23
	v_and_b32_e32 v24, 0xff00, v22
	v_and_b32_e32 v22, 0xff, v22
	v_add_u32_e32 v30, s7, v26
	v_mov_b32_e32 v33, 0
	v_or3_b32 v31, v23, v24, v22
	v_mov_b32_e32 v32, 2
	v_pk_mov_b32 v[22:23], s[44:45], s[44:45] op_sel:[0,1]
	;;#ASMSTART
	global_store_dwordx4 v[22:23], v[30:33] off	
s_waitcnt vmcnt(0)
	;;#ASMEND
	v_mov_b32_e32 v24, s7
	v_mov_b32_e32 v25, s46
	ds_write_b128 v33, v[24:27] offset:4096
.LBB738_75:
	s_or_b64 exec, exec, s[20:21]
	v_cmp_eq_u32_e32 vcc, 0, v0
	s_and_b64 exec, exec, vcc
	s_cbranch_execz .LBB738_77
; %bb.76:
	v_mov_b32_e32 v22, 0
	ds_write_b64 v22, v[26:27] offset:4136
.LBB738_77:
	s_or_b64 exec, exec, s[42:43]
	v_mov_b32_e32 v24, 0
	s_waitcnt lgkmcnt(0)
	s_barrier
	ds_read_b64 v[22:23], v24 offset:4136
	v_cndmask_b32_e64 v26, v36, v28, s[16:17]
	v_cmp_eq_u32_e32 vcc, 0, v26
	v_cndmask_b32_e64 v25, v37, v29, s[16:17]
	s_waitcnt lgkmcnt(0)
	v_cndmask_b32_e32 v27, 0, v23, vcc
	v_add_u32_e32 v25, v27, v25
	v_cmp_eq_u32_e32 vcc, 0, v0
	v_cndmask_b32_e32 v47, v25, v23, vcc
	v_cndmask_b32_e64 v23, v26, 0, vcc
	v_cmp_eq_u32_e32 vcc, 0, v62
	v_add_u32_e32 v46, v22, v23
	v_cndmask_b32_e32 v22, 0, v47, vcc
	v_add_u32_e32 v45, v22, v48
	v_cndmask_b32_e64 v22, 0, v45, s[14:15]
	v_add_u32_e32 v43, v22, v48
	v_cndmask_b32_e64 v22, 0, v43, s[12:13]
	v_add_u32_e32 v41, v22, v48
	v_cndmask_b32_e64 v22, 0, v41, s[10:11]
	v_add_u32_e32 v39, v22, v48
	v_cndmask_b32_e64 v22, 0, v39, s[8:9]
	v_add_u32_e32 v37, v22, v48
	v_cndmask_b32_e64 v22, 0, v37, s[18:19]
	v_add_u32_e32 v35, v22, v48
	v_add_u32_e32 v44, v46, v62
	v_cndmask_b32_e64 v22, 0, v35, s[4:5]
	v_add_u32_e32 v42, v44, v61
	v_add_u32_e32 v33, v22, v48
	s_barrier
	ds_read_b128 v[22:25], v24 offset:4096
	v_add_u32_e32 v40, v42, v60
	v_add_u32_e32 v38, v40, v59
	;; [unrolled: 1-line block ×4, first 2 shown]
	v_cndmask_b32_e64 v26, 0, v33, s[2:3]
	v_add_u32_e32 v32, v34, v56
	v_add_u32_e32 v29, v26, v48
	s_waitcnt lgkmcnt(0)
	v_cmp_eq_u32_e32 vcc, 0, v22
	v_add_u32_e32 v28, v32, v55
	v_cndmask_b32_e64 v26, 0, v29, s[0:1]
	v_cndmask_b32_e32 v25, 0, v25, vcc
	v_add_u32_e32 v30, v28, v54
	v_add_u32_e32 v31, v26, v48
	v_add_u32_e32 v26, v25, v23
	s_branch .LBB738_90
.LBB738_78:
                                        ; implicit-def: $vgpr22
                                        ; implicit-def: $vgpr26
                                        ; implicit-def: $vgpr30_vgpr31
                                        ; implicit-def: $vgpr28_vgpr29
                                        ; implicit-def: $vgpr32_vgpr33
                                        ; implicit-def: $vgpr34_vgpr35
                                        ; implicit-def: $vgpr46_vgpr47
                                        ; implicit-def: $vgpr44_vgpr45
                                        ; implicit-def: $vgpr42_vgpr43
                                        ; implicit-def: $vgpr40_vgpr41
                                        ; implicit-def: $vgpr38_vgpr39
                                        ; implicit-def: $vgpr36_vgpr37
	s_cbranch_execz .LBB738_90
; %bb.79:
	s_and_b64 s[0:1], s[26:27], exec
	s_cselect_b32 s1, 0, s41
	s_cselect_b32 s0, 0, s40
	s_cmp_eq_u64 s[0:1], 0
	v_mov_b32_e32 v26, v48
	s_cbranch_scc1 .LBB738_81
; %bb.80:
	v_mov_b32_e32 v22, 0
	global_load_dword v26, v22, s[0:1]
.LBB738_81:
	v_cmp_eq_u32_e64 s[0:1], 0, v61
	v_cndmask_b32_e64 v22, 0, v48, s[0:1]
	v_add_u32_e32 v22, v22, v48
	v_cmp_eq_u32_e64 s[2:3], 0, v60
	v_cndmask_b32_e64 v22, 0, v22, s[2:3]
	v_add_u32_e32 v22, v22, v48
	;; [unrolled: 3-line block ×7, first 2 shown]
	v_cmp_eq_u32_e32 vcc, 0, v54
	v_cndmask_b32_e32 v22, 0, v22, vcc
	v_add3_u32 v23, v53, v58, v57
	v_add_u32_e32 v22, v22, v48
	v_cmp_eq_u32_e64 s[14:15], 0, v1
	v_add3_u32 v23, v23, v56, v55
	v_cndmask_b32_e64 v22, 0, v22, s[14:15]
	v_add3_u32 v23, v23, v54, v1
	v_add_u32_e32 v22, v22, v49
	v_mbcnt_hi_u32_b32 v27, -1, v52
	v_and_b32_e32 v24, 15, v27
	v_mov_b32_dpp v28, v22 row_shr:1 row_mask:0xf bank_mask:0xf
	v_cmp_eq_u32_e64 s[14:15], 0, v23
	v_mov_b32_dpp v25, v23 row_shr:1 row_mask:0xf bank_mask:0xf
	v_cndmask_b32_e64 v28, 0, v28, s[14:15]
	v_cmp_eq_u32_e64 s[14:15], 0, v24
	v_cndmask_b32_e64 v25, v25, 0, s[14:15]
	v_add_u32_e32 v23, v25, v23
	v_cndmask_b32_e64 v25, v28, 0, s[14:15]
	v_add_u32_e32 v22, v25, v22
	v_cmp_eq_u32_e64 s[14:15], 0, v23
	v_mov_b32_dpp v25, v23 row_shr:2 row_mask:0xf bank_mask:0xf
	v_cmp_lt_u32_e64 s[16:17], 1, v24
	v_mov_b32_dpp v28, v22 row_shr:2 row_mask:0xf bank_mask:0xf
	v_cndmask_b32_e64 v25, 0, v25, s[16:17]
	s_and_b64 s[14:15], s[16:17], s[14:15]
	v_cndmask_b32_e64 v28, 0, v28, s[14:15]
	v_add_u32_e32 v23, v23, v25
	v_add_u32_e32 v22, v28, v22
	v_cmp_eq_u32_e64 s[14:15], 0, v23
	v_mov_b32_dpp v25, v23 row_shr:4 row_mask:0xf bank_mask:0xf
	v_cmp_lt_u32_e64 s[16:17], 3, v24
	v_mov_b32_dpp v28, v22 row_shr:4 row_mask:0xf bank_mask:0xf
	v_cndmask_b32_e64 v25, 0, v25, s[16:17]
	s_and_b64 s[14:15], s[16:17], s[14:15]
	v_cndmask_b32_e64 v28, 0, v28, s[14:15]
	v_add_u32_e32 v23, v25, v23
	v_add_u32_e32 v22, v22, v28
	v_cmp_eq_u32_e64 s[14:15], 0, v23
	v_cmp_lt_u32_e64 s[16:17], 7, v24
	v_mov_b32_dpp v25, v23 row_shr:8 row_mask:0xf bank_mask:0xf
	v_mov_b32_dpp v28, v22 row_shr:8 row_mask:0xf bank_mask:0xf
	s_and_b64 s[14:15], s[16:17], s[14:15]
	v_cndmask_b32_e64 v24, 0, v25, s[16:17]
	v_cndmask_b32_e64 v25, 0, v28, s[14:15]
	v_add_u32_e32 v22, v25, v22
	v_add_u32_e32 v23, v24, v23
	v_bfe_i32 v28, v27, 4, 1
	v_mov_b32_dpp v25, v22 row_bcast:15 row_mask:0xf bank_mask:0xf
	v_mov_b32_dpp v24, v23 row_bcast:15 row_mask:0xf bank_mask:0xf
	v_cmp_eq_u32_e64 s[14:15], 0, v23
	v_cndmask_b32_e64 v25, 0, v25, s[14:15]
	v_and_b32_e32 v24, v28, v24
	v_add_u32_e32 v23, v24, v23
	v_and_b32_e32 v24, v28, v25
	v_add_u32_e32 v24, v24, v22
	v_mov_b32_dpp v22, v23 row_bcast:31 row_mask:0xf bank_mask:0xf
	v_cmp_eq_u32_e64 s[14:15], 0, v23
	v_cmp_lt_u32_e64 s[16:17], 31, v27
	v_mov_b32_dpp v25, v24 row_bcast:31 row_mask:0xf bank_mask:0xf
	v_cndmask_b32_e64 v22, 0, v22, s[16:17]
	s_and_b64 s[14:15], s[16:17], s[14:15]
	v_add_u32_e32 v22, v22, v23
	v_cndmask_b32_e64 v23, 0, v25, s[14:15]
	v_add_u32_e32 v23, v23, v24
	v_cmp_eq_u32_e64 s[14:15], v51, v0
	s_and_saveexec_b64 s[16:17], s[14:15]
	s_cbranch_execz .LBB738_83
; %bb.82:
	v_lshlrev_b32_e32 v24, 3, v50
	ds_write_b64 v24, v[22:23] offset:4112
.LBB738_83:
	s_or_b64 exec, exec, s[16:17]
	v_cmp_gt_u32_e64 s[14:15], 4, v0
	s_waitcnt lgkmcnt(0)
	s_barrier
	s_and_saveexec_b64 s[18:19], s[14:15]
	s_cbranch_execz .LBB738_85
; %bb.84:
	v_lshlrev_b32_e32 v28, 3, v0
	ds_read_b64 v[24:25], v28 offset:4112
	v_and_b32_e32 v29, 3, v27
	v_cmp_lt_u32_e64 s[16:17], 1, v29
	s_waitcnt lgkmcnt(0)
	v_mov_b32_dpp v31, v25 row_shr:1 row_mask:0xf bank_mask:0xf
	v_cmp_eq_u32_e64 s[14:15], 0, v24
	v_mov_b32_dpp v30, v24 row_shr:1 row_mask:0xf bank_mask:0xf
	v_cndmask_b32_e64 v31, 0, v31, s[14:15]
	v_cmp_eq_u32_e64 s[14:15], 0, v29
	v_cndmask_b32_e64 v30, v30, 0, s[14:15]
	v_add_u32_e32 v24, v30, v24
	v_cndmask_b32_e64 v30, v31, 0, s[14:15]
	v_add_u32_e32 v25, v30, v25
	v_cmp_eq_u32_e64 s[14:15], 0, v24
	v_mov_b32_dpp v30, v24 row_shr:2 row_mask:0xf bank_mask:0xf
	v_mov_b32_dpp v31, v25 row_shr:2 row_mask:0xf bank_mask:0xf
	v_cndmask_b32_e64 v29, 0, v30, s[16:17]
	s_and_b64 s[14:15], s[16:17], s[14:15]
	v_add_u32_e32 v24, v29, v24
	v_cndmask_b32_e64 v29, 0, v31, s[14:15]
	v_add_u32_e32 v25, v29, v25
	ds_write_b64 v28, v[24:25] offset:4112
.LBB738_85:
	s_or_b64 exec, exec, s[18:19]
	v_cmp_lt_u32_e64 s[14:15], 63, v0
	v_mov_b32_e32 v29, 0
	v_mov_b32_e32 v24, 0
	s_waitcnt vmcnt(0)
	v_mov_b32_e32 v25, v26
	s_waitcnt lgkmcnt(0)
	s_barrier
	s_and_saveexec_b64 s[16:17], s[14:15]
	s_cbranch_execz .LBB738_87
; %bb.86:
	v_lshlrev_b32_e32 v24, 3, v50
	ds_read_b64 v[24:25], v24 offset:4104
	s_waitcnt lgkmcnt(0)
	v_cmp_eq_u32_e64 s[14:15], 0, v24
	v_cndmask_b32_e64 v28, 0, v26, s[14:15]
	v_add_u32_e32 v25, v28, v25
.LBB738_87:
	s_or_b64 exec, exec, s[16:17]
	v_cmp_eq_u32_e64 s[14:15], 0, v22
	v_add_u32_e32 v28, v24, v22
	v_cndmask_b32_e64 v22, 0, v25, s[14:15]
	v_add_u32_e32 v22, v22, v23
	v_add_u32_e32 v23, -1, v27
	v_and_b32_e32 v30, 64, v27
	v_cmp_lt_i32_e64 s[14:15], v23, v30
	v_cndmask_b32_e64 v23, v23, v27, s[14:15]
	v_lshlrev_b32_e32 v23, 2, v23
	ds_bpermute_b32 v28, v23, v28
	ds_bpermute_b32 v22, v23, v22
	v_cmp_eq_u32_e64 s[14:15], 0, v27
	v_cmp_eq_u32_e64 s[16:17], 0, v62
	s_waitcnt lgkmcnt(1)
	v_cndmask_b32_e64 v23, v28, v24, s[14:15]
	s_waitcnt lgkmcnt(0)
	v_cndmask_b32_e64 v22, v22, v25, s[14:15]
	v_cmp_eq_u32_e64 s[14:15], 0, v0
	v_cndmask_b32_e64 v47, v22, v26, s[14:15]
	v_cndmask_b32_e64 v22, 0, v47, s[16:17]
	v_add_u32_e32 v45, v22, v48
	v_cndmask_b32_e64 v22, 0, v45, s[0:1]
	v_add_u32_e32 v43, v22, v48
	;; [unrolled: 2-line block ×5, first 2 shown]
	v_cndmask_b32_e64 v22, 0, v37, s[8:9]
	v_cndmask_b32_e64 v46, v23, 0, s[14:15]
	v_add_u32_e32 v35, v22, v48
	v_add_u32_e32 v44, v46, v62
	v_cndmask_b32_e64 v22, 0, v35, s[10:11]
	v_add_u32_e32 v42, v44, v61
	v_add_u32_e32 v33, v22, v48
	ds_read_b64 v[22:23], v29 offset:4136
	v_add_u32_e32 v40, v42, v60
	v_add_u32_e32 v38, v40, v59
	v_add_u32_e32 v36, v38, v58
	v_cndmask_b32_e64 v24, 0, v33, s[12:13]
	v_add_u32_e32 v34, v36, v57
	v_add_u32_e32 v29, v24, v48
	v_add_u32_e32 v32, v34, v56
	v_cndmask_b32_e32 v24, 0, v29, vcc
	s_waitcnt lgkmcnt(0)
	v_cmp_eq_u32_e32 vcc, 0, v22
	v_add_u32_e32 v28, v32, v55
	v_add_u32_e32 v31, v24, v48
	v_cndmask_b32_e32 v24, 0, v26, vcc
	v_add_u32_e32 v30, v28, v54
	v_add_u32_e32 v26, v24, v23
	s_and_saveexec_b64 s[0:1], s[14:15]
	s_cbranch_execz .LBB738_89
; %bb.88:
	s_add_u32 s2, s24, 0x400
	v_and_b32_e32 v23, 0xff000000, v26
	v_and_b32_e32 v24, 0xff0000, v26
	s_addc_u32 s3, s25, 0
	v_or_b32_e32 v23, v24, v23
	v_and_b32_e32 v24, 0xff00, v26
	v_and_b32_e32 v27, 0xff, v26
	v_mov_b32_e32 v25, 0
	v_or3_b32 v23, v23, v24, v27
	v_mov_b32_e32 v24, 2
	v_pk_mov_b32 v[48:49], s[2:3], s[2:3] op_sel:[0,1]
	;;#ASMSTART
	global_store_dwordx4 v[48:49], v[22:25] off	
s_waitcnt vmcnt(0)
	;;#ASMEND
.LBB738_89:
	s_or_b64 exec, exec, s[0:1]
	v_mov_b32_e32 v24, 0
.LBB738_90:
	s_and_b64 s[0:1], s[26:27], exec
	s_cselect_b32 s1, 0, s39
	s_cselect_b32 s0, 0, s38
	s_cmp_eq_u64 s[0:1], 0
	v_pk_mov_b32 v[48:49], 0, 0
	s_waitcnt lgkmcnt(0)
	s_barrier
	s_cbranch_scc1 .LBB738_92
; %bb.91:
	v_mov_b32_e32 v23, 0
	global_load_dwordx2 v[48:49], v23, s[0:1]
.LBB738_92:
	s_waitcnt vmcnt(0)
	v_lshlrev_b64 v[50:51], 3, v[48:49]
	v_mov_b32_e32 v23, s29
	v_add_co_u32_e32 v27, vcc, s28, v50
	v_mov_b32_e32 v25, 0
	v_addc_co_u32_e32 v63, vcc, v23, v51, vcc
	v_lshlrev_b64 v[52:53], 3, v[24:25]
	v_add_co_u32_e32 v23, vcc, v27, v52
	v_addc_co_u32_e32 v25, vcc, v63, v53, vcc
	v_cmp_eq_u32_e32 vcc, 0, v62
	v_cndmask_b32_e64 v27, 1, 2, vcc
	v_cmp_eq_u32_e32 vcc, 0, v61
	v_cndmask_b32_e64 v63, 1, 2, vcc
	v_cmp_eq_u32_e32 vcc, 0, v60
	v_and_b32_e32 v27, v63, v27
	v_cndmask_b32_e64 v63, 1, 2, vcc
	v_cmp_eq_u32_e32 vcc, 0, v59
	v_and_b32_e32 v27, v27, v63
	;; [unrolled: 3-line block ×8, first 2 shown]
	v_cndmask_b32_e64 v63, 1, 2, vcc
	s_movk_i32 s20, 0x100
	v_and_b32_e32 v27, v27, v63
	v_cmp_gt_u32_e32 vcc, s20, v22
	v_cmp_ne_u32_e64 s[18:19], 0, v62
	v_cmp_ne_u32_e64 s[16:17], 0, v61
	;; [unrolled: 1-line block ×10, first 2 shown]
	s_mov_b64 s[24:25], -1
	v_cmp_gt_i16_e64 s[20:21], 2, v27
	s_cbranch_vccz .LBB738_99
; %bb.93:
	s_and_saveexec_b64 s[24:25], s[20:21]
	s_cbranch_execz .LBB738_98
; %bb.94:
	v_cmp_ne_u16_e32 vcc, 1, v27
	s_mov_b64 s[26:27], 0
	s_and_saveexec_b64 s[20:21], vcc
	s_xor_b64 s[20:21], exec, s[20:21]
	s_cbranch_execnz .LBB738_131
; %bb.95:
	s_andn2_saveexec_b64 s[20:21], s[20:21]
	s_cbranch_execnz .LBB738_142
.LBB738_96:
	s_or_b64 exec, exec, s[20:21]
	s_and_b64 exec, exec, s[26:27]
	s_cbranch_execz .LBB738_98
.LBB738_97:
	v_sub_u32_e32 v64, v30, v24
	v_mov_b32_e32 v65, 0
	v_lshlrev_b64 v[64:65], 3, v[64:65]
	v_add_co_u32_e32 v64, vcc, v23, v64
	v_addc_co_u32_e32 v65, vcc, v25, v65, vcc
	global_store_dwordx2 v[64:65], v[8:9], off
.LBB738_98:
	s_or_b64 exec, exec, s[24:25]
	s_mov_b64 s[24:25], 0
.LBB738_99:
	s_and_b64 vcc, exec, s[24:25]
	s_cbranch_vccz .LBB738_109
; %bb.100:
	v_cmp_gt_i16_e32 vcc, 2, v27
	s_and_saveexec_b64 s[20:21], vcc
	s_cbranch_execz .LBB738_105
; %bb.101:
	v_cmp_ne_u16_e32 vcc, 1, v27
	s_mov_b64 s[26:27], 0
	s_and_saveexec_b64 s[24:25], vcc
	s_xor_b64 s[24:25], exec, s[24:25]
	s_cbranch_execnz .LBB738_143
; %bb.102:
	s_andn2_saveexec_b64 s[0:1], s[24:25]
	s_cbranch_execnz .LBB738_154
.LBB738_103:
	s_or_b64 exec, exec, s[0:1]
	s_and_b64 exec, exec, s[26:27]
	s_cbranch_execz .LBB738_105
.LBB738_104:
	v_sub_u32_e32 v2, v30, v24
	v_lshlrev_b32_e32 v2, 3, v2
	ds_write_b64 v2, v[8:9]
.LBB738_105:
	s_or_b64 exec, exec, s[20:21]
	v_cmp_lt_u32_e32 vcc, v0, v22
	s_waitcnt lgkmcnt(0)
	s_barrier
	s_and_saveexec_b64 s[0:1], vcc
	s_cbranch_execz .LBB738_108
; %bb.106:
	v_lshlrev_b32_e32 v4, 3, v0
	s_mov_b64 s[2:3], 0
	v_mov_b32_e32 v3, 0
	v_mov_b32_e32 v2, v0
.LBB738_107:                            ; =>This Inner Loop Header: Depth=1
	ds_read_b64 v[6:7], v4
	v_lshlrev_b64 v[8:9], 3, v[2:3]
	v_add_co_u32_e32 v8, vcc, v23, v8
	v_add_u32_e32 v2, 0x100, v2
	v_addc_co_u32_e32 v9, vcc, v25, v9, vcc
	v_cmp_ge_u32_e32 vcc, v2, v22
	v_add_u32_e32 v4, 0x800, v4
	s_or_b64 s[2:3], vcc, s[2:3]
	s_waitcnt lgkmcnt(0)
	global_store_dwordx2 v[8:9], v[6:7], off
	s_andn2_b64 exec, exec, s[2:3]
	s_cbranch_execnz .LBB738_107
.LBB738_108:
	s_or_b64 exec, exec, s[0:1]
.LBB738_109:
	s_cmpk_lg_i32 s33, 0xa00
	s_cselect_b64 s[0:1], -1, 0
	v_cndmask_b32_e64 v2, 0, 1, s[34:35]
	s_and_b64 s[0:1], s[22:23], s[0:1]
	v_cmp_eq_u32_e32 vcc, 0, v0
	v_sub_u32_e32 v3, v22, v2
	v_cndmask_b32_e64 v4, 0, 1, s[0:1]
	s_and_b64 s[0:1], vcc, s[34:35]
	v_add_u32_e32 v4, v3, v4
	v_cndmask_b32_e64 v3, v62, 0, s[0:1]
	s_mul_hi_u32 s0, s33, 0xcccccccd
	s_lshr_b32 s0, s0, 3
	v_mad_i32_i24 v5, v0, -10, s33
	v_cmp_eq_u32_e32 vcc, s0, v0
	v_cmp_ne_u32_e64 s[0:1], 0, v5
	v_cndmask_b32_e64 v6, 1, v3, s[0:1]
	v_cmp_ne_u32_e64 s[0:1], 1, v5
	v_cndmask_b32_e64 v7, 1, v61, s[0:1]
	;; [unrolled: 2-line block ×10, first 2 shown]
	s_and_b64 vcc, s[22:23], vcc
	v_cndmask_b32_e32 v15, v1, v5, vcc
	v_cndmask_b32_e32 v14, v54, v14, vcc
	;; [unrolled: 1-line block ×10, first 2 shown]
	v_mov_b32_e32 v1, s31
	v_add_co_u32_e32 v5, vcc, s30, v50
	v_addc_co_u32_e32 v6, vcc, v1, v51, vcc
	v_add_co_u32_e32 v1, vcc, v5, v52
	v_addc_co_u32_e32 v5, vcc, v6, v53, vcc
	v_lshlrev_b32_e32 v6, 3, v2
	v_add_co_u32_e32 v6, vcc, v6, v1
	v_addc_co_u32_e32 v7, vcc, 0, v5, vcc
	v_add_co_u32_e32 v6, vcc, -8, v6
	v_addc_co_u32_e32 v7, vcc, -1, v7, vcc
	v_cmp_eq_u32_e32 vcc, 0, v3
	v_cmp_ne_u32_e64 s[18:19], 0, v3
	v_cndmask_b32_e64 v3, 1, 2, vcc
	v_cmp_eq_u32_e32 vcc, 0, v16
	v_cmp_ne_u32_e64 s[16:17], 0, v16
	v_cndmask_b32_e64 v16, 1, 2, vcc
	v_cmp_eq_u32_e32 vcc, 0, v8
	v_and_b32_e32 v3, v16, v3
	v_cmp_ne_u32_e64 s[14:15], 0, v8
	v_cndmask_b32_e64 v8, 1, 2, vcc
	v_cmp_eq_u32_e32 vcc, 0, v9
	v_and_b32_e32 v3, v3, v8
	v_cndmask_b32_e64 v8, 1, 2, vcc
	v_cmp_eq_u32_e32 vcc, 0, v10
	v_and_b32_e32 v3, v3, v8
	;; [unrolled: 3-line block ×7, first 2 shown]
	v_cndmask_b32_e64 v8, 1, 2, vcc
	s_movk_i32 s20, 0x100
	v_and_b32_e32 v3, v3, v8
	v_cmp_gt_u32_e32 vcc, s20, v4
	v_add_u32_e32 v2, v24, v2
	v_cmp_ne_u32_e64 s[12:13], 0, v9
	v_cmp_ne_u32_e64 s[10:11], 0, v10
	;; [unrolled: 1-line block ×7, first 2 shown]
	s_mov_b64 s[24:25], -1
	v_cmp_gt_i16_e64 s[20:21], 2, v3
	s_barrier
	s_cbranch_vccz .LBB738_116
; %bb.110:
	s_and_saveexec_b64 s[24:25], s[20:21]
	s_cbranch_execz .LBB738_115
; %bb.111:
	v_cmp_ne_u16_e32 vcc, 1, v3
	s_mov_b64 s[26:27], 0
	s_and_saveexec_b64 s[20:21], vcc
	s_xor_b64 s[20:21], exec, s[20:21]
	s_cbranch_execnz .LBB738_155
; %bb.112:
	s_andn2_saveexec_b64 s[20:21], s[20:21]
	s_cbranch_execnz .LBB738_166
.LBB738_113:
	s_or_b64 exec, exec, s[20:21]
	s_and_b64 exec, exec, s[26:27]
	s_cbranch_execz .LBB738_115
.LBB738_114:
	v_mov_b32_e32 v9, 0
	v_sub_u32_e32 v10, v30, v2
	v_mov_b32_e32 v11, v9
	v_lshlrev_b64 v[10:11], 3, v[10:11]
	v_add_co_u32_e32 v10, vcc, v6, v10
	v_mov_b32_e32 v8, v31
	v_addc_co_u32_e32 v11, vcc, v7, v11, vcc
	global_store_dwordx2 v[10:11], v[8:9], off
.LBB738_115:
	s_or_b64 exec, exec, s[24:25]
	s_mov_b64 s[24:25], 0
.LBB738_116:
	s_and_b64 vcc, exec, s[24:25]
	s_cbranch_vccz .LBB738_126
; %bb.117:
	v_cmp_gt_i16_e32 vcc, 2, v3
	s_and_saveexec_b64 s[20:21], vcc
	s_cbranch_execz .LBB738_122
; %bb.118:
	v_cmp_ne_u16_e32 vcc, 1, v3
	s_mov_b64 s[26:27], 0
	s_and_saveexec_b64 s[24:25], vcc
	s_xor_b64 s[24:25], exec, s[24:25]
	s_cbranch_execnz .LBB738_167
; %bb.119:
	s_andn2_saveexec_b64 s[0:1], s[24:25]
	s_cbranch_execnz .LBB738_178
.LBB738_120:
	s_or_b64 exec, exec, s[0:1]
	s_and_b64 exec, exec, s[26:27]
	s_cbranch_execz .LBB738_122
.LBB738_121:
	v_sub_u32_e32 v2, v30, v2
	v_lshlrev_b32_e32 v2, 2, v2
	ds_write_b32 v2, v31
.LBB738_122:
	s_or_b64 exec, exec, s[20:21]
	v_cmp_lt_u32_e32 vcc, v0, v4
	s_waitcnt lgkmcnt(0)
	s_barrier
	s_and_saveexec_b64 s[0:1], vcc
	s_cbranch_execz .LBB738_125
; %bb.123:
	v_lshlrev_b32_e32 v8, 2, v0
	s_mov_b64 s[2:3], 0
	v_mov_b32_e32 v3, 0
	v_mov_b32_e32 v2, v0
.LBB738_124:                            ; =>This Inner Loop Header: Depth=1
	ds_read_b32 v10, v8
	v_lshlrev_b64 v[12:13], 3, v[2:3]
	v_add_co_u32_e32 v12, vcc, v6, v12
	v_add_u32_e32 v2, 0x100, v2
	v_addc_co_u32_e32 v13, vcc, v7, v13, vcc
	v_cmp_ge_u32_e32 vcc, v2, v4
	v_mov_b32_e32 v11, v3
	v_add_u32_e32 v8, 0x400, v8
	s_or_b64 s[2:3], vcc, s[2:3]
	s_waitcnt lgkmcnt(0)
	global_store_dwordx2 v[12:13], v[10:11], off
	s_andn2_b64 exec, exec, s[2:3]
	s_cbranch_execnz .LBB738_124
.LBB738_125:
	s_or_b64 exec, exec, s[0:1]
.LBB738_126:
	s_movk_i32 s0, 0xff
	v_cmp_eq_u32_e32 vcc, s0, v0
	s_and_b64 s[0:1], vcc, s[22:23]
	s_and_saveexec_b64 s[2:3], s[0:1]
	s_cbranch_execz .LBB738_129
; %bb.127:
	v_add_co_u32_e32 v0, vcc, v22, v24
	v_addc_co_u32_e64 v3, s[0:1], 0, 0, vcc
	v_add_co_u32_e32 v2, vcc, v0, v48
	v_mov_b32_e32 v23, 0
	v_addc_co_u32_e32 v3, vcc, v3, v49, vcc
	s_cmpk_lg_i32 s33, 0xa00
	global_store_dwordx2 v23, v[2:3], s[36:37]
	s_cbranch_scc1 .LBB738_129
; %bb.128:
	v_lshlrev_b64 v[2:3], 3, v[22:23]
	v_add_co_u32_e32 v0, vcc, v1, v2
	v_mov_b32_e32 v27, v23
	v_addc_co_u32_e32 v1, vcc, v5, v3, vcc
	global_store_dwordx2 v[0:1], v[26:27], off offset:-8
.LBB738_129:
	s_endpgm
.LBB738_130:
	s_or_b64 exec, exec, s[10:11]
	v_mov_b32_e32 v62, s7
	s_and_saveexec_b64 s[8:9], s[2:3]
	s_cbranch_execnz .LBB738_46
	s_branch .LBB738_47
.LBB738_131:
	s_and_saveexec_b64 s[26:27], s[18:19]
	s_cbranch_execnz .LBB738_179
; %bb.132:
	s_or_b64 exec, exec, s[26:27]
	s_and_saveexec_b64 s[26:27], s[16:17]
	s_cbranch_execnz .LBB738_180
.LBB738_133:
	s_or_b64 exec, exec, s[26:27]
	s_and_saveexec_b64 s[26:27], s[14:15]
	s_cbranch_execnz .LBB738_181
.LBB738_134:
	s_or_b64 exec, exec, s[26:27]
	s_and_saveexec_b64 s[26:27], s[12:13]
	s_cbranch_execnz .LBB738_182
.LBB738_135:
	s_or_b64 exec, exec, s[26:27]
	s_and_saveexec_b64 s[26:27], s[10:11]
	s_cbranch_execnz .LBB738_183
.LBB738_136:
	s_or_b64 exec, exec, s[26:27]
	s_and_saveexec_b64 s[26:27], s[8:9]
	s_cbranch_execnz .LBB738_184
.LBB738_137:
	s_or_b64 exec, exec, s[26:27]
	s_and_saveexec_b64 s[26:27], s[6:7]
	s_cbranch_execnz .LBB738_185
.LBB738_138:
	s_or_b64 exec, exec, s[26:27]
	s_and_saveexec_b64 s[26:27], s[4:5]
	s_cbranch_execnz .LBB738_186
.LBB738_139:
	s_or_b64 exec, exec, s[26:27]
	s_and_saveexec_b64 s[26:27], s[2:3]
	s_cbranch_execz .LBB738_141
.LBB738_140:
	v_sub_u32_e32 v64, v28, v24
	v_mov_b32_e32 v65, 0
	v_lshlrev_b64 v[64:65], 3, v[64:65]
	v_add_co_u32_e32 v64, vcc, v23, v64
	v_addc_co_u32_e32 v65, vcc, v25, v65, vcc
	global_store_dwordx2 v[64:65], v[6:7], off
.LBB738_141:
	s_or_b64 exec, exec, s[26:27]
	s_and_b64 s[26:27], s[0:1], exec
	s_andn2_saveexec_b64 s[20:21], s[20:21]
	s_cbranch_execz .LBB738_96
.LBB738_142:
	v_sub_u32_e32 v64, v46, v24
	v_mov_b32_e32 v65, 0
	v_lshlrev_b64 v[66:67], 3, v[64:65]
	v_add_co_u32_e32 v66, vcc, v23, v66
	v_addc_co_u32_e32 v67, vcc, v25, v67, vcc
	v_sub_u32_e32 v64, v44, v24
	global_store_dwordx2 v[66:67], v[18:19], off
	v_lshlrev_b64 v[66:67], 3, v[64:65]
	v_add_co_u32_e32 v66, vcc, v23, v66
	v_addc_co_u32_e32 v67, vcc, v25, v67, vcc
	v_sub_u32_e32 v64, v42, v24
	global_store_dwordx2 v[66:67], v[20:21], off
	;; [unrolled: 5-line block ×7, first 2 shown]
	v_lshlrev_b64 v[66:67], 3, v[64:65]
	v_add_co_u32_e32 v66, vcc, v23, v66
	v_sub_u32_e32 v64, v28, v24
	v_addc_co_u32_e32 v67, vcc, v25, v67, vcc
	v_lshlrev_b64 v[64:65], 3, v[64:65]
	v_add_co_u32_e32 v64, vcc, v23, v64
	v_addc_co_u32_e32 v65, vcc, v25, v65, vcc
	s_or_b64 s[26:27], s[26:27], exec
	global_store_dwordx2 v[66:67], v[4:5], off
	global_store_dwordx2 v[64:65], v[6:7], off
	s_or_b64 exec, exec, s[20:21]
	s_and_b64 exec, exec, s[26:27]
	s_cbranch_execnz .LBB738_97
	s_branch .LBB738_98
.LBB738_143:
	s_and_saveexec_b64 s[26:27], s[18:19]
	s_cbranch_execnz .LBB738_187
; %bb.144:
	s_or_b64 exec, exec, s[26:27]
	s_and_saveexec_b64 s[18:19], s[16:17]
	s_cbranch_execnz .LBB738_188
.LBB738_145:
	s_or_b64 exec, exec, s[18:19]
	s_and_saveexec_b64 s[16:17], s[14:15]
	s_cbranch_execnz .LBB738_189
.LBB738_146:
	s_or_b64 exec, exec, s[16:17]
	s_and_saveexec_b64 s[14:15], s[12:13]
	s_cbranch_execnz .LBB738_190
.LBB738_147:
	s_or_b64 exec, exec, s[14:15]
	s_and_saveexec_b64 s[12:13], s[10:11]
	s_cbranch_execnz .LBB738_191
.LBB738_148:
	s_or_b64 exec, exec, s[12:13]
	s_and_saveexec_b64 s[10:11], s[8:9]
	s_cbranch_execnz .LBB738_192
.LBB738_149:
	s_or_b64 exec, exec, s[10:11]
	s_and_saveexec_b64 s[8:9], s[6:7]
	s_cbranch_execnz .LBB738_193
.LBB738_150:
	s_or_b64 exec, exec, s[8:9]
	s_and_saveexec_b64 s[6:7], s[4:5]
	s_cbranch_execnz .LBB738_194
.LBB738_151:
	s_or_b64 exec, exec, s[6:7]
	s_and_saveexec_b64 s[4:5], s[2:3]
	s_cbranch_execz .LBB738_153
.LBB738_152:
	v_sub_u32_e32 v2, v28, v24
	v_lshlrev_b32_e32 v2, 3, v2
	ds_write_b64 v2, v[6:7]
.LBB738_153:
	s_or_b64 exec, exec, s[4:5]
	s_and_b64 s[26:27], s[0:1], exec
                                        ; implicit-def: $vgpr4_vgpr5
                                        ; implicit-def: $vgpr12_vgpr13
                                        ; implicit-def: $vgpr16_vgpr17
                                        ; implicit-def: $vgpr20_vgpr21
	s_andn2_saveexec_b64 s[0:1], s[24:25]
	s_cbranch_execz .LBB738_103
.LBB738_154:
	v_sub_u32_e32 v27, v46, v24
	v_lshlrev_b32_e32 v27, 3, v27
	ds_write_b64 v27, v[18:19]
	v_sub_u32_e32 v18, v44, v24
	v_lshlrev_b32_e32 v18, 3, v18
	ds_write_b64 v18, v[20:21]
	;; [unrolled: 3-line block ×8, first 2 shown]
	v_sub_u32_e32 v2, v28, v24
	v_lshlrev_b32_e32 v2, 3, v2
	s_or_b64 s[26:27], s[26:27], exec
	ds_write_b64 v2, v[6:7]
	s_or_b64 exec, exec, s[0:1]
	s_and_b64 exec, exec, s[26:27]
	s_cbranch_execnz .LBB738_104
	s_branch .LBB738_105
.LBB738_155:
	s_and_saveexec_b64 s[26:27], s[18:19]
	s_cbranch_execnz .LBB738_195
; %bb.156:
	s_or_b64 exec, exec, s[26:27]
	s_and_saveexec_b64 s[26:27], s[16:17]
	s_cbranch_execnz .LBB738_196
.LBB738_157:
	s_or_b64 exec, exec, s[26:27]
	s_and_saveexec_b64 s[26:27], s[14:15]
	s_cbranch_execnz .LBB738_197
.LBB738_158:
	s_or_b64 exec, exec, s[26:27]
	s_and_saveexec_b64 s[26:27], s[12:13]
	s_cbranch_execnz .LBB738_198
.LBB738_159:
	s_or_b64 exec, exec, s[26:27]
	s_and_saveexec_b64 s[26:27], s[10:11]
	s_cbranch_execnz .LBB738_199
.LBB738_160:
	s_or_b64 exec, exec, s[26:27]
	s_and_saveexec_b64 s[26:27], s[8:9]
	s_cbranch_execnz .LBB738_200
.LBB738_161:
	s_or_b64 exec, exec, s[26:27]
	s_and_saveexec_b64 s[26:27], s[6:7]
	s_cbranch_execnz .LBB738_201
.LBB738_162:
	s_or_b64 exec, exec, s[26:27]
	s_and_saveexec_b64 s[26:27], s[4:5]
	s_cbranch_execnz .LBB738_202
.LBB738_163:
	s_or_b64 exec, exec, s[26:27]
	s_and_saveexec_b64 s[26:27], s[2:3]
	s_cbranch_execz .LBB738_165
.LBB738_164:
	v_sub_u32_e32 v8, v28, v2
	v_mov_b32_e32 v9, 0
	v_lshlrev_b64 v[10:11], 3, v[8:9]
	v_add_co_u32_e32 v10, vcc, v6, v10
	v_addc_co_u32_e32 v11, vcc, v7, v11, vcc
	v_mov_b32_e32 v8, v29
	global_store_dwordx2 v[10:11], v[8:9], off
.LBB738_165:
	s_or_b64 exec, exec, s[26:27]
	s_and_b64 s[26:27], s[0:1], exec
	s_andn2_saveexec_b64 s[20:21], s[20:21]
	s_cbranch_execz .LBB738_113
.LBB738_166:
	v_mov_b32_e32 v9, 0
	v_sub_u32_e32 v10, v46, v2
	v_mov_b32_e32 v11, v9
	v_lshlrev_b64 v[10:11], 3, v[10:11]
	v_add_co_u32_e32 v10, vcc, v6, v10
	v_mov_b32_e32 v8, v47
	v_addc_co_u32_e32 v11, vcc, v7, v11, vcc
	global_store_dwordx2 v[10:11], v[8:9], off
	v_sub_u32_e32 v10, v44, v2
	v_mov_b32_e32 v11, v9
	v_lshlrev_b64 v[10:11], 3, v[10:11]
	v_add_co_u32_e32 v10, vcc, v6, v10
	v_mov_b32_e32 v8, v45
	v_addc_co_u32_e32 v11, vcc, v7, v11, vcc
	global_store_dwordx2 v[10:11], v[8:9], off
	v_sub_u32_e32 v10, v42, v2
	v_mov_b32_e32 v11, v9
	v_lshlrev_b64 v[10:11], 3, v[10:11]
	v_add_co_u32_e32 v10, vcc, v6, v10
	v_mov_b32_e32 v8, v43
	v_addc_co_u32_e32 v11, vcc, v7, v11, vcc
	global_store_dwordx2 v[10:11], v[8:9], off
	v_sub_u32_e32 v10, v40, v2
	v_mov_b32_e32 v11, v9
	v_lshlrev_b64 v[10:11], 3, v[10:11]
	v_add_co_u32_e32 v10, vcc, v6, v10
	v_mov_b32_e32 v8, v41
	v_addc_co_u32_e32 v11, vcc, v7, v11, vcc
	global_store_dwordx2 v[10:11], v[8:9], off
	v_sub_u32_e32 v10, v38, v2
	v_mov_b32_e32 v11, v9
	v_lshlrev_b64 v[10:11], 3, v[10:11]
	v_add_co_u32_e32 v10, vcc, v6, v10
	v_mov_b32_e32 v8, v39
	v_addc_co_u32_e32 v11, vcc, v7, v11, vcc
	global_store_dwordx2 v[10:11], v[8:9], off
	v_sub_u32_e32 v10, v36, v2
	v_mov_b32_e32 v11, v9
	v_lshlrev_b64 v[10:11], 3, v[10:11]
	v_add_co_u32_e32 v10, vcc, v6, v10
	v_mov_b32_e32 v8, v37
	v_addc_co_u32_e32 v11, vcc, v7, v11, vcc
	global_store_dwordx2 v[10:11], v[8:9], off
	v_sub_u32_e32 v10, v34, v2
	v_mov_b32_e32 v11, v9
	v_lshlrev_b64 v[10:11], 3, v[10:11]
	v_add_co_u32_e32 v10, vcc, v6, v10
	v_mov_b32_e32 v8, v35
	v_addc_co_u32_e32 v11, vcc, v7, v11, vcc
	global_store_dwordx2 v[10:11], v[8:9], off
	v_sub_u32_e32 v10, v32, v2
	v_mov_b32_e32 v11, v9
	v_lshlrev_b64 v[10:11], 3, v[10:11]
	v_add_co_u32_e32 v10, vcc, v6, v10
	v_mov_b32_e32 v8, v33
	v_addc_co_u32_e32 v11, vcc, v7, v11, vcc
	global_store_dwordx2 v[10:11], v[8:9], off
	v_sub_u32_e32 v10, v28, v2
	v_mov_b32_e32 v11, v9
	v_lshlrev_b64 v[10:11], 3, v[10:11]
	v_add_co_u32_e32 v10, vcc, v6, v10
	v_mov_b32_e32 v8, v29
	v_addc_co_u32_e32 v11, vcc, v7, v11, vcc
	s_or_b64 s[26:27], s[26:27], exec
	global_store_dwordx2 v[10:11], v[8:9], off
	s_or_b64 exec, exec, s[20:21]
	s_and_b64 exec, exec, s[26:27]
	s_cbranch_execnz .LBB738_114
	s_branch .LBB738_115
.LBB738_167:
	s_and_saveexec_b64 s[26:27], s[18:19]
	s_cbranch_execnz .LBB738_203
; %bb.168:
	s_or_b64 exec, exec, s[26:27]
	s_and_saveexec_b64 s[18:19], s[16:17]
	s_cbranch_execnz .LBB738_204
.LBB738_169:
	s_or_b64 exec, exec, s[18:19]
	s_and_saveexec_b64 s[16:17], s[14:15]
	s_cbranch_execnz .LBB738_205
.LBB738_170:
	s_or_b64 exec, exec, s[16:17]
	s_and_saveexec_b64 s[14:15], s[12:13]
	s_cbranch_execnz .LBB738_206
.LBB738_171:
	s_or_b64 exec, exec, s[14:15]
	s_and_saveexec_b64 s[12:13], s[10:11]
	s_cbranch_execnz .LBB738_207
.LBB738_172:
	s_or_b64 exec, exec, s[12:13]
	s_and_saveexec_b64 s[10:11], s[8:9]
	s_cbranch_execnz .LBB738_208
.LBB738_173:
	s_or_b64 exec, exec, s[10:11]
	s_and_saveexec_b64 s[8:9], s[6:7]
	s_cbranch_execnz .LBB738_209
.LBB738_174:
	s_or_b64 exec, exec, s[8:9]
	s_and_saveexec_b64 s[6:7], s[4:5]
	s_cbranch_execnz .LBB738_210
.LBB738_175:
	s_or_b64 exec, exec, s[6:7]
	s_and_saveexec_b64 s[4:5], s[2:3]
	s_cbranch_execz .LBB738_177
.LBB738_176:
	v_sub_u32_e32 v3, v28, v2
	v_lshlrev_b32_e32 v3, 2, v3
	ds_write_b32 v3, v29
.LBB738_177:
	s_or_b64 exec, exec, s[4:5]
	s_and_b64 s[26:27], s[0:1], exec
                                        ; implicit-def: $vgpr28_vgpr29
                                        ; implicit-def: $vgpr32_vgpr33
                                        ; implicit-def: $vgpr34_vgpr35
                                        ; implicit-def: $vgpr46_vgpr47
                                        ; implicit-def: $vgpr44_vgpr45
                                        ; implicit-def: $vgpr42_vgpr43
                                        ; implicit-def: $vgpr40_vgpr41
                                        ; implicit-def: $vgpr38_vgpr39
                                        ; implicit-def: $vgpr36_vgpr37
	s_andn2_saveexec_b64 s[0:1], s[24:25]
	s_cbranch_execz .LBB738_120
.LBB738_178:
	v_sub_u32_e32 v3, v46, v2
	v_lshlrev_b32_e32 v3, 2, v3
	ds_write_b32 v3, v47
	v_sub_u32_e32 v3, v44, v2
	v_lshlrev_b32_e32 v3, 2, v3
	ds_write_b32 v3, v45
	;; [unrolled: 3-line block ×8, first 2 shown]
	v_sub_u32_e32 v3, v28, v2
	v_lshlrev_b32_e32 v3, 2, v3
	s_or_b64 s[26:27], s[26:27], exec
	ds_write_b32 v3, v29
	s_or_b64 exec, exec, s[0:1]
	s_and_b64 exec, exec, s[26:27]
	s_cbranch_execnz .LBB738_121
	s_branch .LBB738_122
.LBB738_179:
	v_sub_u32_e32 v64, v46, v24
	v_mov_b32_e32 v65, 0
	v_lshlrev_b64 v[64:65], 3, v[64:65]
	v_add_co_u32_e32 v64, vcc, v23, v64
	v_addc_co_u32_e32 v65, vcc, v25, v65, vcc
	global_store_dwordx2 v[64:65], v[18:19], off
	s_or_b64 exec, exec, s[26:27]
	s_and_saveexec_b64 s[26:27], s[16:17]
	s_cbranch_execz .LBB738_133
.LBB738_180:
	v_sub_u32_e32 v64, v44, v24
	v_mov_b32_e32 v65, 0
	v_lshlrev_b64 v[64:65], 3, v[64:65]
	v_add_co_u32_e32 v64, vcc, v23, v64
	v_addc_co_u32_e32 v65, vcc, v25, v65, vcc
	global_store_dwordx2 v[64:65], v[20:21], off
	s_or_b64 exec, exec, s[26:27]
	s_and_saveexec_b64 s[26:27], s[14:15]
	s_cbranch_execz .LBB738_134
.LBB738_181:
	v_sub_u32_e32 v64, v42, v24
	v_mov_b32_e32 v65, 0
	v_lshlrev_b64 v[64:65], 3, v[64:65]
	v_add_co_u32_e32 v64, vcc, v23, v64
	v_addc_co_u32_e32 v65, vcc, v25, v65, vcc
	global_store_dwordx2 v[64:65], v[14:15], off
	s_or_b64 exec, exec, s[26:27]
	s_and_saveexec_b64 s[26:27], s[12:13]
	s_cbranch_execz .LBB738_135
.LBB738_182:
	v_sub_u32_e32 v64, v40, v24
	v_mov_b32_e32 v65, 0
	v_lshlrev_b64 v[64:65], 3, v[64:65]
	v_add_co_u32_e32 v64, vcc, v23, v64
	v_addc_co_u32_e32 v65, vcc, v25, v65, vcc
	global_store_dwordx2 v[64:65], v[16:17], off
	s_or_b64 exec, exec, s[26:27]
	s_and_saveexec_b64 s[26:27], s[10:11]
	s_cbranch_execz .LBB738_136
.LBB738_183:
	v_sub_u32_e32 v64, v38, v24
	v_mov_b32_e32 v65, 0
	v_lshlrev_b64 v[64:65], 3, v[64:65]
	v_add_co_u32_e32 v64, vcc, v23, v64
	v_addc_co_u32_e32 v65, vcc, v25, v65, vcc
	global_store_dwordx2 v[64:65], v[10:11], off
	s_or_b64 exec, exec, s[26:27]
	s_and_saveexec_b64 s[26:27], s[8:9]
	s_cbranch_execz .LBB738_137
.LBB738_184:
	v_sub_u32_e32 v64, v36, v24
	v_mov_b32_e32 v65, 0
	v_lshlrev_b64 v[64:65], 3, v[64:65]
	v_add_co_u32_e32 v64, vcc, v23, v64
	v_addc_co_u32_e32 v65, vcc, v25, v65, vcc
	global_store_dwordx2 v[64:65], v[12:13], off
	s_or_b64 exec, exec, s[26:27]
	s_and_saveexec_b64 s[26:27], s[6:7]
	s_cbranch_execz .LBB738_138
.LBB738_185:
	v_sub_u32_e32 v64, v34, v24
	v_mov_b32_e32 v65, 0
	v_lshlrev_b64 v[64:65], 3, v[64:65]
	v_add_co_u32_e32 v64, vcc, v23, v64
	v_addc_co_u32_e32 v65, vcc, v25, v65, vcc
	global_store_dwordx2 v[64:65], v[2:3], off
	s_or_b64 exec, exec, s[26:27]
	s_and_saveexec_b64 s[26:27], s[4:5]
	s_cbranch_execz .LBB738_139
.LBB738_186:
	v_sub_u32_e32 v64, v32, v24
	v_mov_b32_e32 v65, 0
	v_lshlrev_b64 v[64:65], 3, v[64:65]
	v_add_co_u32_e32 v64, vcc, v23, v64
	v_addc_co_u32_e32 v65, vcc, v25, v65, vcc
	global_store_dwordx2 v[64:65], v[4:5], off
	s_or_b64 exec, exec, s[26:27]
	s_and_saveexec_b64 s[26:27], s[2:3]
	s_cbranch_execnz .LBB738_140
	s_branch .LBB738_141
.LBB738_187:
	v_sub_u32_e32 v27, v46, v24
	v_lshlrev_b32_e32 v27, 3, v27
	ds_write_b64 v27, v[18:19]
	s_or_b64 exec, exec, s[26:27]
	s_and_saveexec_b64 s[18:19], s[16:17]
	s_cbranch_execz .LBB738_145
.LBB738_188:
	v_sub_u32_e32 v18, v44, v24
	v_lshlrev_b32_e32 v18, 3, v18
	ds_write_b64 v18, v[20:21]
	s_or_b64 exec, exec, s[18:19]
	s_and_saveexec_b64 s[16:17], s[14:15]
	s_cbranch_execz .LBB738_146
.LBB738_189:
	v_sub_u32_e32 v18, v42, v24
	v_lshlrev_b32_e32 v18, 3, v18
	ds_write_b64 v18, v[14:15]
	s_or_b64 exec, exec, s[16:17]
	s_and_saveexec_b64 s[14:15], s[12:13]
	s_cbranch_execz .LBB738_147
.LBB738_190:
	v_sub_u32_e32 v14, v40, v24
	v_lshlrev_b32_e32 v14, 3, v14
	ds_write_b64 v14, v[16:17]
	s_or_b64 exec, exec, s[14:15]
	s_and_saveexec_b64 s[12:13], s[10:11]
	s_cbranch_execz .LBB738_148
.LBB738_191:
	v_sub_u32_e32 v14, v38, v24
	v_lshlrev_b32_e32 v14, 3, v14
	ds_write_b64 v14, v[10:11]
	s_or_b64 exec, exec, s[12:13]
	s_and_saveexec_b64 s[10:11], s[8:9]
	s_cbranch_execz .LBB738_149
.LBB738_192:
	v_sub_u32_e32 v10, v36, v24
	v_lshlrev_b32_e32 v10, 3, v10
	ds_write_b64 v10, v[12:13]
	s_or_b64 exec, exec, s[10:11]
	s_and_saveexec_b64 s[8:9], s[6:7]
	s_cbranch_execz .LBB738_150
.LBB738_193:
	v_sub_u32_e32 v10, v34, v24
	v_lshlrev_b32_e32 v10, 3, v10
	ds_write_b64 v10, v[2:3]
	s_or_b64 exec, exec, s[8:9]
	s_and_saveexec_b64 s[6:7], s[4:5]
	s_cbranch_execz .LBB738_151
.LBB738_194:
	v_sub_u32_e32 v2, v32, v24
	v_lshlrev_b32_e32 v2, 3, v2
	ds_write_b64 v2, v[4:5]
	s_or_b64 exec, exec, s[6:7]
	s_and_saveexec_b64 s[4:5], s[2:3]
	s_cbranch_execnz .LBB738_152
	s_branch .LBB738_153
.LBB738_195:
	v_sub_u32_e32 v8, v46, v2
	v_mov_b32_e32 v9, 0
	v_lshlrev_b64 v[10:11], 3, v[8:9]
	v_add_co_u32_e32 v10, vcc, v6, v10
	v_addc_co_u32_e32 v11, vcc, v7, v11, vcc
	v_mov_b32_e32 v8, v47
	global_store_dwordx2 v[10:11], v[8:9], off
	s_or_b64 exec, exec, s[26:27]
	s_and_saveexec_b64 s[26:27], s[16:17]
	s_cbranch_execz .LBB738_157
.LBB738_196:
	v_sub_u32_e32 v8, v44, v2
	v_mov_b32_e32 v9, 0
	v_lshlrev_b64 v[10:11], 3, v[8:9]
	v_add_co_u32_e32 v10, vcc, v6, v10
	v_addc_co_u32_e32 v11, vcc, v7, v11, vcc
	v_mov_b32_e32 v8, v45
	global_store_dwordx2 v[10:11], v[8:9], off
	s_or_b64 exec, exec, s[26:27]
	s_and_saveexec_b64 s[26:27], s[14:15]
	s_cbranch_execz .LBB738_158
.LBB738_197:
	v_sub_u32_e32 v8, v42, v2
	v_mov_b32_e32 v9, 0
	v_lshlrev_b64 v[10:11], 3, v[8:9]
	v_add_co_u32_e32 v10, vcc, v6, v10
	v_addc_co_u32_e32 v11, vcc, v7, v11, vcc
	v_mov_b32_e32 v8, v43
	global_store_dwordx2 v[10:11], v[8:9], off
	s_or_b64 exec, exec, s[26:27]
	s_and_saveexec_b64 s[26:27], s[12:13]
	s_cbranch_execz .LBB738_159
.LBB738_198:
	v_sub_u32_e32 v8, v40, v2
	v_mov_b32_e32 v9, 0
	v_lshlrev_b64 v[10:11], 3, v[8:9]
	v_add_co_u32_e32 v10, vcc, v6, v10
	v_addc_co_u32_e32 v11, vcc, v7, v11, vcc
	v_mov_b32_e32 v8, v41
	global_store_dwordx2 v[10:11], v[8:9], off
	s_or_b64 exec, exec, s[26:27]
	s_and_saveexec_b64 s[26:27], s[10:11]
	s_cbranch_execz .LBB738_160
.LBB738_199:
	v_sub_u32_e32 v8, v38, v2
	v_mov_b32_e32 v9, 0
	v_lshlrev_b64 v[10:11], 3, v[8:9]
	v_add_co_u32_e32 v10, vcc, v6, v10
	v_addc_co_u32_e32 v11, vcc, v7, v11, vcc
	v_mov_b32_e32 v8, v39
	global_store_dwordx2 v[10:11], v[8:9], off
	s_or_b64 exec, exec, s[26:27]
	s_and_saveexec_b64 s[26:27], s[8:9]
	s_cbranch_execz .LBB738_161
.LBB738_200:
	v_sub_u32_e32 v8, v36, v2
	v_mov_b32_e32 v9, 0
	v_lshlrev_b64 v[10:11], 3, v[8:9]
	v_add_co_u32_e32 v10, vcc, v6, v10
	v_addc_co_u32_e32 v11, vcc, v7, v11, vcc
	v_mov_b32_e32 v8, v37
	global_store_dwordx2 v[10:11], v[8:9], off
	s_or_b64 exec, exec, s[26:27]
	s_and_saveexec_b64 s[26:27], s[6:7]
	s_cbranch_execz .LBB738_162
.LBB738_201:
	v_sub_u32_e32 v8, v34, v2
	v_mov_b32_e32 v9, 0
	v_lshlrev_b64 v[10:11], 3, v[8:9]
	v_add_co_u32_e32 v10, vcc, v6, v10
	v_addc_co_u32_e32 v11, vcc, v7, v11, vcc
	v_mov_b32_e32 v8, v35
	global_store_dwordx2 v[10:11], v[8:9], off
	s_or_b64 exec, exec, s[26:27]
	s_and_saveexec_b64 s[26:27], s[4:5]
	s_cbranch_execz .LBB738_163
.LBB738_202:
	v_sub_u32_e32 v8, v32, v2
	v_mov_b32_e32 v9, 0
	v_lshlrev_b64 v[10:11], 3, v[8:9]
	v_add_co_u32_e32 v10, vcc, v6, v10
	v_addc_co_u32_e32 v11, vcc, v7, v11, vcc
	v_mov_b32_e32 v8, v33
	global_store_dwordx2 v[10:11], v[8:9], off
	s_or_b64 exec, exec, s[26:27]
	s_and_saveexec_b64 s[26:27], s[2:3]
	s_cbranch_execnz .LBB738_164
	s_branch .LBB738_165
.LBB738_203:
	v_sub_u32_e32 v3, v46, v2
	v_lshlrev_b32_e32 v3, 2, v3
	ds_write_b32 v3, v47
	s_or_b64 exec, exec, s[26:27]
	s_and_saveexec_b64 s[18:19], s[16:17]
	s_cbranch_execz .LBB738_169
.LBB738_204:
	v_sub_u32_e32 v3, v44, v2
	v_lshlrev_b32_e32 v3, 2, v3
	ds_write_b32 v3, v45
	s_or_b64 exec, exec, s[18:19]
	s_and_saveexec_b64 s[16:17], s[14:15]
	s_cbranch_execz .LBB738_170
.LBB738_205:
	v_sub_u32_e32 v3, v42, v2
	v_lshlrev_b32_e32 v3, 2, v3
	ds_write_b32 v3, v43
	s_or_b64 exec, exec, s[16:17]
	s_and_saveexec_b64 s[14:15], s[12:13]
	s_cbranch_execz .LBB738_171
.LBB738_206:
	v_sub_u32_e32 v3, v40, v2
	v_lshlrev_b32_e32 v3, 2, v3
	ds_write_b32 v3, v41
	s_or_b64 exec, exec, s[14:15]
	s_and_saveexec_b64 s[12:13], s[10:11]
	s_cbranch_execz .LBB738_172
.LBB738_207:
	v_sub_u32_e32 v3, v38, v2
	v_lshlrev_b32_e32 v3, 2, v3
	ds_write_b32 v3, v39
	s_or_b64 exec, exec, s[12:13]
	s_and_saveexec_b64 s[10:11], s[8:9]
	s_cbranch_execz .LBB738_173
.LBB738_208:
	v_sub_u32_e32 v3, v36, v2
	v_lshlrev_b32_e32 v3, 2, v3
	ds_write_b32 v3, v37
	s_or_b64 exec, exec, s[10:11]
	s_and_saveexec_b64 s[8:9], s[6:7]
	s_cbranch_execz .LBB738_174
.LBB738_209:
	v_sub_u32_e32 v3, v34, v2
	v_lshlrev_b32_e32 v3, 2, v3
	ds_write_b32 v3, v35
	s_or_b64 exec, exec, s[8:9]
	s_and_saveexec_b64 s[6:7], s[4:5]
	s_cbranch_execz .LBB738_175
.LBB738_210:
	v_sub_u32_e32 v3, v32, v2
	v_lshlrev_b32_e32 v3, 2, v3
	ds_write_b32 v3, v33
	s_or_b64 exec, exec, s[6:7]
	s_and_saveexec_b64 s[4:5], s[2:3]
	s_cbranch_execnz .LBB738_176
	s_branch .LBB738_177
	.section	.rodata,"a",@progbits
	.p2align	6, 0x0
	.amdhsa_kernel _ZN7rocprim17ROCPRIM_400000_NS6detail17trampoline_kernelINS0_14default_configENS1_33run_length_encode_config_selectorImjNS0_4plusIjEEEEZZNS1_33reduce_by_key_impl_wrapped_configILNS1_25lookback_scan_determinismE0ES3_S7_PKmNS0_17constant_iteratorIjlEEPmPlSF_S6_NS0_8equal_toImEEEE10hipError_tPvRmT2_T3_mT4_T5_T6_T7_T8_P12ihipStream_tbENKUlT_T0_E_clISt17integral_constantIbLb1EESY_IbLb0EEEEDaSU_SV_EUlSU_E_NS1_11comp_targetILNS1_3genE4ELNS1_11target_archE910ELNS1_3gpuE8ELNS1_3repE0EEENS1_30default_config_static_selectorELNS0_4arch9wavefront6targetE1EEEvT1_
		.amdhsa_group_segment_fixed_size 20480
		.amdhsa_private_segment_fixed_size 0
		.amdhsa_kernarg_size 128
		.amdhsa_user_sgpr_count 6
		.amdhsa_user_sgpr_private_segment_buffer 1
		.amdhsa_user_sgpr_dispatch_ptr 0
		.amdhsa_user_sgpr_queue_ptr 0
		.amdhsa_user_sgpr_kernarg_segment_ptr 1
		.amdhsa_user_sgpr_dispatch_id 0
		.amdhsa_user_sgpr_flat_scratch_init 0
		.amdhsa_user_sgpr_kernarg_preload_length 0
		.amdhsa_user_sgpr_kernarg_preload_offset 0
		.amdhsa_user_sgpr_private_segment_size 0
		.amdhsa_uses_dynamic_stack 0
		.amdhsa_system_sgpr_private_segment_wavefront_offset 0
		.amdhsa_system_sgpr_workgroup_id_x 1
		.amdhsa_system_sgpr_workgroup_id_y 0
		.amdhsa_system_sgpr_workgroup_id_z 0
		.amdhsa_system_sgpr_workgroup_info 0
		.amdhsa_system_vgpr_workitem_id 0
		.amdhsa_next_free_vgpr 68
		.amdhsa_next_free_sgpr 54
		.amdhsa_accum_offset 68
		.amdhsa_reserve_vcc 1
		.amdhsa_reserve_flat_scratch 0
		.amdhsa_float_round_mode_32 0
		.amdhsa_float_round_mode_16_64 0
		.amdhsa_float_denorm_mode_32 3
		.amdhsa_float_denorm_mode_16_64 3
		.amdhsa_dx10_clamp 1
		.amdhsa_ieee_mode 1
		.amdhsa_fp16_overflow 0
		.amdhsa_tg_split 0
		.amdhsa_exception_fp_ieee_invalid_op 0
		.amdhsa_exception_fp_denorm_src 0
		.amdhsa_exception_fp_ieee_div_zero 0
		.amdhsa_exception_fp_ieee_overflow 0
		.amdhsa_exception_fp_ieee_underflow 0
		.amdhsa_exception_fp_ieee_inexact 0
		.amdhsa_exception_int_div_zero 0
	.end_amdhsa_kernel
	.section	.text._ZN7rocprim17ROCPRIM_400000_NS6detail17trampoline_kernelINS0_14default_configENS1_33run_length_encode_config_selectorImjNS0_4plusIjEEEEZZNS1_33reduce_by_key_impl_wrapped_configILNS1_25lookback_scan_determinismE0ES3_S7_PKmNS0_17constant_iteratorIjlEEPmPlSF_S6_NS0_8equal_toImEEEE10hipError_tPvRmT2_T3_mT4_T5_T6_T7_T8_P12ihipStream_tbENKUlT_T0_E_clISt17integral_constantIbLb1EESY_IbLb0EEEEDaSU_SV_EUlSU_E_NS1_11comp_targetILNS1_3genE4ELNS1_11target_archE910ELNS1_3gpuE8ELNS1_3repE0EEENS1_30default_config_static_selectorELNS0_4arch9wavefront6targetE1EEEvT1_,"axG",@progbits,_ZN7rocprim17ROCPRIM_400000_NS6detail17trampoline_kernelINS0_14default_configENS1_33run_length_encode_config_selectorImjNS0_4plusIjEEEEZZNS1_33reduce_by_key_impl_wrapped_configILNS1_25lookback_scan_determinismE0ES3_S7_PKmNS0_17constant_iteratorIjlEEPmPlSF_S6_NS0_8equal_toImEEEE10hipError_tPvRmT2_T3_mT4_T5_T6_T7_T8_P12ihipStream_tbENKUlT_T0_E_clISt17integral_constantIbLb1EESY_IbLb0EEEEDaSU_SV_EUlSU_E_NS1_11comp_targetILNS1_3genE4ELNS1_11target_archE910ELNS1_3gpuE8ELNS1_3repE0EEENS1_30default_config_static_selectorELNS0_4arch9wavefront6targetE1EEEvT1_,comdat
.Lfunc_end738:
	.size	_ZN7rocprim17ROCPRIM_400000_NS6detail17trampoline_kernelINS0_14default_configENS1_33run_length_encode_config_selectorImjNS0_4plusIjEEEEZZNS1_33reduce_by_key_impl_wrapped_configILNS1_25lookback_scan_determinismE0ES3_S7_PKmNS0_17constant_iteratorIjlEEPmPlSF_S6_NS0_8equal_toImEEEE10hipError_tPvRmT2_T3_mT4_T5_T6_T7_T8_P12ihipStream_tbENKUlT_T0_E_clISt17integral_constantIbLb1EESY_IbLb0EEEEDaSU_SV_EUlSU_E_NS1_11comp_targetILNS1_3genE4ELNS1_11target_archE910ELNS1_3gpuE8ELNS1_3repE0EEENS1_30default_config_static_selectorELNS0_4arch9wavefront6targetE1EEEvT1_, .Lfunc_end738-_ZN7rocprim17ROCPRIM_400000_NS6detail17trampoline_kernelINS0_14default_configENS1_33run_length_encode_config_selectorImjNS0_4plusIjEEEEZZNS1_33reduce_by_key_impl_wrapped_configILNS1_25lookback_scan_determinismE0ES3_S7_PKmNS0_17constant_iteratorIjlEEPmPlSF_S6_NS0_8equal_toImEEEE10hipError_tPvRmT2_T3_mT4_T5_T6_T7_T8_P12ihipStream_tbENKUlT_T0_E_clISt17integral_constantIbLb1EESY_IbLb0EEEEDaSU_SV_EUlSU_E_NS1_11comp_targetILNS1_3genE4ELNS1_11target_archE910ELNS1_3gpuE8ELNS1_3repE0EEENS1_30default_config_static_selectorELNS0_4arch9wavefront6targetE1EEEvT1_
                                        ; -- End function
	.section	.AMDGPU.csdata,"",@progbits
; Kernel info:
; codeLenInByte = 10976
; NumSgprs: 58
; NumVgprs: 68
; NumAgprs: 0
; TotalNumVgprs: 68
; ScratchSize: 0
; MemoryBound: 0
; FloatMode: 240
; IeeeMode: 1
; LDSByteSize: 20480 bytes/workgroup (compile time only)
; SGPRBlocks: 7
; VGPRBlocks: 8
; NumSGPRsForWavesPerEU: 58
; NumVGPRsForWavesPerEU: 68
; AccumOffset: 68
; Occupancy: 3
; WaveLimiterHint : 1
; COMPUTE_PGM_RSRC2:SCRATCH_EN: 0
; COMPUTE_PGM_RSRC2:USER_SGPR: 6
; COMPUTE_PGM_RSRC2:TRAP_HANDLER: 0
; COMPUTE_PGM_RSRC2:TGID_X_EN: 1
; COMPUTE_PGM_RSRC2:TGID_Y_EN: 0
; COMPUTE_PGM_RSRC2:TGID_Z_EN: 0
; COMPUTE_PGM_RSRC2:TIDIG_COMP_CNT: 0
; COMPUTE_PGM_RSRC3_GFX90A:ACCUM_OFFSET: 16
; COMPUTE_PGM_RSRC3_GFX90A:TG_SPLIT: 0
	.section	.text._ZN7rocprim17ROCPRIM_400000_NS6detail17trampoline_kernelINS0_14default_configENS1_33run_length_encode_config_selectorImjNS0_4plusIjEEEEZZNS1_33reduce_by_key_impl_wrapped_configILNS1_25lookback_scan_determinismE0ES3_S7_PKmNS0_17constant_iteratorIjlEEPmPlSF_S6_NS0_8equal_toImEEEE10hipError_tPvRmT2_T3_mT4_T5_T6_T7_T8_P12ihipStream_tbENKUlT_T0_E_clISt17integral_constantIbLb1EESY_IbLb0EEEEDaSU_SV_EUlSU_E_NS1_11comp_targetILNS1_3genE3ELNS1_11target_archE908ELNS1_3gpuE7ELNS1_3repE0EEENS1_30default_config_static_selectorELNS0_4arch9wavefront6targetE1EEEvT1_,"axG",@progbits,_ZN7rocprim17ROCPRIM_400000_NS6detail17trampoline_kernelINS0_14default_configENS1_33run_length_encode_config_selectorImjNS0_4plusIjEEEEZZNS1_33reduce_by_key_impl_wrapped_configILNS1_25lookback_scan_determinismE0ES3_S7_PKmNS0_17constant_iteratorIjlEEPmPlSF_S6_NS0_8equal_toImEEEE10hipError_tPvRmT2_T3_mT4_T5_T6_T7_T8_P12ihipStream_tbENKUlT_T0_E_clISt17integral_constantIbLb1EESY_IbLb0EEEEDaSU_SV_EUlSU_E_NS1_11comp_targetILNS1_3genE3ELNS1_11target_archE908ELNS1_3gpuE7ELNS1_3repE0EEENS1_30default_config_static_selectorELNS0_4arch9wavefront6targetE1EEEvT1_,comdat
	.protected	_ZN7rocprim17ROCPRIM_400000_NS6detail17trampoline_kernelINS0_14default_configENS1_33run_length_encode_config_selectorImjNS0_4plusIjEEEEZZNS1_33reduce_by_key_impl_wrapped_configILNS1_25lookback_scan_determinismE0ES3_S7_PKmNS0_17constant_iteratorIjlEEPmPlSF_S6_NS0_8equal_toImEEEE10hipError_tPvRmT2_T3_mT4_T5_T6_T7_T8_P12ihipStream_tbENKUlT_T0_E_clISt17integral_constantIbLb1EESY_IbLb0EEEEDaSU_SV_EUlSU_E_NS1_11comp_targetILNS1_3genE3ELNS1_11target_archE908ELNS1_3gpuE7ELNS1_3repE0EEENS1_30default_config_static_selectorELNS0_4arch9wavefront6targetE1EEEvT1_ ; -- Begin function _ZN7rocprim17ROCPRIM_400000_NS6detail17trampoline_kernelINS0_14default_configENS1_33run_length_encode_config_selectorImjNS0_4plusIjEEEEZZNS1_33reduce_by_key_impl_wrapped_configILNS1_25lookback_scan_determinismE0ES3_S7_PKmNS0_17constant_iteratorIjlEEPmPlSF_S6_NS0_8equal_toImEEEE10hipError_tPvRmT2_T3_mT4_T5_T6_T7_T8_P12ihipStream_tbENKUlT_T0_E_clISt17integral_constantIbLb1EESY_IbLb0EEEEDaSU_SV_EUlSU_E_NS1_11comp_targetILNS1_3genE3ELNS1_11target_archE908ELNS1_3gpuE7ELNS1_3repE0EEENS1_30default_config_static_selectorELNS0_4arch9wavefront6targetE1EEEvT1_
	.globl	_ZN7rocprim17ROCPRIM_400000_NS6detail17trampoline_kernelINS0_14default_configENS1_33run_length_encode_config_selectorImjNS0_4plusIjEEEEZZNS1_33reduce_by_key_impl_wrapped_configILNS1_25lookback_scan_determinismE0ES3_S7_PKmNS0_17constant_iteratorIjlEEPmPlSF_S6_NS0_8equal_toImEEEE10hipError_tPvRmT2_T3_mT4_T5_T6_T7_T8_P12ihipStream_tbENKUlT_T0_E_clISt17integral_constantIbLb1EESY_IbLb0EEEEDaSU_SV_EUlSU_E_NS1_11comp_targetILNS1_3genE3ELNS1_11target_archE908ELNS1_3gpuE7ELNS1_3repE0EEENS1_30default_config_static_selectorELNS0_4arch9wavefront6targetE1EEEvT1_
	.p2align	8
	.type	_ZN7rocprim17ROCPRIM_400000_NS6detail17trampoline_kernelINS0_14default_configENS1_33run_length_encode_config_selectorImjNS0_4plusIjEEEEZZNS1_33reduce_by_key_impl_wrapped_configILNS1_25lookback_scan_determinismE0ES3_S7_PKmNS0_17constant_iteratorIjlEEPmPlSF_S6_NS0_8equal_toImEEEE10hipError_tPvRmT2_T3_mT4_T5_T6_T7_T8_P12ihipStream_tbENKUlT_T0_E_clISt17integral_constantIbLb1EESY_IbLb0EEEEDaSU_SV_EUlSU_E_NS1_11comp_targetILNS1_3genE3ELNS1_11target_archE908ELNS1_3gpuE7ELNS1_3repE0EEENS1_30default_config_static_selectorELNS0_4arch9wavefront6targetE1EEEvT1_,@function
_ZN7rocprim17ROCPRIM_400000_NS6detail17trampoline_kernelINS0_14default_configENS1_33run_length_encode_config_selectorImjNS0_4plusIjEEEEZZNS1_33reduce_by_key_impl_wrapped_configILNS1_25lookback_scan_determinismE0ES3_S7_PKmNS0_17constant_iteratorIjlEEPmPlSF_S6_NS0_8equal_toImEEEE10hipError_tPvRmT2_T3_mT4_T5_T6_T7_T8_P12ihipStream_tbENKUlT_T0_E_clISt17integral_constantIbLb1EESY_IbLb0EEEEDaSU_SV_EUlSU_E_NS1_11comp_targetILNS1_3genE3ELNS1_11target_archE908ELNS1_3gpuE7ELNS1_3repE0EEENS1_30default_config_static_selectorELNS0_4arch9wavefront6targetE1EEEvT1_: ; @_ZN7rocprim17ROCPRIM_400000_NS6detail17trampoline_kernelINS0_14default_configENS1_33run_length_encode_config_selectorImjNS0_4plusIjEEEEZZNS1_33reduce_by_key_impl_wrapped_configILNS1_25lookback_scan_determinismE0ES3_S7_PKmNS0_17constant_iteratorIjlEEPmPlSF_S6_NS0_8equal_toImEEEE10hipError_tPvRmT2_T3_mT4_T5_T6_T7_T8_P12ihipStream_tbENKUlT_T0_E_clISt17integral_constantIbLb1EESY_IbLb0EEEEDaSU_SV_EUlSU_E_NS1_11comp_targetILNS1_3genE3ELNS1_11target_archE908ELNS1_3gpuE7ELNS1_3repE0EEENS1_30default_config_static_selectorELNS0_4arch9wavefront6targetE1EEEvT1_
; %bb.0:
	.section	.rodata,"a",@progbits
	.p2align	6, 0x0
	.amdhsa_kernel _ZN7rocprim17ROCPRIM_400000_NS6detail17trampoline_kernelINS0_14default_configENS1_33run_length_encode_config_selectorImjNS0_4plusIjEEEEZZNS1_33reduce_by_key_impl_wrapped_configILNS1_25lookback_scan_determinismE0ES3_S7_PKmNS0_17constant_iteratorIjlEEPmPlSF_S6_NS0_8equal_toImEEEE10hipError_tPvRmT2_T3_mT4_T5_T6_T7_T8_P12ihipStream_tbENKUlT_T0_E_clISt17integral_constantIbLb1EESY_IbLb0EEEEDaSU_SV_EUlSU_E_NS1_11comp_targetILNS1_3genE3ELNS1_11target_archE908ELNS1_3gpuE7ELNS1_3repE0EEENS1_30default_config_static_selectorELNS0_4arch9wavefront6targetE1EEEvT1_
		.amdhsa_group_segment_fixed_size 0
		.amdhsa_private_segment_fixed_size 0
		.amdhsa_kernarg_size 128
		.amdhsa_user_sgpr_count 6
		.amdhsa_user_sgpr_private_segment_buffer 1
		.amdhsa_user_sgpr_dispatch_ptr 0
		.amdhsa_user_sgpr_queue_ptr 0
		.amdhsa_user_sgpr_kernarg_segment_ptr 1
		.amdhsa_user_sgpr_dispatch_id 0
		.amdhsa_user_sgpr_flat_scratch_init 0
		.amdhsa_user_sgpr_kernarg_preload_length 0
		.amdhsa_user_sgpr_kernarg_preload_offset 0
		.amdhsa_user_sgpr_private_segment_size 0
		.amdhsa_uses_dynamic_stack 0
		.amdhsa_system_sgpr_private_segment_wavefront_offset 0
		.amdhsa_system_sgpr_workgroup_id_x 1
		.amdhsa_system_sgpr_workgroup_id_y 0
		.amdhsa_system_sgpr_workgroup_id_z 0
		.amdhsa_system_sgpr_workgroup_info 0
		.amdhsa_system_vgpr_workitem_id 0
		.amdhsa_next_free_vgpr 1
		.amdhsa_next_free_sgpr 0
		.amdhsa_accum_offset 4
		.amdhsa_reserve_vcc 0
		.amdhsa_reserve_flat_scratch 0
		.amdhsa_float_round_mode_32 0
		.amdhsa_float_round_mode_16_64 0
		.amdhsa_float_denorm_mode_32 3
		.amdhsa_float_denorm_mode_16_64 3
		.amdhsa_dx10_clamp 1
		.amdhsa_ieee_mode 1
		.amdhsa_fp16_overflow 0
		.amdhsa_tg_split 0
		.amdhsa_exception_fp_ieee_invalid_op 0
		.amdhsa_exception_fp_denorm_src 0
		.amdhsa_exception_fp_ieee_div_zero 0
		.amdhsa_exception_fp_ieee_overflow 0
		.amdhsa_exception_fp_ieee_underflow 0
		.amdhsa_exception_fp_ieee_inexact 0
		.amdhsa_exception_int_div_zero 0
	.end_amdhsa_kernel
	.section	.text._ZN7rocprim17ROCPRIM_400000_NS6detail17trampoline_kernelINS0_14default_configENS1_33run_length_encode_config_selectorImjNS0_4plusIjEEEEZZNS1_33reduce_by_key_impl_wrapped_configILNS1_25lookback_scan_determinismE0ES3_S7_PKmNS0_17constant_iteratorIjlEEPmPlSF_S6_NS0_8equal_toImEEEE10hipError_tPvRmT2_T3_mT4_T5_T6_T7_T8_P12ihipStream_tbENKUlT_T0_E_clISt17integral_constantIbLb1EESY_IbLb0EEEEDaSU_SV_EUlSU_E_NS1_11comp_targetILNS1_3genE3ELNS1_11target_archE908ELNS1_3gpuE7ELNS1_3repE0EEENS1_30default_config_static_selectorELNS0_4arch9wavefront6targetE1EEEvT1_,"axG",@progbits,_ZN7rocprim17ROCPRIM_400000_NS6detail17trampoline_kernelINS0_14default_configENS1_33run_length_encode_config_selectorImjNS0_4plusIjEEEEZZNS1_33reduce_by_key_impl_wrapped_configILNS1_25lookback_scan_determinismE0ES3_S7_PKmNS0_17constant_iteratorIjlEEPmPlSF_S6_NS0_8equal_toImEEEE10hipError_tPvRmT2_T3_mT4_T5_T6_T7_T8_P12ihipStream_tbENKUlT_T0_E_clISt17integral_constantIbLb1EESY_IbLb0EEEEDaSU_SV_EUlSU_E_NS1_11comp_targetILNS1_3genE3ELNS1_11target_archE908ELNS1_3gpuE7ELNS1_3repE0EEENS1_30default_config_static_selectorELNS0_4arch9wavefront6targetE1EEEvT1_,comdat
.Lfunc_end739:
	.size	_ZN7rocprim17ROCPRIM_400000_NS6detail17trampoline_kernelINS0_14default_configENS1_33run_length_encode_config_selectorImjNS0_4plusIjEEEEZZNS1_33reduce_by_key_impl_wrapped_configILNS1_25lookback_scan_determinismE0ES3_S7_PKmNS0_17constant_iteratorIjlEEPmPlSF_S6_NS0_8equal_toImEEEE10hipError_tPvRmT2_T3_mT4_T5_T6_T7_T8_P12ihipStream_tbENKUlT_T0_E_clISt17integral_constantIbLb1EESY_IbLb0EEEEDaSU_SV_EUlSU_E_NS1_11comp_targetILNS1_3genE3ELNS1_11target_archE908ELNS1_3gpuE7ELNS1_3repE0EEENS1_30default_config_static_selectorELNS0_4arch9wavefront6targetE1EEEvT1_, .Lfunc_end739-_ZN7rocprim17ROCPRIM_400000_NS6detail17trampoline_kernelINS0_14default_configENS1_33run_length_encode_config_selectorImjNS0_4plusIjEEEEZZNS1_33reduce_by_key_impl_wrapped_configILNS1_25lookback_scan_determinismE0ES3_S7_PKmNS0_17constant_iteratorIjlEEPmPlSF_S6_NS0_8equal_toImEEEE10hipError_tPvRmT2_T3_mT4_T5_T6_T7_T8_P12ihipStream_tbENKUlT_T0_E_clISt17integral_constantIbLb1EESY_IbLb0EEEEDaSU_SV_EUlSU_E_NS1_11comp_targetILNS1_3genE3ELNS1_11target_archE908ELNS1_3gpuE7ELNS1_3repE0EEENS1_30default_config_static_selectorELNS0_4arch9wavefront6targetE1EEEvT1_
                                        ; -- End function
	.section	.AMDGPU.csdata,"",@progbits
; Kernel info:
; codeLenInByte = 0
; NumSgprs: 4
; NumVgprs: 0
; NumAgprs: 0
; TotalNumVgprs: 0
; ScratchSize: 0
; MemoryBound: 0
; FloatMode: 240
; IeeeMode: 1
; LDSByteSize: 0 bytes/workgroup (compile time only)
; SGPRBlocks: 0
; VGPRBlocks: 0
; NumSGPRsForWavesPerEU: 4
; NumVGPRsForWavesPerEU: 1
; AccumOffset: 4
; Occupancy: 8
; WaveLimiterHint : 0
; COMPUTE_PGM_RSRC2:SCRATCH_EN: 0
; COMPUTE_PGM_RSRC2:USER_SGPR: 6
; COMPUTE_PGM_RSRC2:TRAP_HANDLER: 0
; COMPUTE_PGM_RSRC2:TGID_X_EN: 1
; COMPUTE_PGM_RSRC2:TGID_Y_EN: 0
; COMPUTE_PGM_RSRC2:TGID_Z_EN: 0
; COMPUTE_PGM_RSRC2:TIDIG_COMP_CNT: 0
; COMPUTE_PGM_RSRC3_GFX90A:ACCUM_OFFSET: 0
; COMPUTE_PGM_RSRC3_GFX90A:TG_SPLIT: 0
	.section	.text._ZN7rocprim17ROCPRIM_400000_NS6detail17trampoline_kernelINS0_14default_configENS1_33run_length_encode_config_selectorImjNS0_4plusIjEEEEZZNS1_33reduce_by_key_impl_wrapped_configILNS1_25lookback_scan_determinismE0ES3_S7_PKmNS0_17constant_iteratorIjlEEPmPlSF_S6_NS0_8equal_toImEEEE10hipError_tPvRmT2_T3_mT4_T5_T6_T7_T8_P12ihipStream_tbENKUlT_T0_E_clISt17integral_constantIbLb1EESY_IbLb0EEEEDaSU_SV_EUlSU_E_NS1_11comp_targetILNS1_3genE2ELNS1_11target_archE906ELNS1_3gpuE6ELNS1_3repE0EEENS1_30default_config_static_selectorELNS0_4arch9wavefront6targetE1EEEvT1_,"axG",@progbits,_ZN7rocprim17ROCPRIM_400000_NS6detail17trampoline_kernelINS0_14default_configENS1_33run_length_encode_config_selectorImjNS0_4plusIjEEEEZZNS1_33reduce_by_key_impl_wrapped_configILNS1_25lookback_scan_determinismE0ES3_S7_PKmNS0_17constant_iteratorIjlEEPmPlSF_S6_NS0_8equal_toImEEEE10hipError_tPvRmT2_T3_mT4_T5_T6_T7_T8_P12ihipStream_tbENKUlT_T0_E_clISt17integral_constantIbLb1EESY_IbLb0EEEEDaSU_SV_EUlSU_E_NS1_11comp_targetILNS1_3genE2ELNS1_11target_archE906ELNS1_3gpuE6ELNS1_3repE0EEENS1_30default_config_static_selectorELNS0_4arch9wavefront6targetE1EEEvT1_,comdat
	.protected	_ZN7rocprim17ROCPRIM_400000_NS6detail17trampoline_kernelINS0_14default_configENS1_33run_length_encode_config_selectorImjNS0_4plusIjEEEEZZNS1_33reduce_by_key_impl_wrapped_configILNS1_25lookback_scan_determinismE0ES3_S7_PKmNS0_17constant_iteratorIjlEEPmPlSF_S6_NS0_8equal_toImEEEE10hipError_tPvRmT2_T3_mT4_T5_T6_T7_T8_P12ihipStream_tbENKUlT_T0_E_clISt17integral_constantIbLb1EESY_IbLb0EEEEDaSU_SV_EUlSU_E_NS1_11comp_targetILNS1_3genE2ELNS1_11target_archE906ELNS1_3gpuE6ELNS1_3repE0EEENS1_30default_config_static_selectorELNS0_4arch9wavefront6targetE1EEEvT1_ ; -- Begin function _ZN7rocprim17ROCPRIM_400000_NS6detail17trampoline_kernelINS0_14default_configENS1_33run_length_encode_config_selectorImjNS0_4plusIjEEEEZZNS1_33reduce_by_key_impl_wrapped_configILNS1_25lookback_scan_determinismE0ES3_S7_PKmNS0_17constant_iteratorIjlEEPmPlSF_S6_NS0_8equal_toImEEEE10hipError_tPvRmT2_T3_mT4_T5_T6_T7_T8_P12ihipStream_tbENKUlT_T0_E_clISt17integral_constantIbLb1EESY_IbLb0EEEEDaSU_SV_EUlSU_E_NS1_11comp_targetILNS1_3genE2ELNS1_11target_archE906ELNS1_3gpuE6ELNS1_3repE0EEENS1_30default_config_static_selectorELNS0_4arch9wavefront6targetE1EEEvT1_
	.globl	_ZN7rocprim17ROCPRIM_400000_NS6detail17trampoline_kernelINS0_14default_configENS1_33run_length_encode_config_selectorImjNS0_4plusIjEEEEZZNS1_33reduce_by_key_impl_wrapped_configILNS1_25lookback_scan_determinismE0ES3_S7_PKmNS0_17constant_iteratorIjlEEPmPlSF_S6_NS0_8equal_toImEEEE10hipError_tPvRmT2_T3_mT4_T5_T6_T7_T8_P12ihipStream_tbENKUlT_T0_E_clISt17integral_constantIbLb1EESY_IbLb0EEEEDaSU_SV_EUlSU_E_NS1_11comp_targetILNS1_3genE2ELNS1_11target_archE906ELNS1_3gpuE6ELNS1_3repE0EEENS1_30default_config_static_selectorELNS0_4arch9wavefront6targetE1EEEvT1_
	.p2align	8
	.type	_ZN7rocprim17ROCPRIM_400000_NS6detail17trampoline_kernelINS0_14default_configENS1_33run_length_encode_config_selectorImjNS0_4plusIjEEEEZZNS1_33reduce_by_key_impl_wrapped_configILNS1_25lookback_scan_determinismE0ES3_S7_PKmNS0_17constant_iteratorIjlEEPmPlSF_S6_NS0_8equal_toImEEEE10hipError_tPvRmT2_T3_mT4_T5_T6_T7_T8_P12ihipStream_tbENKUlT_T0_E_clISt17integral_constantIbLb1EESY_IbLb0EEEEDaSU_SV_EUlSU_E_NS1_11comp_targetILNS1_3genE2ELNS1_11target_archE906ELNS1_3gpuE6ELNS1_3repE0EEENS1_30default_config_static_selectorELNS0_4arch9wavefront6targetE1EEEvT1_,@function
_ZN7rocprim17ROCPRIM_400000_NS6detail17trampoline_kernelINS0_14default_configENS1_33run_length_encode_config_selectorImjNS0_4plusIjEEEEZZNS1_33reduce_by_key_impl_wrapped_configILNS1_25lookback_scan_determinismE0ES3_S7_PKmNS0_17constant_iteratorIjlEEPmPlSF_S6_NS0_8equal_toImEEEE10hipError_tPvRmT2_T3_mT4_T5_T6_T7_T8_P12ihipStream_tbENKUlT_T0_E_clISt17integral_constantIbLb1EESY_IbLb0EEEEDaSU_SV_EUlSU_E_NS1_11comp_targetILNS1_3genE2ELNS1_11target_archE906ELNS1_3gpuE6ELNS1_3repE0EEENS1_30default_config_static_selectorELNS0_4arch9wavefront6targetE1EEEvT1_: ; @_ZN7rocprim17ROCPRIM_400000_NS6detail17trampoline_kernelINS0_14default_configENS1_33run_length_encode_config_selectorImjNS0_4plusIjEEEEZZNS1_33reduce_by_key_impl_wrapped_configILNS1_25lookback_scan_determinismE0ES3_S7_PKmNS0_17constant_iteratorIjlEEPmPlSF_S6_NS0_8equal_toImEEEE10hipError_tPvRmT2_T3_mT4_T5_T6_T7_T8_P12ihipStream_tbENKUlT_T0_E_clISt17integral_constantIbLb1EESY_IbLb0EEEEDaSU_SV_EUlSU_E_NS1_11comp_targetILNS1_3genE2ELNS1_11target_archE906ELNS1_3gpuE6ELNS1_3repE0EEENS1_30default_config_static_selectorELNS0_4arch9wavefront6targetE1EEEvT1_
; %bb.0:
	.section	.rodata,"a",@progbits
	.p2align	6, 0x0
	.amdhsa_kernel _ZN7rocprim17ROCPRIM_400000_NS6detail17trampoline_kernelINS0_14default_configENS1_33run_length_encode_config_selectorImjNS0_4plusIjEEEEZZNS1_33reduce_by_key_impl_wrapped_configILNS1_25lookback_scan_determinismE0ES3_S7_PKmNS0_17constant_iteratorIjlEEPmPlSF_S6_NS0_8equal_toImEEEE10hipError_tPvRmT2_T3_mT4_T5_T6_T7_T8_P12ihipStream_tbENKUlT_T0_E_clISt17integral_constantIbLb1EESY_IbLb0EEEEDaSU_SV_EUlSU_E_NS1_11comp_targetILNS1_3genE2ELNS1_11target_archE906ELNS1_3gpuE6ELNS1_3repE0EEENS1_30default_config_static_selectorELNS0_4arch9wavefront6targetE1EEEvT1_
		.amdhsa_group_segment_fixed_size 0
		.amdhsa_private_segment_fixed_size 0
		.amdhsa_kernarg_size 128
		.amdhsa_user_sgpr_count 6
		.amdhsa_user_sgpr_private_segment_buffer 1
		.amdhsa_user_sgpr_dispatch_ptr 0
		.amdhsa_user_sgpr_queue_ptr 0
		.amdhsa_user_sgpr_kernarg_segment_ptr 1
		.amdhsa_user_sgpr_dispatch_id 0
		.amdhsa_user_sgpr_flat_scratch_init 0
		.amdhsa_user_sgpr_kernarg_preload_length 0
		.amdhsa_user_sgpr_kernarg_preload_offset 0
		.amdhsa_user_sgpr_private_segment_size 0
		.amdhsa_uses_dynamic_stack 0
		.amdhsa_system_sgpr_private_segment_wavefront_offset 0
		.amdhsa_system_sgpr_workgroup_id_x 1
		.amdhsa_system_sgpr_workgroup_id_y 0
		.amdhsa_system_sgpr_workgroup_id_z 0
		.amdhsa_system_sgpr_workgroup_info 0
		.amdhsa_system_vgpr_workitem_id 0
		.amdhsa_next_free_vgpr 1
		.amdhsa_next_free_sgpr 0
		.amdhsa_accum_offset 4
		.amdhsa_reserve_vcc 0
		.amdhsa_reserve_flat_scratch 0
		.amdhsa_float_round_mode_32 0
		.amdhsa_float_round_mode_16_64 0
		.amdhsa_float_denorm_mode_32 3
		.amdhsa_float_denorm_mode_16_64 3
		.amdhsa_dx10_clamp 1
		.amdhsa_ieee_mode 1
		.amdhsa_fp16_overflow 0
		.amdhsa_tg_split 0
		.amdhsa_exception_fp_ieee_invalid_op 0
		.amdhsa_exception_fp_denorm_src 0
		.amdhsa_exception_fp_ieee_div_zero 0
		.amdhsa_exception_fp_ieee_overflow 0
		.amdhsa_exception_fp_ieee_underflow 0
		.amdhsa_exception_fp_ieee_inexact 0
		.amdhsa_exception_int_div_zero 0
	.end_amdhsa_kernel
	.section	.text._ZN7rocprim17ROCPRIM_400000_NS6detail17trampoline_kernelINS0_14default_configENS1_33run_length_encode_config_selectorImjNS0_4plusIjEEEEZZNS1_33reduce_by_key_impl_wrapped_configILNS1_25lookback_scan_determinismE0ES3_S7_PKmNS0_17constant_iteratorIjlEEPmPlSF_S6_NS0_8equal_toImEEEE10hipError_tPvRmT2_T3_mT4_T5_T6_T7_T8_P12ihipStream_tbENKUlT_T0_E_clISt17integral_constantIbLb1EESY_IbLb0EEEEDaSU_SV_EUlSU_E_NS1_11comp_targetILNS1_3genE2ELNS1_11target_archE906ELNS1_3gpuE6ELNS1_3repE0EEENS1_30default_config_static_selectorELNS0_4arch9wavefront6targetE1EEEvT1_,"axG",@progbits,_ZN7rocprim17ROCPRIM_400000_NS6detail17trampoline_kernelINS0_14default_configENS1_33run_length_encode_config_selectorImjNS0_4plusIjEEEEZZNS1_33reduce_by_key_impl_wrapped_configILNS1_25lookback_scan_determinismE0ES3_S7_PKmNS0_17constant_iteratorIjlEEPmPlSF_S6_NS0_8equal_toImEEEE10hipError_tPvRmT2_T3_mT4_T5_T6_T7_T8_P12ihipStream_tbENKUlT_T0_E_clISt17integral_constantIbLb1EESY_IbLb0EEEEDaSU_SV_EUlSU_E_NS1_11comp_targetILNS1_3genE2ELNS1_11target_archE906ELNS1_3gpuE6ELNS1_3repE0EEENS1_30default_config_static_selectorELNS0_4arch9wavefront6targetE1EEEvT1_,comdat
.Lfunc_end740:
	.size	_ZN7rocprim17ROCPRIM_400000_NS6detail17trampoline_kernelINS0_14default_configENS1_33run_length_encode_config_selectorImjNS0_4plusIjEEEEZZNS1_33reduce_by_key_impl_wrapped_configILNS1_25lookback_scan_determinismE0ES3_S7_PKmNS0_17constant_iteratorIjlEEPmPlSF_S6_NS0_8equal_toImEEEE10hipError_tPvRmT2_T3_mT4_T5_T6_T7_T8_P12ihipStream_tbENKUlT_T0_E_clISt17integral_constantIbLb1EESY_IbLb0EEEEDaSU_SV_EUlSU_E_NS1_11comp_targetILNS1_3genE2ELNS1_11target_archE906ELNS1_3gpuE6ELNS1_3repE0EEENS1_30default_config_static_selectorELNS0_4arch9wavefront6targetE1EEEvT1_, .Lfunc_end740-_ZN7rocprim17ROCPRIM_400000_NS6detail17trampoline_kernelINS0_14default_configENS1_33run_length_encode_config_selectorImjNS0_4plusIjEEEEZZNS1_33reduce_by_key_impl_wrapped_configILNS1_25lookback_scan_determinismE0ES3_S7_PKmNS0_17constant_iteratorIjlEEPmPlSF_S6_NS0_8equal_toImEEEE10hipError_tPvRmT2_T3_mT4_T5_T6_T7_T8_P12ihipStream_tbENKUlT_T0_E_clISt17integral_constantIbLb1EESY_IbLb0EEEEDaSU_SV_EUlSU_E_NS1_11comp_targetILNS1_3genE2ELNS1_11target_archE906ELNS1_3gpuE6ELNS1_3repE0EEENS1_30default_config_static_selectorELNS0_4arch9wavefront6targetE1EEEvT1_
                                        ; -- End function
	.section	.AMDGPU.csdata,"",@progbits
; Kernel info:
; codeLenInByte = 0
; NumSgprs: 4
; NumVgprs: 0
; NumAgprs: 0
; TotalNumVgprs: 0
; ScratchSize: 0
; MemoryBound: 0
; FloatMode: 240
; IeeeMode: 1
; LDSByteSize: 0 bytes/workgroup (compile time only)
; SGPRBlocks: 0
; VGPRBlocks: 0
; NumSGPRsForWavesPerEU: 4
; NumVGPRsForWavesPerEU: 1
; AccumOffset: 4
; Occupancy: 8
; WaveLimiterHint : 0
; COMPUTE_PGM_RSRC2:SCRATCH_EN: 0
; COMPUTE_PGM_RSRC2:USER_SGPR: 6
; COMPUTE_PGM_RSRC2:TRAP_HANDLER: 0
; COMPUTE_PGM_RSRC2:TGID_X_EN: 1
; COMPUTE_PGM_RSRC2:TGID_Y_EN: 0
; COMPUTE_PGM_RSRC2:TGID_Z_EN: 0
; COMPUTE_PGM_RSRC2:TIDIG_COMP_CNT: 0
; COMPUTE_PGM_RSRC3_GFX90A:ACCUM_OFFSET: 0
; COMPUTE_PGM_RSRC3_GFX90A:TG_SPLIT: 0
	.section	.text._ZN7rocprim17ROCPRIM_400000_NS6detail17trampoline_kernelINS0_14default_configENS1_33run_length_encode_config_selectorImjNS0_4plusIjEEEEZZNS1_33reduce_by_key_impl_wrapped_configILNS1_25lookback_scan_determinismE0ES3_S7_PKmNS0_17constant_iteratorIjlEEPmPlSF_S6_NS0_8equal_toImEEEE10hipError_tPvRmT2_T3_mT4_T5_T6_T7_T8_P12ihipStream_tbENKUlT_T0_E_clISt17integral_constantIbLb1EESY_IbLb0EEEEDaSU_SV_EUlSU_E_NS1_11comp_targetILNS1_3genE10ELNS1_11target_archE1201ELNS1_3gpuE5ELNS1_3repE0EEENS1_30default_config_static_selectorELNS0_4arch9wavefront6targetE1EEEvT1_,"axG",@progbits,_ZN7rocprim17ROCPRIM_400000_NS6detail17trampoline_kernelINS0_14default_configENS1_33run_length_encode_config_selectorImjNS0_4plusIjEEEEZZNS1_33reduce_by_key_impl_wrapped_configILNS1_25lookback_scan_determinismE0ES3_S7_PKmNS0_17constant_iteratorIjlEEPmPlSF_S6_NS0_8equal_toImEEEE10hipError_tPvRmT2_T3_mT4_T5_T6_T7_T8_P12ihipStream_tbENKUlT_T0_E_clISt17integral_constantIbLb1EESY_IbLb0EEEEDaSU_SV_EUlSU_E_NS1_11comp_targetILNS1_3genE10ELNS1_11target_archE1201ELNS1_3gpuE5ELNS1_3repE0EEENS1_30default_config_static_selectorELNS0_4arch9wavefront6targetE1EEEvT1_,comdat
	.protected	_ZN7rocprim17ROCPRIM_400000_NS6detail17trampoline_kernelINS0_14default_configENS1_33run_length_encode_config_selectorImjNS0_4plusIjEEEEZZNS1_33reduce_by_key_impl_wrapped_configILNS1_25lookback_scan_determinismE0ES3_S7_PKmNS0_17constant_iteratorIjlEEPmPlSF_S6_NS0_8equal_toImEEEE10hipError_tPvRmT2_T3_mT4_T5_T6_T7_T8_P12ihipStream_tbENKUlT_T0_E_clISt17integral_constantIbLb1EESY_IbLb0EEEEDaSU_SV_EUlSU_E_NS1_11comp_targetILNS1_3genE10ELNS1_11target_archE1201ELNS1_3gpuE5ELNS1_3repE0EEENS1_30default_config_static_selectorELNS0_4arch9wavefront6targetE1EEEvT1_ ; -- Begin function _ZN7rocprim17ROCPRIM_400000_NS6detail17trampoline_kernelINS0_14default_configENS1_33run_length_encode_config_selectorImjNS0_4plusIjEEEEZZNS1_33reduce_by_key_impl_wrapped_configILNS1_25lookback_scan_determinismE0ES3_S7_PKmNS0_17constant_iteratorIjlEEPmPlSF_S6_NS0_8equal_toImEEEE10hipError_tPvRmT2_T3_mT4_T5_T6_T7_T8_P12ihipStream_tbENKUlT_T0_E_clISt17integral_constantIbLb1EESY_IbLb0EEEEDaSU_SV_EUlSU_E_NS1_11comp_targetILNS1_3genE10ELNS1_11target_archE1201ELNS1_3gpuE5ELNS1_3repE0EEENS1_30default_config_static_selectorELNS0_4arch9wavefront6targetE1EEEvT1_
	.globl	_ZN7rocprim17ROCPRIM_400000_NS6detail17trampoline_kernelINS0_14default_configENS1_33run_length_encode_config_selectorImjNS0_4plusIjEEEEZZNS1_33reduce_by_key_impl_wrapped_configILNS1_25lookback_scan_determinismE0ES3_S7_PKmNS0_17constant_iteratorIjlEEPmPlSF_S6_NS0_8equal_toImEEEE10hipError_tPvRmT2_T3_mT4_T5_T6_T7_T8_P12ihipStream_tbENKUlT_T0_E_clISt17integral_constantIbLb1EESY_IbLb0EEEEDaSU_SV_EUlSU_E_NS1_11comp_targetILNS1_3genE10ELNS1_11target_archE1201ELNS1_3gpuE5ELNS1_3repE0EEENS1_30default_config_static_selectorELNS0_4arch9wavefront6targetE1EEEvT1_
	.p2align	8
	.type	_ZN7rocprim17ROCPRIM_400000_NS6detail17trampoline_kernelINS0_14default_configENS1_33run_length_encode_config_selectorImjNS0_4plusIjEEEEZZNS1_33reduce_by_key_impl_wrapped_configILNS1_25lookback_scan_determinismE0ES3_S7_PKmNS0_17constant_iteratorIjlEEPmPlSF_S6_NS0_8equal_toImEEEE10hipError_tPvRmT2_T3_mT4_T5_T6_T7_T8_P12ihipStream_tbENKUlT_T0_E_clISt17integral_constantIbLb1EESY_IbLb0EEEEDaSU_SV_EUlSU_E_NS1_11comp_targetILNS1_3genE10ELNS1_11target_archE1201ELNS1_3gpuE5ELNS1_3repE0EEENS1_30default_config_static_selectorELNS0_4arch9wavefront6targetE1EEEvT1_,@function
_ZN7rocprim17ROCPRIM_400000_NS6detail17trampoline_kernelINS0_14default_configENS1_33run_length_encode_config_selectorImjNS0_4plusIjEEEEZZNS1_33reduce_by_key_impl_wrapped_configILNS1_25lookback_scan_determinismE0ES3_S7_PKmNS0_17constant_iteratorIjlEEPmPlSF_S6_NS0_8equal_toImEEEE10hipError_tPvRmT2_T3_mT4_T5_T6_T7_T8_P12ihipStream_tbENKUlT_T0_E_clISt17integral_constantIbLb1EESY_IbLb0EEEEDaSU_SV_EUlSU_E_NS1_11comp_targetILNS1_3genE10ELNS1_11target_archE1201ELNS1_3gpuE5ELNS1_3repE0EEENS1_30default_config_static_selectorELNS0_4arch9wavefront6targetE1EEEvT1_: ; @_ZN7rocprim17ROCPRIM_400000_NS6detail17trampoline_kernelINS0_14default_configENS1_33run_length_encode_config_selectorImjNS0_4plusIjEEEEZZNS1_33reduce_by_key_impl_wrapped_configILNS1_25lookback_scan_determinismE0ES3_S7_PKmNS0_17constant_iteratorIjlEEPmPlSF_S6_NS0_8equal_toImEEEE10hipError_tPvRmT2_T3_mT4_T5_T6_T7_T8_P12ihipStream_tbENKUlT_T0_E_clISt17integral_constantIbLb1EESY_IbLb0EEEEDaSU_SV_EUlSU_E_NS1_11comp_targetILNS1_3genE10ELNS1_11target_archE1201ELNS1_3gpuE5ELNS1_3repE0EEENS1_30default_config_static_selectorELNS0_4arch9wavefront6targetE1EEEvT1_
; %bb.0:
	.section	.rodata,"a",@progbits
	.p2align	6, 0x0
	.amdhsa_kernel _ZN7rocprim17ROCPRIM_400000_NS6detail17trampoline_kernelINS0_14default_configENS1_33run_length_encode_config_selectorImjNS0_4plusIjEEEEZZNS1_33reduce_by_key_impl_wrapped_configILNS1_25lookback_scan_determinismE0ES3_S7_PKmNS0_17constant_iteratorIjlEEPmPlSF_S6_NS0_8equal_toImEEEE10hipError_tPvRmT2_T3_mT4_T5_T6_T7_T8_P12ihipStream_tbENKUlT_T0_E_clISt17integral_constantIbLb1EESY_IbLb0EEEEDaSU_SV_EUlSU_E_NS1_11comp_targetILNS1_3genE10ELNS1_11target_archE1201ELNS1_3gpuE5ELNS1_3repE0EEENS1_30default_config_static_selectorELNS0_4arch9wavefront6targetE1EEEvT1_
		.amdhsa_group_segment_fixed_size 0
		.amdhsa_private_segment_fixed_size 0
		.amdhsa_kernarg_size 128
		.amdhsa_user_sgpr_count 6
		.amdhsa_user_sgpr_private_segment_buffer 1
		.amdhsa_user_sgpr_dispatch_ptr 0
		.amdhsa_user_sgpr_queue_ptr 0
		.amdhsa_user_sgpr_kernarg_segment_ptr 1
		.amdhsa_user_sgpr_dispatch_id 0
		.amdhsa_user_sgpr_flat_scratch_init 0
		.amdhsa_user_sgpr_kernarg_preload_length 0
		.amdhsa_user_sgpr_kernarg_preload_offset 0
		.amdhsa_user_sgpr_private_segment_size 0
		.amdhsa_uses_dynamic_stack 0
		.amdhsa_system_sgpr_private_segment_wavefront_offset 0
		.amdhsa_system_sgpr_workgroup_id_x 1
		.amdhsa_system_sgpr_workgroup_id_y 0
		.amdhsa_system_sgpr_workgroup_id_z 0
		.amdhsa_system_sgpr_workgroup_info 0
		.amdhsa_system_vgpr_workitem_id 0
		.amdhsa_next_free_vgpr 1
		.amdhsa_next_free_sgpr 0
		.amdhsa_accum_offset 4
		.amdhsa_reserve_vcc 0
		.amdhsa_reserve_flat_scratch 0
		.amdhsa_float_round_mode_32 0
		.amdhsa_float_round_mode_16_64 0
		.amdhsa_float_denorm_mode_32 3
		.amdhsa_float_denorm_mode_16_64 3
		.amdhsa_dx10_clamp 1
		.amdhsa_ieee_mode 1
		.amdhsa_fp16_overflow 0
		.amdhsa_tg_split 0
		.amdhsa_exception_fp_ieee_invalid_op 0
		.amdhsa_exception_fp_denorm_src 0
		.amdhsa_exception_fp_ieee_div_zero 0
		.amdhsa_exception_fp_ieee_overflow 0
		.amdhsa_exception_fp_ieee_underflow 0
		.amdhsa_exception_fp_ieee_inexact 0
		.amdhsa_exception_int_div_zero 0
	.end_amdhsa_kernel
	.section	.text._ZN7rocprim17ROCPRIM_400000_NS6detail17trampoline_kernelINS0_14default_configENS1_33run_length_encode_config_selectorImjNS0_4plusIjEEEEZZNS1_33reduce_by_key_impl_wrapped_configILNS1_25lookback_scan_determinismE0ES3_S7_PKmNS0_17constant_iteratorIjlEEPmPlSF_S6_NS0_8equal_toImEEEE10hipError_tPvRmT2_T3_mT4_T5_T6_T7_T8_P12ihipStream_tbENKUlT_T0_E_clISt17integral_constantIbLb1EESY_IbLb0EEEEDaSU_SV_EUlSU_E_NS1_11comp_targetILNS1_3genE10ELNS1_11target_archE1201ELNS1_3gpuE5ELNS1_3repE0EEENS1_30default_config_static_selectorELNS0_4arch9wavefront6targetE1EEEvT1_,"axG",@progbits,_ZN7rocprim17ROCPRIM_400000_NS6detail17trampoline_kernelINS0_14default_configENS1_33run_length_encode_config_selectorImjNS0_4plusIjEEEEZZNS1_33reduce_by_key_impl_wrapped_configILNS1_25lookback_scan_determinismE0ES3_S7_PKmNS0_17constant_iteratorIjlEEPmPlSF_S6_NS0_8equal_toImEEEE10hipError_tPvRmT2_T3_mT4_T5_T6_T7_T8_P12ihipStream_tbENKUlT_T0_E_clISt17integral_constantIbLb1EESY_IbLb0EEEEDaSU_SV_EUlSU_E_NS1_11comp_targetILNS1_3genE10ELNS1_11target_archE1201ELNS1_3gpuE5ELNS1_3repE0EEENS1_30default_config_static_selectorELNS0_4arch9wavefront6targetE1EEEvT1_,comdat
.Lfunc_end741:
	.size	_ZN7rocprim17ROCPRIM_400000_NS6detail17trampoline_kernelINS0_14default_configENS1_33run_length_encode_config_selectorImjNS0_4plusIjEEEEZZNS1_33reduce_by_key_impl_wrapped_configILNS1_25lookback_scan_determinismE0ES3_S7_PKmNS0_17constant_iteratorIjlEEPmPlSF_S6_NS0_8equal_toImEEEE10hipError_tPvRmT2_T3_mT4_T5_T6_T7_T8_P12ihipStream_tbENKUlT_T0_E_clISt17integral_constantIbLb1EESY_IbLb0EEEEDaSU_SV_EUlSU_E_NS1_11comp_targetILNS1_3genE10ELNS1_11target_archE1201ELNS1_3gpuE5ELNS1_3repE0EEENS1_30default_config_static_selectorELNS0_4arch9wavefront6targetE1EEEvT1_, .Lfunc_end741-_ZN7rocprim17ROCPRIM_400000_NS6detail17trampoline_kernelINS0_14default_configENS1_33run_length_encode_config_selectorImjNS0_4plusIjEEEEZZNS1_33reduce_by_key_impl_wrapped_configILNS1_25lookback_scan_determinismE0ES3_S7_PKmNS0_17constant_iteratorIjlEEPmPlSF_S6_NS0_8equal_toImEEEE10hipError_tPvRmT2_T3_mT4_T5_T6_T7_T8_P12ihipStream_tbENKUlT_T0_E_clISt17integral_constantIbLb1EESY_IbLb0EEEEDaSU_SV_EUlSU_E_NS1_11comp_targetILNS1_3genE10ELNS1_11target_archE1201ELNS1_3gpuE5ELNS1_3repE0EEENS1_30default_config_static_selectorELNS0_4arch9wavefront6targetE1EEEvT1_
                                        ; -- End function
	.section	.AMDGPU.csdata,"",@progbits
; Kernel info:
; codeLenInByte = 0
; NumSgprs: 4
; NumVgprs: 0
; NumAgprs: 0
; TotalNumVgprs: 0
; ScratchSize: 0
; MemoryBound: 0
; FloatMode: 240
; IeeeMode: 1
; LDSByteSize: 0 bytes/workgroup (compile time only)
; SGPRBlocks: 0
; VGPRBlocks: 0
; NumSGPRsForWavesPerEU: 4
; NumVGPRsForWavesPerEU: 1
; AccumOffset: 4
; Occupancy: 8
; WaveLimiterHint : 0
; COMPUTE_PGM_RSRC2:SCRATCH_EN: 0
; COMPUTE_PGM_RSRC2:USER_SGPR: 6
; COMPUTE_PGM_RSRC2:TRAP_HANDLER: 0
; COMPUTE_PGM_RSRC2:TGID_X_EN: 1
; COMPUTE_PGM_RSRC2:TGID_Y_EN: 0
; COMPUTE_PGM_RSRC2:TGID_Z_EN: 0
; COMPUTE_PGM_RSRC2:TIDIG_COMP_CNT: 0
; COMPUTE_PGM_RSRC3_GFX90A:ACCUM_OFFSET: 0
; COMPUTE_PGM_RSRC3_GFX90A:TG_SPLIT: 0
	.section	.text._ZN7rocprim17ROCPRIM_400000_NS6detail17trampoline_kernelINS0_14default_configENS1_33run_length_encode_config_selectorImjNS0_4plusIjEEEEZZNS1_33reduce_by_key_impl_wrapped_configILNS1_25lookback_scan_determinismE0ES3_S7_PKmNS0_17constant_iteratorIjlEEPmPlSF_S6_NS0_8equal_toImEEEE10hipError_tPvRmT2_T3_mT4_T5_T6_T7_T8_P12ihipStream_tbENKUlT_T0_E_clISt17integral_constantIbLb1EESY_IbLb0EEEEDaSU_SV_EUlSU_E_NS1_11comp_targetILNS1_3genE10ELNS1_11target_archE1200ELNS1_3gpuE4ELNS1_3repE0EEENS1_30default_config_static_selectorELNS0_4arch9wavefront6targetE1EEEvT1_,"axG",@progbits,_ZN7rocprim17ROCPRIM_400000_NS6detail17trampoline_kernelINS0_14default_configENS1_33run_length_encode_config_selectorImjNS0_4plusIjEEEEZZNS1_33reduce_by_key_impl_wrapped_configILNS1_25lookback_scan_determinismE0ES3_S7_PKmNS0_17constant_iteratorIjlEEPmPlSF_S6_NS0_8equal_toImEEEE10hipError_tPvRmT2_T3_mT4_T5_T6_T7_T8_P12ihipStream_tbENKUlT_T0_E_clISt17integral_constantIbLb1EESY_IbLb0EEEEDaSU_SV_EUlSU_E_NS1_11comp_targetILNS1_3genE10ELNS1_11target_archE1200ELNS1_3gpuE4ELNS1_3repE0EEENS1_30default_config_static_selectorELNS0_4arch9wavefront6targetE1EEEvT1_,comdat
	.protected	_ZN7rocprim17ROCPRIM_400000_NS6detail17trampoline_kernelINS0_14default_configENS1_33run_length_encode_config_selectorImjNS0_4plusIjEEEEZZNS1_33reduce_by_key_impl_wrapped_configILNS1_25lookback_scan_determinismE0ES3_S7_PKmNS0_17constant_iteratorIjlEEPmPlSF_S6_NS0_8equal_toImEEEE10hipError_tPvRmT2_T3_mT4_T5_T6_T7_T8_P12ihipStream_tbENKUlT_T0_E_clISt17integral_constantIbLb1EESY_IbLb0EEEEDaSU_SV_EUlSU_E_NS1_11comp_targetILNS1_3genE10ELNS1_11target_archE1200ELNS1_3gpuE4ELNS1_3repE0EEENS1_30default_config_static_selectorELNS0_4arch9wavefront6targetE1EEEvT1_ ; -- Begin function _ZN7rocprim17ROCPRIM_400000_NS6detail17trampoline_kernelINS0_14default_configENS1_33run_length_encode_config_selectorImjNS0_4plusIjEEEEZZNS1_33reduce_by_key_impl_wrapped_configILNS1_25lookback_scan_determinismE0ES3_S7_PKmNS0_17constant_iteratorIjlEEPmPlSF_S6_NS0_8equal_toImEEEE10hipError_tPvRmT2_T3_mT4_T5_T6_T7_T8_P12ihipStream_tbENKUlT_T0_E_clISt17integral_constantIbLb1EESY_IbLb0EEEEDaSU_SV_EUlSU_E_NS1_11comp_targetILNS1_3genE10ELNS1_11target_archE1200ELNS1_3gpuE4ELNS1_3repE0EEENS1_30default_config_static_selectorELNS0_4arch9wavefront6targetE1EEEvT1_
	.globl	_ZN7rocprim17ROCPRIM_400000_NS6detail17trampoline_kernelINS0_14default_configENS1_33run_length_encode_config_selectorImjNS0_4plusIjEEEEZZNS1_33reduce_by_key_impl_wrapped_configILNS1_25lookback_scan_determinismE0ES3_S7_PKmNS0_17constant_iteratorIjlEEPmPlSF_S6_NS0_8equal_toImEEEE10hipError_tPvRmT2_T3_mT4_T5_T6_T7_T8_P12ihipStream_tbENKUlT_T0_E_clISt17integral_constantIbLb1EESY_IbLb0EEEEDaSU_SV_EUlSU_E_NS1_11comp_targetILNS1_3genE10ELNS1_11target_archE1200ELNS1_3gpuE4ELNS1_3repE0EEENS1_30default_config_static_selectorELNS0_4arch9wavefront6targetE1EEEvT1_
	.p2align	8
	.type	_ZN7rocprim17ROCPRIM_400000_NS6detail17trampoline_kernelINS0_14default_configENS1_33run_length_encode_config_selectorImjNS0_4plusIjEEEEZZNS1_33reduce_by_key_impl_wrapped_configILNS1_25lookback_scan_determinismE0ES3_S7_PKmNS0_17constant_iteratorIjlEEPmPlSF_S6_NS0_8equal_toImEEEE10hipError_tPvRmT2_T3_mT4_T5_T6_T7_T8_P12ihipStream_tbENKUlT_T0_E_clISt17integral_constantIbLb1EESY_IbLb0EEEEDaSU_SV_EUlSU_E_NS1_11comp_targetILNS1_3genE10ELNS1_11target_archE1200ELNS1_3gpuE4ELNS1_3repE0EEENS1_30default_config_static_selectorELNS0_4arch9wavefront6targetE1EEEvT1_,@function
_ZN7rocprim17ROCPRIM_400000_NS6detail17trampoline_kernelINS0_14default_configENS1_33run_length_encode_config_selectorImjNS0_4plusIjEEEEZZNS1_33reduce_by_key_impl_wrapped_configILNS1_25lookback_scan_determinismE0ES3_S7_PKmNS0_17constant_iteratorIjlEEPmPlSF_S6_NS0_8equal_toImEEEE10hipError_tPvRmT2_T3_mT4_T5_T6_T7_T8_P12ihipStream_tbENKUlT_T0_E_clISt17integral_constantIbLb1EESY_IbLb0EEEEDaSU_SV_EUlSU_E_NS1_11comp_targetILNS1_3genE10ELNS1_11target_archE1200ELNS1_3gpuE4ELNS1_3repE0EEENS1_30default_config_static_selectorELNS0_4arch9wavefront6targetE1EEEvT1_: ; @_ZN7rocprim17ROCPRIM_400000_NS6detail17trampoline_kernelINS0_14default_configENS1_33run_length_encode_config_selectorImjNS0_4plusIjEEEEZZNS1_33reduce_by_key_impl_wrapped_configILNS1_25lookback_scan_determinismE0ES3_S7_PKmNS0_17constant_iteratorIjlEEPmPlSF_S6_NS0_8equal_toImEEEE10hipError_tPvRmT2_T3_mT4_T5_T6_T7_T8_P12ihipStream_tbENKUlT_T0_E_clISt17integral_constantIbLb1EESY_IbLb0EEEEDaSU_SV_EUlSU_E_NS1_11comp_targetILNS1_3genE10ELNS1_11target_archE1200ELNS1_3gpuE4ELNS1_3repE0EEENS1_30default_config_static_selectorELNS0_4arch9wavefront6targetE1EEEvT1_
; %bb.0:
	.section	.rodata,"a",@progbits
	.p2align	6, 0x0
	.amdhsa_kernel _ZN7rocprim17ROCPRIM_400000_NS6detail17trampoline_kernelINS0_14default_configENS1_33run_length_encode_config_selectorImjNS0_4plusIjEEEEZZNS1_33reduce_by_key_impl_wrapped_configILNS1_25lookback_scan_determinismE0ES3_S7_PKmNS0_17constant_iteratorIjlEEPmPlSF_S6_NS0_8equal_toImEEEE10hipError_tPvRmT2_T3_mT4_T5_T6_T7_T8_P12ihipStream_tbENKUlT_T0_E_clISt17integral_constantIbLb1EESY_IbLb0EEEEDaSU_SV_EUlSU_E_NS1_11comp_targetILNS1_3genE10ELNS1_11target_archE1200ELNS1_3gpuE4ELNS1_3repE0EEENS1_30default_config_static_selectorELNS0_4arch9wavefront6targetE1EEEvT1_
		.amdhsa_group_segment_fixed_size 0
		.amdhsa_private_segment_fixed_size 0
		.amdhsa_kernarg_size 128
		.amdhsa_user_sgpr_count 6
		.amdhsa_user_sgpr_private_segment_buffer 1
		.amdhsa_user_sgpr_dispatch_ptr 0
		.amdhsa_user_sgpr_queue_ptr 0
		.amdhsa_user_sgpr_kernarg_segment_ptr 1
		.amdhsa_user_sgpr_dispatch_id 0
		.amdhsa_user_sgpr_flat_scratch_init 0
		.amdhsa_user_sgpr_kernarg_preload_length 0
		.amdhsa_user_sgpr_kernarg_preload_offset 0
		.amdhsa_user_sgpr_private_segment_size 0
		.amdhsa_uses_dynamic_stack 0
		.amdhsa_system_sgpr_private_segment_wavefront_offset 0
		.amdhsa_system_sgpr_workgroup_id_x 1
		.amdhsa_system_sgpr_workgroup_id_y 0
		.amdhsa_system_sgpr_workgroup_id_z 0
		.amdhsa_system_sgpr_workgroup_info 0
		.amdhsa_system_vgpr_workitem_id 0
		.amdhsa_next_free_vgpr 1
		.amdhsa_next_free_sgpr 0
		.amdhsa_accum_offset 4
		.amdhsa_reserve_vcc 0
		.amdhsa_reserve_flat_scratch 0
		.amdhsa_float_round_mode_32 0
		.amdhsa_float_round_mode_16_64 0
		.amdhsa_float_denorm_mode_32 3
		.amdhsa_float_denorm_mode_16_64 3
		.amdhsa_dx10_clamp 1
		.amdhsa_ieee_mode 1
		.amdhsa_fp16_overflow 0
		.amdhsa_tg_split 0
		.amdhsa_exception_fp_ieee_invalid_op 0
		.amdhsa_exception_fp_denorm_src 0
		.amdhsa_exception_fp_ieee_div_zero 0
		.amdhsa_exception_fp_ieee_overflow 0
		.amdhsa_exception_fp_ieee_underflow 0
		.amdhsa_exception_fp_ieee_inexact 0
		.amdhsa_exception_int_div_zero 0
	.end_amdhsa_kernel
	.section	.text._ZN7rocprim17ROCPRIM_400000_NS6detail17trampoline_kernelINS0_14default_configENS1_33run_length_encode_config_selectorImjNS0_4plusIjEEEEZZNS1_33reduce_by_key_impl_wrapped_configILNS1_25lookback_scan_determinismE0ES3_S7_PKmNS0_17constant_iteratorIjlEEPmPlSF_S6_NS0_8equal_toImEEEE10hipError_tPvRmT2_T3_mT4_T5_T6_T7_T8_P12ihipStream_tbENKUlT_T0_E_clISt17integral_constantIbLb1EESY_IbLb0EEEEDaSU_SV_EUlSU_E_NS1_11comp_targetILNS1_3genE10ELNS1_11target_archE1200ELNS1_3gpuE4ELNS1_3repE0EEENS1_30default_config_static_selectorELNS0_4arch9wavefront6targetE1EEEvT1_,"axG",@progbits,_ZN7rocprim17ROCPRIM_400000_NS6detail17trampoline_kernelINS0_14default_configENS1_33run_length_encode_config_selectorImjNS0_4plusIjEEEEZZNS1_33reduce_by_key_impl_wrapped_configILNS1_25lookback_scan_determinismE0ES3_S7_PKmNS0_17constant_iteratorIjlEEPmPlSF_S6_NS0_8equal_toImEEEE10hipError_tPvRmT2_T3_mT4_T5_T6_T7_T8_P12ihipStream_tbENKUlT_T0_E_clISt17integral_constantIbLb1EESY_IbLb0EEEEDaSU_SV_EUlSU_E_NS1_11comp_targetILNS1_3genE10ELNS1_11target_archE1200ELNS1_3gpuE4ELNS1_3repE0EEENS1_30default_config_static_selectorELNS0_4arch9wavefront6targetE1EEEvT1_,comdat
.Lfunc_end742:
	.size	_ZN7rocprim17ROCPRIM_400000_NS6detail17trampoline_kernelINS0_14default_configENS1_33run_length_encode_config_selectorImjNS0_4plusIjEEEEZZNS1_33reduce_by_key_impl_wrapped_configILNS1_25lookback_scan_determinismE0ES3_S7_PKmNS0_17constant_iteratorIjlEEPmPlSF_S6_NS0_8equal_toImEEEE10hipError_tPvRmT2_T3_mT4_T5_T6_T7_T8_P12ihipStream_tbENKUlT_T0_E_clISt17integral_constantIbLb1EESY_IbLb0EEEEDaSU_SV_EUlSU_E_NS1_11comp_targetILNS1_3genE10ELNS1_11target_archE1200ELNS1_3gpuE4ELNS1_3repE0EEENS1_30default_config_static_selectorELNS0_4arch9wavefront6targetE1EEEvT1_, .Lfunc_end742-_ZN7rocprim17ROCPRIM_400000_NS6detail17trampoline_kernelINS0_14default_configENS1_33run_length_encode_config_selectorImjNS0_4plusIjEEEEZZNS1_33reduce_by_key_impl_wrapped_configILNS1_25lookback_scan_determinismE0ES3_S7_PKmNS0_17constant_iteratorIjlEEPmPlSF_S6_NS0_8equal_toImEEEE10hipError_tPvRmT2_T3_mT4_T5_T6_T7_T8_P12ihipStream_tbENKUlT_T0_E_clISt17integral_constantIbLb1EESY_IbLb0EEEEDaSU_SV_EUlSU_E_NS1_11comp_targetILNS1_3genE10ELNS1_11target_archE1200ELNS1_3gpuE4ELNS1_3repE0EEENS1_30default_config_static_selectorELNS0_4arch9wavefront6targetE1EEEvT1_
                                        ; -- End function
	.section	.AMDGPU.csdata,"",@progbits
; Kernel info:
; codeLenInByte = 0
; NumSgprs: 4
; NumVgprs: 0
; NumAgprs: 0
; TotalNumVgprs: 0
; ScratchSize: 0
; MemoryBound: 0
; FloatMode: 240
; IeeeMode: 1
; LDSByteSize: 0 bytes/workgroup (compile time only)
; SGPRBlocks: 0
; VGPRBlocks: 0
; NumSGPRsForWavesPerEU: 4
; NumVGPRsForWavesPerEU: 1
; AccumOffset: 4
; Occupancy: 8
; WaveLimiterHint : 0
; COMPUTE_PGM_RSRC2:SCRATCH_EN: 0
; COMPUTE_PGM_RSRC2:USER_SGPR: 6
; COMPUTE_PGM_RSRC2:TRAP_HANDLER: 0
; COMPUTE_PGM_RSRC2:TGID_X_EN: 1
; COMPUTE_PGM_RSRC2:TGID_Y_EN: 0
; COMPUTE_PGM_RSRC2:TGID_Z_EN: 0
; COMPUTE_PGM_RSRC2:TIDIG_COMP_CNT: 0
; COMPUTE_PGM_RSRC3_GFX90A:ACCUM_OFFSET: 0
; COMPUTE_PGM_RSRC3_GFX90A:TG_SPLIT: 0
	.section	.text._ZN7rocprim17ROCPRIM_400000_NS6detail17trampoline_kernelINS0_14default_configENS1_33run_length_encode_config_selectorImjNS0_4plusIjEEEEZZNS1_33reduce_by_key_impl_wrapped_configILNS1_25lookback_scan_determinismE0ES3_S7_PKmNS0_17constant_iteratorIjlEEPmPlSF_S6_NS0_8equal_toImEEEE10hipError_tPvRmT2_T3_mT4_T5_T6_T7_T8_P12ihipStream_tbENKUlT_T0_E_clISt17integral_constantIbLb1EESY_IbLb0EEEEDaSU_SV_EUlSU_E_NS1_11comp_targetILNS1_3genE9ELNS1_11target_archE1100ELNS1_3gpuE3ELNS1_3repE0EEENS1_30default_config_static_selectorELNS0_4arch9wavefront6targetE1EEEvT1_,"axG",@progbits,_ZN7rocprim17ROCPRIM_400000_NS6detail17trampoline_kernelINS0_14default_configENS1_33run_length_encode_config_selectorImjNS0_4plusIjEEEEZZNS1_33reduce_by_key_impl_wrapped_configILNS1_25lookback_scan_determinismE0ES3_S7_PKmNS0_17constant_iteratorIjlEEPmPlSF_S6_NS0_8equal_toImEEEE10hipError_tPvRmT2_T3_mT4_T5_T6_T7_T8_P12ihipStream_tbENKUlT_T0_E_clISt17integral_constantIbLb1EESY_IbLb0EEEEDaSU_SV_EUlSU_E_NS1_11comp_targetILNS1_3genE9ELNS1_11target_archE1100ELNS1_3gpuE3ELNS1_3repE0EEENS1_30default_config_static_selectorELNS0_4arch9wavefront6targetE1EEEvT1_,comdat
	.protected	_ZN7rocprim17ROCPRIM_400000_NS6detail17trampoline_kernelINS0_14default_configENS1_33run_length_encode_config_selectorImjNS0_4plusIjEEEEZZNS1_33reduce_by_key_impl_wrapped_configILNS1_25lookback_scan_determinismE0ES3_S7_PKmNS0_17constant_iteratorIjlEEPmPlSF_S6_NS0_8equal_toImEEEE10hipError_tPvRmT2_T3_mT4_T5_T6_T7_T8_P12ihipStream_tbENKUlT_T0_E_clISt17integral_constantIbLb1EESY_IbLb0EEEEDaSU_SV_EUlSU_E_NS1_11comp_targetILNS1_3genE9ELNS1_11target_archE1100ELNS1_3gpuE3ELNS1_3repE0EEENS1_30default_config_static_selectorELNS0_4arch9wavefront6targetE1EEEvT1_ ; -- Begin function _ZN7rocprim17ROCPRIM_400000_NS6detail17trampoline_kernelINS0_14default_configENS1_33run_length_encode_config_selectorImjNS0_4plusIjEEEEZZNS1_33reduce_by_key_impl_wrapped_configILNS1_25lookback_scan_determinismE0ES3_S7_PKmNS0_17constant_iteratorIjlEEPmPlSF_S6_NS0_8equal_toImEEEE10hipError_tPvRmT2_T3_mT4_T5_T6_T7_T8_P12ihipStream_tbENKUlT_T0_E_clISt17integral_constantIbLb1EESY_IbLb0EEEEDaSU_SV_EUlSU_E_NS1_11comp_targetILNS1_3genE9ELNS1_11target_archE1100ELNS1_3gpuE3ELNS1_3repE0EEENS1_30default_config_static_selectorELNS0_4arch9wavefront6targetE1EEEvT1_
	.globl	_ZN7rocprim17ROCPRIM_400000_NS6detail17trampoline_kernelINS0_14default_configENS1_33run_length_encode_config_selectorImjNS0_4plusIjEEEEZZNS1_33reduce_by_key_impl_wrapped_configILNS1_25lookback_scan_determinismE0ES3_S7_PKmNS0_17constant_iteratorIjlEEPmPlSF_S6_NS0_8equal_toImEEEE10hipError_tPvRmT2_T3_mT4_T5_T6_T7_T8_P12ihipStream_tbENKUlT_T0_E_clISt17integral_constantIbLb1EESY_IbLb0EEEEDaSU_SV_EUlSU_E_NS1_11comp_targetILNS1_3genE9ELNS1_11target_archE1100ELNS1_3gpuE3ELNS1_3repE0EEENS1_30default_config_static_selectorELNS0_4arch9wavefront6targetE1EEEvT1_
	.p2align	8
	.type	_ZN7rocprim17ROCPRIM_400000_NS6detail17trampoline_kernelINS0_14default_configENS1_33run_length_encode_config_selectorImjNS0_4plusIjEEEEZZNS1_33reduce_by_key_impl_wrapped_configILNS1_25lookback_scan_determinismE0ES3_S7_PKmNS0_17constant_iteratorIjlEEPmPlSF_S6_NS0_8equal_toImEEEE10hipError_tPvRmT2_T3_mT4_T5_T6_T7_T8_P12ihipStream_tbENKUlT_T0_E_clISt17integral_constantIbLb1EESY_IbLb0EEEEDaSU_SV_EUlSU_E_NS1_11comp_targetILNS1_3genE9ELNS1_11target_archE1100ELNS1_3gpuE3ELNS1_3repE0EEENS1_30default_config_static_selectorELNS0_4arch9wavefront6targetE1EEEvT1_,@function
_ZN7rocprim17ROCPRIM_400000_NS6detail17trampoline_kernelINS0_14default_configENS1_33run_length_encode_config_selectorImjNS0_4plusIjEEEEZZNS1_33reduce_by_key_impl_wrapped_configILNS1_25lookback_scan_determinismE0ES3_S7_PKmNS0_17constant_iteratorIjlEEPmPlSF_S6_NS0_8equal_toImEEEE10hipError_tPvRmT2_T3_mT4_T5_T6_T7_T8_P12ihipStream_tbENKUlT_T0_E_clISt17integral_constantIbLb1EESY_IbLb0EEEEDaSU_SV_EUlSU_E_NS1_11comp_targetILNS1_3genE9ELNS1_11target_archE1100ELNS1_3gpuE3ELNS1_3repE0EEENS1_30default_config_static_selectorELNS0_4arch9wavefront6targetE1EEEvT1_: ; @_ZN7rocprim17ROCPRIM_400000_NS6detail17trampoline_kernelINS0_14default_configENS1_33run_length_encode_config_selectorImjNS0_4plusIjEEEEZZNS1_33reduce_by_key_impl_wrapped_configILNS1_25lookback_scan_determinismE0ES3_S7_PKmNS0_17constant_iteratorIjlEEPmPlSF_S6_NS0_8equal_toImEEEE10hipError_tPvRmT2_T3_mT4_T5_T6_T7_T8_P12ihipStream_tbENKUlT_T0_E_clISt17integral_constantIbLb1EESY_IbLb0EEEEDaSU_SV_EUlSU_E_NS1_11comp_targetILNS1_3genE9ELNS1_11target_archE1100ELNS1_3gpuE3ELNS1_3repE0EEENS1_30default_config_static_selectorELNS0_4arch9wavefront6targetE1EEEvT1_
; %bb.0:
	.section	.rodata,"a",@progbits
	.p2align	6, 0x0
	.amdhsa_kernel _ZN7rocprim17ROCPRIM_400000_NS6detail17trampoline_kernelINS0_14default_configENS1_33run_length_encode_config_selectorImjNS0_4plusIjEEEEZZNS1_33reduce_by_key_impl_wrapped_configILNS1_25lookback_scan_determinismE0ES3_S7_PKmNS0_17constant_iteratorIjlEEPmPlSF_S6_NS0_8equal_toImEEEE10hipError_tPvRmT2_T3_mT4_T5_T6_T7_T8_P12ihipStream_tbENKUlT_T0_E_clISt17integral_constantIbLb1EESY_IbLb0EEEEDaSU_SV_EUlSU_E_NS1_11comp_targetILNS1_3genE9ELNS1_11target_archE1100ELNS1_3gpuE3ELNS1_3repE0EEENS1_30default_config_static_selectorELNS0_4arch9wavefront6targetE1EEEvT1_
		.amdhsa_group_segment_fixed_size 0
		.amdhsa_private_segment_fixed_size 0
		.amdhsa_kernarg_size 128
		.amdhsa_user_sgpr_count 6
		.amdhsa_user_sgpr_private_segment_buffer 1
		.amdhsa_user_sgpr_dispatch_ptr 0
		.amdhsa_user_sgpr_queue_ptr 0
		.amdhsa_user_sgpr_kernarg_segment_ptr 1
		.amdhsa_user_sgpr_dispatch_id 0
		.amdhsa_user_sgpr_flat_scratch_init 0
		.amdhsa_user_sgpr_kernarg_preload_length 0
		.amdhsa_user_sgpr_kernarg_preload_offset 0
		.amdhsa_user_sgpr_private_segment_size 0
		.amdhsa_uses_dynamic_stack 0
		.amdhsa_system_sgpr_private_segment_wavefront_offset 0
		.amdhsa_system_sgpr_workgroup_id_x 1
		.amdhsa_system_sgpr_workgroup_id_y 0
		.amdhsa_system_sgpr_workgroup_id_z 0
		.amdhsa_system_sgpr_workgroup_info 0
		.amdhsa_system_vgpr_workitem_id 0
		.amdhsa_next_free_vgpr 1
		.amdhsa_next_free_sgpr 0
		.amdhsa_accum_offset 4
		.amdhsa_reserve_vcc 0
		.amdhsa_reserve_flat_scratch 0
		.amdhsa_float_round_mode_32 0
		.amdhsa_float_round_mode_16_64 0
		.amdhsa_float_denorm_mode_32 3
		.amdhsa_float_denorm_mode_16_64 3
		.amdhsa_dx10_clamp 1
		.amdhsa_ieee_mode 1
		.amdhsa_fp16_overflow 0
		.amdhsa_tg_split 0
		.amdhsa_exception_fp_ieee_invalid_op 0
		.amdhsa_exception_fp_denorm_src 0
		.amdhsa_exception_fp_ieee_div_zero 0
		.amdhsa_exception_fp_ieee_overflow 0
		.amdhsa_exception_fp_ieee_underflow 0
		.amdhsa_exception_fp_ieee_inexact 0
		.amdhsa_exception_int_div_zero 0
	.end_amdhsa_kernel
	.section	.text._ZN7rocprim17ROCPRIM_400000_NS6detail17trampoline_kernelINS0_14default_configENS1_33run_length_encode_config_selectorImjNS0_4plusIjEEEEZZNS1_33reduce_by_key_impl_wrapped_configILNS1_25lookback_scan_determinismE0ES3_S7_PKmNS0_17constant_iteratorIjlEEPmPlSF_S6_NS0_8equal_toImEEEE10hipError_tPvRmT2_T3_mT4_T5_T6_T7_T8_P12ihipStream_tbENKUlT_T0_E_clISt17integral_constantIbLb1EESY_IbLb0EEEEDaSU_SV_EUlSU_E_NS1_11comp_targetILNS1_3genE9ELNS1_11target_archE1100ELNS1_3gpuE3ELNS1_3repE0EEENS1_30default_config_static_selectorELNS0_4arch9wavefront6targetE1EEEvT1_,"axG",@progbits,_ZN7rocprim17ROCPRIM_400000_NS6detail17trampoline_kernelINS0_14default_configENS1_33run_length_encode_config_selectorImjNS0_4plusIjEEEEZZNS1_33reduce_by_key_impl_wrapped_configILNS1_25lookback_scan_determinismE0ES3_S7_PKmNS0_17constant_iteratorIjlEEPmPlSF_S6_NS0_8equal_toImEEEE10hipError_tPvRmT2_T3_mT4_T5_T6_T7_T8_P12ihipStream_tbENKUlT_T0_E_clISt17integral_constantIbLb1EESY_IbLb0EEEEDaSU_SV_EUlSU_E_NS1_11comp_targetILNS1_3genE9ELNS1_11target_archE1100ELNS1_3gpuE3ELNS1_3repE0EEENS1_30default_config_static_selectorELNS0_4arch9wavefront6targetE1EEEvT1_,comdat
.Lfunc_end743:
	.size	_ZN7rocprim17ROCPRIM_400000_NS6detail17trampoline_kernelINS0_14default_configENS1_33run_length_encode_config_selectorImjNS0_4plusIjEEEEZZNS1_33reduce_by_key_impl_wrapped_configILNS1_25lookback_scan_determinismE0ES3_S7_PKmNS0_17constant_iteratorIjlEEPmPlSF_S6_NS0_8equal_toImEEEE10hipError_tPvRmT2_T3_mT4_T5_T6_T7_T8_P12ihipStream_tbENKUlT_T0_E_clISt17integral_constantIbLb1EESY_IbLb0EEEEDaSU_SV_EUlSU_E_NS1_11comp_targetILNS1_3genE9ELNS1_11target_archE1100ELNS1_3gpuE3ELNS1_3repE0EEENS1_30default_config_static_selectorELNS0_4arch9wavefront6targetE1EEEvT1_, .Lfunc_end743-_ZN7rocprim17ROCPRIM_400000_NS6detail17trampoline_kernelINS0_14default_configENS1_33run_length_encode_config_selectorImjNS0_4plusIjEEEEZZNS1_33reduce_by_key_impl_wrapped_configILNS1_25lookback_scan_determinismE0ES3_S7_PKmNS0_17constant_iteratorIjlEEPmPlSF_S6_NS0_8equal_toImEEEE10hipError_tPvRmT2_T3_mT4_T5_T6_T7_T8_P12ihipStream_tbENKUlT_T0_E_clISt17integral_constantIbLb1EESY_IbLb0EEEEDaSU_SV_EUlSU_E_NS1_11comp_targetILNS1_3genE9ELNS1_11target_archE1100ELNS1_3gpuE3ELNS1_3repE0EEENS1_30default_config_static_selectorELNS0_4arch9wavefront6targetE1EEEvT1_
                                        ; -- End function
	.section	.AMDGPU.csdata,"",@progbits
; Kernel info:
; codeLenInByte = 0
; NumSgprs: 4
; NumVgprs: 0
; NumAgprs: 0
; TotalNumVgprs: 0
; ScratchSize: 0
; MemoryBound: 0
; FloatMode: 240
; IeeeMode: 1
; LDSByteSize: 0 bytes/workgroup (compile time only)
; SGPRBlocks: 0
; VGPRBlocks: 0
; NumSGPRsForWavesPerEU: 4
; NumVGPRsForWavesPerEU: 1
; AccumOffset: 4
; Occupancy: 8
; WaveLimiterHint : 0
; COMPUTE_PGM_RSRC2:SCRATCH_EN: 0
; COMPUTE_PGM_RSRC2:USER_SGPR: 6
; COMPUTE_PGM_RSRC2:TRAP_HANDLER: 0
; COMPUTE_PGM_RSRC2:TGID_X_EN: 1
; COMPUTE_PGM_RSRC2:TGID_Y_EN: 0
; COMPUTE_PGM_RSRC2:TGID_Z_EN: 0
; COMPUTE_PGM_RSRC2:TIDIG_COMP_CNT: 0
; COMPUTE_PGM_RSRC3_GFX90A:ACCUM_OFFSET: 0
; COMPUTE_PGM_RSRC3_GFX90A:TG_SPLIT: 0
	.section	.text._ZN7rocprim17ROCPRIM_400000_NS6detail17trampoline_kernelINS0_14default_configENS1_33run_length_encode_config_selectorImjNS0_4plusIjEEEEZZNS1_33reduce_by_key_impl_wrapped_configILNS1_25lookback_scan_determinismE0ES3_S7_PKmNS0_17constant_iteratorIjlEEPmPlSF_S6_NS0_8equal_toImEEEE10hipError_tPvRmT2_T3_mT4_T5_T6_T7_T8_P12ihipStream_tbENKUlT_T0_E_clISt17integral_constantIbLb1EESY_IbLb0EEEEDaSU_SV_EUlSU_E_NS1_11comp_targetILNS1_3genE8ELNS1_11target_archE1030ELNS1_3gpuE2ELNS1_3repE0EEENS1_30default_config_static_selectorELNS0_4arch9wavefront6targetE1EEEvT1_,"axG",@progbits,_ZN7rocprim17ROCPRIM_400000_NS6detail17trampoline_kernelINS0_14default_configENS1_33run_length_encode_config_selectorImjNS0_4plusIjEEEEZZNS1_33reduce_by_key_impl_wrapped_configILNS1_25lookback_scan_determinismE0ES3_S7_PKmNS0_17constant_iteratorIjlEEPmPlSF_S6_NS0_8equal_toImEEEE10hipError_tPvRmT2_T3_mT4_T5_T6_T7_T8_P12ihipStream_tbENKUlT_T0_E_clISt17integral_constantIbLb1EESY_IbLb0EEEEDaSU_SV_EUlSU_E_NS1_11comp_targetILNS1_3genE8ELNS1_11target_archE1030ELNS1_3gpuE2ELNS1_3repE0EEENS1_30default_config_static_selectorELNS0_4arch9wavefront6targetE1EEEvT1_,comdat
	.protected	_ZN7rocprim17ROCPRIM_400000_NS6detail17trampoline_kernelINS0_14default_configENS1_33run_length_encode_config_selectorImjNS0_4plusIjEEEEZZNS1_33reduce_by_key_impl_wrapped_configILNS1_25lookback_scan_determinismE0ES3_S7_PKmNS0_17constant_iteratorIjlEEPmPlSF_S6_NS0_8equal_toImEEEE10hipError_tPvRmT2_T3_mT4_T5_T6_T7_T8_P12ihipStream_tbENKUlT_T0_E_clISt17integral_constantIbLb1EESY_IbLb0EEEEDaSU_SV_EUlSU_E_NS1_11comp_targetILNS1_3genE8ELNS1_11target_archE1030ELNS1_3gpuE2ELNS1_3repE0EEENS1_30default_config_static_selectorELNS0_4arch9wavefront6targetE1EEEvT1_ ; -- Begin function _ZN7rocprim17ROCPRIM_400000_NS6detail17trampoline_kernelINS0_14default_configENS1_33run_length_encode_config_selectorImjNS0_4plusIjEEEEZZNS1_33reduce_by_key_impl_wrapped_configILNS1_25lookback_scan_determinismE0ES3_S7_PKmNS0_17constant_iteratorIjlEEPmPlSF_S6_NS0_8equal_toImEEEE10hipError_tPvRmT2_T3_mT4_T5_T6_T7_T8_P12ihipStream_tbENKUlT_T0_E_clISt17integral_constantIbLb1EESY_IbLb0EEEEDaSU_SV_EUlSU_E_NS1_11comp_targetILNS1_3genE8ELNS1_11target_archE1030ELNS1_3gpuE2ELNS1_3repE0EEENS1_30default_config_static_selectorELNS0_4arch9wavefront6targetE1EEEvT1_
	.globl	_ZN7rocprim17ROCPRIM_400000_NS6detail17trampoline_kernelINS0_14default_configENS1_33run_length_encode_config_selectorImjNS0_4plusIjEEEEZZNS1_33reduce_by_key_impl_wrapped_configILNS1_25lookback_scan_determinismE0ES3_S7_PKmNS0_17constant_iteratorIjlEEPmPlSF_S6_NS0_8equal_toImEEEE10hipError_tPvRmT2_T3_mT4_T5_T6_T7_T8_P12ihipStream_tbENKUlT_T0_E_clISt17integral_constantIbLb1EESY_IbLb0EEEEDaSU_SV_EUlSU_E_NS1_11comp_targetILNS1_3genE8ELNS1_11target_archE1030ELNS1_3gpuE2ELNS1_3repE0EEENS1_30default_config_static_selectorELNS0_4arch9wavefront6targetE1EEEvT1_
	.p2align	8
	.type	_ZN7rocprim17ROCPRIM_400000_NS6detail17trampoline_kernelINS0_14default_configENS1_33run_length_encode_config_selectorImjNS0_4plusIjEEEEZZNS1_33reduce_by_key_impl_wrapped_configILNS1_25lookback_scan_determinismE0ES3_S7_PKmNS0_17constant_iteratorIjlEEPmPlSF_S6_NS0_8equal_toImEEEE10hipError_tPvRmT2_T3_mT4_T5_T6_T7_T8_P12ihipStream_tbENKUlT_T0_E_clISt17integral_constantIbLb1EESY_IbLb0EEEEDaSU_SV_EUlSU_E_NS1_11comp_targetILNS1_3genE8ELNS1_11target_archE1030ELNS1_3gpuE2ELNS1_3repE0EEENS1_30default_config_static_selectorELNS0_4arch9wavefront6targetE1EEEvT1_,@function
_ZN7rocprim17ROCPRIM_400000_NS6detail17trampoline_kernelINS0_14default_configENS1_33run_length_encode_config_selectorImjNS0_4plusIjEEEEZZNS1_33reduce_by_key_impl_wrapped_configILNS1_25lookback_scan_determinismE0ES3_S7_PKmNS0_17constant_iteratorIjlEEPmPlSF_S6_NS0_8equal_toImEEEE10hipError_tPvRmT2_T3_mT4_T5_T6_T7_T8_P12ihipStream_tbENKUlT_T0_E_clISt17integral_constantIbLb1EESY_IbLb0EEEEDaSU_SV_EUlSU_E_NS1_11comp_targetILNS1_3genE8ELNS1_11target_archE1030ELNS1_3gpuE2ELNS1_3repE0EEENS1_30default_config_static_selectorELNS0_4arch9wavefront6targetE1EEEvT1_: ; @_ZN7rocprim17ROCPRIM_400000_NS6detail17trampoline_kernelINS0_14default_configENS1_33run_length_encode_config_selectorImjNS0_4plusIjEEEEZZNS1_33reduce_by_key_impl_wrapped_configILNS1_25lookback_scan_determinismE0ES3_S7_PKmNS0_17constant_iteratorIjlEEPmPlSF_S6_NS0_8equal_toImEEEE10hipError_tPvRmT2_T3_mT4_T5_T6_T7_T8_P12ihipStream_tbENKUlT_T0_E_clISt17integral_constantIbLb1EESY_IbLb0EEEEDaSU_SV_EUlSU_E_NS1_11comp_targetILNS1_3genE8ELNS1_11target_archE1030ELNS1_3gpuE2ELNS1_3repE0EEENS1_30default_config_static_selectorELNS0_4arch9wavefront6targetE1EEEvT1_
; %bb.0:
	.section	.rodata,"a",@progbits
	.p2align	6, 0x0
	.amdhsa_kernel _ZN7rocprim17ROCPRIM_400000_NS6detail17trampoline_kernelINS0_14default_configENS1_33run_length_encode_config_selectorImjNS0_4plusIjEEEEZZNS1_33reduce_by_key_impl_wrapped_configILNS1_25lookback_scan_determinismE0ES3_S7_PKmNS0_17constant_iteratorIjlEEPmPlSF_S6_NS0_8equal_toImEEEE10hipError_tPvRmT2_T3_mT4_T5_T6_T7_T8_P12ihipStream_tbENKUlT_T0_E_clISt17integral_constantIbLb1EESY_IbLb0EEEEDaSU_SV_EUlSU_E_NS1_11comp_targetILNS1_3genE8ELNS1_11target_archE1030ELNS1_3gpuE2ELNS1_3repE0EEENS1_30default_config_static_selectorELNS0_4arch9wavefront6targetE1EEEvT1_
		.amdhsa_group_segment_fixed_size 0
		.amdhsa_private_segment_fixed_size 0
		.amdhsa_kernarg_size 128
		.amdhsa_user_sgpr_count 6
		.amdhsa_user_sgpr_private_segment_buffer 1
		.amdhsa_user_sgpr_dispatch_ptr 0
		.amdhsa_user_sgpr_queue_ptr 0
		.amdhsa_user_sgpr_kernarg_segment_ptr 1
		.amdhsa_user_sgpr_dispatch_id 0
		.amdhsa_user_sgpr_flat_scratch_init 0
		.amdhsa_user_sgpr_kernarg_preload_length 0
		.amdhsa_user_sgpr_kernarg_preload_offset 0
		.amdhsa_user_sgpr_private_segment_size 0
		.amdhsa_uses_dynamic_stack 0
		.amdhsa_system_sgpr_private_segment_wavefront_offset 0
		.amdhsa_system_sgpr_workgroup_id_x 1
		.amdhsa_system_sgpr_workgroup_id_y 0
		.amdhsa_system_sgpr_workgroup_id_z 0
		.amdhsa_system_sgpr_workgroup_info 0
		.amdhsa_system_vgpr_workitem_id 0
		.amdhsa_next_free_vgpr 1
		.amdhsa_next_free_sgpr 0
		.amdhsa_accum_offset 4
		.amdhsa_reserve_vcc 0
		.amdhsa_reserve_flat_scratch 0
		.amdhsa_float_round_mode_32 0
		.amdhsa_float_round_mode_16_64 0
		.amdhsa_float_denorm_mode_32 3
		.amdhsa_float_denorm_mode_16_64 3
		.amdhsa_dx10_clamp 1
		.amdhsa_ieee_mode 1
		.amdhsa_fp16_overflow 0
		.amdhsa_tg_split 0
		.amdhsa_exception_fp_ieee_invalid_op 0
		.amdhsa_exception_fp_denorm_src 0
		.amdhsa_exception_fp_ieee_div_zero 0
		.amdhsa_exception_fp_ieee_overflow 0
		.amdhsa_exception_fp_ieee_underflow 0
		.amdhsa_exception_fp_ieee_inexact 0
		.amdhsa_exception_int_div_zero 0
	.end_amdhsa_kernel
	.section	.text._ZN7rocprim17ROCPRIM_400000_NS6detail17trampoline_kernelINS0_14default_configENS1_33run_length_encode_config_selectorImjNS0_4plusIjEEEEZZNS1_33reduce_by_key_impl_wrapped_configILNS1_25lookback_scan_determinismE0ES3_S7_PKmNS0_17constant_iteratorIjlEEPmPlSF_S6_NS0_8equal_toImEEEE10hipError_tPvRmT2_T3_mT4_T5_T6_T7_T8_P12ihipStream_tbENKUlT_T0_E_clISt17integral_constantIbLb1EESY_IbLb0EEEEDaSU_SV_EUlSU_E_NS1_11comp_targetILNS1_3genE8ELNS1_11target_archE1030ELNS1_3gpuE2ELNS1_3repE0EEENS1_30default_config_static_selectorELNS0_4arch9wavefront6targetE1EEEvT1_,"axG",@progbits,_ZN7rocprim17ROCPRIM_400000_NS6detail17trampoline_kernelINS0_14default_configENS1_33run_length_encode_config_selectorImjNS0_4plusIjEEEEZZNS1_33reduce_by_key_impl_wrapped_configILNS1_25lookback_scan_determinismE0ES3_S7_PKmNS0_17constant_iteratorIjlEEPmPlSF_S6_NS0_8equal_toImEEEE10hipError_tPvRmT2_T3_mT4_T5_T6_T7_T8_P12ihipStream_tbENKUlT_T0_E_clISt17integral_constantIbLb1EESY_IbLb0EEEEDaSU_SV_EUlSU_E_NS1_11comp_targetILNS1_3genE8ELNS1_11target_archE1030ELNS1_3gpuE2ELNS1_3repE0EEENS1_30default_config_static_selectorELNS0_4arch9wavefront6targetE1EEEvT1_,comdat
.Lfunc_end744:
	.size	_ZN7rocprim17ROCPRIM_400000_NS6detail17trampoline_kernelINS0_14default_configENS1_33run_length_encode_config_selectorImjNS0_4plusIjEEEEZZNS1_33reduce_by_key_impl_wrapped_configILNS1_25lookback_scan_determinismE0ES3_S7_PKmNS0_17constant_iteratorIjlEEPmPlSF_S6_NS0_8equal_toImEEEE10hipError_tPvRmT2_T3_mT4_T5_T6_T7_T8_P12ihipStream_tbENKUlT_T0_E_clISt17integral_constantIbLb1EESY_IbLb0EEEEDaSU_SV_EUlSU_E_NS1_11comp_targetILNS1_3genE8ELNS1_11target_archE1030ELNS1_3gpuE2ELNS1_3repE0EEENS1_30default_config_static_selectorELNS0_4arch9wavefront6targetE1EEEvT1_, .Lfunc_end744-_ZN7rocprim17ROCPRIM_400000_NS6detail17trampoline_kernelINS0_14default_configENS1_33run_length_encode_config_selectorImjNS0_4plusIjEEEEZZNS1_33reduce_by_key_impl_wrapped_configILNS1_25lookback_scan_determinismE0ES3_S7_PKmNS0_17constant_iteratorIjlEEPmPlSF_S6_NS0_8equal_toImEEEE10hipError_tPvRmT2_T3_mT4_T5_T6_T7_T8_P12ihipStream_tbENKUlT_T0_E_clISt17integral_constantIbLb1EESY_IbLb0EEEEDaSU_SV_EUlSU_E_NS1_11comp_targetILNS1_3genE8ELNS1_11target_archE1030ELNS1_3gpuE2ELNS1_3repE0EEENS1_30default_config_static_selectorELNS0_4arch9wavefront6targetE1EEEvT1_
                                        ; -- End function
	.section	.AMDGPU.csdata,"",@progbits
; Kernel info:
; codeLenInByte = 0
; NumSgprs: 4
; NumVgprs: 0
; NumAgprs: 0
; TotalNumVgprs: 0
; ScratchSize: 0
; MemoryBound: 0
; FloatMode: 240
; IeeeMode: 1
; LDSByteSize: 0 bytes/workgroup (compile time only)
; SGPRBlocks: 0
; VGPRBlocks: 0
; NumSGPRsForWavesPerEU: 4
; NumVGPRsForWavesPerEU: 1
; AccumOffset: 4
; Occupancy: 8
; WaveLimiterHint : 0
; COMPUTE_PGM_RSRC2:SCRATCH_EN: 0
; COMPUTE_PGM_RSRC2:USER_SGPR: 6
; COMPUTE_PGM_RSRC2:TRAP_HANDLER: 0
; COMPUTE_PGM_RSRC2:TGID_X_EN: 1
; COMPUTE_PGM_RSRC2:TGID_Y_EN: 0
; COMPUTE_PGM_RSRC2:TGID_Z_EN: 0
; COMPUTE_PGM_RSRC2:TIDIG_COMP_CNT: 0
; COMPUTE_PGM_RSRC3_GFX90A:ACCUM_OFFSET: 0
; COMPUTE_PGM_RSRC3_GFX90A:TG_SPLIT: 0
	.section	.text._ZN7rocprim17ROCPRIM_400000_NS6detail17trampoline_kernelINS0_14default_configENS1_33run_length_encode_config_selectorImjNS0_4plusIjEEEEZZNS1_33reduce_by_key_impl_wrapped_configILNS1_25lookback_scan_determinismE0ES3_S7_PKmNS0_17constant_iteratorIjlEEPmPlSF_S6_NS0_8equal_toImEEEE10hipError_tPvRmT2_T3_mT4_T5_T6_T7_T8_P12ihipStream_tbENKUlT_T0_E_clISt17integral_constantIbLb0EESY_IbLb1EEEEDaSU_SV_EUlSU_E_NS1_11comp_targetILNS1_3genE0ELNS1_11target_archE4294967295ELNS1_3gpuE0ELNS1_3repE0EEENS1_30default_config_static_selectorELNS0_4arch9wavefront6targetE1EEEvT1_,"axG",@progbits,_ZN7rocprim17ROCPRIM_400000_NS6detail17trampoline_kernelINS0_14default_configENS1_33run_length_encode_config_selectorImjNS0_4plusIjEEEEZZNS1_33reduce_by_key_impl_wrapped_configILNS1_25lookback_scan_determinismE0ES3_S7_PKmNS0_17constant_iteratorIjlEEPmPlSF_S6_NS0_8equal_toImEEEE10hipError_tPvRmT2_T3_mT4_T5_T6_T7_T8_P12ihipStream_tbENKUlT_T0_E_clISt17integral_constantIbLb0EESY_IbLb1EEEEDaSU_SV_EUlSU_E_NS1_11comp_targetILNS1_3genE0ELNS1_11target_archE4294967295ELNS1_3gpuE0ELNS1_3repE0EEENS1_30default_config_static_selectorELNS0_4arch9wavefront6targetE1EEEvT1_,comdat
	.protected	_ZN7rocprim17ROCPRIM_400000_NS6detail17trampoline_kernelINS0_14default_configENS1_33run_length_encode_config_selectorImjNS0_4plusIjEEEEZZNS1_33reduce_by_key_impl_wrapped_configILNS1_25lookback_scan_determinismE0ES3_S7_PKmNS0_17constant_iteratorIjlEEPmPlSF_S6_NS0_8equal_toImEEEE10hipError_tPvRmT2_T3_mT4_T5_T6_T7_T8_P12ihipStream_tbENKUlT_T0_E_clISt17integral_constantIbLb0EESY_IbLb1EEEEDaSU_SV_EUlSU_E_NS1_11comp_targetILNS1_3genE0ELNS1_11target_archE4294967295ELNS1_3gpuE0ELNS1_3repE0EEENS1_30default_config_static_selectorELNS0_4arch9wavefront6targetE1EEEvT1_ ; -- Begin function _ZN7rocprim17ROCPRIM_400000_NS6detail17trampoline_kernelINS0_14default_configENS1_33run_length_encode_config_selectorImjNS0_4plusIjEEEEZZNS1_33reduce_by_key_impl_wrapped_configILNS1_25lookback_scan_determinismE0ES3_S7_PKmNS0_17constant_iteratorIjlEEPmPlSF_S6_NS0_8equal_toImEEEE10hipError_tPvRmT2_T3_mT4_T5_T6_T7_T8_P12ihipStream_tbENKUlT_T0_E_clISt17integral_constantIbLb0EESY_IbLb1EEEEDaSU_SV_EUlSU_E_NS1_11comp_targetILNS1_3genE0ELNS1_11target_archE4294967295ELNS1_3gpuE0ELNS1_3repE0EEENS1_30default_config_static_selectorELNS0_4arch9wavefront6targetE1EEEvT1_
	.globl	_ZN7rocprim17ROCPRIM_400000_NS6detail17trampoline_kernelINS0_14default_configENS1_33run_length_encode_config_selectorImjNS0_4plusIjEEEEZZNS1_33reduce_by_key_impl_wrapped_configILNS1_25lookback_scan_determinismE0ES3_S7_PKmNS0_17constant_iteratorIjlEEPmPlSF_S6_NS0_8equal_toImEEEE10hipError_tPvRmT2_T3_mT4_T5_T6_T7_T8_P12ihipStream_tbENKUlT_T0_E_clISt17integral_constantIbLb0EESY_IbLb1EEEEDaSU_SV_EUlSU_E_NS1_11comp_targetILNS1_3genE0ELNS1_11target_archE4294967295ELNS1_3gpuE0ELNS1_3repE0EEENS1_30default_config_static_selectorELNS0_4arch9wavefront6targetE1EEEvT1_
	.p2align	8
	.type	_ZN7rocprim17ROCPRIM_400000_NS6detail17trampoline_kernelINS0_14default_configENS1_33run_length_encode_config_selectorImjNS0_4plusIjEEEEZZNS1_33reduce_by_key_impl_wrapped_configILNS1_25lookback_scan_determinismE0ES3_S7_PKmNS0_17constant_iteratorIjlEEPmPlSF_S6_NS0_8equal_toImEEEE10hipError_tPvRmT2_T3_mT4_T5_T6_T7_T8_P12ihipStream_tbENKUlT_T0_E_clISt17integral_constantIbLb0EESY_IbLb1EEEEDaSU_SV_EUlSU_E_NS1_11comp_targetILNS1_3genE0ELNS1_11target_archE4294967295ELNS1_3gpuE0ELNS1_3repE0EEENS1_30default_config_static_selectorELNS0_4arch9wavefront6targetE1EEEvT1_,@function
_ZN7rocprim17ROCPRIM_400000_NS6detail17trampoline_kernelINS0_14default_configENS1_33run_length_encode_config_selectorImjNS0_4plusIjEEEEZZNS1_33reduce_by_key_impl_wrapped_configILNS1_25lookback_scan_determinismE0ES3_S7_PKmNS0_17constant_iteratorIjlEEPmPlSF_S6_NS0_8equal_toImEEEE10hipError_tPvRmT2_T3_mT4_T5_T6_T7_T8_P12ihipStream_tbENKUlT_T0_E_clISt17integral_constantIbLb0EESY_IbLb1EEEEDaSU_SV_EUlSU_E_NS1_11comp_targetILNS1_3genE0ELNS1_11target_archE4294967295ELNS1_3gpuE0ELNS1_3repE0EEENS1_30default_config_static_selectorELNS0_4arch9wavefront6targetE1EEEvT1_: ; @_ZN7rocprim17ROCPRIM_400000_NS6detail17trampoline_kernelINS0_14default_configENS1_33run_length_encode_config_selectorImjNS0_4plusIjEEEEZZNS1_33reduce_by_key_impl_wrapped_configILNS1_25lookback_scan_determinismE0ES3_S7_PKmNS0_17constant_iteratorIjlEEPmPlSF_S6_NS0_8equal_toImEEEE10hipError_tPvRmT2_T3_mT4_T5_T6_T7_T8_P12ihipStream_tbENKUlT_T0_E_clISt17integral_constantIbLb0EESY_IbLb1EEEEDaSU_SV_EUlSU_E_NS1_11comp_targetILNS1_3genE0ELNS1_11target_archE4294967295ELNS1_3gpuE0ELNS1_3repE0EEENS1_30default_config_static_selectorELNS0_4arch9wavefront6targetE1EEEvT1_
; %bb.0:
	.section	.rodata,"a",@progbits
	.p2align	6, 0x0
	.amdhsa_kernel _ZN7rocprim17ROCPRIM_400000_NS6detail17trampoline_kernelINS0_14default_configENS1_33run_length_encode_config_selectorImjNS0_4plusIjEEEEZZNS1_33reduce_by_key_impl_wrapped_configILNS1_25lookback_scan_determinismE0ES3_S7_PKmNS0_17constant_iteratorIjlEEPmPlSF_S6_NS0_8equal_toImEEEE10hipError_tPvRmT2_T3_mT4_T5_T6_T7_T8_P12ihipStream_tbENKUlT_T0_E_clISt17integral_constantIbLb0EESY_IbLb1EEEEDaSU_SV_EUlSU_E_NS1_11comp_targetILNS1_3genE0ELNS1_11target_archE4294967295ELNS1_3gpuE0ELNS1_3repE0EEENS1_30default_config_static_selectorELNS0_4arch9wavefront6targetE1EEEvT1_
		.amdhsa_group_segment_fixed_size 0
		.amdhsa_private_segment_fixed_size 0
		.amdhsa_kernarg_size 128
		.amdhsa_user_sgpr_count 6
		.amdhsa_user_sgpr_private_segment_buffer 1
		.amdhsa_user_sgpr_dispatch_ptr 0
		.amdhsa_user_sgpr_queue_ptr 0
		.amdhsa_user_sgpr_kernarg_segment_ptr 1
		.amdhsa_user_sgpr_dispatch_id 0
		.amdhsa_user_sgpr_flat_scratch_init 0
		.amdhsa_user_sgpr_kernarg_preload_length 0
		.amdhsa_user_sgpr_kernarg_preload_offset 0
		.amdhsa_user_sgpr_private_segment_size 0
		.amdhsa_uses_dynamic_stack 0
		.amdhsa_system_sgpr_private_segment_wavefront_offset 0
		.amdhsa_system_sgpr_workgroup_id_x 1
		.amdhsa_system_sgpr_workgroup_id_y 0
		.amdhsa_system_sgpr_workgroup_id_z 0
		.amdhsa_system_sgpr_workgroup_info 0
		.amdhsa_system_vgpr_workitem_id 0
		.amdhsa_next_free_vgpr 1
		.amdhsa_next_free_sgpr 0
		.amdhsa_accum_offset 4
		.amdhsa_reserve_vcc 0
		.amdhsa_reserve_flat_scratch 0
		.amdhsa_float_round_mode_32 0
		.amdhsa_float_round_mode_16_64 0
		.amdhsa_float_denorm_mode_32 3
		.amdhsa_float_denorm_mode_16_64 3
		.amdhsa_dx10_clamp 1
		.amdhsa_ieee_mode 1
		.amdhsa_fp16_overflow 0
		.amdhsa_tg_split 0
		.amdhsa_exception_fp_ieee_invalid_op 0
		.amdhsa_exception_fp_denorm_src 0
		.amdhsa_exception_fp_ieee_div_zero 0
		.amdhsa_exception_fp_ieee_overflow 0
		.amdhsa_exception_fp_ieee_underflow 0
		.amdhsa_exception_fp_ieee_inexact 0
		.amdhsa_exception_int_div_zero 0
	.end_amdhsa_kernel
	.section	.text._ZN7rocprim17ROCPRIM_400000_NS6detail17trampoline_kernelINS0_14default_configENS1_33run_length_encode_config_selectorImjNS0_4plusIjEEEEZZNS1_33reduce_by_key_impl_wrapped_configILNS1_25lookback_scan_determinismE0ES3_S7_PKmNS0_17constant_iteratorIjlEEPmPlSF_S6_NS0_8equal_toImEEEE10hipError_tPvRmT2_T3_mT4_T5_T6_T7_T8_P12ihipStream_tbENKUlT_T0_E_clISt17integral_constantIbLb0EESY_IbLb1EEEEDaSU_SV_EUlSU_E_NS1_11comp_targetILNS1_3genE0ELNS1_11target_archE4294967295ELNS1_3gpuE0ELNS1_3repE0EEENS1_30default_config_static_selectorELNS0_4arch9wavefront6targetE1EEEvT1_,"axG",@progbits,_ZN7rocprim17ROCPRIM_400000_NS6detail17trampoline_kernelINS0_14default_configENS1_33run_length_encode_config_selectorImjNS0_4plusIjEEEEZZNS1_33reduce_by_key_impl_wrapped_configILNS1_25lookback_scan_determinismE0ES3_S7_PKmNS0_17constant_iteratorIjlEEPmPlSF_S6_NS0_8equal_toImEEEE10hipError_tPvRmT2_T3_mT4_T5_T6_T7_T8_P12ihipStream_tbENKUlT_T0_E_clISt17integral_constantIbLb0EESY_IbLb1EEEEDaSU_SV_EUlSU_E_NS1_11comp_targetILNS1_3genE0ELNS1_11target_archE4294967295ELNS1_3gpuE0ELNS1_3repE0EEENS1_30default_config_static_selectorELNS0_4arch9wavefront6targetE1EEEvT1_,comdat
.Lfunc_end745:
	.size	_ZN7rocprim17ROCPRIM_400000_NS6detail17trampoline_kernelINS0_14default_configENS1_33run_length_encode_config_selectorImjNS0_4plusIjEEEEZZNS1_33reduce_by_key_impl_wrapped_configILNS1_25lookback_scan_determinismE0ES3_S7_PKmNS0_17constant_iteratorIjlEEPmPlSF_S6_NS0_8equal_toImEEEE10hipError_tPvRmT2_T3_mT4_T5_T6_T7_T8_P12ihipStream_tbENKUlT_T0_E_clISt17integral_constantIbLb0EESY_IbLb1EEEEDaSU_SV_EUlSU_E_NS1_11comp_targetILNS1_3genE0ELNS1_11target_archE4294967295ELNS1_3gpuE0ELNS1_3repE0EEENS1_30default_config_static_selectorELNS0_4arch9wavefront6targetE1EEEvT1_, .Lfunc_end745-_ZN7rocprim17ROCPRIM_400000_NS6detail17trampoline_kernelINS0_14default_configENS1_33run_length_encode_config_selectorImjNS0_4plusIjEEEEZZNS1_33reduce_by_key_impl_wrapped_configILNS1_25lookback_scan_determinismE0ES3_S7_PKmNS0_17constant_iteratorIjlEEPmPlSF_S6_NS0_8equal_toImEEEE10hipError_tPvRmT2_T3_mT4_T5_T6_T7_T8_P12ihipStream_tbENKUlT_T0_E_clISt17integral_constantIbLb0EESY_IbLb1EEEEDaSU_SV_EUlSU_E_NS1_11comp_targetILNS1_3genE0ELNS1_11target_archE4294967295ELNS1_3gpuE0ELNS1_3repE0EEENS1_30default_config_static_selectorELNS0_4arch9wavefront6targetE1EEEvT1_
                                        ; -- End function
	.section	.AMDGPU.csdata,"",@progbits
; Kernel info:
; codeLenInByte = 0
; NumSgprs: 4
; NumVgprs: 0
; NumAgprs: 0
; TotalNumVgprs: 0
; ScratchSize: 0
; MemoryBound: 0
; FloatMode: 240
; IeeeMode: 1
; LDSByteSize: 0 bytes/workgroup (compile time only)
; SGPRBlocks: 0
; VGPRBlocks: 0
; NumSGPRsForWavesPerEU: 4
; NumVGPRsForWavesPerEU: 1
; AccumOffset: 4
; Occupancy: 8
; WaveLimiterHint : 0
; COMPUTE_PGM_RSRC2:SCRATCH_EN: 0
; COMPUTE_PGM_RSRC2:USER_SGPR: 6
; COMPUTE_PGM_RSRC2:TRAP_HANDLER: 0
; COMPUTE_PGM_RSRC2:TGID_X_EN: 1
; COMPUTE_PGM_RSRC2:TGID_Y_EN: 0
; COMPUTE_PGM_RSRC2:TGID_Z_EN: 0
; COMPUTE_PGM_RSRC2:TIDIG_COMP_CNT: 0
; COMPUTE_PGM_RSRC3_GFX90A:ACCUM_OFFSET: 0
; COMPUTE_PGM_RSRC3_GFX90A:TG_SPLIT: 0
	.section	.text._ZN7rocprim17ROCPRIM_400000_NS6detail17trampoline_kernelINS0_14default_configENS1_33run_length_encode_config_selectorImjNS0_4plusIjEEEEZZNS1_33reduce_by_key_impl_wrapped_configILNS1_25lookback_scan_determinismE0ES3_S7_PKmNS0_17constant_iteratorIjlEEPmPlSF_S6_NS0_8equal_toImEEEE10hipError_tPvRmT2_T3_mT4_T5_T6_T7_T8_P12ihipStream_tbENKUlT_T0_E_clISt17integral_constantIbLb0EESY_IbLb1EEEEDaSU_SV_EUlSU_E_NS1_11comp_targetILNS1_3genE5ELNS1_11target_archE942ELNS1_3gpuE9ELNS1_3repE0EEENS1_30default_config_static_selectorELNS0_4arch9wavefront6targetE1EEEvT1_,"axG",@progbits,_ZN7rocprim17ROCPRIM_400000_NS6detail17trampoline_kernelINS0_14default_configENS1_33run_length_encode_config_selectorImjNS0_4plusIjEEEEZZNS1_33reduce_by_key_impl_wrapped_configILNS1_25lookback_scan_determinismE0ES3_S7_PKmNS0_17constant_iteratorIjlEEPmPlSF_S6_NS0_8equal_toImEEEE10hipError_tPvRmT2_T3_mT4_T5_T6_T7_T8_P12ihipStream_tbENKUlT_T0_E_clISt17integral_constantIbLb0EESY_IbLb1EEEEDaSU_SV_EUlSU_E_NS1_11comp_targetILNS1_3genE5ELNS1_11target_archE942ELNS1_3gpuE9ELNS1_3repE0EEENS1_30default_config_static_selectorELNS0_4arch9wavefront6targetE1EEEvT1_,comdat
	.protected	_ZN7rocprim17ROCPRIM_400000_NS6detail17trampoline_kernelINS0_14default_configENS1_33run_length_encode_config_selectorImjNS0_4plusIjEEEEZZNS1_33reduce_by_key_impl_wrapped_configILNS1_25lookback_scan_determinismE0ES3_S7_PKmNS0_17constant_iteratorIjlEEPmPlSF_S6_NS0_8equal_toImEEEE10hipError_tPvRmT2_T3_mT4_T5_T6_T7_T8_P12ihipStream_tbENKUlT_T0_E_clISt17integral_constantIbLb0EESY_IbLb1EEEEDaSU_SV_EUlSU_E_NS1_11comp_targetILNS1_3genE5ELNS1_11target_archE942ELNS1_3gpuE9ELNS1_3repE0EEENS1_30default_config_static_selectorELNS0_4arch9wavefront6targetE1EEEvT1_ ; -- Begin function _ZN7rocprim17ROCPRIM_400000_NS6detail17trampoline_kernelINS0_14default_configENS1_33run_length_encode_config_selectorImjNS0_4plusIjEEEEZZNS1_33reduce_by_key_impl_wrapped_configILNS1_25lookback_scan_determinismE0ES3_S7_PKmNS0_17constant_iteratorIjlEEPmPlSF_S6_NS0_8equal_toImEEEE10hipError_tPvRmT2_T3_mT4_T5_T6_T7_T8_P12ihipStream_tbENKUlT_T0_E_clISt17integral_constantIbLb0EESY_IbLb1EEEEDaSU_SV_EUlSU_E_NS1_11comp_targetILNS1_3genE5ELNS1_11target_archE942ELNS1_3gpuE9ELNS1_3repE0EEENS1_30default_config_static_selectorELNS0_4arch9wavefront6targetE1EEEvT1_
	.globl	_ZN7rocprim17ROCPRIM_400000_NS6detail17trampoline_kernelINS0_14default_configENS1_33run_length_encode_config_selectorImjNS0_4plusIjEEEEZZNS1_33reduce_by_key_impl_wrapped_configILNS1_25lookback_scan_determinismE0ES3_S7_PKmNS0_17constant_iteratorIjlEEPmPlSF_S6_NS0_8equal_toImEEEE10hipError_tPvRmT2_T3_mT4_T5_T6_T7_T8_P12ihipStream_tbENKUlT_T0_E_clISt17integral_constantIbLb0EESY_IbLb1EEEEDaSU_SV_EUlSU_E_NS1_11comp_targetILNS1_3genE5ELNS1_11target_archE942ELNS1_3gpuE9ELNS1_3repE0EEENS1_30default_config_static_selectorELNS0_4arch9wavefront6targetE1EEEvT1_
	.p2align	8
	.type	_ZN7rocprim17ROCPRIM_400000_NS6detail17trampoline_kernelINS0_14default_configENS1_33run_length_encode_config_selectorImjNS0_4plusIjEEEEZZNS1_33reduce_by_key_impl_wrapped_configILNS1_25lookback_scan_determinismE0ES3_S7_PKmNS0_17constant_iteratorIjlEEPmPlSF_S6_NS0_8equal_toImEEEE10hipError_tPvRmT2_T3_mT4_T5_T6_T7_T8_P12ihipStream_tbENKUlT_T0_E_clISt17integral_constantIbLb0EESY_IbLb1EEEEDaSU_SV_EUlSU_E_NS1_11comp_targetILNS1_3genE5ELNS1_11target_archE942ELNS1_3gpuE9ELNS1_3repE0EEENS1_30default_config_static_selectorELNS0_4arch9wavefront6targetE1EEEvT1_,@function
_ZN7rocprim17ROCPRIM_400000_NS6detail17trampoline_kernelINS0_14default_configENS1_33run_length_encode_config_selectorImjNS0_4plusIjEEEEZZNS1_33reduce_by_key_impl_wrapped_configILNS1_25lookback_scan_determinismE0ES3_S7_PKmNS0_17constant_iteratorIjlEEPmPlSF_S6_NS0_8equal_toImEEEE10hipError_tPvRmT2_T3_mT4_T5_T6_T7_T8_P12ihipStream_tbENKUlT_T0_E_clISt17integral_constantIbLb0EESY_IbLb1EEEEDaSU_SV_EUlSU_E_NS1_11comp_targetILNS1_3genE5ELNS1_11target_archE942ELNS1_3gpuE9ELNS1_3repE0EEENS1_30default_config_static_selectorELNS0_4arch9wavefront6targetE1EEEvT1_: ; @_ZN7rocprim17ROCPRIM_400000_NS6detail17trampoline_kernelINS0_14default_configENS1_33run_length_encode_config_selectorImjNS0_4plusIjEEEEZZNS1_33reduce_by_key_impl_wrapped_configILNS1_25lookback_scan_determinismE0ES3_S7_PKmNS0_17constant_iteratorIjlEEPmPlSF_S6_NS0_8equal_toImEEEE10hipError_tPvRmT2_T3_mT4_T5_T6_T7_T8_P12ihipStream_tbENKUlT_T0_E_clISt17integral_constantIbLb0EESY_IbLb1EEEEDaSU_SV_EUlSU_E_NS1_11comp_targetILNS1_3genE5ELNS1_11target_archE942ELNS1_3gpuE9ELNS1_3repE0EEENS1_30default_config_static_selectorELNS0_4arch9wavefront6targetE1EEEvT1_
; %bb.0:
	.section	.rodata,"a",@progbits
	.p2align	6, 0x0
	.amdhsa_kernel _ZN7rocprim17ROCPRIM_400000_NS6detail17trampoline_kernelINS0_14default_configENS1_33run_length_encode_config_selectorImjNS0_4plusIjEEEEZZNS1_33reduce_by_key_impl_wrapped_configILNS1_25lookback_scan_determinismE0ES3_S7_PKmNS0_17constant_iteratorIjlEEPmPlSF_S6_NS0_8equal_toImEEEE10hipError_tPvRmT2_T3_mT4_T5_T6_T7_T8_P12ihipStream_tbENKUlT_T0_E_clISt17integral_constantIbLb0EESY_IbLb1EEEEDaSU_SV_EUlSU_E_NS1_11comp_targetILNS1_3genE5ELNS1_11target_archE942ELNS1_3gpuE9ELNS1_3repE0EEENS1_30default_config_static_selectorELNS0_4arch9wavefront6targetE1EEEvT1_
		.amdhsa_group_segment_fixed_size 0
		.amdhsa_private_segment_fixed_size 0
		.amdhsa_kernarg_size 128
		.amdhsa_user_sgpr_count 6
		.amdhsa_user_sgpr_private_segment_buffer 1
		.amdhsa_user_sgpr_dispatch_ptr 0
		.amdhsa_user_sgpr_queue_ptr 0
		.amdhsa_user_sgpr_kernarg_segment_ptr 1
		.amdhsa_user_sgpr_dispatch_id 0
		.amdhsa_user_sgpr_flat_scratch_init 0
		.amdhsa_user_sgpr_kernarg_preload_length 0
		.amdhsa_user_sgpr_kernarg_preload_offset 0
		.amdhsa_user_sgpr_private_segment_size 0
		.amdhsa_uses_dynamic_stack 0
		.amdhsa_system_sgpr_private_segment_wavefront_offset 0
		.amdhsa_system_sgpr_workgroup_id_x 1
		.amdhsa_system_sgpr_workgroup_id_y 0
		.amdhsa_system_sgpr_workgroup_id_z 0
		.amdhsa_system_sgpr_workgroup_info 0
		.amdhsa_system_vgpr_workitem_id 0
		.amdhsa_next_free_vgpr 1
		.amdhsa_next_free_sgpr 0
		.amdhsa_accum_offset 4
		.amdhsa_reserve_vcc 0
		.amdhsa_reserve_flat_scratch 0
		.amdhsa_float_round_mode_32 0
		.amdhsa_float_round_mode_16_64 0
		.amdhsa_float_denorm_mode_32 3
		.amdhsa_float_denorm_mode_16_64 3
		.amdhsa_dx10_clamp 1
		.amdhsa_ieee_mode 1
		.amdhsa_fp16_overflow 0
		.amdhsa_tg_split 0
		.amdhsa_exception_fp_ieee_invalid_op 0
		.amdhsa_exception_fp_denorm_src 0
		.amdhsa_exception_fp_ieee_div_zero 0
		.amdhsa_exception_fp_ieee_overflow 0
		.amdhsa_exception_fp_ieee_underflow 0
		.amdhsa_exception_fp_ieee_inexact 0
		.amdhsa_exception_int_div_zero 0
	.end_amdhsa_kernel
	.section	.text._ZN7rocprim17ROCPRIM_400000_NS6detail17trampoline_kernelINS0_14default_configENS1_33run_length_encode_config_selectorImjNS0_4plusIjEEEEZZNS1_33reduce_by_key_impl_wrapped_configILNS1_25lookback_scan_determinismE0ES3_S7_PKmNS0_17constant_iteratorIjlEEPmPlSF_S6_NS0_8equal_toImEEEE10hipError_tPvRmT2_T3_mT4_T5_T6_T7_T8_P12ihipStream_tbENKUlT_T0_E_clISt17integral_constantIbLb0EESY_IbLb1EEEEDaSU_SV_EUlSU_E_NS1_11comp_targetILNS1_3genE5ELNS1_11target_archE942ELNS1_3gpuE9ELNS1_3repE0EEENS1_30default_config_static_selectorELNS0_4arch9wavefront6targetE1EEEvT1_,"axG",@progbits,_ZN7rocprim17ROCPRIM_400000_NS6detail17trampoline_kernelINS0_14default_configENS1_33run_length_encode_config_selectorImjNS0_4plusIjEEEEZZNS1_33reduce_by_key_impl_wrapped_configILNS1_25lookback_scan_determinismE0ES3_S7_PKmNS0_17constant_iteratorIjlEEPmPlSF_S6_NS0_8equal_toImEEEE10hipError_tPvRmT2_T3_mT4_T5_T6_T7_T8_P12ihipStream_tbENKUlT_T0_E_clISt17integral_constantIbLb0EESY_IbLb1EEEEDaSU_SV_EUlSU_E_NS1_11comp_targetILNS1_3genE5ELNS1_11target_archE942ELNS1_3gpuE9ELNS1_3repE0EEENS1_30default_config_static_selectorELNS0_4arch9wavefront6targetE1EEEvT1_,comdat
.Lfunc_end746:
	.size	_ZN7rocprim17ROCPRIM_400000_NS6detail17trampoline_kernelINS0_14default_configENS1_33run_length_encode_config_selectorImjNS0_4plusIjEEEEZZNS1_33reduce_by_key_impl_wrapped_configILNS1_25lookback_scan_determinismE0ES3_S7_PKmNS0_17constant_iteratorIjlEEPmPlSF_S6_NS0_8equal_toImEEEE10hipError_tPvRmT2_T3_mT4_T5_T6_T7_T8_P12ihipStream_tbENKUlT_T0_E_clISt17integral_constantIbLb0EESY_IbLb1EEEEDaSU_SV_EUlSU_E_NS1_11comp_targetILNS1_3genE5ELNS1_11target_archE942ELNS1_3gpuE9ELNS1_3repE0EEENS1_30default_config_static_selectorELNS0_4arch9wavefront6targetE1EEEvT1_, .Lfunc_end746-_ZN7rocprim17ROCPRIM_400000_NS6detail17trampoline_kernelINS0_14default_configENS1_33run_length_encode_config_selectorImjNS0_4plusIjEEEEZZNS1_33reduce_by_key_impl_wrapped_configILNS1_25lookback_scan_determinismE0ES3_S7_PKmNS0_17constant_iteratorIjlEEPmPlSF_S6_NS0_8equal_toImEEEE10hipError_tPvRmT2_T3_mT4_T5_T6_T7_T8_P12ihipStream_tbENKUlT_T0_E_clISt17integral_constantIbLb0EESY_IbLb1EEEEDaSU_SV_EUlSU_E_NS1_11comp_targetILNS1_3genE5ELNS1_11target_archE942ELNS1_3gpuE9ELNS1_3repE0EEENS1_30default_config_static_selectorELNS0_4arch9wavefront6targetE1EEEvT1_
                                        ; -- End function
	.section	.AMDGPU.csdata,"",@progbits
; Kernel info:
; codeLenInByte = 0
; NumSgprs: 4
; NumVgprs: 0
; NumAgprs: 0
; TotalNumVgprs: 0
; ScratchSize: 0
; MemoryBound: 0
; FloatMode: 240
; IeeeMode: 1
; LDSByteSize: 0 bytes/workgroup (compile time only)
; SGPRBlocks: 0
; VGPRBlocks: 0
; NumSGPRsForWavesPerEU: 4
; NumVGPRsForWavesPerEU: 1
; AccumOffset: 4
; Occupancy: 8
; WaveLimiterHint : 0
; COMPUTE_PGM_RSRC2:SCRATCH_EN: 0
; COMPUTE_PGM_RSRC2:USER_SGPR: 6
; COMPUTE_PGM_RSRC2:TRAP_HANDLER: 0
; COMPUTE_PGM_RSRC2:TGID_X_EN: 1
; COMPUTE_PGM_RSRC2:TGID_Y_EN: 0
; COMPUTE_PGM_RSRC2:TGID_Z_EN: 0
; COMPUTE_PGM_RSRC2:TIDIG_COMP_CNT: 0
; COMPUTE_PGM_RSRC3_GFX90A:ACCUM_OFFSET: 0
; COMPUTE_PGM_RSRC3_GFX90A:TG_SPLIT: 0
	.section	.text._ZN7rocprim17ROCPRIM_400000_NS6detail17trampoline_kernelINS0_14default_configENS1_33run_length_encode_config_selectorImjNS0_4plusIjEEEEZZNS1_33reduce_by_key_impl_wrapped_configILNS1_25lookback_scan_determinismE0ES3_S7_PKmNS0_17constant_iteratorIjlEEPmPlSF_S6_NS0_8equal_toImEEEE10hipError_tPvRmT2_T3_mT4_T5_T6_T7_T8_P12ihipStream_tbENKUlT_T0_E_clISt17integral_constantIbLb0EESY_IbLb1EEEEDaSU_SV_EUlSU_E_NS1_11comp_targetILNS1_3genE4ELNS1_11target_archE910ELNS1_3gpuE8ELNS1_3repE0EEENS1_30default_config_static_selectorELNS0_4arch9wavefront6targetE1EEEvT1_,"axG",@progbits,_ZN7rocprim17ROCPRIM_400000_NS6detail17trampoline_kernelINS0_14default_configENS1_33run_length_encode_config_selectorImjNS0_4plusIjEEEEZZNS1_33reduce_by_key_impl_wrapped_configILNS1_25lookback_scan_determinismE0ES3_S7_PKmNS0_17constant_iteratorIjlEEPmPlSF_S6_NS0_8equal_toImEEEE10hipError_tPvRmT2_T3_mT4_T5_T6_T7_T8_P12ihipStream_tbENKUlT_T0_E_clISt17integral_constantIbLb0EESY_IbLb1EEEEDaSU_SV_EUlSU_E_NS1_11comp_targetILNS1_3genE4ELNS1_11target_archE910ELNS1_3gpuE8ELNS1_3repE0EEENS1_30default_config_static_selectorELNS0_4arch9wavefront6targetE1EEEvT1_,comdat
	.protected	_ZN7rocprim17ROCPRIM_400000_NS6detail17trampoline_kernelINS0_14default_configENS1_33run_length_encode_config_selectorImjNS0_4plusIjEEEEZZNS1_33reduce_by_key_impl_wrapped_configILNS1_25lookback_scan_determinismE0ES3_S7_PKmNS0_17constant_iteratorIjlEEPmPlSF_S6_NS0_8equal_toImEEEE10hipError_tPvRmT2_T3_mT4_T5_T6_T7_T8_P12ihipStream_tbENKUlT_T0_E_clISt17integral_constantIbLb0EESY_IbLb1EEEEDaSU_SV_EUlSU_E_NS1_11comp_targetILNS1_3genE4ELNS1_11target_archE910ELNS1_3gpuE8ELNS1_3repE0EEENS1_30default_config_static_selectorELNS0_4arch9wavefront6targetE1EEEvT1_ ; -- Begin function _ZN7rocprim17ROCPRIM_400000_NS6detail17trampoline_kernelINS0_14default_configENS1_33run_length_encode_config_selectorImjNS0_4plusIjEEEEZZNS1_33reduce_by_key_impl_wrapped_configILNS1_25lookback_scan_determinismE0ES3_S7_PKmNS0_17constant_iteratorIjlEEPmPlSF_S6_NS0_8equal_toImEEEE10hipError_tPvRmT2_T3_mT4_T5_T6_T7_T8_P12ihipStream_tbENKUlT_T0_E_clISt17integral_constantIbLb0EESY_IbLb1EEEEDaSU_SV_EUlSU_E_NS1_11comp_targetILNS1_3genE4ELNS1_11target_archE910ELNS1_3gpuE8ELNS1_3repE0EEENS1_30default_config_static_selectorELNS0_4arch9wavefront6targetE1EEEvT1_
	.globl	_ZN7rocprim17ROCPRIM_400000_NS6detail17trampoline_kernelINS0_14default_configENS1_33run_length_encode_config_selectorImjNS0_4plusIjEEEEZZNS1_33reduce_by_key_impl_wrapped_configILNS1_25lookback_scan_determinismE0ES3_S7_PKmNS0_17constant_iteratorIjlEEPmPlSF_S6_NS0_8equal_toImEEEE10hipError_tPvRmT2_T3_mT4_T5_T6_T7_T8_P12ihipStream_tbENKUlT_T0_E_clISt17integral_constantIbLb0EESY_IbLb1EEEEDaSU_SV_EUlSU_E_NS1_11comp_targetILNS1_3genE4ELNS1_11target_archE910ELNS1_3gpuE8ELNS1_3repE0EEENS1_30default_config_static_selectorELNS0_4arch9wavefront6targetE1EEEvT1_
	.p2align	8
	.type	_ZN7rocprim17ROCPRIM_400000_NS6detail17trampoline_kernelINS0_14default_configENS1_33run_length_encode_config_selectorImjNS0_4plusIjEEEEZZNS1_33reduce_by_key_impl_wrapped_configILNS1_25lookback_scan_determinismE0ES3_S7_PKmNS0_17constant_iteratorIjlEEPmPlSF_S6_NS0_8equal_toImEEEE10hipError_tPvRmT2_T3_mT4_T5_T6_T7_T8_P12ihipStream_tbENKUlT_T0_E_clISt17integral_constantIbLb0EESY_IbLb1EEEEDaSU_SV_EUlSU_E_NS1_11comp_targetILNS1_3genE4ELNS1_11target_archE910ELNS1_3gpuE8ELNS1_3repE0EEENS1_30default_config_static_selectorELNS0_4arch9wavefront6targetE1EEEvT1_,@function
_ZN7rocprim17ROCPRIM_400000_NS6detail17trampoline_kernelINS0_14default_configENS1_33run_length_encode_config_selectorImjNS0_4plusIjEEEEZZNS1_33reduce_by_key_impl_wrapped_configILNS1_25lookback_scan_determinismE0ES3_S7_PKmNS0_17constant_iteratorIjlEEPmPlSF_S6_NS0_8equal_toImEEEE10hipError_tPvRmT2_T3_mT4_T5_T6_T7_T8_P12ihipStream_tbENKUlT_T0_E_clISt17integral_constantIbLb0EESY_IbLb1EEEEDaSU_SV_EUlSU_E_NS1_11comp_targetILNS1_3genE4ELNS1_11target_archE910ELNS1_3gpuE8ELNS1_3repE0EEENS1_30default_config_static_selectorELNS0_4arch9wavefront6targetE1EEEvT1_: ; @_ZN7rocprim17ROCPRIM_400000_NS6detail17trampoline_kernelINS0_14default_configENS1_33run_length_encode_config_selectorImjNS0_4plusIjEEEEZZNS1_33reduce_by_key_impl_wrapped_configILNS1_25lookback_scan_determinismE0ES3_S7_PKmNS0_17constant_iteratorIjlEEPmPlSF_S6_NS0_8equal_toImEEEE10hipError_tPvRmT2_T3_mT4_T5_T6_T7_T8_P12ihipStream_tbENKUlT_T0_E_clISt17integral_constantIbLb0EESY_IbLb1EEEEDaSU_SV_EUlSU_E_NS1_11comp_targetILNS1_3genE4ELNS1_11target_archE910ELNS1_3gpuE8ELNS1_3repE0EEENS1_30default_config_static_selectorELNS0_4arch9wavefront6targetE1EEEvT1_
; %bb.0:
	s_load_dword s12, s[4:5], 0x10
	s_load_dwordx4 s[36:39], s[4:5], 0x20
	s_load_dwordx2 s[34:35], s[4:5], 0x30
	s_load_dwordx2 s[40:41], s[4:5], 0x70
	s_load_dwordx4 s[20:23], s[4:5], 0x60
	s_load_dwordx8 s[24:31], s[4:5], 0x40
	v_cmp_ne_u32_e64 s[2:3], 0, v0
	v_cmp_eq_u32_e64 s[0:1], 0, v0
	s_and_saveexec_b64 s[6:7], s[0:1]
	s_cbranch_execz .LBB747_4
; %bb.1:
	s_mov_b64 s[10:11], exec
	v_mbcnt_lo_u32_b32 v1, s10, 0
	v_mbcnt_hi_u32_b32 v1, s11, v1
	v_cmp_eq_u32_e32 vcc, 0, v1
                                        ; implicit-def: $vgpr2
	s_and_saveexec_b64 s[8:9], vcc
	s_cbranch_execz .LBB747_3
; %bb.2:
	s_load_dwordx2 s[14:15], s[4:5], 0x78
	s_bcnt1_i32_b64 s10, s[10:11]
	v_mov_b32_e32 v2, 0
	v_mov_b32_e32 v3, s10
	s_waitcnt lgkmcnt(0)
	global_atomic_add v2, v2, v3, s[14:15] glc
.LBB747_3:
	s_or_b64 exec, exec, s[8:9]
	s_waitcnt vmcnt(0)
	v_readfirstlane_b32 s8, v2
	v_add_u32_e32 v1, s8, v1
	v_mov_b32_e32 v2, 0
	ds_write_b32 v2, v1
.LBB747_4:
	s_or_b64 exec, exec, s[6:7]
	s_load_dwordx4 s[4:7], s[4:5], 0x0
	v_mov_b32_e32 v3, 0
	s_waitcnt lgkmcnt(0)
	s_barrier
	ds_read_b32 v1, v3
	s_mul_i32 s8, s28, s27
	s_mul_hi_u32 s9, s28, s26
	s_add_i32 s8, s9, s8
	s_mul_i32 s9, s29, s26
	s_add_i32 s8, s8, s9
	s_lshl_b64 s[6:7], s[6:7], 3
	s_add_u32 s4, s4, s6
	s_mul_i32 s9, s28, s26
	s_addc_u32 s5, s5, s7
	s_waitcnt lgkmcnt(0)
	v_readfirstlane_b32 s48, v1
	s_add_u32 s42, s9, s48
	s_movk_i32 s6, 0xa00
	s_addc_u32 s43, s8, 0
	v_mul_lo_u32 v2, v1, s6
	s_add_u32 s6, s30, -1
	v_lshlrev_b64 v[2:3], 3, v[2:3]
	s_addc_u32 s7, s31, -1
	v_mov_b32_e32 v1, s5
	v_add_co_u32_e32 v30, vcc, s4, v2
	s_cmp_eq_u64 s[42:43], s[6:7]
	v_addc_co_u32_e32 v31, vcc, v1, v3, vcc
	s_cselect_b64 s[28:29], -1, 0
	s_cmp_lg_u64 s[42:43], s[6:7]
	s_mov_b64 s[8:9], -1
	s_cselect_b64 s[4:5], -1, 0
	s_mul_i32 s33, s6, 0xfffff600
	s_and_b64 vcc, exec, s[28:29]
	s_barrier
	s_cbranch_vccnz .LBB747_6
; %bb.5:
	v_lshlrev_b32_e32 v1, 3, v0
	v_add_co_u32_e32 v22, vcc, v30, v1
	v_addc_co_u32_e32 v23, vcc, 0, v31, vcc
	v_add_co_u32_e32 v2, vcc, 0x1000, v22
	v_readfirstlane_b32 s6, v30
	v_readfirstlane_b32 s7, v31
	v_addc_co_u32_e32 v3, vcc, 0, v23, vcc
	s_nop 3
	global_load_dwordx2 v[4:5], v1, s[6:7]
	global_load_dwordx2 v[6:7], v1, s[6:7] offset:2048
	global_load_dwordx2 v[8:9], v[2:3], off
	global_load_dwordx2 v[10:11], v[2:3], off offset:2048
	v_add_co_u32_e32 v2, vcc, 0x2000, v22
	v_addc_co_u32_e32 v3, vcc, 0, v23, vcc
	v_add_co_u32_e32 v12, vcc, 0x3000, v22
	v_addc_co_u32_e32 v13, vcc, 0, v23, vcc
	global_load_dwordx2 v[14:15], v[2:3], off
	global_load_dwordx2 v[16:17], v[2:3], off offset:2048
	global_load_dwordx2 v[18:19], v[12:13], off
	global_load_dwordx2 v[20:21], v[12:13], off offset:2048
	v_add_co_u32_e32 v2, vcc, 0x4000, v22
	v_addc_co_u32_e32 v3, vcc, 0, v23, vcc
	global_load_dwordx2 v[12:13], v[2:3], off
	global_load_dwordx2 v[22:23], v[2:3], off offset:2048
	s_movk_i32 s6, 0x48
	v_mad_u32_u24 v24, v0, s6, v1
	s_mov_b64 s[6:7], -1
	s_waitcnt vmcnt(8)
	ds_write2st64_b64 v1, v[4:5], v[6:7] offset1:4
	s_waitcnt vmcnt(6)
	ds_write2st64_b64 v1, v[8:9], v[10:11] offset0:8 offset1:12
	s_waitcnt vmcnt(4)
	ds_write2st64_b64 v1, v[14:15], v[16:17] offset0:16 offset1:20
	;; [unrolled: 2-line block ×4, first 2 shown]
	s_waitcnt lgkmcnt(0)
	s_barrier
	ds_read_b128 v[18:21], v24
	ds_read_b128 v[14:17], v24 offset:16
	ds_read_b128 v[10:13], v24 offset:32
	;; [unrolled: 1-line block ×4, first 2 shown]
	s_waitcnt lgkmcnt(4)
	v_mov_b32_e32 v26, v18
	v_mov_b32_e32 v27, v19
	s_waitcnt lgkmcnt(3)
	v_mov_b32_e32 v28, v14
	v_mov_b32_e32 v29, v15
	;; [unrolled: 3-line block ×4, first 2 shown]
	s_add_i32 s33, s33, s20
	s_cbranch_execz .LBB747_7
	s_branch .LBB747_28
.LBB747_6:
	s_mov_b64 s[6:7], 0
                                        ; implicit-def: $vgpr2_vgpr3
                                        ; implicit-def: $vgpr10_vgpr11
                                        ; implicit-def: $vgpr14_vgpr15
                                        ; implicit-def: $vgpr18_vgpr19
                                        ; implicit-def: $vgpr6_vgpr7
                                        ; implicit-def: $vgpr22_vgpr23_vgpr24_vgpr25
                                        ; implicit-def: $vgpr26_vgpr27_vgpr28_vgpr29
	s_add_i32 s33, s33, s20
	s_andn2_b64 vcc, exec, s[8:9]
	s_cbranch_vccnz .LBB747_28
.LBB747_7:
	v_cmp_gt_u32_e32 vcc, s33, v0
                                        ; implicit-def: $vgpr2_vgpr3
	s_and_saveexec_b64 s[6:7], vcc
	s_cbranch_execz .LBB747_9
; %bb.8:
	v_lshlrev_b32_e32 v1, 3, v0
	v_readfirstlane_b32 s8, v30
	v_readfirstlane_b32 s9, v31
	s_nop 4
	global_load_dwordx2 v[2:3], v1, s[8:9]
.LBB747_9:
	s_or_b64 exec, exec, s[6:7]
	v_or_b32_e32 v1, 0x100, v0
	v_cmp_gt_u32_e32 vcc, s33, v1
                                        ; implicit-def: $vgpr4_vgpr5
	s_and_saveexec_b64 s[6:7], vcc
	s_cbranch_execz .LBB747_11
; %bb.10:
	v_lshlrev_b32_e32 v1, 3, v0
	v_readfirstlane_b32 s8, v30
	v_readfirstlane_b32 s9, v31
	s_nop 4
	global_load_dwordx2 v[4:5], v1, s[8:9] offset:2048
.LBB747_11:
	s_or_b64 exec, exec, s[6:7]
	v_or_b32_e32 v1, 0x200, v0
	v_cmp_gt_u32_e32 vcc, s33, v1
                                        ; implicit-def: $vgpr6_vgpr7
	s_and_saveexec_b64 s[6:7], vcc
	s_cbranch_execz .LBB747_13
; %bb.12:
	v_lshlrev_b32_e32 v1, 3, v1
	v_readfirstlane_b32 s8, v30
	v_readfirstlane_b32 s9, v31
	s_waitcnt lgkmcnt(0)
	s_nop 3
	global_load_dwordx2 v[6:7], v1, s[8:9]
.LBB747_13:
	s_or_b64 exec, exec, s[6:7]
	v_or_b32_e32 v1, 0x300, v0
	v_cmp_gt_u32_e32 vcc, s33, v1
                                        ; implicit-def: $vgpr8_vgpr9
	s_and_saveexec_b64 s[6:7], vcc
	s_cbranch_execz .LBB747_15
; %bb.14:
	v_lshlrev_b32_e32 v1, 3, v1
	v_readfirstlane_b32 s8, v30
	v_readfirstlane_b32 s9, v31
	s_waitcnt lgkmcnt(0)
	s_nop 3
	global_load_dwordx2 v[8:9], v1, s[8:9]
.LBB747_15:
	s_or_b64 exec, exec, s[6:7]
	v_or_b32_e32 v1, 0x400, v0
	v_cmp_gt_u32_e32 vcc, s33, v1
                                        ; implicit-def: $vgpr10_vgpr11
	s_and_saveexec_b64 s[6:7], vcc
	s_cbranch_execz .LBB747_17
; %bb.16:
	v_lshlrev_b32_e32 v1, 3, v1
	v_readfirstlane_b32 s8, v30
	v_readfirstlane_b32 s9, v31
	s_nop 4
	global_load_dwordx2 v[10:11], v1, s[8:9]
.LBB747_17:
	s_or_b64 exec, exec, s[6:7]
	v_or_b32_e32 v1, 0x500, v0
	v_cmp_gt_u32_e32 vcc, s33, v1
                                        ; implicit-def: $vgpr12_vgpr13
	s_and_saveexec_b64 s[6:7], vcc
	s_cbranch_execz .LBB747_19
; %bb.18:
	v_lshlrev_b32_e32 v1, 3, v1
	v_readfirstlane_b32 s8, v30
	v_readfirstlane_b32 s9, v31
	s_nop 4
	global_load_dwordx2 v[12:13], v1, s[8:9]
.LBB747_19:
	s_or_b64 exec, exec, s[6:7]
	v_or_b32_e32 v1, 0x600, v0
	v_cmp_gt_u32_e32 vcc, s33, v1
                                        ; implicit-def: $vgpr14_vgpr15
	s_and_saveexec_b64 s[6:7], vcc
	s_cbranch_execz .LBB747_21
; %bb.20:
	v_lshlrev_b32_e32 v1, 3, v1
	v_readfirstlane_b32 s8, v30
	v_readfirstlane_b32 s9, v31
	s_nop 4
	global_load_dwordx2 v[14:15], v1, s[8:9]
.LBB747_21:
	s_or_b64 exec, exec, s[6:7]
	v_or_b32_e32 v1, 0x700, v0
	v_cmp_gt_u32_e32 vcc, s33, v1
                                        ; implicit-def: $vgpr16_vgpr17
	s_and_saveexec_b64 s[6:7], vcc
	s_cbranch_execz .LBB747_23
; %bb.22:
	v_lshlrev_b32_e32 v1, 3, v1
	v_readfirstlane_b32 s8, v30
	v_readfirstlane_b32 s9, v31
	s_nop 4
	global_load_dwordx2 v[16:17], v1, s[8:9]
.LBB747_23:
	s_or_b64 exec, exec, s[6:7]
	v_or_b32_e32 v1, 0x800, v0
	v_cmp_gt_u32_e32 vcc, s33, v1
                                        ; implicit-def: $vgpr18_vgpr19
	s_and_saveexec_b64 s[6:7], vcc
	s_cbranch_execz .LBB747_25
; %bb.24:
	v_lshlrev_b32_e32 v1, 3, v1
	v_readfirstlane_b32 s8, v30
	v_readfirstlane_b32 s9, v31
	s_nop 4
	global_load_dwordx2 v[18:19], v1, s[8:9]
.LBB747_25:
	s_or_b64 exec, exec, s[6:7]
	v_or_b32_e32 v1, 0x900, v0
	v_cmp_gt_u32_e32 vcc, s33, v1
                                        ; implicit-def: $vgpr20_vgpr21
	s_and_saveexec_b64 s[6:7], vcc
	s_cbranch_execz .LBB747_27
; %bb.26:
	v_lshlrev_b32_e32 v1, 3, v1
	v_readfirstlane_b32 s8, v30
	v_readfirstlane_b32 s9, v31
	s_nop 4
	global_load_dwordx2 v[20:21], v1, s[8:9]
.LBB747_27:
	s_or_b64 exec, exec, s[6:7]
	v_lshlrev_b32_e32 v1, 3, v0
	s_movk_i32 s6, 0x48
	s_waitcnt vmcnt(0)
	ds_write2st64_b64 v1, v[2:3], v[4:5] offset1:4
	s_waitcnt lgkmcnt(1)
	ds_write2st64_b64 v1, v[6:7], v[8:9] offset0:8 offset1:12
	ds_write2st64_b64 v1, v[10:11], v[12:13] offset0:16 offset1:20
	;; [unrolled: 1-line block ×4, first 2 shown]
	v_mad_u32_u24 v1, v0, s6, v1
	s_waitcnt lgkmcnt(0)
	s_barrier
	ds_read_b128 v[18:21], v1
	ds_read_b128 v[14:17], v1 offset:16
	ds_read_b128 v[10:13], v1 offset:32
	;; [unrolled: 1-line block ×4, first 2 shown]
	v_mad_u32_u24 v1, v0, 10, 9
	v_cmp_gt_u32_e64 s[6:7], s33, v1
	s_waitcnt lgkmcnt(4)
	v_mov_b32_e32 v26, v18
	v_mov_b32_e32 v27, v19
	s_waitcnt lgkmcnt(3)
	v_mov_b32_e32 v28, v14
	v_mov_b32_e32 v29, v15
	;; [unrolled: 3-line block ×4, first 2 shown]
.LBB747_28:
	v_mov_b32_e32 v48, s12
                                        ; implicit-def: $vgpr49
	s_and_saveexec_b64 s[8:9], s[6:7]
; %bb.29:
	v_mov_b32_e32 v49, s12
; %bb.30:
	s_or_b64 exec, exec, s[8:9]
	s_cmp_eq_u64 s[42:43], 0
	s_cselect_b64 s[30:31], -1, 0
	s_cmp_lg_u64 s[42:43], 0
	s_mov_b64 s[44:45], 0
	s_cselect_b64 s[46:47], -1, 0
	s_and_b64 vcc, exec, s[4:5]
	s_waitcnt lgkmcnt(0)
	s_barrier
	s_cbranch_vccz .LBB747_36
; %bb.31:
	s_and_b64 vcc, exec, s[46:47]
	s_cbranch_vccz .LBB747_37
; %bb.32:
	global_load_dwordx2 v[32:33], v[30:31], off offset:-8
	v_lshlrev_b32_e32 v1, 3, v0
	v_cmp_ne_u64_e32 vcc, v[6:7], v[8:9]
	v_cmp_ne_u64_e64 s[4:5], v[4:5], v[6:7]
	v_cmp_ne_u64_e64 s[6:7], v[2:3], v[4:5]
	;; [unrolled: 1-line block ×8, first 2 shown]
	ds_write_b64 v1, v[8:9]
	s_waitcnt lgkmcnt(0)
	s_barrier
	s_and_saveexec_b64 s[44:45], s[2:3]
	s_cbranch_execz .LBB747_34
; %bb.33:
	v_add_u32_e32 v1, -8, v1
	s_waitcnt vmcnt(0)
	ds_read_b64 v[32:33], v1
.LBB747_34:
	s_or_b64 exec, exec, s[44:45]
	v_cndmask_b32_e64 v1, 0, 1, vcc
	v_cndmask_b32_e64 v54, 0, 1, s[4:5]
	v_cndmask_b32_e64 v55, 0, 1, s[6:7]
	;; [unrolled: 1-line block ×8, first 2 shown]
	s_waitcnt vmcnt(0) lgkmcnt(0)
	v_cmp_ne_u64_e64 s[4:5], v[32:33], v[18:19]
	s_mov_b64 s[44:45], -1
.LBB747_35:
                                        ; implicit-def: $sgpr8
	s_branch .LBB747_49
.LBB747_36:
                                        ; implicit-def: $sgpr4_sgpr5
                                        ; implicit-def: $vgpr1
                                        ; implicit-def: $vgpr54
                                        ; implicit-def: $vgpr55
                                        ; implicit-def: $vgpr56
                                        ; implicit-def: $vgpr57
                                        ; implicit-def: $vgpr58
                                        ; implicit-def: $vgpr59
                                        ; implicit-def: $vgpr60
                                        ; implicit-def: $vgpr61
                                        ; implicit-def: $sgpr8
	s_cbranch_execnz .LBB747_41
	s_branch .LBB747_49
.LBB747_37:
                                        ; implicit-def: $sgpr4_sgpr5
                                        ; implicit-def: $vgpr1
                                        ; implicit-def: $vgpr54
                                        ; implicit-def: $vgpr55
                                        ; implicit-def: $vgpr56
                                        ; implicit-def: $vgpr57
                                        ; implicit-def: $vgpr58
                                        ; implicit-def: $vgpr59
                                        ; implicit-def: $vgpr60
                                        ; implicit-def: $vgpr61
	s_cbranch_execz .LBB747_35
; %bb.38:
	v_cmp_ne_u64_e32 vcc, v[6:7], v[8:9]
	v_cndmask_b32_e64 v1, 0, 1, vcc
	v_cmp_ne_u64_e32 vcc, v[20:21], v[26:27]
	v_cndmask_b32_e64 v61, 0, 1, vcc
	;; [unrolled: 2-line block ×8, first 2 shown]
	v_cmp_ne_u64_e32 vcc, v[6:7], v[4:5]
	v_lshlrev_b32_e32 v32, 3, v0
	v_cndmask_b32_e64 v54, 0, 1, vcc
	ds_write_b64 v32, v[8:9]
	s_waitcnt lgkmcnt(0)
	s_barrier
	s_waitcnt lgkmcnt(0)
                                        ; implicit-def: $sgpr4_sgpr5
	s_and_saveexec_b64 s[6:7], s[2:3]
	s_xor_b64 s[6:7], exec, s[6:7]
	s_cbranch_execz .LBB747_40
; %bb.39:
	v_add_u32_e32 v22, -8, v32
	ds_read_b64 v[22:23], v22
	s_or_b64 s[44:45], s[44:45], exec
	s_waitcnt lgkmcnt(0)
	v_cmp_ne_u64_e32 vcc, v[22:23], v[18:19]
	s_and_b64 s[4:5], vcc, exec
.LBB747_40:
	s_or_b64 exec, exec, s[6:7]
	s_mov_b32 s8, 1
	s_branch .LBB747_49
.LBB747_41:
	s_mul_hi_u32 s5, s42, 0xfffff600
	s_mul_i32 s4, s43, 0xfffff600
	s_sub_i32 s5, s5, s42
	s_add_i32 s5, s5, s4
	s_mul_i32 s4, s42, 0xfffff600
	s_add_u32 s42, s4, s20
	s_addc_u32 s43, s5, s21
	s_and_b64 vcc, exec, s[46:47]
	v_cmp_ne_u64_e64 s[20:21], v[6:7], v[8:9]
	v_cmp_ne_u64_e64 s[18:19], v[4:5], v[6:7]
	v_cmp_ne_u64_e64 s[16:17], v[2:3], v[4:5]
	v_cmp_ne_u64_e64 s[14:15], v[12:13], v[2:3]
	v_cmp_ne_u64_e64 s[12:13], v[10:11], v[12:13]
	v_cmp_ne_u64_e64 s[10:11], v[16:17], v[10:11]
	v_cmp_ne_u64_e64 s[8:9], v[14:15], v[16:17]
	v_cmp_ne_u64_e64 s[6:7], v[20:21], v[14:15]
	v_cmp_ne_u64_e64 s[4:5], v[18:19], v[20:21]
	v_mul_u32_u24_e32 v22, 10, v0
	v_mad_u32_u24 v24, v0, 10, 9
	v_mad_u32_u24 v40, v0, 10, 8
	v_mad_u32_u24 v38, v0, 10, 7
	v_mad_u32_u24 v36, v0, 10, 6
	v_mad_u32_u24 v34, v0, 10, 5
	v_mad_u32_u24 v32, v0, 10, 4
	v_mad_u32_u24 v28, v0, 10, 3
	v_mad_u32_u24 v26, v0, 10, 2
	s_cbranch_vccz .LBB747_46
; %bb.42:
	global_load_dwordx2 v[30:31], v[30:31], off offset:-8
	v_mov_b32_e32 v25, 0
	v_cmp_gt_u64_e32 vcc, s[42:43], v[24:25]
	v_mov_b32_e32 v41, v25
	s_and_b64 s[20:21], vcc, s[20:21]
	v_cmp_gt_u64_e32 vcc, s[42:43], v[40:41]
	v_mov_b32_e32 v39, v25
	s_and_b64 s[18:19], vcc, s[18:19]
	;; [unrolled: 3-line block ×7, first 2 shown]
	v_cmp_gt_u64_e32 vcc, s[42:43], v[26:27]
	v_or_b32_e32 v42, 1, v22
	v_mov_b32_e32 v43, v25
	s_and_b64 s[6:7], vcc, s[6:7]
	v_cmp_gt_u64_e32 vcc, s[42:43], v[42:43]
	v_lshlrev_b32_e32 v1, 3, v0
	s_and_b64 s[4:5], vcc, s[4:5]
	ds_write_b64 v1, v[8:9]
	s_waitcnt lgkmcnt(0)
	s_barrier
	s_and_saveexec_b64 s[44:45], s[2:3]
	s_cbranch_execz .LBB747_44
; %bb.43:
	v_add_u32_e32 v1, -8, v1
	s_waitcnt vmcnt(0)
	ds_read_b64 v[30:31], v1
.LBB747_44:
	s_or_b64 exec, exec, s[44:45]
	v_mov_b32_e32 v23, v25
	v_cndmask_b32_e64 v61, 0, 1, s[4:5]
	v_cmp_gt_u64_e32 vcc, s[42:43], v[22:23]
	s_waitcnt vmcnt(0) lgkmcnt(0)
	v_cmp_ne_u64_e64 s[4:5], v[30:31], v[18:19]
	v_cndmask_b32_e64 v1, 0, 1, s[20:21]
	v_cndmask_b32_e64 v54, 0, 1, s[18:19]
	;; [unrolled: 1-line block ×8, first 2 shown]
	s_and_b64 s[4:5], vcc, s[4:5]
	s_mov_b64 s[44:45], -1
.LBB747_45:
                                        ; implicit-def: $sgpr8
	v_mov_b32_e32 v62, s8
	s_and_saveexec_b64 s[2:3], s[44:45]
	s_cbranch_execnz .LBB747_50
	s_branch .LBB747_51
.LBB747_46:
                                        ; implicit-def: $sgpr4_sgpr5
                                        ; implicit-def: $vgpr1
                                        ; implicit-def: $vgpr54
                                        ; implicit-def: $vgpr55
                                        ; implicit-def: $vgpr56
                                        ; implicit-def: $vgpr57
                                        ; implicit-def: $vgpr58
                                        ; implicit-def: $vgpr59
                                        ; implicit-def: $vgpr60
                                        ; implicit-def: $vgpr61
	s_cbranch_execz .LBB747_45
; %bb.47:
	v_mov_b32_e32 v25, 0
	v_cmp_gt_u64_e32 vcc, s[42:43], v[24:25]
	v_cmp_ne_u64_e64 s[4:5], v[6:7], v[8:9]
	s_and_b64 s[4:5], vcc, s[4:5]
	v_mov_b32_e32 v41, v25
	v_cndmask_b32_e64 v1, 0, 1, s[4:5]
	v_cmp_gt_u64_e32 vcc, s[42:43], v[40:41]
	v_cmp_ne_u64_e64 s[4:5], v[4:5], v[6:7]
	s_and_b64 s[4:5], vcc, s[4:5]
	v_mov_b32_e32 v39, v25
	v_cndmask_b32_e64 v54, 0, 1, s[4:5]
	;; [unrolled: 5-line block ×7, first 2 shown]
	v_cmp_gt_u64_e32 vcc, s[42:43], v[26:27]
	v_cmp_ne_u64_e64 s[4:5], v[20:21], v[14:15]
	s_and_b64 s[4:5], vcc, s[4:5]
	v_or_b32_e32 v24, 1, v22
	v_cndmask_b32_e64 v60, 0, 1, s[4:5]
	v_cmp_gt_u64_e32 vcc, s[42:43], v[24:25]
	v_cmp_ne_u64_e64 s[4:5], v[18:19], v[20:21]
	s_and_b64 s[4:5], vcc, s[4:5]
	v_lshlrev_b32_e32 v23, 3, v0
	s_mov_b32 s8, 1
	v_cndmask_b32_e64 v61, 0, 1, s[4:5]
	ds_write_b64 v23, v[8:9]
	s_waitcnt lgkmcnt(0)
	s_barrier
	s_waitcnt lgkmcnt(0)
                                        ; implicit-def: $sgpr4_sgpr5
	s_and_saveexec_b64 s[6:7], s[2:3]
	s_cbranch_execz .LBB747_130
; %bb.48:
	v_add_u32_e32 v23, -8, v23
	ds_read_b64 v[26:27], v23
	v_mov_b32_e32 v23, v25
	v_cmp_gt_u64_e32 vcc, s[42:43], v[22:23]
	s_or_b64 s[44:45], s[44:45], exec
	s_waitcnt lgkmcnt(0)
	v_cmp_ne_u64_e64 s[2:3], v[26:27], v[18:19]
	s_and_b64 s[2:3], vcc, s[2:3]
	s_and_b64 s[4:5], s[2:3], exec
	s_or_b64 exec, exec, s[6:7]
.LBB747_49:
	v_mov_b32_e32 v62, s8
	s_and_saveexec_b64 s[2:3], s[44:45]
.LBB747_50:
	v_cndmask_b32_e64 v62, 0, 1, s[4:5]
.LBB747_51:
	s_or_b64 exec, exec, s[2:3]
	s_cmp_eq_u64 s[26:27], 0
	v_add_u32_e32 v22, v61, v62
	s_cselect_b64 s[26:27], -1, 0
	s_cmp_lg_u32 s48, 0
	v_cmp_eq_u32_e64 s[16:17], 0, v61
	v_cmp_eq_u32_e64 s[14:15], 0, v60
	v_add3_u32 v53, v22, v60, v59
	v_cmp_eq_u32_e64 s[12:13], 0, v59
	v_cmp_eq_u32_e64 s[10:11], 0, v58
	v_cmp_eq_u32_e64 s[8:9], 0, v57
	v_cmp_eq_u32_e64 s[6:7], 0, v56
	v_cmp_eq_u32_e64 s[4:5], 0, v55
	v_cmp_eq_u32_e64 s[2:3], 0, v54
	v_cmp_eq_u32_e32 vcc, 0, v1
	v_mbcnt_lo_u32_b32 v52, -1, 0
	v_lshrrev_b32_e32 v50, 6, v0
	v_or_b32_e32 v51, 63, v0
	s_cbranch_scc0 .LBB747_78
; %bb.52:
	v_cndmask_b32_e64 v22, 0, v48, s[16:17]
	v_add_u32_e32 v22, v22, v48
	v_cndmask_b32_e64 v22, 0, v22, s[14:15]
	v_add_u32_e32 v22, v22, v48
	;; [unrolled: 2-line block ×7, first 2 shown]
	v_cndmask_b32_e64 v22, 0, v22, s[2:3]
	v_add3_u32 v23, v53, v58, v57
	v_add_u32_e32 v22, v22, v48
	v_add3_u32 v23, v23, v56, v55
	v_cndmask_b32_e32 v22, 0, v22, vcc
	v_add3_u32 v23, v23, v54, v1
	v_add_u32_e32 v22, v22, v49
	v_mbcnt_hi_u32_b32 v31, -1, v52
	v_and_b32_e32 v24, 15, v31
	v_mov_b32_dpp v26, v22 row_shr:1 row_mask:0xf bank_mask:0xf
	v_cmp_eq_u32_e32 vcc, 0, v23
	v_mov_b32_dpp v25, v23 row_shr:1 row_mask:0xf bank_mask:0xf
	v_cndmask_b32_e32 v26, 0, v26, vcc
	v_cmp_eq_u32_e32 vcc, 0, v24
	v_cndmask_b32_e64 v25, v25, 0, vcc
	v_add_u32_e32 v23, v25, v23
	v_cndmask_b32_e64 v25, v26, 0, vcc
	v_add_u32_e32 v22, v25, v22
	v_cmp_eq_u32_e32 vcc, 0, v23
	v_mov_b32_dpp v25, v23 row_shr:2 row_mask:0xf bank_mask:0xf
	v_cmp_lt_u32_e64 s[18:19], 1, v24
	v_mov_b32_dpp v26, v22 row_shr:2 row_mask:0xf bank_mask:0xf
	v_cndmask_b32_e64 v25, 0, v25, s[18:19]
	s_and_b64 vcc, s[18:19], vcc
	v_cndmask_b32_e32 v26, 0, v26, vcc
	v_add_u32_e32 v23, v23, v25
	v_add_u32_e32 v22, v26, v22
	v_cmp_eq_u32_e32 vcc, 0, v23
	v_mov_b32_dpp v25, v23 row_shr:4 row_mask:0xf bank_mask:0xf
	v_cmp_lt_u32_e64 s[18:19], 3, v24
	v_mov_b32_dpp v26, v22 row_shr:4 row_mask:0xf bank_mask:0xf
	v_cndmask_b32_e64 v25, 0, v25, s[18:19]
	s_and_b64 vcc, s[18:19], vcc
	v_cndmask_b32_e32 v26, 0, v26, vcc
	v_add_u32_e32 v23, v25, v23
	v_add_u32_e32 v22, v22, v26
	v_cmp_eq_u32_e32 vcc, 0, v23
	v_cmp_lt_u32_e64 s[18:19], 7, v24
	v_mov_b32_dpp v25, v23 row_shr:8 row_mask:0xf bank_mask:0xf
	v_mov_b32_dpp v26, v22 row_shr:8 row_mask:0xf bank_mask:0xf
	s_and_b64 vcc, s[18:19], vcc
	v_cndmask_b32_e64 v24, 0, v25, s[18:19]
	v_cndmask_b32_e32 v25, 0, v26, vcc
	v_add_u32_e32 v22, v25, v22
	v_add_u32_e32 v23, v24, v23
	v_bfe_i32 v26, v31, 4, 1
	v_mov_b32_dpp v25, v22 row_bcast:15 row_mask:0xf bank_mask:0xf
	v_mov_b32_dpp v24, v23 row_bcast:15 row_mask:0xf bank_mask:0xf
	v_cmp_eq_u32_e32 vcc, 0, v23
	v_cndmask_b32_e32 v25, 0, v25, vcc
	v_and_b32_e32 v24, v26, v24
	v_add_u32_e32 v23, v24, v23
	v_and_b32_e32 v24, v26, v25
	v_add_u32_e32 v24, v24, v22
	v_mov_b32_dpp v22, v23 row_bcast:31 row_mask:0xf bank_mask:0xf
	v_cmp_eq_u32_e32 vcc, 0, v23
	v_cmp_lt_u32_e64 s[18:19], 31, v31
	v_mov_b32_dpp v25, v24 row_bcast:31 row_mask:0xf bank_mask:0xf
	v_cndmask_b32_e64 v22, 0, v22, s[18:19]
	s_and_b64 vcc, s[18:19], vcc
	v_add_u32_e32 v22, v22, v23
	v_cndmask_b32_e32 v23, 0, v25, vcc
	v_add_u32_e32 v23, v23, v24
	v_cmp_eq_u32_e32 vcc, v51, v0
	v_lshlrev_b32_e32 v24, 3, v50
	s_and_saveexec_b64 s[18:19], vcc
	s_cbranch_execz .LBB747_54
; %bb.53:
	ds_write_b64 v24, v[22:23] offset:4112
.LBB747_54:
	s_or_b64 exec, exec, s[18:19]
	v_cmp_gt_u32_e32 vcc, 4, v0
	s_waitcnt lgkmcnt(0)
	s_barrier
	s_and_saveexec_b64 s[20:21], vcc
	s_cbranch_execz .LBB747_56
; %bb.55:
	v_lshlrev_b32_e32 v25, 3, v0
	ds_read_b64 v[26:27], v25 offset:4112
	v_and_b32_e32 v28, 3, v31
	v_cmp_lt_u32_e64 s[18:19], 1, v28
	s_waitcnt lgkmcnt(0)
	v_mov_b32_dpp v30, v27 row_shr:1 row_mask:0xf bank_mask:0xf
	v_cmp_eq_u32_e32 vcc, 0, v26
	v_mov_b32_dpp v29, v26 row_shr:1 row_mask:0xf bank_mask:0xf
	v_cndmask_b32_e32 v30, 0, v30, vcc
	v_cmp_eq_u32_e32 vcc, 0, v28
	v_cndmask_b32_e64 v29, v29, 0, vcc
	v_add_u32_e32 v26, v29, v26
	v_cndmask_b32_e64 v29, v30, 0, vcc
	v_add_u32_e32 v27, v29, v27
	v_cmp_eq_u32_e32 vcc, 0, v26
	v_mov_b32_dpp v29, v26 row_shr:2 row_mask:0xf bank_mask:0xf
	v_mov_b32_dpp v30, v27 row_shr:2 row_mask:0xf bank_mask:0xf
	v_cndmask_b32_e64 v28, 0, v29, s[18:19]
	s_and_b64 vcc, s[18:19], vcc
	v_add_u32_e32 v26, v28, v26
	v_cndmask_b32_e32 v28, 0, v30, vcc
	v_add_u32_e32 v27, v28, v27
	ds_write_b64 v25, v[26:27] offset:4112
.LBB747_56:
	s_or_b64 exec, exec, s[20:21]
	v_cmp_gt_u32_e32 vcc, 64, v0
	v_cmp_lt_u32_e64 s[18:19], 63, v0
	v_mov_b32_e32 v28, 0
	v_mov_b32_e32 v29, 0
	s_waitcnt lgkmcnt(0)
	s_barrier
	s_and_saveexec_b64 s[20:21], s[18:19]
	s_cbranch_execz .LBB747_58
; %bb.57:
	ds_read_b64 v[28:29], v24 offset:4104
	v_cmp_eq_u32_e64 s[18:19], 0, v22
	s_waitcnt lgkmcnt(0)
	v_add_u32_e32 v24, v28, v22
	v_cndmask_b32_e64 v22, 0, v29, s[18:19]
	v_add_u32_e32 v23, v22, v23
	v_mov_b32_e32 v22, v24
.LBB747_58:
	s_or_b64 exec, exec, s[20:21]
	v_add_u32_e32 v24, -1, v31
	v_and_b32_e32 v25, 64, v31
	v_cmp_lt_i32_e64 s[18:19], v24, v25
	v_cndmask_b32_e64 v24, v24, v31, s[18:19]
	v_lshlrev_b32_e32 v24, 2, v24
	ds_bpermute_b32 v36, v24, v22
	ds_bpermute_b32 v37, v24, v23
	v_cmp_eq_u32_e64 s[18:19], 0, v31
	s_and_saveexec_b64 s[42:43], vcc
	s_cbranch_execz .LBB747_77
; %bb.59:
	v_mov_b32_e32 v27, 0
	ds_read_b64 v[22:23], v27 offset:4136
	s_waitcnt lgkmcnt(0)
	v_readfirstlane_b32 s46, v22
	v_readfirstlane_b32 s47, v23
	s_and_saveexec_b64 s[20:21], s[18:19]
	s_cbranch_execz .LBB747_61
; %bb.60:
	s_add_i32 s44, s48, 64
	s_mov_b32 s45, 0
	s_lshl_b64 s[50:51], s[44:45], 4
	s_add_u32 s50, s24, s50
	s_addc_u32 s51, s25, s51
	s_and_b32 s53, s47, 0xff000000
	s_mov_b32 s52, s45
	s_and_b32 s55, s47, 0xff0000
	s_mov_b32 s54, s45
	s_or_b64 s[52:53], s[54:55], s[52:53]
	s_and_b32 s55, s47, 0xff00
	s_or_b64 s[52:53], s[52:53], s[54:55]
	s_and_b32 s55, s47, 0xff
	s_or_b64 s[44:45], s[52:53], s[54:55]
	v_mov_b32_e32 v24, s46
	v_mov_b32_e32 v25, s45
	;; [unrolled: 1-line block ×3, first 2 shown]
	v_pk_mov_b32 v[22:23], s[50:51], s[50:51] op_sel:[0,1]
	;;#ASMSTART
	global_store_dwordx4 v[22:23], v[24:27] off	
s_waitcnt vmcnt(0)
	;;#ASMEND
.LBB747_61:
	s_or_b64 exec, exec, s[20:21]
	v_xad_u32 v30, v31, -1, s48
	v_add_u32_e32 v26, 64, v30
	v_lshlrev_b64 v[22:23], 4, v[26:27]
	v_mov_b32_e32 v24, s25
	v_add_co_u32_e32 v32, vcc, s24, v22
	v_addc_co_u32_e32 v33, vcc, v24, v23, vcc
	;;#ASMSTART
	global_load_dwordx4 v[22:25], v[32:33] off glc	
s_waitcnt vmcnt(0)
	;;#ASMEND
	v_and_b32_e32 v25, 0xff, v23
	v_and_b32_e32 v26, 0xff00, v23
	v_or3_b32 v25, 0, v25, v26
	v_or3_b32 v22, v22, 0, 0
	v_and_b32_e32 v26, 0xff000000, v23
	v_and_b32_e32 v23, 0xff0000, v23
	v_or3_b32 v23, v25, v23, v26
	v_or3_b32 v22, v22, 0, 0
	v_cmp_eq_u16_sdwa s[44:45], v24, v27 src0_sel:BYTE_0 src1_sel:DWORD
	s_and_saveexec_b64 s[20:21], s[44:45]
	s_cbranch_execz .LBB747_65
; %bb.62:
	s_mov_b64 s[44:45], 0
	v_mov_b32_e32 v26, 0
.LBB747_63:                             ; =>This Inner Loop Header: Depth=1
	;;#ASMSTART
	global_load_dwordx4 v[22:25], v[32:33] off glc	
s_waitcnt vmcnt(0)
	;;#ASMEND
	v_cmp_ne_u16_sdwa s[50:51], v24, v26 src0_sel:BYTE_0 src1_sel:DWORD
	s_or_b64 s[44:45], s[50:51], s[44:45]
	s_andn2_b64 exec, exec, s[44:45]
	s_cbranch_execnz .LBB747_63
; %bb.64:
	s_or_b64 exec, exec, s[44:45]
.LBB747_65:
	s_or_b64 exec, exec, s[20:21]
	v_mov_b32_e32 v38, 2
	v_cmp_eq_u16_sdwa s[20:21], v24, v38 src0_sel:BYTE_0 src1_sel:DWORD
	v_lshlrev_b64 v[32:33], v31, -1
	v_and_b32_e32 v25, s21, v33
	v_and_b32_e32 v39, 63, v31
	v_or_b32_e32 v25, 0x80000000, v25
	v_cmp_ne_u32_e32 vcc, 63, v39
	v_and_b32_e32 v26, s20, v32
	v_ffbl_b32_e32 v25, v25
	v_addc_co_u32_e32 v27, vcc, 0, v31, vcc
	v_add_u32_e32 v25, 32, v25
	v_ffbl_b32_e32 v26, v26
	v_lshlrev_b32_e32 v40, 2, v27
	v_min_u32_e32 v25, v26, v25
	ds_bpermute_b32 v26, v40, v23
	v_cmp_eq_u32_e32 vcc, 0, v22
	v_cmp_lt_u32_e64 s[20:21], v39, v25
	ds_bpermute_b32 v27, v40, v22
	s_and_b64 vcc, s[20:21], vcc
	s_waitcnt lgkmcnt(1)
	v_cndmask_b32_e32 v26, 0, v26, vcc
	v_cmp_gt_u32_e32 vcc, 62, v39
	v_add_u32_e32 v23, v26, v23
	v_cndmask_b32_e64 v26, 0, 1, vcc
	v_lshlrev_b32_e32 v26, 1, v26
	v_add_lshl_u32 v41, v26, v31, 2
	s_waitcnt lgkmcnt(0)
	v_cndmask_b32_e64 v27, 0, v27, s[20:21]
	ds_bpermute_b32 v26, v41, v23
	v_add_u32_e32 v22, v27, v22
	ds_bpermute_b32 v27, v41, v22
	v_add_u32_e32 v42, 2, v39
	v_cmp_eq_u32_e32 vcc, 0, v22
	s_waitcnt lgkmcnt(1)
	v_cndmask_b32_e32 v26, 0, v26, vcc
	v_cmp_gt_u32_e32 vcc, v42, v25
	v_cndmask_b32_e64 v26, v26, 0, vcc
	v_add_u32_e32 v23, v26, v23
	s_waitcnt lgkmcnt(0)
	v_cndmask_b32_e64 v26, v27, 0, vcc
	v_cmp_gt_u32_e32 vcc, 60, v39
	v_cndmask_b32_e64 v27, 0, 1, vcc
	v_lshlrev_b32_e32 v27, 2, v27
	v_add_lshl_u32 v43, v27, v31, 2
	ds_bpermute_b32 v27, v43, v23
	v_add_u32_e32 v22, v22, v26
	ds_bpermute_b32 v26, v43, v22
	v_add_u32_e32 v44, 4, v39
	v_cmp_eq_u32_e32 vcc, 0, v22
	s_waitcnt lgkmcnt(1)
	v_cndmask_b32_e32 v27, 0, v27, vcc
	v_cmp_gt_u32_e32 vcc, v44, v25
	v_cndmask_b32_e64 v27, v27, 0, vcc
	s_waitcnt lgkmcnt(0)
	v_cndmask_b32_e64 v26, v26, 0, vcc
	v_cmp_gt_u32_e32 vcc, 56, v39
	v_add_u32_e32 v23, v23, v27
	v_cndmask_b32_e64 v27, 0, 1, vcc
	v_lshlrev_b32_e32 v27, 3, v27
	v_add_lshl_u32 v45, v27, v31, 2
	ds_bpermute_b32 v27, v45, v23
	v_add_u32_e32 v22, v22, v26
	ds_bpermute_b32 v26, v45, v22
	v_add_u32_e32 v46, 8, v39
	v_cmp_eq_u32_e32 vcc, 0, v22
	s_waitcnt lgkmcnt(1)
	v_cndmask_b32_e32 v27, 0, v27, vcc
	v_cmp_gt_u32_e32 vcc, v46, v25
	v_cndmask_b32_e64 v27, v27, 0, vcc
	s_waitcnt lgkmcnt(0)
	v_cndmask_b32_e64 v26, v26, 0, vcc
	v_cmp_gt_u32_e32 vcc, 48, v39
	v_add_u32_e32 v23, v23, v27
	;; [unrolled: 16-line block ×3, first 2 shown]
	v_cndmask_b32_e64 v27, 0, 1, vcc
	v_lshlrev_b32_e32 v27, 5, v27
	v_add_lshl_u32 v64, v27, v31, 2
	ds_bpermute_b32 v27, v64, v23
	v_add_u32_e32 v22, v22, v26
	ds_bpermute_b32 v26, v64, v22
	v_add_u32_e32 v65, 32, v39
	v_cmp_eq_u32_e32 vcc, 0, v22
	s_waitcnt lgkmcnt(1)
	v_cndmask_b32_e32 v27, 0, v27, vcc
	v_cmp_gt_u32_e32 vcc, v65, v25
	v_cndmask_b32_e64 v25, v27, 0, vcc
	v_add_u32_e32 v23, v25, v23
	s_waitcnt lgkmcnt(0)
	v_cndmask_b32_e64 v25, v26, 0, vcc
	v_add_u32_e32 v22, v25, v22
	v_mov_b32_e32 v31, 0
	s_branch .LBB747_67
.LBB747_66:                             ;   in Loop: Header=BB747_67 Depth=1
	s_or_b64 exec, exec, s[20:21]
	v_cmp_eq_u16_sdwa s[20:21], v24, v38 src0_sel:BYTE_0 src1_sel:DWORD
	v_and_b32_e32 v25, s21, v33
	v_or_b32_e32 v25, 0x80000000, v25
	v_and_b32_e32 v34, s20, v32
	v_ffbl_b32_e32 v25, v25
	v_add_u32_e32 v25, 32, v25
	v_ffbl_b32_e32 v34, v34
	v_min_u32_e32 v25, v34, v25
	ds_bpermute_b32 v34, v40, v23
	v_cmp_eq_u32_e32 vcc, 0, v22
	v_cmp_lt_u32_e64 s[20:21], v39, v25
	ds_bpermute_b32 v35, v40, v22
	s_and_b64 vcc, s[20:21], vcc
	s_waitcnt lgkmcnt(1)
	v_cndmask_b32_e32 v34, 0, v34, vcc
	v_add_u32_e32 v23, v34, v23
	ds_bpermute_b32 v34, v41, v23
	s_waitcnt lgkmcnt(1)
	v_cndmask_b32_e64 v35, 0, v35, s[20:21]
	v_add_u32_e32 v22, v35, v22
	v_cmp_eq_u32_e32 vcc, 0, v22
	ds_bpermute_b32 v35, v41, v22
	s_waitcnt lgkmcnt(1)
	v_cndmask_b32_e32 v34, 0, v34, vcc
	v_cmp_gt_u32_e32 vcc, v42, v25
	v_cndmask_b32_e64 v34, v34, 0, vcc
	v_add_u32_e32 v23, v34, v23
	ds_bpermute_b32 v34, v43, v23
	s_waitcnt lgkmcnt(1)
	v_cndmask_b32_e64 v35, v35, 0, vcc
	v_add_u32_e32 v22, v22, v35
	v_cmp_eq_u32_e32 vcc, 0, v22
	ds_bpermute_b32 v35, v43, v22
	s_waitcnt lgkmcnt(1)
	v_cndmask_b32_e32 v34, 0, v34, vcc
	v_cmp_gt_u32_e32 vcc, v44, v25
	v_cndmask_b32_e64 v34, v34, 0, vcc
	v_add_u32_e32 v23, v23, v34
	ds_bpermute_b32 v34, v45, v23
	s_waitcnt lgkmcnt(1)
	v_cndmask_b32_e64 v35, v35, 0, vcc
	v_add_u32_e32 v22, v22, v35
	ds_bpermute_b32 v35, v45, v22
	v_cmp_eq_u32_e32 vcc, 0, v22
	s_waitcnt lgkmcnt(1)
	v_cndmask_b32_e32 v34, 0, v34, vcc
	v_cmp_gt_u32_e32 vcc, v46, v25
	v_cndmask_b32_e64 v34, v34, 0, vcc
	v_add_u32_e32 v23, v23, v34
	ds_bpermute_b32 v34, v47, v23
	s_waitcnt lgkmcnt(1)
	v_cndmask_b32_e64 v35, v35, 0, vcc
	v_add_u32_e32 v22, v22, v35
	ds_bpermute_b32 v35, v47, v22
	v_cmp_eq_u32_e32 vcc, 0, v22
	;; [unrolled: 11-line block ×3, first 2 shown]
	s_waitcnt lgkmcnt(1)
	v_cndmask_b32_e32 v34, 0, v34, vcc
	v_cmp_gt_u32_e32 vcc, v65, v25
	v_cndmask_b32_e64 v25, v34, 0, vcc
	v_add_u32_e32 v23, v25, v23
	s_waitcnt lgkmcnt(0)
	v_cndmask_b32_e64 v25, v35, 0, vcc
	v_cmp_eq_u32_e32 vcc, 0, v26
	v_cndmask_b32_e32 v23, 0, v23, vcc
	v_subrev_u32_e32 v30, 64, v30
	v_add3_u32 v22, v22, v26, v25
	v_add_u32_e32 v23, v23, v27
.LBB747_67:                             ; =>This Loop Header: Depth=1
                                        ;     Child Loop BB747_70 Depth 2
	v_cmp_ne_u16_sdwa s[20:21], v24, v38 src0_sel:BYTE_0 src1_sel:DWORD
	v_mov_b32_e32 v27, v23
	v_cndmask_b32_e64 v23, 0, 1, s[20:21]
	;;#ASMSTART
	;;#ASMEND
	v_cmp_ne_u32_e32 vcc, 0, v23
	s_cmp_lg_u64 vcc, exec
	v_mov_b32_e32 v26, v22
	s_cbranch_scc1 .LBB747_72
; %bb.68:                               ;   in Loop: Header=BB747_67 Depth=1
	v_lshlrev_b64 v[22:23], 4, v[30:31]
	v_mov_b32_e32 v24, s25
	v_add_co_u32_e32 v34, vcc, s24, v22
	v_addc_co_u32_e32 v35, vcc, v24, v23, vcc
	;;#ASMSTART
	global_load_dwordx4 v[22:25], v[34:35] off glc	
s_waitcnt vmcnt(0)
	;;#ASMEND
	v_and_b32_e32 v25, 0xff, v23
	v_and_b32_e32 v66, 0xff00, v23
	v_or3_b32 v25, 0, v25, v66
	v_or3_b32 v22, v22, 0, 0
	v_and_b32_e32 v66, 0xff000000, v23
	v_and_b32_e32 v23, 0xff0000, v23
	v_or3_b32 v23, v25, v23, v66
	v_or3_b32 v22, v22, 0, 0
	v_cmp_eq_u16_sdwa s[44:45], v24, v31 src0_sel:BYTE_0 src1_sel:DWORD
	s_and_saveexec_b64 s[20:21], s[44:45]
	s_cbranch_execz .LBB747_66
; %bb.69:                               ;   in Loop: Header=BB747_67 Depth=1
	s_mov_b64 s[44:45], 0
.LBB747_70:                             ;   Parent Loop BB747_67 Depth=1
                                        ; =>  This Inner Loop Header: Depth=2
	;;#ASMSTART
	global_load_dwordx4 v[22:25], v[34:35] off glc	
s_waitcnt vmcnt(0)
	;;#ASMEND
	v_cmp_ne_u16_sdwa s[50:51], v24, v31 src0_sel:BYTE_0 src1_sel:DWORD
	s_or_b64 s[44:45], s[50:51], s[44:45]
	s_andn2_b64 exec, exec, s[44:45]
	s_cbranch_execnz .LBB747_70
; %bb.71:                               ;   in Loop: Header=BB747_67 Depth=1
	s_or_b64 exec, exec, s[44:45]
	s_branch .LBB747_66
.LBB747_72:                             ;   in Loop: Header=BB747_67 Depth=1
                                        ; implicit-def: $vgpr23
                                        ; implicit-def: $vgpr22
                                        ; implicit-def: $vgpr24
	s_cbranch_execz .LBB747_67
; %bb.73:
	s_and_saveexec_b64 s[20:21], s[18:19]
	s_cbranch_execz .LBB747_75
; %bb.74:
	s_cmp_eq_u32 s46, 0
	s_cselect_b64 vcc, -1, 0
	s_mov_b32 s45, 0
	v_cndmask_b32_e32 v22, 0, v27, vcc
	s_add_i32 s44, s48, 64
	v_add_u32_e32 v22, s47, v22
	s_lshl_b64 s[44:45], s[44:45], 4
	s_add_u32 s44, s24, s44
	v_and_b32_e32 v23, 0xff000000, v22
	v_and_b32_e32 v24, 0xff0000, v22
	s_addc_u32 s45, s25, s45
	v_or_b32_e32 v23, v24, v23
	v_and_b32_e32 v24, 0xff00, v22
	v_and_b32_e32 v22, 0xff, v22
	v_add_u32_e32 v30, s46, v26
	v_mov_b32_e32 v33, 0
	v_or3_b32 v31, v23, v24, v22
	v_mov_b32_e32 v32, 2
	v_pk_mov_b32 v[22:23], s[44:45], s[44:45] op_sel:[0,1]
	;;#ASMSTART
	global_store_dwordx4 v[22:23], v[30:33] off	
s_waitcnt vmcnt(0)
	;;#ASMEND
	v_mov_b32_e32 v24, s46
	v_mov_b32_e32 v25, s47
	ds_write_b128 v33, v[24:27] offset:4096
.LBB747_75:
	s_or_b64 exec, exec, s[20:21]
	s_and_b64 exec, exec, s[0:1]
	s_cbranch_execz .LBB747_77
; %bb.76:
	v_mov_b32_e32 v22, 0
	ds_write_b64 v22, v[26:27] offset:4136
.LBB747_77:
	s_or_b64 exec, exec, s[42:43]
	v_mov_b32_e32 v24, 0
	s_waitcnt lgkmcnt(0)
	s_barrier
	ds_read_b64 v[22:23], v24 offset:4136
	v_cndmask_b32_e64 v26, v36, v28, s[18:19]
	v_cmp_eq_u32_e32 vcc, 0, v26
	v_cndmask_b32_e64 v25, v37, v29, s[18:19]
	s_waitcnt lgkmcnt(0)
	v_cndmask_b32_e32 v27, 0, v23, vcc
	v_add_u32_e32 v25, v27, v25
	v_cndmask_b32_e64 v47, v25, v23, s[0:1]
	v_cndmask_b32_e64 v23, v26, 0, s[0:1]
	v_cmp_eq_u32_e32 vcc, 0, v62
	v_add_u32_e32 v46, v22, v23
	v_cndmask_b32_e32 v22, 0, v47, vcc
	v_add_u32_e32 v45, v22, v48
	v_cndmask_b32_e64 v22, 0, v45, s[16:17]
	v_add_u32_e32 v43, v22, v48
	v_cndmask_b32_e64 v22, 0, v43, s[14:15]
	;; [unrolled: 2-line block ×5, first 2 shown]
	v_add_u32_e32 v35, v22, v48
	v_add_u32_e32 v44, v46, v62
	v_cndmask_b32_e64 v22, 0, v35, s[6:7]
	v_add_u32_e32 v42, v44, v61
	v_add_u32_e32 v33, v22, v48
	s_barrier
	ds_read_b128 v[22:25], v24 offset:4096
	v_add_u32_e32 v40, v42, v60
	v_add_u32_e32 v38, v40, v59
	;; [unrolled: 1-line block ×4, first 2 shown]
	v_cndmask_b32_e64 v26, 0, v33, s[4:5]
	v_add_u32_e32 v32, v34, v56
	v_add_u32_e32 v29, v26, v48
	s_waitcnt lgkmcnt(0)
	v_cmp_eq_u32_e32 vcc, 0, v22
	v_add_u32_e32 v28, v32, v55
	v_cndmask_b32_e64 v26, 0, v29, s[2:3]
	v_cndmask_b32_e32 v25, 0, v25, vcc
	v_add_u32_e32 v30, v28, v54
	v_add_u32_e32 v31, v26, v48
	;; [unrolled: 1-line block ×3, first 2 shown]
	s_branch .LBB747_90
.LBB747_78:
                                        ; implicit-def: $vgpr22
                                        ; implicit-def: $vgpr26
                                        ; implicit-def: $vgpr30_vgpr31
                                        ; implicit-def: $vgpr28_vgpr29
                                        ; implicit-def: $vgpr32_vgpr33
                                        ; implicit-def: $vgpr34_vgpr35
                                        ; implicit-def: $vgpr46_vgpr47
                                        ; implicit-def: $vgpr44_vgpr45
                                        ; implicit-def: $vgpr42_vgpr43
                                        ; implicit-def: $vgpr40_vgpr41
                                        ; implicit-def: $vgpr38_vgpr39
                                        ; implicit-def: $vgpr36_vgpr37
	s_cbranch_execz .LBB747_90
; %bb.79:
	s_and_b64 s[2:3], s[26:27], exec
	s_cselect_b32 s3, 0, s41
	s_cselect_b32 s2, 0, s40
	s_cmp_eq_u64 s[2:3], 0
	v_mov_b32_e32 v26, v48
	s_cbranch_scc1 .LBB747_81
; %bb.80:
	v_mov_b32_e32 v22, 0
	global_load_dword v26, v22, s[2:3]
.LBB747_81:
	v_cmp_eq_u32_e64 s[2:3], 0, v61
	v_cndmask_b32_e64 v22, 0, v48, s[2:3]
	v_add_u32_e32 v22, v22, v48
	v_cmp_eq_u32_e64 s[4:5], 0, v60
	v_cndmask_b32_e64 v22, 0, v22, s[4:5]
	v_add_u32_e32 v22, v22, v48
	;; [unrolled: 3-line block ×7, first 2 shown]
	v_cmp_eq_u32_e32 vcc, 0, v54
	v_cndmask_b32_e32 v22, 0, v22, vcc
	v_add3_u32 v23, v53, v58, v57
	v_add_u32_e32 v22, v22, v48
	v_cmp_eq_u32_e64 s[16:17], 0, v1
	v_add3_u32 v23, v23, v56, v55
	v_cndmask_b32_e64 v22, 0, v22, s[16:17]
	v_add3_u32 v23, v23, v54, v1
	v_add_u32_e32 v22, v22, v49
	v_mbcnt_hi_u32_b32 v27, -1, v52
	v_and_b32_e32 v24, 15, v27
	v_mov_b32_dpp v28, v22 row_shr:1 row_mask:0xf bank_mask:0xf
	v_cmp_eq_u32_e64 s[16:17], 0, v23
	v_mov_b32_dpp v25, v23 row_shr:1 row_mask:0xf bank_mask:0xf
	v_cndmask_b32_e64 v28, 0, v28, s[16:17]
	v_cmp_eq_u32_e64 s[16:17], 0, v24
	v_cndmask_b32_e64 v25, v25, 0, s[16:17]
	v_add_u32_e32 v23, v25, v23
	v_cndmask_b32_e64 v25, v28, 0, s[16:17]
	v_add_u32_e32 v22, v25, v22
	v_cmp_eq_u32_e64 s[16:17], 0, v23
	v_mov_b32_dpp v25, v23 row_shr:2 row_mask:0xf bank_mask:0xf
	v_cmp_lt_u32_e64 s[18:19], 1, v24
	v_mov_b32_dpp v28, v22 row_shr:2 row_mask:0xf bank_mask:0xf
	v_cndmask_b32_e64 v25, 0, v25, s[18:19]
	s_and_b64 s[16:17], s[18:19], s[16:17]
	v_cndmask_b32_e64 v28, 0, v28, s[16:17]
	v_add_u32_e32 v23, v23, v25
	v_add_u32_e32 v22, v28, v22
	v_cmp_eq_u32_e64 s[16:17], 0, v23
	v_mov_b32_dpp v25, v23 row_shr:4 row_mask:0xf bank_mask:0xf
	v_cmp_lt_u32_e64 s[18:19], 3, v24
	v_mov_b32_dpp v28, v22 row_shr:4 row_mask:0xf bank_mask:0xf
	v_cndmask_b32_e64 v25, 0, v25, s[18:19]
	s_and_b64 s[16:17], s[18:19], s[16:17]
	v_cndmask_b32_e64 v28, 0, v28, s[16:17]
	v_add_u32_e32 v23, v25, v23
	v_add_u32_e32 v22, v22, v28
	v_cmp_eq_u32_e64 s[16:17], 0, v23
	v_cmp_lt_u32_e64 s[18:19], 7, v24
	v_mov_b32_dpp v25, v23 row_shr:8 row_mask:0xf bank_mask:0xf
	v_mov_b32_dpp v28, v22 row_shr:8 row_mask:0xf bank_mask:0xf
	s_and_b64 s[16:17], s[18:19], s[16:17]
	v_cndmask_b32_e64 v24, 0, v25, s[18:19]
	v_cndmask_b32_e64 v25, 0, v28, s[16:17]
	v_add_u32_e32 v22, v25, v22
	v_add_u32_e32 v23, v24, v23
	v_bfe_i32 v28, v27, 4, 1
	v_mov_b32_dpp v25, v22 row_bcast:15 row_mask:0xf bank_mask:0xf
	v_mov_b32_dpp v24, v23 row_bcast:15 row_mask:0xf bank_mask:0xf
	v_cmp_eq_u32_e64 s[16:17], 0, v23
	v_cndmask_b32_e64 v25, 0, v25, s[16:17]
	v_and_b32_e32 v24, v28, v24
	v_add_u32_e32 v23, v24, v23
	v_and_b32_e32 v24, v28, v25
	v_add_u32_e32 v24, v24, v22
	v_mov_b32_dpp v22, v23 row_bcast:31 row_mask:0xf bank_mask:0xf
	v_cmp_eq_u32_e64 s[16:17], 0, v23
	v_cmp_lt_u32_e64 s[18:19], 31, v27
	v_mov_b32_dpp v25, v24 row_bcast:31 row_mask:0xf bank_mask:0xf
	v_cndmask_b32_e64 v22, 0, v22, s[18:19]
	s_and_b64 s[16:17], s[18:19], s[16:17]
	v_add_u32_e32 v22, v22, v23
	v_cndmask_b32_e64 v23, 0, v25, s[16:17]
	v_add_u32_e32 v23, v23, v24
	v_cmp_eq_u32_e64 s[16:17], v51, v0
	v_lshlrev_b32_e32 v25, 3, v50
	s_and_saveexec_b64 s[18:19], s[16:17]
	s_cbranch_execz .LBB747_83
; %bb.82:
	ds_write_b64 v25, v[22:23] offset:4112
.LBB747_83:
	s_or_b64 exec, exec, s[18:19]
	v_cmp_gt_u32_e64 s[16:17], 4, v0
	s_waitcnt lgkmcnt(0)
	s_barrier
	s_and_saveexec_b64 s[20:21], s[16:17]
	s_cbranch_execz .LBB747_85
; %bb.84:
	v_lshlrev_b32_e32 v24, 3, v0
	ds_read_b64 v[28:29], v24 offset:4112
	v_and_b32_e32 v30, 3, v27
	v_cmp_lt_u32_e64 s[18:19], 1, v30
	s_waitcnt lgkmcnt(0)
	v_mov_b32_dpp v32, v29 row_shr:1 row_mask:0xf bank_mask:0xf
	v_cmp_eq_u32_e64 s[16:17], 0, v28
	v_mov_b32_dpp v31, v28 row_shr:1 row_mask:0xf bank_mask:0xf
	v_cndmask_b32_e64 v32, 0, v32, s[16:17]
	v_cmp_eq_u32_e64 s[16:17], 0, v30
	v_cndmask_b32_e64 v31, v31, 0, s[16:17]
	v_add_u32_e32 v28, v31, v28
	v_cndmask_b32_e64 v31, v32, 0, s[16:17]
	v_add_u32_e32 v29, v31, v29
	v_cmp_eq_u32_e64 s[16:17], 0, v28
	v_mov_b32_dpp v31, v28 row_shr:2 row_mask:0xf bank_mask:0xf
	v_mov_b32_dpp v32, v29 row_shr:2 row_mask:0xf bank_mask:0xf
	v_cndmask_b32_e64 v30, 0, v31, s[18:19]
	s_and_b64 s[16:17], s[18:19], s[16:17]
	v_add_u32_e32 v28, v30, v28
	v_cndmask_b32_e64 v30, 0, v32, s[16:17]
	v_add_u32_e32 v29, v30, v29
	ds_write_b64 v24, v[28:29] offset:4112
.LBB747_85:
	s_or_b64 exec, exec, s[20:21]
	v_cmp_lt_u32_e64 s[16:17], 63, v0
	v_mov_b32_e32 v29, 0
	v_mov_b32_e32 v24, 0
	s_waitcnt vmcnt(0)
	v_mov_b32_e32 v28, v26
	s_waitcnt lgkmcnt(0)
	s_barrier
	s_and_saveexec_b64 s[18:19], s[16:17]
	s_cbranch_execz .LBB747_87
; %bb.86:
	ds_read_b64 v[24:25], v25 offset:4104
	s_waitcnt lgkmcnt(0)
	v_cmp_eq_u32_e64 s[16:17], 0, v24
	v_cndmask_b32_e64 v28, 0, v26, s[16:17]
	v_add_u32_e32 v28, v28, v25
.LBB747_87:
	s_or_b64 exec, exec, s[18:19]
	v_cmp_eq_u32_e64 s[16:17], 0, v22
	v_add_u32_e32 v25, v24, v22
	v_cndmask_b32_e64 v22, 0, v28, s[16:17]
	v_add_u32_e32 v22, v22, v23
	v_add_u32_e32 v23, -1, v27
	v_and_b32_e32 v30, 64, v27
	v_cmp_lt_i32_e64 s[16:17], v23, v30
	v_cndmask_b32_e64 v23, v23, v27, s[16:17]
	v_lshlrev_b32_e32 v23, 2, v23
	ds_bpermute_b32 v22, v23, v22
	ds_bpermute_b32 v25, v23, v25
	v_cmp_eq_u32_e64 s[16:17], 0, v27
	s_waitcnt lgkmcnt(1)
	v_cndmask_b32_e64 v22, v22, v28, s[16:17]
	s_waitcnt lgkmcnt(0)
	v_cndmask_b32_e64 v23, v25, v24, s[16:17]
	v_cndmask_b32_e64 v47, v22, v26, s[0:1]
	v_cmp_eq_u32_e64 s[16:17], 0, v62
	v_cndmask_b32_e64 v22, 0, v47, s[16:17]
	v_add_u32_e32 v45, v22, v48
	v_cndmask_b32_e64 v22, 0, v45, s[2:3]
	v_add_u32_e32 v43, v22, v48
	;; [unrolled: 2-line block ×5, first 2 shown]
	v_cndmask_b32_e64 v22, 0, v37, s[10:11]
	v_cndmask_b32_e64 v46, v23, 0, s[0:1]
	v_add_u32_e32 v35, v22, v48
	v_add_u32_e32 v44, v46, v62
	v_cndmask_b32_e64 v22, 0, v35, s[12:13]
	v_add_u32_e32 v42, v44, v61
	v_add_u32_e32 v33, v22, v48
	ds_read_b64 v[22:23], v29 offset:4136
	v_add_u32_e32 v40, v42, v60
	v_add_u32_e32 v38, v40, v59
	;; [unrolled: 1-line block ×3, first 2 shown]
	v_cndmask_b32_e64 v24, 0, v33, s[14:15]
	v_add_u32_e32 v34, v36, v57
	v_add_u32_e32 v29, v24, v48
	v_add_u32_e32 v32, v34, v56
	v_cndmask_b32_e32 v24, 0, v29, vcc
	s_waitcnt lgkmcnt(0)
	v_cmp_eq_u32_e32 vcc, 0, v22
	v_add_u32_e32 v28, v32, v55
	v_add_u32_e32 v31, v24, v48
	v_cndmask_b32_e32 v24, 0, v26, vcc
	v_add_u32_e32 v30, v28, v54
	v_add_u32_e32 v26, v24, v23
	s_and_saveexec_b64 s[2:3], s[0:1]
	s_cbranch_execz .LBB747_89
; %bb.88:
	s_add_u32 s4, s24, 0x400
	v_and_b32_e32 v23, 0xff000000, v26
	v_and_b32_e32 v24, 0xff0000, v26
	s_addc_u32 s5, s25, 0
	v_or_b32_e32 v23, v24, v23
	v_and_b32_e32 v24, 0xff00, v26
	v_and_b32_e32 v27, 0xff, v26
	v_mov_b32_e32 v25, 0
	v_or3_b32 v23, v23, v24, v27
	v_mov_b32_e32 v24, 2
	v_pk_mov_b32 v[48:49], s[4:5], s[4:5] op_sel:[0,1]
	;;#ASMSTART
	global_store_dwordx4 v[48:49], v[22:25] off	
s_waitcnt vmcnt(0)
	;;#ASMEND
.LBB747_89:
	s_or_b64 exec, exec, s[2:3]
	v_mov_b32_e32 v24, 0
.LBB747_90:
	s_and_b64 s[2:3], s[26:27], exec
	s_cselect_b32 s3, 0, s23
	s_cselect_b32 s2, 0, s22
	s_cmp_eq_u64 s[2:3], 0
	v_pk_mov_b32 v[48:49], 0, 0
	s_barrier
	s_cbranch_scc1 .LBB747_92
; %bb.91:
	v_mov_b32_e32 v23, 0
	global_load_dwordx2 v[48:49], v23, s[2:3]
.LBB747_92:
	s_waitcnt vmcnt(0)
	v_lshlrev_b64 v[50:51], 3, v[48:49]
	v_mov_b32_e32 v23, s37
	v_add_co_u32_e32 v27, vcc, s36, v50
	v_mov_b32_e32 v25, 0
	v_addc_co_u32_e32 v63, vcc, v23, v51, vcc
	v_lshlrev_b64 v[52:53], 3, v[24:25]
	v_add_co_u32_e32 v23, vcc, v27, v52
	v_addc_co_u32_e32 v25, vcc, v63, v53, vcc
	v_cmp_eq_u32_e32 vcc, 0, v62
	v_cndmask_b32_e64 v27, 1, 2, vcc
	v_cmp_eq_u32_e32 vcc, 0, v61
	v_cndmask_b32_e64 v63, 1, 2, vcc
	v_cmp_eq_u32_e32 vcc, 0, v60
	v_and_b32_e32 v27, v63, v27
	v_cndmask_b32_e64 v63, 1, 2, vcc
	v_cmp_eq_u32_e32 vcc, 0, v59
	v_and_b32_e32 v27, v27, v63
	;; [unrolled: 3-line block ×8, first 2 shown]
	v_cndmask_b32_e64 v63, 1, 2, vcc
	s_movk_i32 s22, 0x100
	v_and_b32_e32 v27, v27, v63
	v_cmp_gt_u32_e32 vcc, s22, v22
	v_cmp_ne_u32_e64 s[20:21], 0, v62
	v_cmp_ne_u32_e64 s[18:19], 0, v61
	;; [unrolled: 1-line block ×10, first 2 shown]
	s_mov_b64 s[24:25], -1
	v_cmp_gt_i16_e64 s[22:23], 2, v27
	s_cbranch_vccz .LBB747_99
; %bb.93:
	s_and_saveexec_b64 s[24:25], s[22:23]
	s_cbranch_execz .LBB747_98
; %bb.94:
	v_cmp_ne_u16_e32 vcc, 1, v27
	s_mov_b64 s[26:27], 0
	s_and_saveexec_b64 s[22:23], vcc
	s_xor_b64 s[22:23], exec, s[22:23]
	s_cbranch_execnz .LBB747_131
; %bb.95:
	s_andn2_saveexec_b64 s[22:23], s[22:23]
	s_cbranch_execnz .LBB747_142
.LBB747_96:
	s_or_b64 exec, exec, s[22:23]
	s_and_b64 exec, exec, s[26:27]
	s_cbranch_execz .LBB747_98
.LBB747_97:
	v_sub_u32_e32 v64, v30, v24
	v_mov_b32_e32 v65, 0
	v_lshlrev_b64 v[64:65], 3, v[64:65]
	v_add_co_u32_e32 v64, vcc, v23, v64
	v_addc_co_u32_e32 v65, vcc, v25, v65, vcc
	global_store_dwordx2 v[64:65], v[8:9], off
.LBB747_98:
	s_or_b64 exec, exec, s[24:25]
	s_mov_b64 s[24:25], 0
.LBB747_99:
	s_and_b64 vcc, exec, s[24:25]
	s_cbranch_vccz .LBB747_109
; %bb.100:
	v_cmp_gt_i16_e32 vcc, 2, v27
	s_and_saveexec_b64 s[22:23], vcc
	s_cbranch_execz .LBB747_105
; %bb.101:
	v_cmp_ne_u16_e32 vcc, 1, v27
	s_mov_b64 s[26:27], 0
	s_and_saveexec_b64 s[24:25], vcc
	s_xor_b64 s[24:25], exec, s[24:25]
	s_cbranch_execnz .LBB747_143
; %bb.102:
	s_andn2_saveexec_b64 s[2:3], s[24:25]
	s_cbranch_execnz .LBB747_154
.LBB747_103:
	s_or_b64 exec, exec, s[2:3]
	s_and_b64 exec, exec, s[26:27]
	s_cbranch_execz .LBB747_105
.LBB747_104:
	v_sub_u32_e32 v2, v30, v24
	v_lshlrev_b32_e32 v2, 3, v2
	ds_write_b64 v2, v[8:9]
.LBB747_105:
	s_or_b64 exec, exec, s[22:23]
	v_cmp_lt_u32_e32 vcc, v0, v22
	s_waitcnt lgkmcnt(0)
	s_barrier
	s_and_saveexec_b64 s[2:3], vcc
	s_cbranch_execz .LBB747_108
; %bb.106:
	v_lshlrev_b32_e32 v4, 3, v0
	s_mov_b64 s[4:5], 0
	v_mov_b32_e32 v3, 0
	v_mov_b32_e32 v2, v0
.LBB747_107:                            ; =>This Inner Loop Header: Depth=1
	ds_read_b64 v[6:7], v4
	v_lshlrev_b64 v[8:9], 3, v[2:3]
	v_add_co_u32_e32 v8, vcc, v23, v8
	v_add_u32_e32 v2, 0x100, v2
	v_addc_co_u32_e32 v9, vcc, v25, v9, vcc
	v_cmp_ge_u32_e32 vcc, v2, v22
	v_add_u32_e32 v4, 0x800, v4
	s_or_b64 s[4:5], vcc, s[4:5]
	s_waitcnt lgkmcnt(0)
	global_store_dwordx2 v[8:9], v[6:7], off
	s_andn2_b64 exec, exec, s[4:5]
	s_cbranch_execnz .LBB747_107
.LBB747_108:
	s_or_b64 exec, exec, s[2:3]
.LBB747_109:
	s_cmpk_lg_i32 s33, 0xa00
	s_cselect_b64 s[2:3], -1, 0
	v_cndmask_b32_e64 v2, 0, 1, s[30:31]
	s_and_b64 s[2:3], s[2:3], s[28:29]
	v_sub_u32_e32 v3, v22, v2
	v_cndmask_b32_e64 v4, 0, 1, s[2:3]
	s_and_b64 s[0:1], s[0:1], s[30:31]
	v_add_u32_e32 v4, v3, v4
	v_cndmask_b32_e64 v3, v62, 0, s[0:1]
	s_mul_hi_u32 s0, s33, 0xcccccccd
	s_lshr_b32 s0, s0, 3
	v_mad_i32_i24 v5, v0, -10, s33
	v_cmp_eq_u32_e32 vcc, s0, v0
	v_cmp_ne_u32_e64 s[0:1], 0, v5
	v_cndmask_b32_e64 v6, 1, v3, s[0:1]
	v_cmp_ne_u32_e64 s[0:1], 1, v5
	v_cndmask_b32_e64 v7, 1, v61, s[0:1]
	;; [unrolled: 2-line block ×10, first 2 shown]
	s_and_b64 vcc, vcc, s[28:29]
	v_cndmask_b32_e32 v15, v1, v5, vcc
	v_cndmask_b32_e32 v14, v54, v14, vcc
	;; [unrolled: 1-line block ×10, first 2 shown]
	v_mov_b32_e32 v1, s39
	v_add_co_u32_e32 v5, vcc, s38, v50
	v_addc_co_u32_e32 v6, vcc, v1, v51, vcc
	v_add_co_u32_e32 v1, vcc, v5, v52
	v_addc_co_u32_e32 v5, vcc, v6, v53, vcc
	v_lshlrev_b32_e32 v6, 3, v2
	v_add_co_u32_e32 v6, vcc, v6, v1
	v_addc_co_u32_e32 v7, vcc, 0, v5, vcc
	v_add_co_u32_e32 v6, vcc, -8, v6
	v_addc_co_u32_e32 v7, vcc, -1, v7, vcc
	v_cmp_eq_u32_e32 vcc, 0, v3
	v_cmp_ne_u32_e64 s[18:19], 0, v3
	v_cndmask_b32_e64 v3, 1, 2, vcc
	v_cmp_eq_u32_e32 vcc, 0, v16
	v_cmp_ne_u32_e64 s[16:17], 0, v16
	v_cndmask_b32_e64 v16, 1, 2, vcc
	v_cmp_eq_u32_e32 vcc, 0, v8
	v_and_b32_e32 v3, v16, v3
	v_cmp_ne_u32_e64 s[14:15], 0, v8
	v_cndmask_b32_e64 v8, 1, 2, vcc
	v_cmp_eq_u32_e32 vcc, 0, v9
	v_and_b32_e32 v3, v3, v8
	v_cndmask_b32_e64 v8, 1, 2, vcc
	v_cmp_eq_u32_e32 vcc, 0, v10
	v_and_b32_e32 v3, v3, v8
	;; [unrolled: 3-line block ×7, first 2 shown]
	v_cndmask_b32_e64 v8, 1, 2, vcc
	s_movk_i32 s20, 0x100
	v_and_b32_e32 v3, v3, v8
	v_cmp_gt_u32_e32 vcc, s20, v4
	v_add_u32_e32 v2, v24, v2
	v_cmp_ne_u32_e64 s[12:13], 0, v9
	v_cmp_ne_u32_e64 s[10:11], 0, v10
	;; [unrolled: 1-line block ×7, first 2 shown]
	s_mov_b64 s[22:23], -1
	v_cmp_gt_i16_e64 s[20:21], 2, v3
	s_barrier
	s_cbranch_vccz .LBB747_116
; %bb.110:
	s_and_saveexec_b64 s[22:23], s[20:21]
	s_cbranch_execz .LBB747_115
; %bb.111:
	v_cmp_ne_u16_e32 vcc, 1, v3
	s_mov_b64 s[24:25], 0
	s_and_saveexec_b64 s[20:21], vcc
	s_xor_b64 s[20:21], exec, s[20:21]
	s_cbranch_execnz .LBB747_155
; %bb.112:
	s_andn2_saveexec_b64 s[20:21], s[20:21]
	s_cbranch_execnz .LBB747_166
.LBB747_113:
	s_or_b64 exec, exec, s[20:21]
	s_and_b64 exec, exec, s[24:25]
	s_cbranch_execz .LBB747_115
.LBB747_114:
	v_mov_b32_e32 v9, 0
	v_sub_u32_e32 v10, v30, v2
	v_mov_b32_e32 v11, v9
	v_lshlrev_b64 v[10:11], 3, v[10:11]
	v_add_co_u32_e32 v10, vcc, v6, v10
	v_mov_b32_e32 v8, v31
	v_addc_co_u32_e32 v11, vcc, v7, v11, vcc
	global_store_dwordx2 v[10:11], v[8:9], off
.LBB747_115:
	s_or_b64 exec, exec, s[22:23]
	s_mov_b64 s[22:23], 0
.LBB747_116:
	s_and_b64 vcc, exec, s[22:23]
	s_cbranch_vccz .LBB747_126
; %bb.117:
	v_cmp_gt_i16_e32 vcc, 2, v3
	s_and_saveexec_b64 s[20:21], vcc
	s_cbranch_execz .LBB747_122
; %bb.118:
	v_cmp_ne_u16_e32 vcc, 1, v3
	s_mov_b64 s[24:25], 0
	s_and_saveexec_b64 s[22:23], vcc
	s_xor_b64 s[22:23], exec, s[22:23]
	s_cbranch_execnz .LBB747_167
; %bb.119:
	s_andn2_saveexec_b64 s[0:1], s[22:23]
	s_cbranch_execnz .LBB747_178
.LBB747_120:
	s_or_b64 exec, exec, s[0:1]
	s_and_b64 exec, exec, s[24:25]
	s_cbranch_execz .LBB747_122
.LBB747_121:
	v_sub_u32_e32 v2, v30, v2
	v_lshlrev_b32_e32 v2, 2, v2
	ds_write_b32 v2, v31
.LBB747_122:
	s_or_b64 exec, exec, s[20:21]
	v_cmp_lt_u32_e32 vcc, v0, v4
	s_waitcnt lgkmcnt(0)
	s_barrier
	s_and_saveexec_b64 s[0:1], vcc
	s_cbranch_execz .LBB747_125
; %bb.123:
	v_lshlrev_b32_e32 v8, 2, v0
	s_mov_b64 s[2:3], 0
	v_mov_b32_e32 v3, 0
	v_mov_b32_e32 v2, v0
.LBB747_124:                            ; =>This Inner Loop Header: Depth=1
	ds_read_b32 v10, v8
	v_lshlrev_b64 v[12:13], 3, v[2:3]
	v_add_co_u32_e32 v12, vcc, v6, v12
	v_add_u32_e32 v2, 0x100, v2
	v_addc_co_u32_e32 v13, vcc, v7, v13, vcc
	v_cmp_ge_u32_e32 vcc, v2, v4
	v_mov_b32_e32 v11, v3
	v_add_u32_e32 v8, 0x400, v8
	s_or_b64 s[2:3], vcc, s[2:3]
	s_waitcnt lgkmcnt(0)
	global_store_dwordx2 v[12:13], v[10:11], off
	s_andn2_b64 exec, exec, s[2:3]
	s_cbranch_execnz .LBB747_124
.LBB747_125:
	s_or_b64 exec, exec, s[0:1]
.LBB747_126:
	s_movk_i32 s0, 0xff
	v_cmp_eq_u32_e32 vcc, s0, v0
	s_and_b64 s[0:1], vcc, s[28:29]
	s_and_saveexec_b64 s[2:3], s[0:1]
	s_cbranch_execz .LBB747_129
; %bb.127:
	v_add_co_u32_e32 v0, vcc, v22, v24
	v_addc_co_u32_e64 v3, s[0:1], 0, 0, vcc
	v_add_co_u32_e32 v2, vcc, v0, v48
	v_mov_b32_e32 v23, 0
	v_addc_co_u32_e32 v3, vcc, v3, v49, vcc
	s_cmpk_lg_i32 s33, 0xa00
	global_store_dwordx2 v23, v[2:3], s[34:35]
	s_cbranch_scc1 .LBB747_129
; %bb.128:
	v_lshlrev_b64 v[2:3], 3, v[22:23]
	v_add_co_u32_e32 v0, vcc, v1, v2
	v_mov_b32_e32 v27, v23
	v_addc_co_u32_e32 v1, vcc, v5, v3, vcc
	global_store_dwordx2 v[0:1], v[26:27], off offset:-8
.LBB747_129:
	s_endpgm
.LBB747_130:
	s_or_b64 exec, exec, s[6:7]
	v_mov_b32_e32 v62, s8
	s_and_saveexec_b64 s[2:3], s[44:45]
	s_cbranch_execnz .LBB747_50
	s_branch .LBB747_51
.LBB747_131:
	s_and_saveexec_b64 s[26:27], s[20:21]
	s_cbranch_execnz .LBB747_179
; %bb.132:
	s_or_b64 exec, exec, s[26:27]
	s_and_saveexec_b64 s[26:27], s[18:19]
	s_cbranch_execnz .LBB747_180
.LBB747_133:
	s_or_b64 exec, exec, s[26:27]
	s_and_saveexec_b64 s[26:27], s[16:17]
	s_cbranch_execnz .LBB747_181
.LBB747_134:
	s_or_b64 exec, exec, s[26:27]
	s_and_saveexec_b64 s[26:27], s[14:15]
	s_cbranch_execnz .LBB747_182
.LBB747_135:
	s_or_b64 exec, exec, s[26:27]
	s_and_saveexec_b64 s[26:27], s[12:13]
	s_cbranch_execnz .LBB747_183
.LBB747_136:
	s_or_b64 exec, exec, s[26:27]
	s_and_saveexec_b64 s[26:27], s[10:11]
	s_cbranch_execnz .LBB747_184
.LBB747_137:
	s_or_b64 exec, exec, s[26:27]
	s_and_saveexec_b64 s[26:27], s[8:9]
	s_cbranch_execnz .LBB747_185
.LBB747_138:
	s_or_b64 exec, exec, s[26:27]
	s_and_saveexec_b64 s[26:27], s[6:7]
	s_cbranch_execnz .LBB747_186
.LBB747_139:
	s_or_b64 exec, exec, s[26:27]
	s_and_saveexec_b64 s[26:27], s[4:5]
	s_cbranch_execz .LBB747_141
.LBB747_140:
	v_sub_u32_e32 v64, v28, v24
	v_mov_b32_e32 v65, 0
	v_lshlrev_b64 v[64:65], 3, v[64:65]
	v_add_co_u32_e32 v64, vcc, v23, v64
	v_addc_co_u32_e32 v65, vcc, v25, v65, vcc
	global_store_dwordx2 v[64:65], v[6:7], off
.LBB747_141:
	s_or_b64 exec, exec, s[26:27]
	s_and_b64 s[26:27], s[2:3], exec
	s_andn2_saveexec_b64 s[22:23], s[22:23]
	s_cbranch_execz .LBB747_96
.LBB747_142:
	v_sub_u32_e32 v64, v46, v24
	v_mov_b32_e32 v65, 0
	v_lshlrev_b64 v[66:67], 3, v[64:65]
	v_add_co_u32_e32 v66, vcc, v23, v66
	v_addc_co_u32_e32 v67, vcc, v25, v67, vcc
	v_sub_u32_e32 v64, v44, v24
	global_store_dwordx2 v[66:67], v[18:19], off
	v_lshlrev_b64 v[66:67], 3, v[64:65]
	v_add_co_u32_e32 v66, vcc, v23, v66
	v_addc_co_u32_e32 v67, vcc, v25, v67, vcc
	v_sub_u32_e32 v64, v42, v24
	global_store_dwordx2 v[66:67], v[20:21], off
	;; [unrolled: 5-line block ×7, first 2 shown]
	v_lshlrev_b64 v[66:67], 3, v[64:65]
	v_add_co_u32_e32 v66, vcc, v23, v66
	v_sub_u32_e32 v64, v28, v24
	v_addc_co_u32_e32 v67, vcc, v25, v67, vcc
	v_lshlrev_b64 v[64:65], 3, v[64:65]
	v_add_co_u32_e32 v64, vcc, v23, v64
	v_addc_co_u32_e32 v65, vcc, v25, v65, vcc
	s_or_b64 s[26:27], s[26:27], exec
	global_store_dwordx2 v[66:67], v[4:5], off
	global_store_dwordx2 v[64:65], v[6:7], off
	s_or_b64 exec, exec, s[22:23]
	s_and_b64 exec, exec, s[26:27]
	s_cbranch_execnz .LBB747_97
	s_branch .LBB747_98
.LBB747_143:
	s_and_saveexec_b64 s[26:27], s[20:21]
	s_cbranch_execnz .LBB747_187
; %bb.144:
	s_or_b64 exec, exec, s[26:27]
	s_and_saveexec_b64 s[20:21], s[18:19]
	s_cbranch_execnz .LBB747_188
.LBB747_145:
	s_or_b64 exec, exec, s[20:21]
	s_and_saveexec_b64 s[18:19], s[16:17]
	s_cbranch_execnz .LBB747_189
.LBB747_146:
	s_or_b64 exec, exec, s[18:19]
	s_and_saveexec_b64 s[16:17], s[14:15]
	s_cbranch_execnz .LBB747_190
.LBB747_147:
	s_or_b64 exec, exec, s[16:17]
	s_and_saveexec_b64 s[14:15], s[12:13]
	s_cbranch_execnz .LBB747_191
.LBB747_148:
	s_or_b64 exec, exec, s[14:15]
	s_and_saveexec_b64 s[12:13], s[10:11]
	s_cbranch_execnz .LBB747_192
.LBB747_149:
	s_or_b64 exec, exec, s[12:13]
	s_and_saveexec_b64 s[10:11], s[8:9]
	s_cbranch_execnz .LBB747_193
.LBB747_150:
	s_or_b64 exec, exec, s[10:11]
	s_and_saveexec_b64 s[8:9], s[6:7]
	s_cbranch_execnz .LBB747_194
.LBB747_151:
	s_or_b64 exec, exec, s[8:9]
	s_and_saveexec_b64 s[6:7], s[4:5]
	s_cbranch_execz .LBB747_153
.LBB747_152:
	v_sub_u32_e32 v2, v28, v24
	v_lshlrev_b32_e32 v2, 3, v2
	ds_write_b64 v2, v[6:7]
.LBB747_153:
	s_or_b64 exec, exec, s[6:7]
	s_and_b64 s[26:27], s[2:3], exec
                                        ; implicit-def: $vgpr4_vgpr5
                                        ; implicit-def: $vgpr12_vgpr13
                                        ; implicit-def: $vgpr16_vgpr17
                                        ; implicit-def: $vgpr20_vgpr21
	s_andn2_saveexec_b64 s[2:3], s[24:25]
	s_cbranch_execz .LBB747_103
.LBB747_154:
	v_sub_u32_e32 v27, v46, v24
	v_lshlrev_b32_e32 v27, 3, v27
	ds_write_b64 v27, v[18:19]
	v_sub_u32_e32 v18, v44, v24
	v_lshlrev_b32_e32 v18, 3, v18
	ds_write_b64 v18, v[20:21]
	;; [unrolled: 3-line block ×8, first 2 shown]
	v_sub_u32_e32 v2, v28, v24
	v_lshlrev_b32_e32 v2, 3, v2
	s_or_b64 s[26:27], s[26:27], exec
	ds_write_b64 v2, v[6:7]
	s_or_b64 exec, exec, s[2:3]
	s_and_b64 exec, exec, s[26:27]
	s_cbranch_execnz .LBB747_104
	s_branch .LBB747_105
.LBB747_155:
	s_and_saveexec_b64 s[24:25], s[18:19]
	s_cbranch_execnz .LBB747_195
; %bb.156:
	s_or_b64 exec, exec, s[24:25]
	s_and_saveexec_b64 s[24:25], s[16:17]
	s_cbranch_execnz .LBB747_196
.LBB747_157:
	s_or_b64 exec, exec, s[24:25]
	s_and_saveexec_b64 s[24:25], s[14:15]
	s_cbranch_execnz .LBB747_197
.LBB747_158:
	s_or_b64 exec, exec, s[24:25]
	s_and_saveexec_b64 s[24:25], s[12:13]
	s_cbranch_execnz .LBB747_198
.LBB747_159:
	s_or_b64 exec, exec, s[24:25]
	s_and_saveexec_b64 s[24:25], s[10:11]
	s_cbranch_execnz .LBB747_199
.LBB747_160:
	s_or_b64 exec, exec, s[24:25]
	s_and_saveexec_b64 s[24:25], s[8:9]
	s_cbranch_execnz .LBB747_200
.LBB747_161:
	s_or_b64 exec, exec, s[24:25]
	s_and_saveexec_b64 s[24:25], s[6:7]
	s_cbranch_execnz .LBB747_201
.LBB747_162:
	s_or_b64 exec, exec, s[24:25]
	s_and_saveexec_b64 s[24:25], s[4:5]
	s_cbranch_execnz .LBB747_202
.LBB747_163:
	s_or_b64 exec, exec, s[24:25]
	s_and_saveexec_b64 s[24:25], s[2:3]
	s_cbranch_execz .LBB747_165
.LBB747_164:
	v_sub_u32_e32 v8, v28, v2
	v_mov_b32_e32 v9, 0
	v_lshlrev_b64 v[10:11], 3, v[8:9]
	v_add_co_u32_e32 v10, vcc, v6, v10
	v_addc_co_u32_e32 v11, vcc, v7, v11, vcc
	v_mov_b32_e32 v8, v29
	global_store_dwordx2 v[10:11], v[8:9], off
.LBB747_165:
	s_or_b64 exec, exec, s[24:25]
	s_and_b64 s[24:25], s[0:1], exec
	s_andn2_saveexec_b64 s[20:21], s[20:21]
	s_cbranch_execz .LBB747_113
.LBB747_166:
	v_mov_b32_e32 v9, 0
	v_sub_u32_e32 v10, v46, v2
	v_mov_b32_e32 v11, v9
	v_lshlrev_b64 v[10:11], 3, v[10:11]
	v_add_co_u32_e32 v10, vcc, v6, v10
	v_mov_b32_e32 v8, v47
	v_addc_co_u32_e32 v11, vcc, v7, v11, vcc
	global_store_dwordx2 v[10:11], v[8:9], off
	v_sub_u32_e32 v10, v44, v2
	v_mov_b32_e32 v11, v9
	v_lshlrev_b64 v[10:11], 3, v[10:11]
	v_add_co_u32_e32 v10, vcc, v6, v10
	v_mov_b32_e32 v8, v45
	v_addc_co_u32_e32 v11, vcc, v7, v11, vcc
	global_store_dwordx2 v[10:11], v[8:9], off
	;; [unrolled: 7-line block ×8, first 2 shown]
	v_sub_u32_e32 v10, v28, v2
	v_mov_b32_e32 v11, v9
	v_lshlrev_b64 v[10:11], 3, v[10:11]
	v_add_co_u32_e32 v10, vcc, v6, v10
	v_mov_b32_e32 v8, v29
	v_addc_co_u32_e32 v11, vcc, v7, v11, vcc
	s_or_b64 s[24:25], s[24:25], exec
	global_store_dwordx2 v[10:11], v[8:9], off
	s_or_b64 exec, exec, s[20:21]
	s_and_b64 exec, exec, s[24:25]
	s_cbranch_execnz .LBB747_114
	s_branch .LBB747_115
.LBB747_167:
	s_and_saveexec_b64 s[24:25], s[18:19]
	s_cbranch_execnz .LBB747_203
; %bb.168:
	s_or_b64 exec, exec, s[24:25]
	s_and_saveexec_b64 s[18:19], s[16:17]
	s_cbranch_execnz .LBB747_204
.LBB747_169:
	s_or_b64 exec, exec, s[18:19]
	s_and_saveexec_b64 s[16:17], s[14:15]
	s_cbranch_execnz .LBB747_205
.LBB747_170:
	s_or_b64 exec, exec, s[16:17]
	s_and_saveexec_b64 s[14:15], s[12:13]
	s_cbranch_execnz .LBB747_206
.LBB747_171:
	s_or_b64 exec, exec, s[14:15]
	s_and_saveexec_b64 s[12:13], s[10:11]
	s_cbranch_execnz .LBB747_207
.LBB747_172:
	s_or_b64 exec, exec, s[12:13]
	s_and_saveexec_b64 s[10:11], s[8:9]
	s_cbranch_execnz .LBB747_208
.LBB747_173:
	s_or_b64 exec, exec, s[10:11]
	s_and_saveexec_b64 s[8:9], s[6:7]
	s_cbranch_execnz .LBB747_209
.LBB747_174:
	s_or_b64 exec, exec, s[8:9]
	s_and_saveexec_b64 s[6:7], s[4:5]
	s_cbranch_execnz .LBB747_210
.LBB747_175:
	s_or_b64 exec, exec, s[6:7]
	s_and_saveexec_b64 s[4:5], s[2:3]
	s_cbranch_execz .LBB747_177
.LBB747_176:
	v_sub_u32_e32 v3, v28, v2
	v_lshlrev_b32_e32 v3, 2, v3
	ds_write_b32 v3, v29
.LBB747_177:
	s_or_b64 exec, exec, s[4:5]
	s_and_b64 s[24:25], s[0:1], exec
                                        ; implicit-def: $vgpr28_vgpr29
                                        ; implicit-def: $vgpr32_vgpr33
                                        ; implicit-def: $vgpr34_vgpr35
                                        ; implicit-def: $vgpr46_vgpr47
                                        ; implicit-def: $vgpr44_vgpr45
                                        ; implicit-def: $vgpr42_vgpr43
                                        ; implicit-def: $vgpr40_vgpr41
                                        ; implicit-def: $vgpr38_vgpr39
                                        ; implicit-def: $vgpr36_vgpr37
	s_andn2_saveexec_b64 s[0:1], s[22:23]
	s_cbranch_execz .LBB747_120
.LBB747_178:
	v_sub_u32_e32 v3, v46, v2
	v_lshlrev_b32_e32 v3, 2, v3
	ds_write_b32 v3, v47
	v_sub_u32_e32 v3, v44, v2
	v_lshlrev_b32_e32 v3, 2, v3
	ds_write_b32 v3, v45
	;; [unrolled: 3-line block ×8, first 2 shown]
	v_sub_u32_e32 v3, v28, v2
	v_lshlrev_b32_e32 v3, 2, v3
	s_or_b64 s[24:25], s[24:25], exec
	ds_write_b32 v3, v29
	s_or_b64 exec, exec, s[0:1]
	s_and_b64 exec, exec, s[24:25]
	s_cbranch_execnz .LBB747_121
	s_branch .LBB747_122
.LBB747_179:
	v_sub_u32_e32 v64, v46, v24
	v_mov_b32_e32 v65, 0
	v_lshlrev_b64 v[64:65], 3, v[64:65]
	v_add_co_u32_e32 v64, vcc, v23, v64
	v_addc_co_u32_e32 v65, vcc, v25, v65, vcc
	global_store_dwordx2 v[64:65], v[18:19], off
	s_or_b64 exec, exec, s[26:27]
	s_and_saveexec_b64 s[26:27], s[18:19]
	s_cbranch_execz .LBB747_133
.LBB747_180:
	v_sub_u32_e32 v64, v44, v24
	v_mov_b32_e32 v65, 0
	v_lshlrev_b64 v[64:65], 3, v[64:65]
	v_add_co_u32_e32 v64, vcc, v23, v64
	v_addc_co_u32_e32 v65, vcc, v25, v65, vcc
	global_store_dwordx2 v[64:65], v[20:21], off
	s_or_b64 exec, exec, s[26:27]
	s_and_saveexec_b64 s[26:27], s[16:17]
	s_cbranch_execz .LBB747_134
.LBB747_181:
	v_sub_u32_e32 v64, v42, v24
	v_mov_b32_e32 v65, 0
	v_lshlrev_b64 v[64:65], 3, v[64:65]
	v_add_co_u32_e32 v64, vcc, v23, v64
	v_addc_co_u32_e32 v65, vcc, v25, v65, vcc
	global_store_dwordx2 v[64:65], v[14:15], off
	s_or_b64 exec, exec, s[26:27]
	s_and_saveexec_b64 s[26:27], s[14:15]
	s_cbranch_execz .LBB747_135
.LBB747_182:
	v_sub_u32_e32 v64, v40, v24
	v_mov_b32_e32 v65, 0
	v_lshlrev_b64 v[64:65], 3, v[64:65]
	v_add_co_u32_e32 v64, vcc, v23, v64
	v_addc_co_u32_e32 v65, vcc, v25, v65, vcc
	global_store_dwordx2 v[64:65], v[16:17], off
	s_or_b64 exec, exec, s[26:27]
	s_and_saveexec_b64 s[26:27], s[12:13]
	s_cbranch_execz .LBB747_136
.LBB747_183:
	v_sub_u32_e32 v64, v38, v24
	v_mov_b32_e32 v65, 0
	v_lshlrev_b64 v[64:65], 3, v[64:65]
	v_add_co_u32_e32 v64, vcc, v23, v64
	v_addc_co_u32_e32 v65, vcc, v25, v65, vcc
	global_store_dwordx2 v[64:65], v[10:11], off
	s_or_b64 exec, exec, s[26:27]
	s_and_saveexec_b64 s[26:27], s[10:11]
	s_cbranch_execz .LBB747_137
.LBB747_184:
	v_sub_u32_e32 v64, v36, v24
	v_mov_b32_e32 v65, 0
	v_lshlrev_b64 v[64:65], 3, v[64:65]
	v_add_co_u32_e32 v64, vcc, v23, v64
	v_addc_co_u32_e32 v65, vcc, v25, v65, vcc
	global_store_dwordx2 v[64:65], v[12:13], off
	s_or_b64 exec, exec, s[26:27]
	s_and_saveexec_b64 s[26:27], s[8:9]
	s_cbranch_execz .LBB747_138
.LBB747_185:
	v_sub_u32_e32 v64, v34, v24
	v_mov_b32_e32 v65, 0
	v_lshlrev_b64 v[64:65], 3, v[64:65]
	v_add_co_u32_e32 v64, vcc, v23, v64
	v_addc_co_u32_e32 v65, vcc, v25, v65, vcc
	global_store_dwordx2 v[64:65], v[2:3], off
	s_or_b64 exec, exec, s[26:27]
	s_and_saveexec_b64 s[26:27], s[6:7]
	s_cbranch_execz .LBB747_139
.LBB747_186:
	v_sub_u32_e32 v64, v32, v24
	v_mov_b32_e32 v65, 0
	v_lshlrev_b64 v[64:65], 3, v[64:65]
	v_add_co_u32_e32 v64, vcc, v23, v64
	v_addc_co_u32_e32 v65, vcc, v25, v65, vcc
	global_store_dwordx2 v[64:65], v[4:5], off
	s_or_b64 exec, exec, s[26:27]
	s_and_saveexec_b64 s[26:27], s[4:5]
	s_cbranch_execnz .LBB747_140
	s_branch .LBB747_141
.LBB747_187:
	v_sub_u32_e32 v27, v46, v24
	v_lshlrev_b32_e32 v27, 3, v27
	ds_write_b64 v27, v[18:19]
	s_or_b64 exec, exec, s[26:27]
	s_and_saveexec_b64 s[20:21], s[18:19]
	s_cbranch_execz .LBB747_145
.LBB747_188:
	v_sub_u32_e32 v18, v44, v24
	v_lshlrev_b32_e32 v18, 3, v18
	ds_write_b64 v18, v[20:21]
	s_or_b64 exec, exec, s[20:21]
	s_and_saveexec_b64 s[18:19], s[16:17]
	s_cbranch_execz .LBB747_146
.LBB747_189:
	v_sub_u32_e32 v18, v42, v24
	v_lshlrev_b32_e32 v18, 3, v18
	ds_write_b64 v18, v[14:15]
	s_or_b64 exec, exec, s[18:19]
	s_and_saveexec_b64 s[16:17], s[14:15]
	s_cbranch_execz .LBB747_147
.LBB747_190:
	v_sub_u32_e32 v14, v40, v24
	v_lshlrev_b32_e32 v14, 3, v14
	ds_write_b64 v14, v[16:17]
	s_or_b64 exec, exec, s[16:17]
	s_and_saveexec_b64 s[14:15], s[12:13]
	s_cbranch_execz .LBB747_148
.LBB747_191:
	v_sub_u32_e32 v14, v38, v24
	v_lshlrev_b32_e32 v14, 3, v14
	ds_write_b64 v14, v[10:11]
	s_or_b64 exec, exec, s[14:15]
	s_and_saveexec_b64 s[12:13], s[10:11]
	s_cbranch_execz .LBB747_149
.LBB747_192:
	v_sub_u32_e32 v10, v36, v24
	v_lshlrev_b32_e32 v10, 3, v10
	ds_write_b64 v10, v[12:13]
	s_or_b64 exec, exec, s[12:13]
	s_and_saveexec_b64 s[10:11], s[8:9]
	s_cbranch_execz .LBB747_150
.LBB747_193:
	v_sub_u32_e32 v10, v34, v24
	v_lshlrev_b32_e32 v10, 3, v10
	ds_write_b64 v10, v[2:3]
	s_or_b64 exec, exec, s[10:11]
	s_and_saveexec_b64 s[8:9], s[6:7]
	s_cbranch_execz .LBB747_151
.LBB747_194:
	v_sub_u32_e32 v2, v32, v24
	v_lshlrev_b32_e32 v2, 3, v2
	ds_write_b64 v2, v[4:5]
	s_or_b64 exec, exec, s[8:9]
	s_and_saveexec_b64 s[6:7], s[4:5]
	s_cbranch_execnz .LBB747_152
	s_branch .LBB747_153
.LBB747_195:
	v_sub_u32_e32 v8, v46, v2
	v_mov_b32_e32 v9, 0
	v_lshlrev_b64 v[10:11], 3, v[8:9]
	v_add_co_u32_e32 v10, vcc, v6, v10
	v_addc_co_u32_e32 v11, vcc, v7, v11, vcc
	v_mov_b32_e32 v8, v47
	global_store_dwordx2 v[10:11], v[8:9], off
	s_or_b64 exec, exec, s[24:25]
	s_and_saveexec_b64 s[24:25], s[16:17]
	s_cbranch_execz .LBB747_157
.LBB747_196:
	v_sub_u32_e32 v8, v44, v2
	v_mov_b32_e32 v9, 0
	v_lshlrev_b64 v[10:11], 3, v[8:9]
	v_add_co_u32_e32 v10, vcc, v6, v10
	v_addc_co_u32_e32 v11, vcc, v7, v11, vcc
	v_mov_b32_e32 v8, v45
	global_store_dwordx2 v[10:11], v[8:9], off
	s_or_b64 exec, exec, s[24:25]
	s_and_saveexec_b64 s[24:25], s[14:15]
	s_cbranch_execz .LBB747_158
.LBB747_197:
	v_sub_u32_e32 v8, v42, v2
	v_mov_b32_e32 v9, 0
	v_lshlrev_b64 v[10:11], 3, v[8:9]
	v_add_co_u32_e32 v10, vcc, v6, v10
	v_addc_co_u32_e32 v11, vcc, v7, v11, vcc
	v_mov_b32_e32 v8, v43
	global_store_dwordx2 v[10:11], v[8:9], off
	s_or_b64 exec, exec, s[24:25]
	s_and_saveexec_b64 s[24:25], s[12:13]
	s_cbranch_execz .LBB747_159
.LBB747_198:
	v_sub_u32_e32 v8, v40, v2
	v_mov_b32_e32 v9, 0
	v_lshlrev_b64 v[10:11], 3, v[8:9]
	v_add_co_u32_e32 v10, vcc, v6, v10
	v_addc_co_u32_e32 v11, vcc, v7, v11, vcc
	v_mov_b32_e32 v8, v41
	global_store_dwordx2 v[10:11], v[8:9], off
	s_or_b64 exec, exec, s[24:25]
	s_and_saveexec_b64 s[24:25], s[10:11]
	s_cbranch_execz .LBB747_160
.LBB747_199:
	v_sub_u32_e32 v8, v38, v2
	v_mov_b32_e32 v9, 0
	v_lshlrev_b64 v[10:11], 3, v[8:9]
	v_add_co_u32_e32 v10, vcc, v6, v10
	v_addc_co_u32_e32 v11, vcc, v7, v11, vcc
	v_mov_b32_e32 v8, v39
	global_store_dwordx2 v[10:11], v[8:9], off
	s_or_b64 exec, exec, s[24:25]
	s_and_saveexec_b64 s[24:25], s[8:9]
	s_cbranch_execz .LBB747_161
.LBB747_200:
	v_sub_u32_e32 v8, v36, v2
	v_mov_b32_e32 v9, 0
	v_lshlrev_b64 v[10:11], 3, v[8:9]
	v_add_co_u32_e32 v10, vcc, v6, v10
	v_addc_co_u32_e32 v11, vcc, v7, v11, vcc
	v_mov_b32_e32 v8, v37
	global_store_dwordx2 v[10:11], v[8:9], off
	s_or_b64 exec, exec, s[24:25]
	s_and_saveexec_b64 s[24:25], s[6:7]
	s_cbranch_execz .LBB747_162
.LBB747_201:
	v_sub_u32_e32 v8, v34, v2
	v_mov_b32_e32 v9, 0
	v_lshlrev_b64 v[10:11], 3, v[8:9]
	v_add_co_u32_e32 v10, vcc, v6, v10
	v_addc_co_u32_e32 v11, vcc, v7, v11, vcc
	v_mov_b32_e32 v8, v35
	global_store_dwordx2 v[10:11], v[8:9], off
	s_or_b64 exec, exec, s[24:25]
	s_and_saveexec_b64 s[24:25], s[4:5]
	s_cbranch_execz .LBB747_163
.LBB747_202:
	v_sub_u32_e32 v8, v32, v2
	v_mov_b32_e32 v9, 0
	v_lshlrev_b64 v[10:11], 3, v[8:9]
	v_add_co_u32_e32 v10, vcc, v6, v10
	v_addc_co_u32_e32 v11, vcc, v7, v11, vcc
	v_mov_b32_e32 v8, v33
	global_store_dwordx2 v[10:11], v[8:9], off
	s_or_b64 exec, exec, s[24:25]
	s_and_saveexec_b64 s[24:25], s[2:3]
	s_cbranch_execnz .LBB747_164
	s_branch .LBB747_165
.LBB747_203:
	v_sub_u32_e32 v3, v46, v2
	v_lshlrev_b32_e32 v3, 2, v3
	ds_write_b32 v3, v47
	s_or_b64 exec, exec, s[24:25]
	s_and_saveexec_b64 s[18:19], s[16:17]
	s_cbranch_execz .LBB747_169
.LBB747_204:
	v_sub_u32_e32 v3, v44, v2
	v_lshlrev_b32_e32 v3, 2, v3
	ds_write_b32 v3, v45
	s_or_b64 exec, exec, s[18:19]
	s_and_saveexec_b64 s[16:17], s[14:15]
	s_cbranch_execz .LBB747_170
.LBB747_205:
	v_sub_u32_e32 v3, v42, v2
	v_lshlrev_b32_e32 v3, 2, v3
	ds_write_b32 v3, v43
	s_or_b64 exec, exec, s[16:17]
	s_and_saveexec_b64 s[14:15], s[12:13]
	s_cbranch_execz .LBB747_171
.LBB747_206:
	v_sub_u32_e32 v3, v40, v2
	v_lshlrev_b32_e32 v3, 2, v3
	ds_write_b32 v3, v41
	s_or_b64 exec, exec, s[14:15]
	s_and_saveexec_b64 s[12:13], s[10:11]
	s_cbranch_execz .LBB747_172
.LBB747_207:
	v_sub_u32_e32 v3, v38, v2
	v_lshlrev_b32_e32 v3, 2, v3
	ds_write_b32 v3, v39
	s_or_b64 exec, exec, s[12:13]
	s_and_saveexec_b64 s[10:11], s[8:9]
	s_cbranch_execz .LBB747_173
.LBB747_208:
	v_sub_u32_e32 v3, v36, v2
	v_lshlrev_b32_e32 v3, 2, v3
	ds_write_b32 v3, v37
	s_or_b64 exec, exec, s[10:11]
	s_and_saveexec_b64 s[8:9], s[6:7]
	s_cbranch_execz .LBB747_174
.LBB747_209:
	v_sub_u32_e32 v3, v34, v2
	v_lshlrev_b32_e32 v3, 2, v3
	ds_write_b32 v3, v35
	s_or_b64 exec, exec, s[8:9]
	s_and_saveexec_b64 s[6:7], s[4:5]
	s_cbranch_execz .LBB747_175
.LBB747_210:
	v_sub_u32_e32 v3, v32, v2
	v_lshlrev_b32_e32 v3, 2, v3
	ds_write_b32 v3, v33
	s_or_b64 exec, exec, s[6:7]
	s_and_saveexec_b64 s[4:5], s[2:3]
	s_cbranch_execnz .LBB747_176
	s_branch .LBB747_177
	.section	.rodata,"a",@progbits
	.p2align	6, 0x0
	.amdhsa_kernel _ZN7rocprim17ROCPRIM_400000_NS6detail17trampoline_kernelINS0_14default_configENS1_33run_length_encode_config_selectorImjNS0_4plusIjEEEEZZNS1_33reduce_by_key_impl_wrapped_configILNS1_25lookback_scan_determinismE0ES3_S7_PKmNS0_17constant_iteratorIjlEEPmPlSF_S6_NS0_8equal_toImEEEE10hipError_tPvRmT2_T3_mT4_T5_T6_T7_T8_P12ihipStream_tbENKUlT_T0_E_clISt17integral_constantIbLb0EESY_IbLb1EEEEDaSU_SV_EUlSU_E_NS1_11comp_targetILNS1_3genE4ELNS1_11target_archE910ELNS1_3gpuE8ELNS1_3repE0EEENS1_30default_config_static_selectorELNS0_4arch9wavefront6targetE1EEEvT1_
		.amdhsa_group_segment_fixed_size 20480
		.amdhsa_private_segment_fixed_size 0
		.amdhsa_kernarg_size 128
		.amdhsa_user_sgpr_count 6
		.amdhsa_user_sgpr_private_segment_buffer 1
		.amdhsa_user_sgpr_dispatch_ptr 0
		.amdhsa_user_sgpr_queue_ptr 0
		.amdhsa_user_sgpr_kernarg_segment_ptr 1
		.amdhsa_user_sgpr_dispatch_id 0
		.amdhsa_user_sgpr_flat_scratch_init 0
		.amdhsa_user_sgpr_kernarg_preload_length 0
		.amdhsa_user_sgpr_kernarg_preload_offset 0
		.amdhsa_user_sgpr_private_segment_size 0
		.amdhsa_uses_dynamic_stack 0
		.amdhsa_system_sgpr_private_segment_wavefront_offset 0
		.amdhsa_system_sgpr_workgroup_id_x 1
		.amdhsa_system_sgpr_workgroup_id_y 0
		.amdhsa_system_sgpr_workgroup_id_z 0
		.amdhsa_system_sgpr_workgroup_info 0
		.amdhsa_system_vgpr_workitem_id 0
		.amdhsa_next_free_vgpr 68
		.amdhsa_next_free_sgpr 56
		.amdhsa_accum_offset 68
		.amdhsa_reserve_vcc 1
		.amdhsa_reserve_flat_scratch 0
		.amdhsa_float_round_mode_32 0
		.amdhsa_float_round_mode_16_64 0
		.amdhsa_float_denorm_mode_32 3
		.amdhsa_float_denorm_mode_16_64 3
		.amdhsa_dx10_clamp 1
		.amdhsa_ieee_mode 1
		.amdhsa_fp16_overflow 0
		.amdhsa_tg_split 0
		.amdhsa_exception_fp_ieee_invalid_op 0
		.amdhsa_exception_fp_denorm_src 0
		.amdhsa_exception_fp_ieee_div_zero 0
		.amdhsa_exception_fp_ieee_overflow 0
		.amdhsa_exception_fp_ieee_underflow 0
		.amdhsa_exception_fp_ieee_inexact 0
		.amdhsa_exception_int_div_zero 0
	.end_amdhsa_kernel
	.section	.text._ZN7rocprim17ROCPRIM_400000_NS6detail17trampoline_kernelINS0_14default_configENS1_33run_length_encode_config_selectorImjNS0_4plusIjEEEEZZNS1_33reduce_by_key_impl_wrapped_configILNS1_25lookback_scan_determinismE0ES3_S7_PKmNS0_17constant_iteratorIjlEEPmPlSF_S6_NS0_8equal_toImEEEE10hipError_tPvRmT2_T3_mT4_T5_T6_T7_T8_P12ihipStream_tbENKUlT_T0_E_clISt17integral_constantIbLb0EESY_IbLb1EEEEDaSU_SV_EUlSU_E_NS1_11comp_targetILNS1_3genE4ELNS1_11target_archE910ELNS1_3gpuE8ELNS1_3repE0EEENS1_30default_config_static_selectorELNS0_4arch9wavefront6targetE1EEEvT1_,"axG",@progbits,_ZN7rocprim17ROCPRIM_400000_NS6detail17trampoline_kernelINS0_14default_configENS1_33run_length_encode_config_selectorImjNS0_4plusIjEEEEZZNS1_33reduce_by_key_impl_wrapped_configILNS1_25lookback_scan_determinismE0ES3_S7_PKmNS0_17constant_iteratorIjlEEPmPlSF_S6_NS0_8equal_toImEEEE10hipError_tPvRmT2_T3_mT4_T5_T6_T7_T8_P12ihipStream_tbENKUlT_T0_E_clISt17integral_constantIbLb0EESY_IbLb1EEEEDaSU_SV_EUlSU_E_NS1_11comp_targetILNS1_3genE4ELNS1_11target_archE910ELNS1_3gpuE8ELNS1_3repE0EEENS1_30default_config_static_selectorELNS0_4arch9wavefront6targetE1EEEvT1_,comdat
.Lfunc_end747:
	.size	_ZN7rocprim17ROCPRIM_400000_NS6detail17trampoline_kernelINS0_14default_configENS1_33run_length_encode_config_selectorImjNS0_4plusIjEEEEZZNS1_33reduce_by_key_impl_wrapped_configILNS1_25lookback_scan_determinismE0ES3_S7_PKmNS0_17constant_iteratorIjlEEPmPlSF_S6_NS0_8equal_toImEEEE10hipError_tPvRmT2_T3_mT4_T5_T6_T7_T8_P12ihipStream_tbENKUlT_T0_E_clISt17integral_constantIbLb0EESY_IbLb1EEEEDaSU_SV_EUlSU_E_NS1_11comp_targetILNS1_3genE4ELNS1_11target_archE910ELNS1_3gpuE8ELNS1_3repE0EEENS1_30default_config_static_selectorELNS0_4arch9wavefront6targetE1EEEvT1_, .Lfunc_end747-_ZN7rocprim17ROCPRIM_400000_NS6detail17trampoline_kernelINS0_14default_configENS1_33run_length_encode_config_selectorImjNS0_4plusIjEEEEZZNS1_33reduce_by_key_impl_wrapped_configILNS1_25lookback_scan_determinismE0ES3_S7_PKmNS0_17constant_iteratorIjlEEPmPlSF_S6_NS0_8equal_toImEEEE10hipError_tPvRmT2_T3_mT4_T5_T6_T7_T8_P12ihipStream_tbENKUlT_T0_E_clISt17integral_constantIbLb0EESY_IbLb1EEEEDaSU_SV_EUlSU_E_NS1_11comp_targetILNS1_3genE4ELNS1_11target_archE910ELNS1_3gpuE8ELNS1_3repE0EEENS1_30default_config_static_selectorELNS0_4arch9wavefront6targetE1EEEvT1_
                                        ; -- End function
	.section	.AMDGPU.csdata,"",@progbits
; Kernel info:
; codeLenInByte = 11096
; NumSgprs: 60
; NumVgprs: 68
; NumAgprs: 0
; TotalNumVgprs: 68
; ScratchSize: 0
; MemoryBound: 0
; FloatMode: 240
; IeeeMode: 1
; LDSByteSize: 20480 bytes/workgroup (compile time only)
; SGPRBlocks: 7
; VGPRBlocks: 8
; NumSGPRsForWavesPerEU: 60
; NumVGPRsForWavesPerEU: 68
; AccumOffset: 68
; Occupancy: 3
; WaveLimiterHint : 1
; COMPUTE_PGM_RSRC2:SCRATCH_EN: 0
; COMPUTE_PGM_RSRC2:USER_SGPR: 6
; COMPUTE_PGM_RSRC2:TRAP_HANDLER: 0
; COMPUTE_PGM_RSRC2:TGID_X_EN: 1
; COMPUTE_PGM_RSRC2:TGID_Y_EN: 0
; COMPUTE_PGM_RSRC2:TGID_Z_EN: 0
; COMPUTE_PGM_RSRC2:TIDIG_COMP_CNT: 0
; COMPUTE_PGM_RSRC3_GFX90A:ACCUM_OFFSET: 16
; COMPUTE_PGM_RSRC3_GFX90A:TG_SPLIT: 0
	.section	.text._ZN7rocprim17ROCPRIM_400000_NS6detail17trampoline_kernelINS0_14default_configENS1_33run_length_encode_config_selectorImjNS0_4plusIjEEEEZZNS1_33reduce_by_key_impl_wrapped_configILNS1_25lookback_scan_determinismE0ES3_S7_PKmNS0_17constant_iteratorIjlEEPmPlSF_S6_NS0_8equal_toImEEEE10hipError_tPvRmT2_T3_mT4_T5_T6_T7_T8_P12ihipStream_tbENKUlT_T0_E_clISt17integral_constantIbLb0EESY_IbLb1EEEEDaSU_SV_EUlSU_E_NS1_11comp_targetILNS1_3genE3ELNS1_11target_archE908ELNS1_3gpuE7ELNS1_3repE0EEENS1_30default_config_static_selectorELNS0_4arch9wavefront6targetE1EEEvT1_,"axG",@progbits,_ZN7rocprim17ROCPRIM_400000_NS6detail17trampoline_kernelINS0_14default_configENS1_33run_length_encode_config_selectorImjNS0_4plusIjEEEEZZNS1_33reduce_by_key_impl_wrapped_configILNS1_25lookback_scan_determinismE0ES3_S7_PKmNS0_17constant_iteratorIjlEEPmPlSF_S6_NS0_8equal_toImEEEE10hipError_tPvRmT2_T3_mT4_T5_T6_T7_T8_P12ihipStream_tbENKUlT_T0_E_clISt17integral_constantIbLb0EESY_IbLb1EEEEDaSU_SV_EUlSU_E_NS1_11comp_targetILNS1_3genE3ELNS1_11target_archE908ELNS1_3gpuE7ELNS1_3repE0EEENS1_30default_config_static_selectorELNS0_4arch9wavefront6targetE1EEEvT1_,comdat
	.protected	_ZN7rocprim17ROCPRIM_400000_NS6detail17trampoline_kernelINS0_14default_configENS1_33run_length_encode_config_selectorImjNS0_4plusIjEEEEZZNS1_33reduce_by_key_impl_wrapped_configILNS1_25lookback_scan_determinismE0ES3_S7_PKmNS0_17constant_iteratorIjlEEPmPlSF_S6_NS0_8equal_toImEEEE10hipError_tPvRmT2_T3_mT4_T5_T6_T7_T8_P12ihipStream_tbENKUlT_T0_E_clISt17integral_constantIbLb0EESY_IbLb1EEEEDaSU_SV_EUlSU_E_NS1_11comp_targetILNS1_3genE3ELNS1_11target_archE908ELNS1_3gpuE7ELNS1_3repE0EEENS1_30default_config_static_selectorELNS0_4arch9wavefront6targetE1EEEvT1_ ; -- Begin function _ZN7rocprim17ROCPRIM_400000_NS6detail17trampoline_kernelINS0_14default_configENS1_33run_length_encode_config_selectorImjNS0_4plusIjEEEEZZNS1_33reduce_by_key_impl_wrapped_configILNS1_25lookback_scan_determinismE0ES3_S7_PKmNS0_17constant_iteratorIjlEEPmPlSF_S6_NS0_8equal_toImEEEE10hipError_tPvRmT2_T3_mT4_T5_T6_T7_T8_P12ihipStream_tbENKUlT_T0_E_clISt17integral_constantIbLb0EESY_IbLb1EEEEDaSU_SV_EUlSU_E_NS1_11comp_targetILNS1_3genE3ELNS1_11target_archE908ELNS1_3gpuE7ELNS1_3repE0EEENS1_30default_config_static_selectorELNS0_4arch9wavefront6targetE1EEEvT1_
	.globl	_ZN7rocprim17ROCPRIM_400000_NS6detail17trampoline_kernelINS0_14default_configENS1_33run_length_encode_config_selectorImjNS0_4plusIjEEEEZZNS1_33reduce_by_key_impl_wrapped_configILNS1_25lookback_scan_determinismE0ES3_S7_PKmNS0_17constant_iteratorIjlEEPmPlSF_S6_NS0_8equal_toImEEEE10hipError_tPvRmT2_T3_mT4_T5_T6_T7_T8_P12ihipStream_tbENKUlT_T0_E_clISt17integral_constantIbLb0EESY_IbLb1EEEEDaSU_SV_EUlSU_E_NS1_11comp_targetILNS1_3genE3ELNS1_11target_archE908ELNS1_3gpuE7ELNS1_3repE0EEENS1_30default_config_static_selectorELNS0_4arch9wavefront6targetE1EEEvT1_
	.p2align	8
	.type	_ZN7rocprim17ROCPRIM_400000_NS6detail17trampoline_kernelINS0_14default_configENS1_33run_length_encode_config_selectorImjNS0_4plusIjEEEEZZNS1_33reduce_by_key_impl_wrapped_configILNS1_25lookback_scan_determinismE0ES3_S7_PKmNS0_17constant_iteratorIjlEEPmPlSF_S6_NS0_8equal_toImEEEE10hipError_tPvRmT2_T3_mT4_T5_T6_T7_T8_P12ihipStream_tbENKUlT_T0_E_clISt17integral_constantIbLb0EESY_IbLb1EEEEDaSU_SV_EUlSU_E_NS1_11comp_targetILNS1_3genE3ELNS1_11target_archE908ELNS1_3gpuE7ELNS1_3repE0EEENS1_30default_config_static_selectorELNS0_4arch9wavefront6targetE1EEEvT1_,@function
_ZN7rocprim17ROCPRIM_400000_NS6detail17trampoline_kernelINS0_14default_configENS1_33run_length_encode_config_selectorImjNS0_4plusIjEEEEZZNS1_33reduce_by_key_impl_wrapped_configILNS1_25lookback_scan_determinismE0ES3_S7_PKmNS0_17constant_iteratorIjlEEPmPlSF_S6_NS0_8equal_toImEEEE10hipError_tPvRmT2_T3_mT4_T5_T6_T7_T8_P12ihipStream_tbENKUlT_T0_E_clISt17integral_constantIbLb0EESY_IbLb1EEEEDaSU_SV_EUlSU_E_NS1_11comp_targetILNS1_3genE3ELNS1_11target_archE908ELNS1_3gpuE7ELNS1_3repE0EEENS1_30default_config_static_selectorELNS0_4arch9wavefront6targetE1EEEvT1_: ; @_ZN7rocprim17ROCPRIM_400000_NS6detail17trampoline_kernelINS0_14default_configENS1_33run_length_encode_config_selectorImjNS0_4plusIjEEEEZZNS1_33reduce_by_key_impl_wrapped_configILNS1_25lookback_scan_determinismE0ES3_S7_PKmNS0_17constant_iteratorIjlEEPmPlSF_S6_NS0_8equal_toImEEEE10hipError_tPvRmT2_T3_mT4_T5_T6_T7_T8_P12ihipStream_tbENKUlT_T0_E_clISt17integral_constantIbLb0EESY_IbLb1EEEEDaSU_SV_EUlSU_E_NS1_11comp_targetILNS1_3genE3ELNS1_11target_archE908ELNS1_3gpuE7ELNS1_3repE0EEENS1_30default_config_static_selectorELNS0_4arch9wavefront6targetE1EEEvT1_
; %bb.0:
	.section	.rodata,"a",@progbits
	.p2align	6, 0x0
	.amdhsa_kernel _ZN7rocprim17ROCPRIM_400000_NS6detail17trampoline_kernelINS0_14default_configENS1_33run_length_encode_config_selectorImjNS0_4plusIjEEEEZZNS1_33reduce_by_key_impl_wrapped_configILNS1_25lookback_scan_determinismE0ES3_S7_PKmNS0_17constant_iteratorIjlEEPmPlSF_S6_NS0_8equal_toImEEEE10hipError_tPvRmT2_T3_mT4_T5_T6_T7_T8_P12ihipStream_tbENKUlT_T0_E_clISt17integral_constantIbLb0EESY_IbLb1EEEEDaSU_SV_EUlSU_E_NS1_11comp_targetILNS1_3genE3ELNS1_11target_archE908ELNS1_3gpuE7ELNS1_3repE0EEENS1_30default_config_static_selectorELNS0_4arch9wavefront6targetE1EEEvT1_
		.amdhsa_group_segment_fixed_size 0
		.amdhsa_private_segment_fixed_size 0
		.amdhsa_kernarg_size 128
		.amdhsa_user_sgpr_count 6
		.amdhsa_user_sgpr_private_segment_buffer 1
		.amdhsa_user_sgpr_dispatch_ptr 0
		.amdhsa_user_sgpr_queue_ptr 0
		.amdhsa_user_sgpr_kernarg_segment_ptr 1
		.amdhsa_user_sgpr_dispatch_id 0
		.amdhsa_user_sgpr_flat_scratch_init 0
		.amdhsa_user_sgpr_kernarg_preload_length 0
		.amdhsa_user_sgpr_kernarg_preload_offset 0
		.amdhsa_user_sgpr_private_segment_size 0
		.amdhsa_uses_dynamic_stack 0
		.amdhsa_system_sgpr_private_segment_wavefront_offset 0
		.amdhsa_system_sgpr_workgroup_id_x 1
		.amdhsa_system_sgpr_workgroup_id_y 0
		.amdhsa_system_sgpr_workgroup_id_z 0
		.amdhsa_system_sgpr_workgroup_info 0
		.amdhsa_system_vgpr_workitem_id 0
		.amdhsa_next_free_vgpr 1
		.amdhsa_next_free_sgpr 0
		.amdhsa_accum_offset 4
		.amdhsa_reserve_vcc 0
		.amdhsa_reserve_flat_scratch 0
		.amdhsa_float_round_mode_32 0
		.amdhsa_float_round_mode_16_64 0
		.amdhsa_float_denorm_mode_32 3
		.amdhsa_float_denorm_mode_16_64 3
		.amdhsa_dx10_clamp 1
		.amdhsa_ieee_mode 1
		.amdhsa_fp16_overflow 0
		.amdhsa_tg_split 0
		.amdhsa_exception_fp_ieee_invalid_op 0
		.amdhsa_exception_fp_denorm_src 0
		.amdhsa_exception_fp_ieee_div_zero 0
		.amdhsa_exception_fp_ieee_overflow 0
		.amdhsa_exception_fp_ieee_underflow 0
		.amdhsa_exception_fp_ieee_inexact 0
		.amdhsa_exception_int_div_zero 0
	.end_amdhsa_kernel
	.section	.text._ZN7rocprim17ROCPRIM_400000_NS6detail17trampoline_kernelINS0_14default_configENS1_33run_length_encode_config_selectorImjNS0_4plusIjEEEEZZNS1_33reduce_by_key_impl_wrapped_configILNS1_25lookback_scan_determinismE0ES3_S7_PKmNS0_17constant_iteratorIjlEEPmPlSF_S6_NS0_8equal_toImEEEE10hipError_tPvRmT2_T3_mT4_T5_T6_T7_T8_P12ihipStream_tbENKUlT_T0_E_clISt17integral_constantIbLb0EESY_IbLb1EEEEDaSU_SV_EUlSU_E_NS1_11comp_targetILNS1_3genE3ELNS1_11target_archE908ELNS1_3gpuE7ELNS1_3repE0EEENS1_30default_config_static_selectorELNS0_4arch9wavefront6targetE1EEEvT1_,"axG",@progbits,_ZN7rocprim17ROCPRIM_400000_NS6detail17trampoline_kernelINS0_14default_configENS1_33run_length_encode_config_selectorImjNS0_4plusIjEEEEZZNS1_33reduce_by_key_impl_wrapped_configILNS1_25lookback_scan_determinismE0ES3_S7_PKmNS0_17constant_iteratorIjlEEPmPlSF_S6_NS0_8equal_toImEEEE10hipError_tPvRmT2_T3_mT4_T5_T6_T7_T8_P12ihipStream_tbENKUlT_T0_E_clISt17integral_constantIbLb0EESY_IbLb1EEEEDaSU_SV_EUlSU_E_NS1_11comp_targetILNS1_3genE3ELNS1_11target_archE908ELNS1_3gpuE7ELNS1_3repE0EEENS1_30default_config_static_selectorELNS0_4arch9wavefront6targetE1EEEvT1_,comdat
.Lfunc_end748:
	.size	_ZN7rocprim17ROCPRIM_400000_NS6detail17trampoline_kernelINS0_14default_configENS1_33run_length_encode_config_selectorImjNS0_4plusIjEEEEZZNS1_33reduce_by_key_impl_wrapped_configILNS1_25lookback_scan_determinismE0ES3_S7_PKmNS0_17constant_iteratorIjlEEPmPlSF_S6_NS0_8equal_toImEEEE10hipError_tPvRmT2_T3_mT4_T5_T6_T7_T8_P12ihipStream_tbENKUlT_T0_E_clISt17integral_constantIbLb0EESY_IbLb1EEEEDaSU_SV_EUlSU_E_NS1_11comp_targetILNS1_3genE3ELNS1_11target_archE908ELNS1_3gpuE7ELNS1_3repE0EEENS1_30default_config_static_selectorELNS0_4arch9wavefront6targetE1EEEvT1_, .Lfunc_end748-_ZN7rocprim17ROCPRIM_400000_NS6detail17trampoline_kernelINS0_14default_configENS1_33run_length_encode_config_selectorImjNS0_4plusIjEEEEZZNS1_33reduce_by_key_impl_wrapped_configILNS1_25lookback_scan_determinismE0ES3_S7_PKmNS0_17constant_iteratorIjlEEPmPlSF_S6_NS0_8equal_toImEEEE10hipError_tPvRmT2_T3_mT4_T5_T6_T7_T8_P12ihipStream_tbENKUlT_T0_E_clISt17integral_constantIbLb0EESY_IbLb1EEEEDaSU_SV_EUlSU_E_NS1_11comp_targetILNS1_3genE3ELNS1_11target_archE908ELNS1_3gpuE7ELNS1_3repE0EEENS1_30default_config_static_selectorELNS0_4arch9wavefront6targetE1EEEvT1_
                                        ; -- End function
	.section	.AMDGPU.csdata,"",@progbits
; Kernel info:
; codeLenInByte = 0
; NumSgprs: 4
; NumVgprs: 0
; NumAgprs: 0
; TotalNumVgprs: 0
; ScratchSize: 0
; MemoryBound: 0
; FloatMode: 240
; IeeeMode: 1
; LDSByteSize: 0 bytes/workgroup (compile time only)
; SGPRBlocks: 0
; VGPRBlocks: 0
; NumSGPRsForWavesPerEU: 4
; NumVGPRsForWavesPerEU: 1
; AccumOffset: 4
; Occupancy: 8
; WaveLimiterHint : 0
; COMPUTE_PGM_RSRC2:SCRATCH_EN: 0
; COMPUTE_PGM_RSRC2:USER_SGPR: 6
; COMPUTE_PGM_RSRC2:TRAP_HANDLER: 0
; COMPUTE_PGM_RSRC2:TGID_X_EN: 1
; COMPUTE_PGM_RSRC2:TGID_Y_EN: 0
; COMPUTE_PGM_RSRC2:TGID_Z_EN: 0
; COMPUTE_PGM_RSRC2:TIDIG_COMP_CNT: 0
; COMPUTE_PGM_RSRC3_GFX90A:ACCUM_OFFSET: 0
; COMPUTE_PGM_RSRC3_GFX90A:TG_SPLIT: 0
	.section	.text._ZN7rocprim17ROCPRIM_400000_NS6detail17trampoline_kernelINS0_14default_configENS1_33run_length_encode_config_selectorImjNS0_4plusIjEEEEZZNS1_33reduce_by_key_impl_wrapped_configILNS1_25lookback_scan_determinismE0ES3_S7_PKmNS0_17constant_iteratorIjlEEPmPlSF_S6_NS0_8equal_toImEEEE10hipError_tPvRmT2_T3_mT4_T5_T6_T7_T8_P12ihipStream_tbENKUlT_T0_E_clISt17integral_constantIbLb0EESY_IbLb1EEEEDaSU_SV_EUlSU_E_NS1_11comp_targetILNS1_3genE2ELNS1_11target_archE906ELNS1_3gpuE6ELNS1_3repE0EEENS1_30default_config_static_selectorELNS0_4arch9wavefront6targetE1EEEvT1_,"axG",@progbits,_ZN7rocprim17ROCPRIM_400000_NS6detail17trampoline_kernelINS0_14default_configENS1_33run_length_encode_config_selectorImjNS0_4plusIjEEEEZZNS1_33reduce_by_key_impl_wrapped_configILNS1_25lookback_scan_determinismE0ES3_S7_PKmNS0_17constant_iteratorIjlEEPmPlSF_S6_NS0_8equal_toImEEEE10hipError_tPvRmT2_T3_mT4_T5_T6_T7_T8_P12ihipStream_tbENKUlT_T0_E_clISt17integral_constantIbLb0EESY_IbLb1EEEEDaSU_SV_EUlSU_E_NS1_11comp_targetILNS1_3genE2ELNS1_11target_archE906ELNS1_3gpuE6ELNS1_3repE0EEENS1_30default_config_static_selectorELNS0_4arch9wavefront6targetE1EEEvT1_,comdat
	.protected	_ZN7rocprim17ROCPRIM_400000_NS6detail17trampoline_kernelINS0_14default_configENS1_33run_length_encode_config_selectorImjNS0_4plusIjEEEEZZNS1_33reduce_by_key_impl_wrapped_configILNS1_25lookback_scan_determinismE0ES3_S7_PKmNS0_17constant_iteratorIjlEEPmPlSF_S6_NS0_8equal_toImEEEE10hipError_tPvRmT2_T3_mT4_T5_T6_T7_T8_P12ihipStream_tbENKUlT_T0_E_clISt17integral_constantIbLb0EESY_IbLb1EEEEDaSU_SV_EUlSU_E_NS1_11comp_targetILNS1_3genE2ELNS1_11target_archE906ELNS1_3gpuE6ELNS1_3repE0EEENS1_30default_config_static_selectorELNS0_4arch9wavefront6targetE1EEEvT1_ ; -- Begin function _ZN7rocprim17ROCPRIM_400000_NS6detail17trampoline_kernelINS0_14default_configENS1_33run_length_encode_config_selectorImjNS0_4plusIjEEEEZZNS1_33reduce_by_key_impl_wrapped_configILNS1_25lookback_scan_determinismE0ES3_S7_PKmNS0_17constant_iteratorIjlEEPmPlSF_S6_NS0_8equal_toImEEEE10hipError_tPvRmT2_T3_mT4_T5_T6_T7_T8_P12ihipStream_tbENKUlT_T0_E_clISt17integral_constantIbLb0EESY_IbLb1EEEEDaSU_SV_EUlSU_E_NS1_11comp_targetILNS1_3genE2ELNS1_11target_archE906ELNS1_3gpuE6ELNS1_3repE0EEENS1_30default_config_static_selectorELNS0_4arch9wavefront6targetE1EEEvT1_
	.globl	_ZN7rocprim17ROCPRIM_400000_NS6detail17trampoline_kernelINS0_14default_configENS1_33run_length_encode_config_selectorImjNS0_4plusIjEEEEZZNS1_33reduce_by_key_impl_wrapped_configILNS1_25lookback_scan_determinismE0ES3_S7_PKmNS0_17constant_iteratorIjlEEPmPlSF_S6_NS0_8equal_toImEEEE10hipError_tPvRmT2_T3_mT4_T5_T6_T7_T8_P12ihipStream_tbENKUlT_T0_E_clISt17integral_constantIbLb0EESY_IbLb1EEEEDaSU_SV_EUlSU_E_NS1_11comp_targetILNS1_3genE2ELNS1_11target_archE906ELNS1_3gpuE6ELNS1_3repE0EEENS1_30default_config_static_selectorELNS0_4arch9wavefront6targetE1EEEvT1_
	.p2align	8
	.type	_ZN7rocprim17ROCPRIM_400000_NS6detail17trampoline_kernelINS0_14default_configENS1_33run_length_encode_config_selectorImjNS0_4plusIjEEEEZZNS1_33reduce_by_key_impl_wrapped_configILNS1_25lookback_scan_determinismE0ES3_S7_PKmNS0_17constant_iteratorIjlEEPmPlSF_S6_NS0_8equal_toImEEEE10hipError_tPvRmT2_T3_mT4_T5_T6_T7_T8_P12ihipStream_tbENKUlT_T0_E_clISt17integral_constantIbLb0EESY_IbLb1EEEEDaSU_SV_EUlSU_E_NS1_11comp_targetILNS1_3genE2ELNS1_11target_archE906ELNS1_3gpuE6ELNS1_3repE0EEENS1_30default_config_static_selectorELNS0_4arch9wavefront6targetE1EEEvT1_,@function
_ZN7rocprim17ROCPRIM_400000_NS6detail17trampoline_kernelINS0_14default_configENS1_33run_length_encode_config_selectorImjNS0_4plusIjEEEEZZNS1_33reduce_by_key_impl_wrapped_configILNS1_25lookback_scan_determinismE0ES3_S7_PKmNS0_17constant_iteratorIjlEEPmPlSF_S6_NS0_8equal_toImEEEE10hipError_tPvRmT2_T3_mT4_T5_T6_T7_T8_P12ihipStream_tbENKUlT_T0_E_clISt17integral_constantIbLb0EESY_IbLb1EEEEDaSU_SV_EUlSU_E_NS1_11comp_targetILNS1_3genE2ELNS1_11target_archE906ELNS1_3gpuE6ELNS1_3repE0EEENS1_30default_config_static_selectorELNS0_4arch9wavefront6targetE1EEEvT1_: ; @_ZN7rocprim17ROCPRIM_400000_NS6detail17trampoline_kernelINS0_14default_configENS1_33run_length_encode_config_selectorImjNS0_4plusIjEEEEZZNS1_33reduce_by_key_impl_wrapped_configILNS1_25lookback_scan_determinismE0ES3_S7_PKmNS0_17constant_iteratorIjlEEPmPlSF_S6_NS0_8equal_toImEEEE10hipError_tPvRmT2_T3_mT4_T5_T6_T7_T8_P12ihipStream_tbENKUlT_T0_E_clISt17integral_constantIbLb0EESY_IbLb1EEEEDaSU_SV_EUlSU_E_NS1_11comp_targetILNS1_3genE2ELNS1_11target_archE906ELNS1_3gpuE6ELNS1_3repE0EEENS1_30default_config_static_selectorELNS0_4arch9wavefront6targetE1EEEvT1_
; %bb.0:
	.section	.rodata,"a",@progbits
	.p2align	6, 0x0
	.amdhsa_kernel _ZN7rocprim17ROCPRIM_400000_NS6detail17trampoline_kernelINS0_14default_configENS1_33run_length_encode_config_selectorImjNS0_4plusIjEEEEZZNS1_33reduce_by_key_impl_wrapped_configILNS1_25lookback_scan_determinismE0ES3_S7_PKmNS0_17constant_iteratorIjlEEPmPlSF_S6_NS0_8equal_toImEEEE10hipError_tPvRmT2_T3_mT4_T5_T6_T7_T8_P12ihipStream_tbENKUlT_T0_E_clISt17integral_constantIbLb0EESY_IbLb1EEEEDaSU_SV_EUlSU_E_NS1_11comp_targetILNS1_3genE2ELNS1_11target_archE906ELNS1_3gpuE6ELNS1_3repE0EEENS1_30default_config_static_selectorELNS0_4arch9wavefront6targetE1EEEvT1_
		.amdhsa_group_segment_fixed_size 0
		.amdhsa_private_segment_fixed_size 0
		.amdhsa_kernarg_size 128
		.amdhsa_user_sgpr_count 6
		.amdhsa_user_sgpr_private_segment_buffer 1
		.amdhsa_user_sgpr_dispatch_ptr 0
		.amdhsa_user_sgpr_queue_ptr 0
		.amdhsa_user_sgpr_kernarg_segment_ptr 1
		.amdhsa_user_sgpr_dispatch_id 0
		.amdhsa_user_sgpr_flat_scratch_init 0
		.amdhsa_user_sgpr_kernarg_preload_length 0
		.amdhsa_user_sgpr_kernarg_preload_offset 0
		.amdhsa_user_sgpr_private_segment_size 0
		.amdhsa_uses_dynamic_stack 0
		.amdhsa_system_sgpr_private_segment_wavefront_offset 0
		.amdhsa_system_sgpr_workgroup_id_x 1
		.amdhsa_system_sgpr_workgroup_id_y 0
		.amdhsa_system_sgpr_workgroup_id_z 0
		.amdhsa_system_sgpr_workgroup_info 0
		.amdhsa_system_vgpr_workitem_id 0
		.amdhsa_next_free_vgpr 1
		.amdhsa_next_free_sgpr 0
		.amdhsa_accum_offset 4
		.amdhsa_reserve_vcc 0
		.amdhsa_reserve_flat_scratch 0
		.amdhsa_float_round_mode_32 0
		.amdhsa_float_round_mode_16_64 0
		.amdhsa_float_denorm_mode_32 3
		.amdhsa_float_denorm_mode_16_64 3
		.amdhsa_dx10_clamp 1
		.amdhsa_ieee_mode 1
		.amdhsa_fp16_overflow 0
		.amdhsa_tg_split 0
		.amdhsa_exception_fp_ieee_invalid_op 0
		.amdhsa_exception_fp_denorm_src 0
		.amdhsa_exception_fp_ieee_div_zero 0
		.amdhsa_exception_fp_ieee_overflow 0
		.amdhsa_exception_fp_ieee_underflow 0
		.amdhsa_exception_fp_ieee_inexact 0
		.amdhsa_exception_int_div_zero 0
	.end_amdhsa_kernel
	.section	.text._ZN7rocprim17ROCPRIM_400000_NS6detail17trampoline_kernelINS0_14default_configENS1_33run_length_encode_config_selectorImjNS0_4plusIjEEEEZZNS1_33reduce_by_key_impl_wrapped_configILNS1_25lookback_scan_determinismE0ES3_S7_PKmNS0_17constant_iteratorIjlEEPmPlSF_S6_NS0_8equal_toImEEEE10hipError_tPvRmT2_T3_mT4_T5_T6_T7_T8_P12ihipStream_tbENKUlT_T0_E_clISt17integral_constantIbLb0EESY_IbLb1EEEEDaSU_SV_EUlSU_E_NS1_11comp_targetILNS1_3genE2ELNS1_11target_archE906ELNS1_3gpuE6ELNS1_3repE0EEENS1_30default_config_static_selectorELNS0_4arch9wavefront6targetE1EEEvT1_,"axG",@progbits,_ZN7rocprim17ROCPRIM_400000_NS6detail17trampoline_kernelINS0_14default_configENS1_33run_length_encode_config_selectorImjNS0_4plusIjEEEEZZNS1_33reduce_by_key_impl_wrapped_configILNS1_25lookback_scan_determinismE0ES3_S7_PKmNS0_17constant_iteratorIjlEEPmPlSF_S6_NS0_8equal_toImEEEE10hipError_tPvRmT2_T3_mT4_T5_T6_T7_T8_P12ihipStream_tbENKUlT_T0_E_clISt17integral_constantIbLb0EESY_IbLb1EEEEDaSU_SV_EUlSU_E_NS1_11comp_targetILNS1_3genE2ELNS1_11target_archE906ELNS1_3gpuE6ELNS1_3repE0EEENS1_30default_config_static_selectorELNS0_4arch9wavefront6targetE1EEEvT1_,comdat
.Lfunc_end749:
	.size	_ZN7rocprim17ROCPRIM_400000_NS6detail17trampoline_kernelINS0_14default_configENS1_33run_length_encode_config_selectorImjNS0_4plusIjEEEEZZNS1_33reduce_by_key_impl_wrapped_configILNS1_25lookback_scan_determinismE0ES3_S7_PKmNS0_17constant_iteratorIjlEEPmPlSF_S6_NS0_8equal_toImEEEE10hipError_tPvRmT2_T3_mT4_T5_T6_T7_T8_P12ihipStream_tbENKUlT_T0_E_clISt17integral_constantIbLb0EESY_IbLb1EEEEDaSU_SV_EUlSU_E_NS1_11comp_targetILNS1_3genE2ELNS1_11target_archE906ELNS1_3gpuE6ELNS1_3repE0EEENS1_30default_config_static_selectorELNS0_4arch9wavefront6targetE1EEEvT1_, .Lfunc_end749-_ZN7rocprim17ROCPRIM_400000_NS6detail17trampoline_kernelINS0_14default_configENS1_33run_length_encode_config_selectorImjNS0_4plusIjEEEEZZNS1_33reduce_by_key_impl_wrapped_configILNS1_25lookback_scan_determinismE0ES3_S7_PKmNS0_17constant_iteratorIjlEEPmPlSF_S6_NS0_8equal_toImEEEE10hipError_tPvRmT2_T3_mT4_T5_T6_T7_T8_P12ihipStream_tbENKUlT_T0_E_clISt17integral_constantIbLb0EESY_IbLb1EEEEDaSU_SV_EUlSU_E_NS1_11comp_targetILNS1_3genE2ELNS1_11target_archE906ELNS1_3gpuE6ELNS1_3repE0EEENS1_30default_config_static_selectorELNS0_4arch9wavefront6targetE1EEEvT1_
                                        ; -- End function
	.section	.AMDGPU.csdata,"",@progbits
; Kernel info:
; codeLenInByte = 0
; NumSgprs: 4
; NumVgprs: 0
; NumAgprs: 0
; TotalNumVgprs: 0
; ScratchSize: 0
; MemoryBound: 0
; FloatMode: 240
; IeeeMode: 1
; LDSByteSize: 0 bytes/workgroup (compile time only)
; SGPRBlocks: 0
; VGPRBlocks: 0
; NumSGPRsForWavesPerEU: 4
; NumVGPRsForWavesPerEU: 1
; AccumOffset: 4
; Occupancy: 8
; WaveLimiterHint : 0
; COMPUTE_PGM_RSRC2:SCRATCH_EN: 0
; COMPUTE_PGM_RSRC2:USER_SGPR: 6
; COMPUTE_PGM_RSRC2:TRAP_HANDLER: 0
; COMPUTE_PGM_RSRC2:TGID_X_EN: 1
; COMPUTE_PGM_RSRC2:TGID_Y_EN: 0
; COMPUTE_PGM_RSRC2:TGID_Z_EN: 0
; COMPUTE_PGM_RSRC2:TIDIG_COMP_CNT: 0
; COMPUTE_PGM_RSRC3_GFX90A:ACCUM_OFFSET: 0
; COMPUTE_PGM_RSRC3_GFX90A:TG_SPLIT: 0
	.section	.text._ZN7rocprim17ROCPRIM_400000_NS6detail17trampoline_kernelINS0_14default_configENS1_33run_length_encode_config_selectorImjNS0_4plusIjEEEEZZNS1_33reduce_by_key_impl_wrapped_configILNS1_25lookback_scan_determinismE0ES3_S7_PKmNS0_17constant_iteratorIjlEEPmPlSF_S6_NS0_8equal_toImEEEE10hipError_tPvRmT2_T3_mT4_T5_T6_T7_T8_P12ihipStream_tbENKUlT_T0_E_clISt17integral_constantIbLb0EESY_IbLb1EEEEDaSU_SV_EUlSU_E_NS1_11comp_targetILNS1_3genE10ELNS1_11target_archE1201ELNS1_3gpuE5ELNS1_3repE0EEENS1_30default_config_static_selectorELNS0_4arch9wavefront6targetE1EEEvT1_,"axG",@progbits,_ZN7rocprim17ROCPRIM_400000_NS6detail17trampoline_kernelINS0_14default_configENS1_33run_length_encode_config_selectorImjNS0_4plusIjEEEEZZNS1_33reduce_by_key_impl_wrapped_configILNS1_25lookback_scan_determinismE0ES3_S7_PKmNS0_17constant_iteratorIjlEEPmPlSF_S6_NS0_8equal_toImEEEE10hipError_tPvRmT2_T3_mT4_T5_T6_T7_T8_P12ihipStream_tbENKUlT_T0_E_clISt17integral_constantIbLb0EESY_IbLb1EEEEDaSU_SV_EUlSU_E_NS1_11comp_targetILNS1_3genE10ELNS1_11target_archE1201ELNS1_3gpuE5ELNS1_3repE0EEENS1_30default_config_static_selectorELNS0_4arch9wavefront6targetE1EEEvT1_,comdat
	.protected	_ZN7rocprim17ROCPRIM_400000_NS6detail17trampoline_kernelINS0_14default_configENS1_33run_length_encode_config_selectorImjNS0_4plusIjEEEEZZNS1_33reduce_by_key_impl_wrapped_configILNS1_25lookback_scan_determinismE0ES3_S7_PKmNS0_17constant_iteratorIjlEEPmPlSF_S6_NS0_8equal_toImEEEE10hipError_tPvRmT2_T3_mT4_T5_T6_T7_T8_P12ihipStream_tbENKUlT_T0_E_clISt17integral_constantIbLb0EESY_IbLb1EEEEDaSU_SV_EUlSU_E_NS1_11comp_targetILNS1_3genE10ELNS1_11target_archE1201ELNS1_3gpuE5ELNS1_3repE0EEENS1_30default_config_static_selectorELNS0_4arch9wavefront6targetE1EEEvT1_ ; -- Begin function _ZN7rocprim17ROCPRIM_400000_NS6detail17trampoline_kernelINS0_14default_configENS1_33run_length_encode_config_selectorImjNS0_4plusIjEEEEZZNS1_33reduce_by_key_impl_wrapped_configILNS1_25lookback_scan_determinismE0ES3_S7_PKmNS0_17constant_iteratorIjlEEPmPlSF_S6_NS0_8equal_toImEEEE10hipError_tPvRmT2_T3_mT4_T5_T6_T7_T8_P12ihipStream_tbENKUlT_T0_E_clISt17integral_constantIbLb0EESY_IbLb1EEEEDaSU_SV_EUlSU_E_NS1_11comp_targetILNS1_3genE10ELNS1_11target_archE1201ELNS1_3gpuE5ELNS1_3repE0EEENS1_30default_config_static_selectorELNS0_4arch9wavefront6targetE1EEEvT1_
	.globl	_ZN7rocprim17ROCPRIM_400000_NS6detail17trampoline_kernelINS0_14default_configENS1_33run_length_encode_config_selectorImjNS0_4plusIjEEEEZZNS1_33reduce_by_key_impl_wrapped_configILNS1_25lookback_scan_determinismE0ES3_S7_PKmNS0_17constant_iteratorIjlEEPmPlSF_S6_NS0_8equal_toImEEEE10hipError_tPvRmT2_T3_mT4_T5_T6_T7_T8_P12ihipStream_tbENKUlT_T0_E_clISt17integral_constantIbLb0EESY_IbLb1EEEEDaSU_SV_EUlSU_E_NS1_11comp_targetILNS1_3genE10ELNS1_11target_archE1201ELNS1_3gpuE5ELNS1_3repE0EEENS1_30default_config_static_selectorELNS0_4arch9wavefront6targetE1EEEvT1_
	.p2align	8
	.type	_ZN7rocprim17ROCPRIM_400000_NS6detail17trampoline_kernelINS0_14default_configENS1_33run_length_encode_config_selectorImjNS0_4plusIjEEEEZZNS1_33reduce_by_key_impl_wrapped_configILNS1_25lookback_scan_determinismE0ES3_S7_PKmNS0_17constant_iteratorIjlEEPmPlSF_S6_NS0_8equal_toImEEEE10hipError_tPvRmT2_T3_mT4_T5_T6_T7_T8_P12ihipStream_tbENKUlT_T0_E_clISt17integral_constantIbLb0EESY_IbLb1EEEEDaSU_SV_EUlSU_E_NS1_11comp_targetILNS1_3genE10ELNS1_11target_archE1201ELNS1_3gpuE5ELNS1_3repE0EEENS1_30default_config_static_selectorELNS0_4arch9wavefront6targetE1EEEvT1_,@function
_ZN7rocprim17ROCPRIM_400000_NS6detail17trampoline_kernelINS0_14default_configENS1_33run_length_encode_config_selectorImjNS0_4plusIjEEEEZZNS1_33reduce_by_key_impl_wrapped_configILNS1_25lookback_scan_determinismE0ES3_S7_PKmNS0_17constant_iteratorIjlEEPmPlSF_S6_NS0_8equal_toImEEEE10hipError_tPvRmT2_T3_mT4_T5_T6_T7_T8_P12ihipStream_tbENKUlT_T0_E_clISt17integral_constantIbLb0EESY_IbLb1EEEEDaSU_SV_EUlSU_E_NS1_11comp_targetILNS1_3genE10ELNS1_11target_archE1201ELNS1_3gpuE5ELNS1_3repE0EEENS1_30default_config_static_selectorELNS0_4arch9wavefront6targetE1EEEvT1_: ; @_ZN7rocprim17ROCPRIM_400000_NS6detail17trampoline_kernelINS0_14default_configENS1_33run_length_encode_config_selectorImjNS0_4plusIjEEEEZZNS1_33reduce_by_key_impl_wrapped_configILNS1_25lookback_scan_determinismE0ES3_S7_PKmNS0_17constant_iteratorIjlEEPmPlSF_S6_NS0_8equal_toImEEEE10hipError_tPvRmT2_T3_mT4_T5_T6_T7_T8_P12ihipStream_tbENKUlT_T0_E_clISt17integral_constantIbLb0EESY_IbLb1EEEEDaSU_SV_EUlSU_E_NS1_11comp_targetILNS1_3genE10ELNS1_11target_archE1201ELNS1_3gpuE5ELNS1_3repE0EEENS1_30default_config_static_selectorELNS0_4arch9wavefront6targetE1EEEvT1_
; %bb.0:
	.section	.rodata,"a",@progbits
	.p2align	6, 0x0
	.amdhsa_kernel _ZN7rocprim17ROCPRIM_400000_NS6detail17trampoline_kernelINS0_14default_configENS1_33run_length_encode_config_selectorImjNS0_4plusIjEEEEZZNS1_33reduce_by_key_impl_wrapped_configILNS1_25lookback_scan_determinismE0ES3_S7_PKmNS0_17constant_iteratorIjlEEPmPlSF_S6_NS0_8equal_toImEEEE10hipError_tPvRmT2_T3_mT4_T5_T6_T7_T8_P12ihipStream_tbENKUlT_T0_E_clISt17integral_constantIbLb0EESY_IbLb1EEEEDaSU_SV_EUlSU_E_NS1_11comp_targetILNS1_3genE10ELNS1_11target_archE1201ELNS1_3gpuE5ELNS1_3repE0EEENS1_30default_config_static_selectorELNS0_4arch9wavefront6targetE1EEEvT1_
		.amdhsa_group_segment_fixed_size 0
		.amdhsa_private_segment_fixed_size 0
		.amdhsa_kernarg_size 128
		.amdhsa_user_sgpr_count 6
		.amdhsa_user_sgpr_private_segment_buffer 1
		.amdhsa_user_sgpr_dispatch_ptr 0
		.amdhsa_user_sgpr_queue_ptr 0
		.amdhsa_user_sgpr_kernarg_segment_ptr 1
		.amdhsa_user_sgpr_dispatch_id 0
		.amdhsa_user_sgpr_flat_scratch_init 0
		.amdhsa_user_sgpr_kernarg_preload_length 0
		.amdhsa_user_sgpr_kernarg_preload_offset 0
		.amdhsa_user_sgpr_private_segment_size 0
		.amdhsa_uses_dynamic_stack 0
		.amdhsa_system_sgpr_private_segment_wavefront_offset 0
		.amdhsa_system_sgpr_workgroup_id_x 1
		.amdhsa_system_sgpr_workgroup_id_y 0
		.amdhsa_system_sgpr_workgroup_id_z 0
		.amdhsa_system_sgpr_workgroup_info 0
		.amdhsa_system_vgpr_workitem_id 0
		.amdhsa_next_free_vgpr 1
		.amdhsa_next_free_sgpr 0
		.amdhsa_accum_offset 4
		.amdhsa_reserve_vcc 0
		.amdhsa_reserve_flat_scratch 0
		.amdhsa_float_round_mode_32 0
		.amdhsa_float_round_mode_16_64 0
		.amdhsa_float_denorm_mode_32 3
		.amdhsa_float_denorm_mode_16_64 3
		.amdhsa_dx10_clamp 1
		.amdhsa_ieee_mode 1
		.amdhsa_fp16_overflow 0
		.amdhsa_tg_split 0
		.amdhsa_exception_fp_ieee_invalid_op 0
		.amdhsa_exception_fp_denorm_src 0
		.amdhsa_exception_fp_ieee_div_zero 0
		.amdhsa_exception_fp_ieee_overflow 0
		.amdhsa_exception_fp_ieee_underflow 0
		.amdhsa_exception_fp_ieee_inexact 0
		.amdhsa_exception_int_div_zero 0
	.end_amdhsa_kernel
	.section	.text._ZN7rocprim17ROCPRIM_400000_NS6detail17trampoline_kernelINS0_14default_configENS1_33run_length_encode_config_selectorImjNS0_4plusIjEEEEZZNS1_33reduce_by_key_impl_wrapped_configILNS1_25lookback_scan_determinismE0ES3_S7_PKmNS0_17constant_iteratorIjlEEPmPlSF_S6_NS0_8equal_toImEEEE10hipError_tPvRmT2_T3_mT4_T5_T6_T7_T8_P12ihipStream_tbENKUlT_T0_E_clISt17integral_constantIbLb0EESY_IbLb1EEEEDaSU_SV_EUlSU_E_NS1_11comp_targetILNS1_3genE10ELNS1_11target_archE1201ELNS1_3gpuE5ELNS1_3repE0EEENS1_30default_config_static_selectorELNS0_4arch9wavefront6targetE1EEEvT1_,"axG",@progbits,_ZN7rocprim17ROCPRIM_400000_NS6detail17trampoline_kernelINS0_14default_configENS1_33run_length_encode_config_selectorImjNS0_4plusIjEEEEZZNS1_33reduce_by_key_impl_wrapped_configILNS1_25lookback_scan_determinismE0ES3_S7_PKmNS0_17constant_iteratorIjlEEPmPlSF_S6_NS0_8equal_toImEEEE10hipError_tPvRmT2_T3_mT4_T5_T6_T7_T8_P12ihipStream_tbENKUlT_T0_E_clISt17integral_constantIbLb0EESY_IbLb1EEEEDaSU_SV_EUlSU_E_NS1_11comp_targetILNS1_3genE10ELNS1_11target_archE1201ELNS1_3gpuE5ELNS1_3repE0EEENS1_30default_config_static_selectorELNS0_4arch9wavefront6targetE1EEEvT1_,comdat
.Lfunc_end750:
	.size	_ZN7rocprim17ROCPRIM_400000_NS6detail17trampoline_kernelINS0_14default_configENS1_33run_length_encode_config_selectorImjNS0_4plusIjEEEEZZNS1_33reduce_by_key_impl_wrapped_configILNS1_25lookback_scan_determinismE0ES3_S7_PKmNS0_17constant_iteratorIjlEEPmPlSF_S6_NS0_8equal_toImEEEE10hipError_tPvRmT2_T3_mT4_T5_T6_T7_T8_P12ihipStream_tbENKUlT_T0_E_clISt17integral_constantIbLb0EESY_IbLb1EEEEDaSU_SV_EUlSU_E_NS1_11comp_targetILNS1_3genE10ELNS1_11target_archE1201ELNS1_3gpuE5ELNS1_3repE0EEENS1_30default_config_static_selectorELNS0_4arch9wavefront6targetE1EEEvT1_, .Lfunc_end750-_ZN7rocprim17ROCPRIM_400000_NS6detail17trampoline_kernelINS0_14default_configENS1_33run_length_encode_config_selectorImjNS0_4plusIjEEEEZZNS1_33reduce_by_key_impl_wrapped_configILNS1_25lookback_scan_determinismE0ES3_S7_PKmNS0_17constant_iteratorIjlEEPmPlSF_S6_NS0_8equal_toImEEEE10hipError_tPvRmT2_T3_mT4_T5_T6_T7_T8_P12ihipStream_tbENKUlT_T0_E_clISt17integral_constantIbLb0EESY_IbLb1EEEEDaSU_SV_EUlSU_E_NS1_11comp_targetILNS1_3genE10ELNS1_11target_archE1201ELNS1_3gpuE5ELNS1_3repE0EEENS1_30default_config_static_selectorELNS0_4arch9wavefront6targetE1EEEvT1_
                                        ; -- End function
	.section	.AMDGPU.csdata,"",@progbits
; Kernel info:
; codeLenInByte = 0
; NumSgprs: 4
; NumVgprs: 0
; NumAgprs: 0
; TotalNumVgprs: 0
; ScratchSize: 0
; MemoryBound: 0
; FloatMode: 240
; IeeeMode: 1
; LDSByteSize: 0 bytes/workgroup (compile time only)
; SGPRBlocks: 0
; VGPRBlocks: 0
; NumSGPRsForWavesPerEU: 4
; NumVGPRsForWavesPerEU: 1
; AccumOffset: 4
; Occupancy: 8
; WaveLimiterHint : 0
; COMPUTE_PGM_RSRC2:SCRATCH_EN: 0
; COMPUTE_PGM_RSRC2:USER_SGPR: 6
; COMPUTE_PGM_RSRC2:TRAP_HANDLER: 0
; COMPUTE_PGM_RSRC2:TGID_X_EN: 1
; COMPUTE_PGM_RSRC2:TGID_Y_EN: 0
; COMPUTE_PGM_RSRC2:TGID_Z_EN: 0
; COMPUTE_PGM_RSRC2:TIDIG_COMP_CNT: 0
; COMPUTE_PGM_RSRC3_GFX90A:ACCUM_OFFSET: 0
; COMPUTE_PGM_RSRC3_GFX90A:TG_SPLIT: 0
	.section	.text._ZN7rocprim17ROCPRIM_400000_NS6detail17trampoline_kernelINS0_14default_configENS1_33run_length_encode_config_selectorImjNS0_4plusIjEEEEZZNS1_33reduce_by_key_impl_wrapped_configILNS1_25lookback_scan_determinismE0ES3_S7_PKmNS0_17constant_iteratorIjlEEPmPlSF_S6_NS0_8equal_toImEEEE10hipError_tPvRmT2_T3_mT4_T5_T6_T7_T8_P12ihipStream_tbENKUlT_T0_E_clISt17integral_constantIbLb0EESY_IbLb1EEEEDaSU_SV_EUlSU_E_NS1_11comp_targetILNS1_3genE10ELNS1_11target_archE1200ELNS1_3gpuE4ELNS1_3repE0EEENS1_30default_config_static_selectorELNS0_4arch9wavefront6targetE1EEEvT1_,"axG",@progbits,_ZN7rocprim17ROCPRIM_400000_NS6detail17trampoline_kernelINS0_14default_configENS1_33run_length_encode_config_selectorImjNS0_4plusIjEEEEZZNS1_33reduce_by_key_impl_wrapped_configILNS1_25lookback_scan_determinismE0ES3_S7_PKmNS0_17constant_iteratorIjlEEPmPlSF_S6_NS0_8equal_toImEEEE10hipError_tPvRmT2_T3_mT4_T5_T6_T7_T8_P12ihipStream_tbENKUlT_T0_E_clISt17integral_constantIbLb0EESY_IbLb1EEEEDaSU_SV_EUlSU_E_NS1_11comp_targetILNS1_3genE10ELNS1_11target_archE1200ELNS1_3gpuE4ELNS1_3repE0EEENS1_30default_config_static_selectorELNS0_4arch9wavefront6targetE1EEEvT1_,comdat
	.protected	_ZN7rocprim17ROCPRIM_400000_NS6detail17trampoline_kernelINS0_14default_configENS1_33run_length_encode_config_selectorImjNS0_4plusIjEEEEZZNS1_33reduce_by_key_impl_wrapped_configILNS1_25lookback_scan_determinismE0ES3_S7_PKmNS0_17constant_iteratorIjlEEPmPlSF_S6_NS0_8equal_toImEEEE10hipError_tPvRmT2_T3_mT4_T5_T6_T7_T8_P12ihipStream_tbENKUlT_T0_E_clISt17integral_constantIbLb0EESY_IbLb1EEEEDaSU_SV_EUlSU_E_NS1_11comp_targetILNS1_3genE10ELNS1_11target_archE1200ELNS1_3gpuE4ELNS1_3repE0EEENS1_30default_config_static_selectorELNS0_4arch9wavefront6targetE1EEEvT1_ ; -- Begin function _ZN7rocprim17ROCPRIM_400000_NS6detail17trampoline_kernelINS0_14default_configENS1_33run_length_encode_config_selectorImjNS0_4plusIjEEEEZZNS1_33reduce_by_key_impl_wrapped_configILNS1_25lookback_scan_determinismE0ES3_S7_PKmNS0_17constant_iteratorIjlEEPmPlSF_S6_NS0_8equal_toImEEEE10hipError_tPvRmT2_T3_mT4_T5_T6_T7_T8_P12ihipStream_tbENKUlT_T0_E_clISt17integral_constantIbLb0EESY_IbLb1EEEEDaSU_SV_EUlSU_E_NS1_11comp_targetILNS1_3genE10ELNS1_11target_archE1200ELNS1_3gpuE4ELNS1_3repE0EEENS1_30default_config_static_selectorELNS0_4arch9wavefront6targetE1EEEvT1_
	.globl	_ZN7rocprim17ROCPRIM_400000_NS6detail17trampoline_kernelINS0_14default_configENS1_33run_length_encode_config_selectorImjNS0_4plusIjEEEEZZNS1_33reduce_by_key_impl_wrapped_configILNS1_25lookback_scan_determinismE0ES3_S7_PKmNS0_17constant_iteratorIjlEEPmPlSF_S6_NS0_8equal_toImEEEE10hipError_tPvRmT2_T3_mT4_T5_T6_T7_T8_P12ihipStream_tbENKUlT_T0_E_clISt17integral_constantIbLb0EESY_IbLb1EEEEDaSU_SV_EUlSU_E_NS1_11comp_targetILNS1_3genE10ELNS1_11target_archE1200ELNS1_3gpuE4ELNS1_3repE0EEENS1_30default_config_static_selectorELNS0_4arch9wavefront6targetE1EEEvT1_
	.p2align	8
	.type	_ZN7rocprim17ROCPRIM_400000_NS6detail17trampoline_kernelINS0_14default_configENS1_33run_length_encode_config_selectorImjNS0_4plusIjEEEEZZNS1_33reduce_by_key_impl_wrapped_configILNS1_25lookback_scan_determinismE0ES3_S7_PKmNS0_17constant_iteratorIjlEEPmPlSF_S6_NS0_8equal_toImEEEE10hipError_tPvRmT2_T3_mT4_T5_T6_T7_T8_P12ihipStream_tbENKUlT_T0_E_clISt17integral_constantIbLb0EESY_IbLb1EEEEDaSU_SV_EUlSU_E_NS1_11comp_targetILNS1_3genE10ELNS1_11target_archE1200ELNS1_3gpuE4ELNS1_3repE0EEENS1_30default_config_static_selectorELNS0_4arch9wavefront6targetE1EEEvT1_,@function
_ZN7rocprim17ROCPRIM_400000_NS6detail17trampoline_kernelINS0_14default_configENS1_33run_length_encode_config_selectorImjNS0_4plusIjEEEEZZNS1_33reduce_by_key_impl_wrapped_configILNS1_25lookback_scan_determinismE0ES3_S7_PKmNS0_17constant_iteratorIjlEEPmPlSF_S6_NS0_8equal_toImEEEE10hipError_tPvRmT2_T3_mT4_T5_T6_T7_T8_P12ihipStream_tbENKUlT_T0_E_clISt17integral_constantIbLb0EESY_IbLb1EEEEDaSU_SV_EUlSU_E_NS1_11comp_targetILNS1_3genE10ELNS1_11target_archE1200ELNS1_3gpuE4ELNS1_3repE0EEENS1_30default_config_static_selectorELNS0_4arch9wavefront6targetE1EEEvT1_: ; @_ZN7rocprim17ROCPRIM_400000_NS6detail17trampoline_kernelINS0_14default_configENS1_33run_length_encode_config_selectorImjNS0_4plusIjEEEEZZNS1_33reduce_by_key_impl_wrapped_configILNS1_25lookback_scan_determinismE0ES3_S7_PKmNS0_17constant_iteratorIjlEEPmPlSF_S6_NS0_8equal_toImEEEE10hipError_tPvRmT2_T3_mT4_T5_T6_T7_T8_P12ihipStream_tbENKUlT_T0_E_clISt17integral_constantIbLb0EESY_IbLb1EEEEDaSU_SV_EUlSU_E_NS1_11comp_targetILNS1_3genE10ELNS1_11target_archE1200ELNS1_3gpuE4ELNS1_3repE0EEENS1_30default_config_static_selectorELNS0_4arch9wavefront6targetE1EEEvT1_
; %bb.0:
	.section	.rodata,"a",@progbits
	.p2align	6, 0x0
	.amdhsa_kernel _ZN7rocprim17ROCPRIM_400000_NS6detail17trampoline_kernelINS0_14default_configENS1_33run_length_encode_config_selectorImjNS0_4plusIjEEEEZZNS1_33reduce_by_key_impl_wrapped_configILNS1_25lookback_scan_determinismE0ES3_S7_PKmNS0_17constant_iteratorIjlEEPmPlSF_S6_NS0_8equal_toImEEEE10hipError_tPvRmT2_T3_mT4_T5_T6_T7_T8_P12ihipStream_tbENKUlT_T0_E_clISt17integral_constantIbLb0EESY_IbLb1EEEEDaSU_SV_EUlSU_E_NS1_11comp_targetILNS1_3genE10ELNS1_11target_archE1200ELNS1_3gpuE4ELNS1_3repE0EEENS1_30default_config_static_selectorELNS0_4arch9wavefront6targetE1EEEvT1_
		.amdhsa_group_segment_fixed_size 0
		.amdhsa_private_segment_fixed_size 0
		.amdhsa_kernarg_size 128
		.amdhsa_user_sgpr_count 6
		.amdhsa_user_sgpr_private_segment_buffer 1
		.amdhsa_user_sgpr_dispatch_ptr 0
		.amdhsa_user_sgpr_queue_ptr 0
		.amdhsa_user_sgpr_kernarg_segment_ptr 1
		.amdhsa_user_sgpr_dispatch_id 0
		.amdhsa_user_sgpr_flat_scratch_init 0
		.amdhsa_user_sgpr_kernarg_preload_length 0
		.amdhsa_user_sgpr_kernarg_preload_offset 0
		.amdhsa_user_sgpr_private_segment_size 0
		.amdhsa_uses_dynamic_stack 0
		.amdhsa_system_sgpr_private_segment_wavefront_offset 0
		.amdhsa_system_sgpr_workgroup_id_x 1
		.amdhsa_system_sgpr_workgroup_id_y 0
		.amdhsa_system_sgpr_workgroup_id_z 0
		.amdhsa_system_sgpr_workgroup_info 0
		.amdhsa_system_vgpr_workitem_id 0
		.amdhsa_next_free_vgpr 1
		.amdhsa_next_free_sgpr 0
		.amdhsa_accum_offset 4
		.amdhsa_reserve_vcc 0
		.amdhsa_reserve_flat_scratch 0
		.amdhsa_float_round_mode_32 0
		.amdhsa_float_round_mode_16_64 0
		.amdhsa_float_denorm_mode_32 3
		.amdhsa_float_denorm_mode_16_64 3
		.amdhsa_dx10_clamp 1
		.amdhsa_ieee_mode 1
		.amdhsa_fp16_overflow 0
		.amdhsa_tg_split 0
		.amdhsa_exception_fp_ieee_invalid_op 0
		.amdhsa_exception_fp_denorm_src 0
		.amdhsa_exception_fp_ieee_div_zero 0
		.amdhsa_exception_fp_ieee_overflow 0
		.amdhsa_exception_fp_ieee_underflow 0
		.amdhsa_exception_fp_ieee_inexact 0
		.amdhsa_exception_int_div_zero 0
	.end_amdhsa_kernel
	.section	.text._ZN7rocprim17ROCPRIM_400000_NS6detail17trampoline_kernelINS0_14default_configENS1_33run_length_encode_config_selectorImjNS0_4plusIjEEEEZZNS1_33reduce_by_key_impl_wrapped_configILNS1_25lookback_scan_determinismE0ES3_S7_PKmNS0_17constant_iteratorIjlEEPmPlSF_S6_NS0_8equal_toImEEEE10hipError_tPvRmT2_T3_mT4_T5_T6_T7_T8_P12ihipStream_tbENKUlT_T0_E_clISt17integral_constantIbLb0EESY_IbLb1EEEEDaSU_SV_EUlSU_E_NS1_11comp_targetILNS1_3genE10ELNS1_11target_archE1200ELNS1_3gpuE4ELNS1_3repE0EEENS1_30default_config_static_selectorELNS0_4arch9wavefront6targetE1EEEvT1_,"axG",@progbits,_ZN7rocprim17ROCPRIM_400000_NS6detail17trampoline_kernelINS0_14default_configENS1_33run_length_encode_config_selectorImjNS0_4plusIjEEEEZZNS1_33reduce_by_key_impl_wrapped_configILNS1_25lookback_scan_determinismE0ES3_S7_PKmNS0_17constant_iteratorIjlEEPmPlSF_S6_NS0_8equal_toImEEEE10hipError_tPvRmT2_T3_mT4_T5_T6_T7_T8_P12ihipStream_tbENKUlT_T0_E_clISt17integral_constantIbLb0EESY_IbLb1EEEEDaSU_SV_EUlSU_E_NS1_11comp_targetILNS1_3genE10ELNS1_11target_archE1200ELNS1_3gpuE4ELNS1_3repE0EEENS1_30default_config_static_selectorELNS0_4arch9wavefront6targetE1EEEvT1_,comdat
.Lfunc_end751:
	.size	_ZN7rocprim17ROCPRIM_400000_NS6detail17trampoline_kernelINS0_14default_configENS1_33run_length_encode_config_selectorImjNS0_4plusIjEEEEZZNS1_33reduce_by_key_impl_wrapped_configILNS1_25lookback_scan_determinismE0ES3_S7_PKmNS0_17constant_iteratorIjlEEPmPlSF_S6_NS0_8equal_toImEEEE10hipError_tPvRmT2_T3_mT4_T5_T6_T7_T8_P12ihipStream_tbENKUlT_T0_E_clISt17integral_constantIbLb0EESY_IbLb1EEEEDaSU_SV_EUlSU_E_NS1_11comp_targetILNS1_3genE10ELNS1_11target_archE1200ELNS1_3gpuE4ELNS1_3repE0EEENS1_30default_config_static_selectorELNS0_4arch9wavefront6targetE1EEEvT1_, .Lfunc_end751-_ZN7rocprim17ROCPRIM_400000_NS6detail17trampoline_kernelINS0_14default_configENS1_33run_length_encode_config_selectorImjNS0_4plusIjEEEEZZNS1_33reduce_by_key_impl_wrapped_configILNS1_25lookback_scan_determinismE0ES3_S7_PKmNS0_17constant_iteratorIjlEEPmPlSF_S6_NS0_8equal_toImEEEE10hipError_tPvRmT2_T3_mT4_T5_T6_T7_T8_P12ihipStream_tbENKUlT_T0_E_clISt17integral_constantIbLb0EESY_IbLb1EEEEDaSU_SV_EUlSU_E_NS1_11comp_targetILNS1_3genE10ELNS1_11target_archE1200ELNS1_3gpuE4ELNS1_3repE0EEENS1_30default_config_static_selectorELNS0_4arch9wavefront6targetE1EEEvT1_
                                        ; -- End function
	.section	.AMDGPU.csdata,"",@progbits
; Kernel info:
; codeLenInByte = 0
; NumSgprs: 4
; NumVgprs: 0
; NumAgprs: 0
; TotalNumVgprs: 0
; ScratchSize: 0
; MemoryBound: 0
; FloatMode: 240
; IeeeMode: 1
; LDSByteSize: 0 bytes/workgroup (compile time only)
; SGPRBlocks: 0
; VGPRBlocks: 0
; NumSGPRsForWavesPerEU: 4
; NumVGPRsForWavesPerEU: 1
; AccumOffset: 4
; Occupancy: 8
; WaveLimiterHint : 0
; COMPUTE_PGM_RSRC2:SCRATCH_EN: 0
; COMPUTE_PGM_RSRC2:USER_SGPR: 6
; COMPUTE_PGM_RSRC2:TRAP_HANDLER: 0
; COMPUTE_PGM_RSRC2:TGID_X_EN: 1
; COMPUTE_PGM_RSRC2:TGID_Y_EN: 0
; COMPUTE_PGM_RSRC2:TGID_Z_EN: 0
; COMPUTE_PGM_RSRC2:TIDIG_COMP_CNT: 0
; COMPUTE_PGM_RSRC3_GFX90A:ACCUM_OFFSET: 0
; COMPUTE_PGM_RSRC3_GFX90A:TG_SPLIT: 0
	.section	.text._ZN7rocprim17ROCPRIM_400000_NS6detail17trampoline_kernelINS0_14default_configENS1_33run_length_encode_config_selectorImjNS0_4plusIjEEEEZZNS1_33reduce_by_key_impl_wrapped_configILNS1_25lookback_scan_determinismE0ES3_S7_PKmNS0_17constant_iteratorIjlEEPmPlSF_S6_NS0_8equal_toImEEEE10hipError_tPvRmT2_T3_mT4_T5_T6_T7_T8_P12ihipStream_tbENKUlT_T0_E_clISt17integral_constantIbLb0EESY_IbLb1EEEEDaSU_SV_EUlSU_E_NS1_11comp_targetILNS1_3genE9ELNS1_11target_archE1100ELNS1_3gpuE3ELNS1_3repE0EEENS1_30default_config_static_selectorELNS0_4arch9wavefront6targetE1EEEvT1_,"axG",@progbits,_ZN7rocprim17ROCPRIM_400000_NS6detail17trampoline_kernelINS0_14default_configENS1_33run_length_encode_config_selectorImjNS0_4plusIjEEEEZZNS1_33reduce_by_key_impl_wrapped_configILNS1_25lookback_scan_determinismE0ES3_S7_PKmNS0_17constant_iteratorIjlEEPmPlSF_S6_NS0_8equal_toImEEEE10hipError_tPvRmT2_T3_mT4_T5_T6_T7_T8_P12ihipStream_tbENKUlT_T0_E_clISt17integral_constantIbLb0EESY_IbLb1EEEEDaSU_SV_EUlSU_E_NS1_11comp_targetILNS1_3genE9ELNS1_11target_archE1100ELNS1_3gpuE3ELNS1_3repE0EEENS1_30default_config_static_selectorELNS0_4arch9wavefront6targetE1EEEvT1_,comdat
	.protected	_ZN7rocprim17ROCPRIM_400000_NS6detail17trampoline_kernelINS0_14default_configENS1_33run_length_encode_config_selectorImjNS0_4plusIjEEEEZZNS1_33reduce_by_key_impl_wrapped_configILNS1_25lookback_scan_determinismE0ES3_S7_PKmNS0_17constant_iteratorIjlEEPmPlSF_S6_NS0_8equal_toImEEEE10hipError_tPvRmT2_T3_mT4_T5_T6_T7_T8_P12ihipStream_tbENKUlT_T0_E_clISt17integral_constantIbLb0EESY_IbLb1EEEEDaSU_SV_EUlSU_E_NS1_11comp_targetILNS1_3genE9ELNS1_11target_archE1100ELNS1_3gpuE3ELNS1_3repE0EEENS1_30default_config_static_selectorELNS0_4arch9wavefront6targetE1EEEvT1_ ; -- Begin function _ZN7rocprim17ROCPRIM_400000_NS6detail17trampoline_kernelINS0_14default_configENS1_33run_length_encode_config_selectorImjNS0_4plusIjEEEEZZNS1_33reduce_by_key_impl_wrapped_configILNS1_25lookback_scan_determinismE0ES3_S7_PKmNS0_17constant_iteratorIjlEEPmPlSF_S6_NS0_8equal_toImEEEE10hipError_tPvRmT2_T3_mT4_T5_T6_T7_T8_P12ihipStream_tbENKUlT_T0_E_clISt17integral_constantIbLb0EESY_IbLb1EEEEDaSU_SV_EUlSU_E_NS1_11comp_targetILNS1_3genE9ELNS1_11target_archE1100ELNS1_3gpuE3ELNS1_3repE0EEENS1_30default_config_static_selectorELNS0_4arch9wavefront6targetE1EEEvT1_
	.globl	_ZN7rocprim17ROCPRIM_400000_NS6detail17trampoline_kernelINS0_14default_configENS1_33run_length_encode_config_selectorImjNS0_4plusIjEEEEZZNS1_33reduce_by_key_impl_wrapped_configILNS1_25lookback_scan_determinismE0ES3_S7_PKmNS0_17constant_iteratorIjlEEPmPlSF_S6_NS0_8equal_toImEEEE10hipError_tPvRmT2_T3_mT4_T5_T6_T7_T8_P12ihipStream_tbENKUlT_T0_E_clISt17integral_constantIbLb0EESY_IbLb1EEEEDaSU_SV_EUlSU_E_NS1_11comp_targetILNS1_3genE9ELNS1_11target_archE1100ELNS1_3gpuE3ELNS1_3repE0EEENS1_30default_config_static_selectorELNS0_4arch9wavefront6targetE1EEEvT1_
	.p2align	8
	.type	_ZN7rocprim17ROCPRIM_400000_NS6detail17trampoline_kernelINS0_14default_configENS1_33run_length_encode_config_selectorImjNS0_4plusIjEEEEZZNS1_33reduce_by_key_impl_wrapped_configILNS1_25lookback_scan_determinismE0ES3_S7_PKmNS0_17constant_iteratorIjlEEPmPlSF_S6_NS0_8equal_toImEEEE10hipError_tPvRmT2_T3_mT4_T5_T6_T7_T8_P12ihipStream_tbENKUlT_T0_E_clISt17integral_constantIbLb0EESY_IbLb1EEEEDaSU_SV_EUlSU_E_NS1_11comp_targetILNS1_3genE9ELNS1_11target_archE1100ELNS1_3gpuE3ELNS1_3repE0EEENS1_30default_config_static_selectorELNS0_4arch9wavefront6targetE1EEEvT1_,@function
_ZN7rocprim17ROCPRIM_400000_NS6detail17trampoline_kernelINS0_14default_configENS1_33run_length_encode_config_selectorImjNS0_4plusIjEEEEZZNS1_33reduce_by_key_impl_wrapped_configILNS1_25lookback_scan_determinismE0ES3_S7_PKmNS0_17constant_iteratorIjlEEPmPlSF_S6_NS0_8equal_toImEEEE10hipError_tPvRmT2_T3_mT4_T5_T6_T7_T8_P12ihipStream_tbENKUlT_T0_E_clISt17integral_constantIbLb0EESY_IbLb1EEEEDaSU_SV_EUlSU_E_NS1_11comp_targetILNS1_3genE9ELNS1_11target_archE1100ELNS1_3gpuE3ELNS1_3repE0EEENS1_30default_config_static_selectorELNS0_4arch9wavefront6targetE1EEEvT1_: ; @_ZN7rocprim17ROCPRIM_400000_NS6detail17trampoline_kernelINS0_14default_configENS1_33run_length_encode_config_selectorImjNS0_4plusIjEEEEZZNS1_33reduce_by_key_impl_wrapped_configILNS1_25lookback_scan_determinismE0ES3_S7_PKmNS0_17constant_iteratorIjlEEPmPlSF_S6_NS0_8equal_toImEEEE10hipError_tPvRmT2_T3_mT4_T5_T6_T7_T8_P12ihipStream_tbENKUlT_T0_E_clISt17integral_constantIbLb0EESY_IbLb1EEEEDaSU_SV_EUlSU_E_NS1_11comp_targetILNS1_3genE9ELNS1_11target_archE1100ELNS1_3gpuE3ELNS1_3repE0EEENS1_30default_config_static_selectorELNS0_4arch9wavefront6targetE1EEEvT1_
; %bb.0:
	.section	.rodata,"a",@progbits
	.p2align	6, 0x0
	.amdhsa_kernel _ZN7rocprim17ROCPRIM_400000_NS6detail17trampoline_kernelINS0_14default_configENS1_33run_length_encode_config_selectorImjNS0_4plusIjEEEEZZNS1_33reduce_by_key_impl_wrapped_configILNS1_25lookback_scan_determinismE0ES3_S7_PKmNS0_17constant_iteratorIjlEEPmPlSF_S6_NS0_8equal_toImEEEE10hipError_tPvRmT2_T3_mT4_T5_T6_T7_T8_P12ihipStream_tbENKUlT_T0_E_clISt17integral_constantIbLb0EESY_IbLb1EEEEDaSU_SV_EUlSU_E_NS1_11comp_targetILNS1_3genE9ELNS1_11target_archE1100ELNS1_3gpuE3ELNS1_3repE0EEENS1_30default_config_static_selectorELNS0_4arch9wavefront6targetE1EEEvT1_
		.amdhsa_group_segment_fixed_size 0
		.amdhsa_private_segment_fixed_size 0
		.amdhsa_kernarg_size 128
		.amdhsa_user_sgpr_count 6
		.amdhsa_user_sgpr_private_segment_buffer 1
		.amdhsa_user_sgpr_dispatch_ptr 0
		.amdhsa_user_sgpr_queue_ptr 0
		.amdhsa_user_sgpr_kernarg_segment_ptr 1
		.amdhsa_user_sgpr_dispatch_id 0
		.amdhsa_user_sgpr_flat_scratch_init 0
		.amdhsa_user_sgpr_kernarg_preload_length 0
		.amdhsa_user_sgpr_kernarg_preload_offset 0
		.amdhsa_user_sgpr_private_segment_size 0
		.amdhsa_uses_dynamic_stack 0
		.amdhsa_system_sgpr_private_segment_wavefront_offset 0
		.amdhsa_system_sgpr_workgroup_id_x 1
		.amdhsa_system_sgpr_workgroup_id_y 0
		.amdhsa_system_sgpr_workgroup_id_z 0
		.amdhsa_system_sgpr_workgroup_info 0
		.amdhsa_system_vgpr_workitem_id 0
		.amdhsa_next_free_vgpr 1
		.amdhsa_next_free_sgpr 0
		.amdhsa_accum_offset 4
		.amdhsa_reserve_vcc 0
		.amdhsa_reserve_flat_scratch 0
		.amdhsa_float_round_mode_32 0
		.amdhsa_float_round_mode_16_64 0
		.amdhsa_float_denorm_mode_32 3
		.amdhsa_float_denorm_mode_16_64 3
		.amdhsa_dx10_clamp 1
		.amdhsa_ieee_mode 1
		.amdhsa_fp16_overflow 0
		.amdhsa_tg_split 0
		.amdhsa_exception_fp_ieee_invalid_op 0
		.amdhsa_exception_fp_denorm_src 0
		.amdhsa_exception_fp_ieee_div_zero 0
		.amdhsa_exception_fp_ieee_overflow 0
		.amdhsa_exception_fp_ieee_underflow 0
		.amdhsa_exception_fp_ieee_inexact 0
		.amdhsa_exception_int_div_zero 0
	.end_amdhsa_kernel
	.section	.text._ZN7rocprim17ROCPRIM_400000_NS6detail17trampoline_kernelINS0_14default_configENS1_33run_length_encode_config_selectorImjNS0_4plusIjEEEEZZNS1_33reduce_by_key_impl_wrapped_configILNS1_25lookback_scan_determinismE0ES3_S7_PKmNS0_17constant_iteratorIjlEEPmPlSF_S6_NS0_8equal_toImEEEE10hipError_tPvRmT2_T3_mT4_T5_T6_T7_T8_P12ihipStream_tbENKUlT_T0_E_clISt17integral_constantIbLb0EESY_IbLb1EEEEDaSU_SV_EUlSU_E_NS1_11comp_targetILNS1_3genE9ELNS1_11target_archE1100ELNS1_3gpuE3ELNS1_3repE0EEENS1_30default_config_static_selectorELNS0_4arch9wavefront6targetE1EEEvT1_,"axG",@progbits,_ZN7rocprim17ROCPRIM_400000_NS6detail17trampoline_kernelINS0_14default_configENS1_33run_length_encode_config_selectorImjNS0_4plusIjEEEEZZNS1_33reduce_by_key_impl_wrapped_configILNS1_25lookback_scan_determinismE0ES3_S7_PKmNS0_17constant_iteratorIjlEEPmPlSF_S6_NS0_8equal_toImEEEE10hipError_tPvRmT2_T3_mT4_T5_T6_T7_T8_P12ihipStream_tbENKUlT_T0_E_clISt17integral_constantIbLb0EESY_IbLb1EEEEDaSU_SV_EUlSU_E_NS1_11comp_targetILNS1_3genE9ELNS1_11target_archE1100ELNS1_3gpuE3ELNS1_3repE0EEENS1_30default_config_static_selectorELNS0_4arch9wavefront6targetE1EEEvT1_,comdat
.Lfunc_end752:
	.size	_ZN7rocprim17ROCPRIM_400000_NS6detail17trampoline_kernelINS0_14default_configENS1_33run_length_encode_config_selectorImjNS0_4plusIjEEEEZZNS1_33reduce_by_key_impl_wrapped_configILNS1_25lookback_scan_determinismE0ES3_S7_PKmNS0_17constant_iteratorIjlEEPmPlSF_S6_NS0_8equal_toImEEEE10hipError_tPvRmT2_T3_mT4_T5_T6_T7_T8_P12ihipStream_tbENKUlT_T0_E_clISt17integral_constantIbLb0EESY_IbLb1EEEEDaSU_SV_EUlSU_E_NS1_11comp_targetILNS1_3genE9ELNS1_11target_archE1100ELNS1_3gpuE3ELNS1_3repE0EEENS1_30default_config_static_selectorELNS0_4arch9wavefront6targetE1EEEvT1_, .Lfunc_end752-_ZN7rocprim17ROCPRIM_400000_NS6detail17trampoline_kernelINS0_14default_configENS1_33run_length_encode_config_selectorImjNS0_4plusIjEEEEZZNS1_33reduce_by_key_impl_wrapped_configILNS1_25lookback_scan_determinismE0ES3_S7_PKmNS0_17constant_iteratorIjlEEPmPlSF_S6_NS0_8equal_toImEEEE10hipError_tPvRmT2_T3_mT4_T5_T6_T7_T8_P12ihipStream_tbENKUlT_T0_E_clISt17integral_constantIbLb0EESY_IbLb1EEEEDaSU_SV_EUlSU_E_NS1_11comp_targetILNS1_3genE9ELNS1_11target_archE1100ELNS1_3gpuE3ELNS1_3repE0EEENS1_30default_config_static_selectorELNS0_4arch9wavefront6targetE1EEEvT1_
                                        ; -- End function
	.section	.AMDGPU.csdata,"",@progbits
; Kernel info:
; codeLenInByte = 0
; NumSgprs: 4
; NumVgprs: 0
; NumAgprs: 0
; TotalNumVgprs: 0
; ScratchSize: 0
; MemoryBound: 0
; FloatMode: 240
; IeeeMode: 1
; LDSByteSize: 0 bytes/workgroup (compile time only)
; SGPRBlocks: 0
; VGPRBlocks: 0
; NumSGPRsForWavesPerEU: 4
; NumVGPRsForWavesPerEU: 1
; AccumOffset: 4
; Occupancy: 8
; WaveLimiterHint : 0
; COMPUTE_PGM_RSRC2:SCRATCH_EN: 0
; COMPUTE_PGM_RSRC2:USER_SGPR: 6
; COMPUTE_PGM_RSRC2:TRAP_HANDLER: 0
; COMPUTE_PGM_RSRC2:TGID_X_EN: 1
; COMPUTE_PGM_RSRC2:TGID_Y_EN: 0
; COMPUTE_PGM_RSRC2:TGID_Z_EN: 0
; COMPUTE_PGM_RSRC2:TIDIG_COMP_CNT: 0
; COMPUTE_PGM_RSRC3_GFX90A:ACCUM_OFFSET: 0
; COMPUTE_PGM_RSRC3_GFX90A:TG_SPLIT: 0
	.section	.text._ZN7rocprim17ROCPRIM_400000_NS6detail17trampoline_kernelINS0_14default_configENS1_33run_length_encode_config_selectorImjNS0_4plusIjEEEEZZNS1_33reduce_by_key_impl_wrapped_configILNS1_25lookback_scan_determinismE0ES3_S7_PKmNS0_17constant_iteratorIjlEEPmPlSF_S6_NS0_8equal_toImEEEE10hipError_tPvRmT2_T3_mT4_T5_T6_T7_T8_P12ihipStream_tbENKUlT_T0_E_clISt17integral_constantIbLb0EESY_IbLb1EEEEDaSU_SV_EUlSU_E_NS1_11comp_targetILNS1_3genE8ELNS1_11target_archE1030ELNS1_3gpuE2ELNS1_3repE0EEENS1_30default_config_static_selectorELNS0_4arch9wavefront6targetE1EEEvT1_,"axG",@progbits,_ZN7rocprim17ROCPRIM_400000_NS6detail17trampoline_kernelINS0_14default_configENS1_33run_length_encode_config_selectorImjNS0_4plusIjEEEEZZNS1_33reduce_by_key_impl_wrapped_configILNS1_25lookback_scan_determinismE0ES3_S7_PKmNS0_17constant_iteratorIjlEEPmPlSF_S6_NS0_8equal_toImEEEE10hipError_tPvRmT2_T3_mT4_T5_T6_T7_T8_P12ihipStream_tbENKUlT_T0_E_clISt17integral_constantIbLb0EESY_IbLb1EEEEDaSU_SV_EUlSU_E_NS1_11comp_targetILNS1_3genE8ELNS1_11target_archE1030ELNS1_3gpuE2ELNS1_3repE0EEENS1_30default_config_static_selectorELNS0_4arch9wavefront6targetE1EEEvT1_,comdat
	.protected	_ZN7rocprim17ROCPRIM_400000_NS6detail17trampoline_kernelINS0_14default_configENS1_33run_length_encode_config_selectorImjNS0_4plusIjEEEEZZNS1_33reduce_by_key_impl_wrapped_configILNS1_25lookback_scan_determinismE0ES3_S7_PKmNS0_17constant_iteratorIjlEEPmPlSF_S6_NS0_8equal_toImEEEE10hipError_tPvRmT2_T3_mT4_T5_T6_T7_T8_P12ihipStream_tbENKUlT_T0_E_clISt17integral_constantIbLb0EESY_IbLb1EEEEDaSU_SV_EUlSU_E_NS1_11comp_targetILNS1_3genE8ELNS1_11target_archE1030ELNS1_3gpuE2ELNS1_3repE0EEENS1_30default_config_static_selectorELNS0_4arch9wavefront6targetE1EEEvT1_ ; -- Begin function _ZN7rocprim17ROCPRIM_400000_NS6detail17trampoline_kernelINS0_14default_configENS1_33run_length_encode_config_selectorImjNS0_4plusIjEEEEZZNS1_33reduce_by_key_impl_wrapped_configILNS1_25lookback_scan_determinismE0ES3_S7_PKmNS0_17constant_iteratorIjlEEPmPlSF_S6_NS0_8equal_toImEEEE10hipError_tPvRmT2_T3_mT4_T5_T6_T7_T8_P12ihipStream_tbENKUlT_T0_E_clISt17integral_constantIbLb0EESY_IbLb1EEEEDaSU_SV_EUlSU_E_NS1_11comp_targetILNS1_3genE8ELNS1_11target_archE1030ELNS1_3gpuE2ELNS1_3repE0EEENS1_30default_config_static_selectorELNS0_4arch9wavefront6targetE1EEEvT1_
	.globl	_ZN7rocprim17ROCPRIM_400000_NS6detail17trampoline_kernelINS0_14default_configENS1_33run_length_encode_config_selectorImjNS0_4plusIjEEEEZZNS1_33reduce_by_key_impl_wrapped_configILNS1_25lookback_scan_determinismE0ES3_S7_PKmNS0_17constant_iteratorIjlEEPmPlSF_S6_NS0_8equal_toImEEEE10hipError_tPvRmT2_T3_mT4_T5_T6_T7_T8_P12ihipStream_tbENKUlT_T0_E_clISt17integral_constantIbLb0EESY_IbLb1EEEEDaSU_SV_EUlSU_E_NS1_11comp_targetILNS1_3genE8ELNS1_11target_archE1030ELNS1_3gpuE2ELNS1_3repE0EEENS1_30default_config_static_selectorELNS0_4arch9wavefront6targetE1EEEvT1_
	.p2align	8
	.type	_ZN7rocprim17ROCPRIM_400000_NS6detail17trampoline_kernelINS0_14default_configENS1_33run_length_encode_config_selectorImjNS0_4plusIjEEEEZZNS1_33reduce_by_key_impl_wrapped_configILNS1_25lookback_scan_determinismE0ES3_S7_PKmNS0_17constant_iteratorIjlEEPmPlSF_S6_NS0_8equal_toImEEEE10hipError_tPvRmT2_T3_mT4_T5_T6_T7_T8_P12ihipStream_tbENKUlT_T0_E_clISt17integral_constantIbLb0EESY_IbLb1EEEEDaSU_SV_EUlSU_E_NS1_11comp_targetILNS1_3genE8ELNS1_11target_archE1030ELNS1_3gpuE2ELNS1_3repE0EEENS1_30default_config_static_selectorELNS0_4arch9wavefront6targetE1EEEvT1_,@function
_ZN7rocprim17ROCPRIM_400000_NS6detail17trampoline_kernelINS0_14default_configENS1_33run_length_encode_config_selectorImjNS0_4plusIjEEEEZZNS1_33reduce_by_key_impl_wrapped_configILNS1_25lookback_scan_determinismE0ES3_S7_PKmNS0_17constant_iteratorIjlEEPmPlSF_S6_NS0_8equal_toImEEEE10hipError_tPvRmT2_T3_mT4_T5_T6_T7_T8_P12ihipStream_tbENKUlT_T0_E_clISt17integral_constantIbLb0EESY_IbLb1EEEEDaSU_SV_EUlSU_E_NS1_11comp_targetILNS1_3genE8ELNS1_11target_archE1030ELNS1_3gpuE2ELNS1_3repE0EEENS1_30default_config_static_selectorELNS0_4arch9wavefront6targetE1EEEvT1_: ; @_ZN7rocprim17ROCPRIM_400000_NS6detail17trampoline_kernelINS0_14default_configENS1_33run_length_encode_config_selectorImjNS0_4plusIjEEEEZZNS1_33reduce_by_key_impl_wrapped_configILNS1_25lookback_scan_determinismE0ES3_S7_PKmNS0_17constant_iteratorIjlEEPmPlSF_S6_NS0_8equal_toImEEEE10hipError_tPvRmT2_T3_mT4_T5_T6_T7_T8_P12ihipStream_tbENKUlT_T0_E_clISt17integral_constantIbLb0EESY_IbLb1EEEEDaSU_SV_EUlSU_E_NS1_11comp_targetILNS1_3genE8ELNS1_11target_archE1030ELNS1_3gpuE2ELNS1_3repE0EEENS1_30default_config_static_selectorELNS0_4arch9wavefront6targetE1EEEvT1_
; %bb.0:
	.section	.rodata,"a",@progbits
	.p2align	6, 0x0
	.amdhsa_kernel _ZN7rocprim17ROCPRIM_400000_NS6detail17trampoline_kernelINS0_14default_configENS1_33run_length_encode_config_selectorImjNS0_4plusIjEEEEZZNS1_33reduce_by_key_impl_wrapped_configILNS1_25lookback_scan_determinismE0ES3_S7_PKmNS0_17constant_iteratorIjlEEPmPlSF_S6_NS0_8equal_toImEEEE10hipError_tPvRmT2_T3_mT4_T5_T6_T7_T8_P12ihipStream_tbENKUlT_T0_E_clISt17integral_constantIbLb0EESY_IbLb1EEEEDaSU_SV_EUlSU_E_NS1_11comp_targetILNS1_3genE8ELNS1_11target_archE1030ELNS1_3gpuE2ELNS1_3repE0EEENS1_30default_config_static_selectorELNS0_4arch9wavefront6targetE1EEEvT1_
		.amdhsa_group_segment_fixed_size 0
		.amdhsa_private_segment_fixed_size 0
		.amdhsa_kernarg_size 128
		.amdhsa_user_sgpr_count 6
		.amdhsa_user_sgpr_private_segment_buffer 1
		.amdhsa_user_sgpr_dispatch_ptr 0
		.amdhsa_user_sgpr_queue_ptr 0
		.amdhsa_user_sgpr_kernarg_segment_ptr 1
		.amdhsa_user_sgpr_dispatch_id 0
		.amdhsa_user_sgpr_flat_scratch_init 0
		.amdhsa_user_sgpr_kernarg_preload_length 0
		.amdhsa_user_sgpr_kernarg_preload_offset 0
		.amdhsa_user_sgpr_private_segment_size 0
		.amdhsa_uses_dynamic_stack 0
		.amdhsa_system_sgpr_private_segment_wavefront_offset 0
		.amdhsa_system_sgpr_workgroup_id_x 1
		.amdhsa_system_sgpr_workgroup_id_y 0
		.amdhsa_system_sgpr_workgroup_id_z 0
		.amdhsa_system_sgpr_workgroup_info 0
		.amdhsa_system_vgpr_workitem_id 0
		.amdhsa_next_free_vgpr 1
		.amdhsa_next_free_sgpr 0
		.amdhsa_accum_offset 4
		.amdhsa_reserve_vcc 0
		.amdhsa_reserve_flat_scratch 0
		.amdhsa_float_round_mode_32 0
		.amdhsa_float_round_mode_16_64 0
		.amdhsa_float_denorm_mode_32 3
		.amdhsa_float_denorm_mode_16_64 3
		.amdhsa_dx10_clamp 1
		.amdhsa_ieee_mode 1
		.amdhsa_fp16_overflow 0
		.amdhsa_tg_split 0
		.amdhsa_exception_fp_ieee_invalid_op 0
		.amdhsa_exception_fp_denorm_src 0
		.amdhsa_exception_fp_ieee_div_zero 0
		.amdhsa_exception_fp_ieee_overflow 0
		.amdhsa_exception_fp_ieee_underflow 0
		.amdhsa_exception_fp_ieee_inexact 0
		.amdhsa_exception_int_div_zero 0
	.end_amdhsa_kernel
	.section	.text._ZN7rocprim17ROCPRIM_400000_NS6detail17trampoline_kernelINS0_14default_configENS1_33run_length_encode_config_selectorImjNS0_4plusIjEEEEZZNS1_33reduce_by_key_impl_wrapped_configILNS1_25lookback_scan_determinismE0ES3_S7_PKmNS0_17constant_iteratorIjlEEPmPlSF_S6_NS0_8equal_toImEEEE10hipError_tPvRmT2_T3_mT4_T5_T6_T7_T8_P12ihipStream_tbENKUlT_T0_E_clISt17integral_constantIbLb0EESY_IbLb1EEEEDaSU_SV_EUlSU_E_NS1_11comp_targetILNS1_3genE8ELNS1_11target_archE1030ELNS1_3gpuE2ELNS1_3repE0EEENS1_30default_config_static_selectorELNS0_4arch9wavefront6targetE1EEEvT1_,"axG",@progbits,_ZN7rocprim17ROCPRIM_400000_NS6detail17trampoline_kernelINS0_14default_configENS1_33run_length_encode_config_selectorImjNS0_4plusIjEEEEZZNS1_33reduce_by_key_impl_wrapped_configILNS1_25lookback_scan_determinismE0ES3_S7_PKmNS0_17constant_iteratorIjlEEPmPlSF_S6_NS0_8equal_toImEEEE10hipError_tPvRmT2_T3_mT4_T5_T6_T7_T8_P12ihipStream_tbENKUlT_T0_E_clISt17integral_constantIbLb0EESY_IbLb1EEEEDaSU_SV_EUlSU_E_NS1_11comp_targetILNS1_3genE8ELNS1_11target_archE1030ELNS1_3gpuE2ELNS1_3repE0EEENS1_30default_config_static_selectorELNS0_4arch9wavefront6targetE1EEEvT1_,comdat
.Lfunc_end753:
	.size	_ZN7rocprim17ROCPRIM_400000_NS6detail17trampoline_kernelINS0_14default_configENS1_33run_length_encode_config_selectorImjNS0_4plusIjEEEEZZNS1_33reduce_by_key_impl_wrapped_configILNS1_25lookback_scan_determinismE0ES3_S7_PKmNS0_17constant_iteratorIjlEEPmPlSF_S6_NS0_8equal_toImEEEE10hipError_tPvRmT2_T3_mT4_T5_T6_T7_T8_P12ihipStream_tbENKUlT_T0_E_clISt17integral_constantIbLb0EESY_IbLb1EEEEDaSU_SV_EUlSU_E_NS1_11comp_targetILNS1_3genE8ELNS1_11target_archE1030ELNS1_3gpuE2ELNS1_3repE0EEENS1_30default_config_static_selectorELNS0_4arch9wavefront6targetE1EEEvT1_, .Lfunc_end753-_ZN7rocprim17ROCPRIM_400000_NS6detail17trampoline_kernelINS0_14default_configENS1_33run_length_encode_config_selectorImjNS0_4plusIjEEEEZZNS1_33reduce_by_key_impl_wrapped_configILNS1_25lookback_scan_determinismE0ES3_S7_PKmNS0_17constant_iteratorIjlEEPmPlSF_S6_NS0_8equal_toImEEEE10hipError_tPvRmT2_T3_mT4_T5_T6_T7_T8_P12ihipStream_tbENKUlT_T0_E_clISt17integral_constantIbLb0EESY_IbLb1EEEEDaSU_SV_EUlSU_E_NS1_11comp_targetILNS1_3genE8ELNS1_11target_archE1030ELNS1_3gpuE2ELNS1_3repE0EEENS1_30default_config_static_selectorELNS0_4arch9wavefront6targetE1EEEvT1_
                                        ; -- End function
	.section	.AMDGPU.csdata,"",@progbits
; Kernel info:
; codeLenInByte = 0
; NumSgprs: 4
; NumVgprs: 0
; NumAgprs: 0
; TotalNumVgprs: 0
; ScratchSize: 0
; MemoryBound: 0
; FloatMode: 240
; IeeeMode: 1
; LDSByteSize: 0 bytes/workgroup (compile time only)
; SGPRBlocks: 0
; VGPRBlocks: 0
; NumSGPRsForWavesPerEU: 4
; NumVGPRsForWavesPerEU: 1
; AccumOffset: 4
; Occupancy: 8
; WaveLimiterHint : 0
; COMPUTE_PGM_RSRC2:SCRATCH_EN: 0
; COMPUTE_PGM_RSRC2:USER_SGPR: 6
; COMPUTE_PGM_RSRC2:TRAP_HANDLER: 0
; COMPUTE_PGM_RSRC2:TGID_X_EN: 1
; COMPUTE_PGM_RSRC2:TGID_Y_EN: 0
; COMPUTE_PGM_RSRC2:TGID_Z_EN: 0
; COMPUTE_PGM_RSRC2:TIDIG_COMP_CNT: 0
; COMPUTE_PGM_RSRC3_GFX90A:ACCUM_OFFSET: 0
; COMPUTE_PGM_RSRC3_GFX90A:TG_SPLIT: 0
	.section	.text._ZN2at6native8internal12_GLOBAL__N_126adjacent_difference_kernelIPKtEEvlT_Pi,"axG",@progbits,_ZN2at6native8internal12_GLOBAL__N_126adjacent_difference_kernelIPKtEEvlT_Pi,comdat
	.globl	_ZN2at6native8internal12_GLOBAL__N_126adjacent_difference_kernelIPKtEEvlT_Pi ; -- Begin function _ZN2at6native8internal12_GLOBAL__N_126adjacent_difference_kernelIPKtEEvlT_Pi
	.p2align	8
	.type	_ZN2at6native8internal12_GLOBAL__N_126adjacent_difference_kernelIPKtEEvlT_Pi,@function
_ZN2at6native8internal12_GLOBAL__N_126adjacent_difference_kernelIPKtEEvlT_Pi: ; @_ZN2at6native8internal12_GLOBAL__N_126adjacent_difference_kernelIPKtEEvlT_Pi
; %bb.0:
	s_load_dword s7, s[4:5], 0x24
	s_load_dwordx4 s[0:3], s[4:5], 0x0
	s_add_u32 s10, s4, 24
	s_addc_u32 s11, s5, 0
	v_mov_b32_e32 v1, 0
	s_waitcnt lgkmcnt(0)
	s_and_b32 s7, s7, 0xffff
	v_mov_b32_e32 v2, s6
	v_mad_u64_u32 v[4:5], s[8:9], s7, v2, v[0:1]
	v_cmp_gt_i64_e32 vcc, s[0:1], v[4:5]
	s_and_saveexec_b64 s[8:9], vcc
	s_cbranch_execz .LBB754_5
; %bb.1:
	s_load_dword s12, s[10:11], 0x0
	s_load_dwordx2 s[8:9], s[4:5], 0x10
	s_mul_hi_u32 s13, s7, s6
	s_mul_i32 s10, s7, s6
	s_mov_b32 s6, 0
	s_waitcnt lgkmcnt(0)
	s_mul_i32 s11, s12, s7
	v_mov_b32_e32 v2, v1
	v_mov_b32_e32 v3, v4
	s_mov_b64 s[4:5], 0
	v_mov_b32_e32 v6, s9
	v_mov_b32_e32 v7, s6
	;; [unrolled: 1-line block ×4, first 2 shown]
	v_pk_mov_b32 v[4:5], v[0:1], v[0:1] op_sel:[0,1]
	s_branch .LBB754_3
.LBB754_2:                              ;   in Loop: Header=BB754_3 Depth=1
	s_or_b64 exec, exec, s[6:7]
	v_ashrrev_i64 v[10:11], 30, v[2:3]
	v_add_co_u32_e32 v10, vcc, s8, v10
	v_addc_co_u32_e32 v11, vcc, v6, v11, vcc
	v_add_co_u32_e32 v4, vcc, s11, v4
	v_addc_co_u32_e32 v5, vcc, v5, v7, vcc
	global_store_dword v[10:11], v0, off
	v_add_co_u32_e32 v10, vcc, s10, v4
	v_addc_co_u32_e32 v11, vcc, v8, v5, vcc
	v_cmp_le_i64_e32 vcc, s[0:1], v[10:11]
	s_or_b64 s[4:5], vcc, s[4:5]
	v_add_co_u32_e32 v2, vcc, 0, v2
	v_addc_co_u32_e32 v3, vcc, v3, v9, vcc
	s_andn2_b64 exec, exec, s[4:5]
	s_cbranch_execz .LBB754_5
.LBB754_3:                              ; =>This Inner Loop Header: Depth=1
	v_add_u32_e32 v0, s10, v4
	v_cmp_lt_i32_e32 vcc, 0, v0
	v_mov_b32_e32 v0, 0
	s_and_saveexec_b64 s[6:7], vcc
	s_cbranch_execz .LBB754_2
; %bb.4:                                ;   in Loop: Header=BB754_3 Depth=1
	v_add_u32_e32 v0, s10, v4
	v_lshlrev_b32_e32 v12, 1, v0
	v_add_u32_e32 v0, -1, v0
	v_lshlrev_b64 v[10:11], 1, v[0:1]
	v_mov_b32_e32 v0, s3
	v_add_co_u32_e32 v10, vcc, s2, v10
	v_addc_co_u32_e32 v11, vcc, v0, v11, vcc
	global_load_ushort v0, v12, s[2:3]
	global_load_ushort v13, v[10:11], off
	s_waitcnt vmcnt(0)
	v_cmp_ne_u16_e32 vcc, v0, v13
	v_cndmask_b32_e64 v0, 0, 1, vcc
	s_branch .LBB754_2
.LBB754_5:
	s_endpgm
	.section	.rodata,"a",@progbits
	.p2align	6, 0x0
	.amdhsa_kernel _ZN2at6native8internal12_GLOBAL__N_126adjacent_difference_kernelIPKtEEvlT_Pi
		.amdhsa_group_segment_fixed_size 0
		.amdhsa_private_segment_fixed_size 0
		.amdhsa_kernarg_size 280
		.amdhsa_user_sgpr_count 6
		.amdhsa_user_sgpr_private_segment_buffer 1
		.amdhsa_user_sgpr_dispatch_ptr 0
		.amdhsa_user_sgpr_queue_ptr 0
		.amdhsa_user_sgpr_kernarg_segment_ptr 1
		.amdhsa_user_sgpr_dispatch_id 0
		.amdhsa_user_sgpr_flat_scratch_init 0
		.amdhsa_user_sgpr_kernarg_preload_length 0
		.amdhsa_user_sgpr_kernarg_preload_offset 0
		.amdhsa_user_sgpr_private_segment_size 0
		.amdhsa_uses_dynamic_stack 0
		.amdhsa_system_sgpr_private_segment_wavefront_offset 0
		.amdhsa_system_sgpr_workgroup_id_x 1
		.amdhsa_system_sgpr_workgroup_id_y 0
		.amdhsa_system_sgpr_workgroup_id_z 0
		.amdhsa_system_sgpr_workgroup_info 0
		.amdhsa_system_vgpr_workitem_id 0
		.amdhsa_next_free_vgpr 14
		.amdhsa_next_free_sgpr 14
		.amdhsa_accum_offset 16
		.amdhsa_reserve_vcc 1
		.amdhsa_reserve_flat_scratch 0
		.amdhsa_float_round_mode_32 0
		.amdhsa_float_round_mode_16_64 0
		.amdhsa_float_denorm_mode_32 3
		.amdhsa_float_denorm_mode_16_64 3
		.amdhsa_dx10_clamp 1
		.amdhsa_ieee_mode 1
		.amdhsa_fp16_overflow 0
		.amdhsa_tg_split 0
		.amdhsa_exception_fp_ieee_invalid_op 0
		.amdhsa_exception_fp_denorm_src 0
		.amdhsa_exception_fp_ieee_div_zero 0
		.amdhsa_exception_fp_ieee_overflow 0
		.amdhsa_exception_fp_ieee_underflow 0
		.amdhsa_exception_fp_ieee_inexact 0
		.amdhsa_exception_int_div_zero 0
	.end_amdhsa_kernel
	.section	.text._ZN2at6native8internal12_GLOBAL__N_126adjacent_difference_kernelIPKtEEvlT_Pi,"axG",@progbits,_ZN2at6native8internal12_GLOBAL__N_126adjacent_difference_kernelIPKtEEvlT_Pi,comdat
.Lfunc_end754:
	.size	_ZN2at6native8internal12_GLOBAL__N_126adjacent_difference_kernelIPKtEEvlT_Pi, .Lfunc_end754-_ZN2at6native8internal12_GLOBAL__N_126adjacent_difference_kernelIPKtEEvlT_Pi
                                        ; -- End function
	.section	.AMDGPU.csdata,"",@progbits
; Kernel info:
; codeLenInByte = 300
; NumSgprs: 18
; NumVgprs: 14
; NumAgprs: 0
; TotalNumVgprs: 14
; ScratchSize: 0
; MemoryBound: 0
; FloatMode: 240
; IeeeMode: 1
; LDSByteSize: 0 bytes/workgroup (compile time only)
; SGPRBlocks: 2
; VGPRBlocks: 1
; NumSGPRsForWavesPerEU: 18
; NumVGPRsForWavesPerEU: 14
; AccumOffset: 16
; Occupancy: 8
; WaveLimiterHint : 0
; COMPUTE_PGM_RSRC2:SCRATCH_EN: 0
; COMPUTE_PGM_RSRC2:USER_SGPR: 6
; COMPUTE_PGM_RSRC2:TRAP_HANDLER: 0
; COMPUTE_PGM_RSRC2:TGID_X_EN: 1
; COMPUTE_PGM_RSRC2:TGID_Y_EN: 0
; COMPUTE_PGM_RSRC2:TGID_Z_EN: 0
; COMPUTE_PGM_RSRC2:TIDIG_COMP_CNT: 0
; COMPUTE_PGM_RSRC3_GFX90A:ACCUM_OFFSET: 3
; COMPUTE_PGM_RSRC3_GFX90A:TG_SPLIT: 0
	.section	.text._ZN7rocprim17ROCPRIM_400000_NS6detail17trampoline_kernelINS0_14default_configENS1_25partition_config_selectorILNS1_17partition_subalgoE8EtNS0_10empty_typeEbEEZZNS1_14partition_implILS5_8ELb0ES3_jPKtPS6_PKS6_NS0_5tupleIJPtS6_EEENSE_IJSB_SB_EEENS0_18inequality_wrapperIN6hipcub16HIPCUB_304000_NS8EqualityEEEPlJS6_EEE10hipError_tPvRmT3_T4_T5_T6_T7_T9_mT8_P12ihipStream_tbDpT10_ENKUlT_T0_E_clISt17integral_constantIbLb0EES17_EEDaS12_S13_EUlS12_E_NS1_11comp_targetILNS1_3genE0ELNS1_11target_archE4294967295ELNS1_3gpuE0ELNS1_3repE0EEENS1_30default_config_static_selectorELNS0_4arch9wavefront6targetE1EEEvT1_,"axG",@progbits,_ZN7rocprim17ROCPRIM_400000_NS6detail17trampoline_kernelINS0_14default_configENS1_25partition_config_selectorILNS1_17partition_subalgoE8EtNS0_10empty_typeEbEEZZNS1_14partition_implILS5_8ELb0ES3_jPKtPS6_PKS6_NS0_5tupleIJPtS6_EEENSE_IJSB_SB_EEENS0_18inequality_wrapperIN6hipcub16HIPCUB_304000_NS8EqualityEEEPlJS6_EEE10hipError_tPvRmT3_T4_T5_T6_T7_T9_mT8_P12ihipStream_tbDpT10_ENKUlT_T0_E_clISt17integral_constantIbLb0EES17_EEDaS12_S13_EUlS12_E_NS1_11comp_targetILNS1_3genE0ELNS1_11target_archE4294967295ELNS1_3gpuE0ELNS1_3repE0EEENS1_30default_config_static_selectorELNS0_4arch9wavefront6targetE1EEEvT1_,comdat
	.protected	_ZN7rocprim17ROCPRIM_400000_NS6detail17trampoline_kernelINS0_14default_configENS1_25partition_config_selectorILNS1_17partition_subalgoE8EtNS0_10empty_typeEbEEZZNS1_14partition_implILS5_8ELb0ES3_jPKtPS6_PKS6_NS0_5tupleIJPtS6_EEENSE_IJSB_SB_EEENS0_18inequality_wrapperIN6hipcub16HIPCUB_304000_NS8EqualityEEEPlJS6_EEE10hipError_tPvRmT3_T4_T5_T6_T7_T9_mT8_P12ihipStream_tbDpT10_ENKUlT_T0_E_clISt17integral_constantIbLb0EES17_EEDaS12_S13_EUlS12_E_NS1_11comp_targetILNS1_3genE0ELNS1_11target_archE4294967295ELNS1_3gpuE0ELNS1_3repE0EEENS1_30default_config_static_selectorELNS0_4arch9wavefront6targetE1EEEvT1_ ; -- Begin function _ZN7rocprim17ROCPRIM_400000_NS6detail17trampoline_kernelINS0_14default_configENS1_25partition_config_selectorILNS1_17partition_subalgoE8EtNS0_10empty_typeEbEEZZNS1_14partition_implILS5_8ELb0ES3_jPKtPS6_PKS6_NS0_5tupleIJPtS6_EEENSE_IJSB_SB_EEENS0_18inequality_wrapperIN6hipcub16HIPCUB_304000_NS8EqualityEEEPlJS6_EEE10hipError_tPvRmT3_T4_T5_T6_T7_T9_mT8_P12ihipStream_tbDpT10_ENKUlT_T0_E_clISt17integral_constantIbLb0EES17_EEDaS12_S13_EUlS12_E_NS1_11comp_targetILNS1_3genE0ELNS1_11target_archE4294967295ELNS1_3gpuE0ELNS1_3repE0EEENS1_30default_config_static_selectorELNS0_4arch9wavefront6targetE1EEEvT1_
	.globl	_ZN7rocprim17ROCPRIM_400000_NS6detail17trampoline_kernelINS0_14default_configENS1_25partition_config_selectorILNS1_17partition_subalgoE8EtNS0_10empty_typeEbEEZZNS1_14partition_implILS5_8ELb0ES3_jPKtPS6_PKS6_NS0_5tupleIJPtS6_EEENSE_IJSB_SB_EEENS0_18inequality_wrapperIN6hipcub16HIPCUB_304000_NS8EqualityEEEPlJS6_EEE10hipError_tPvRmT3_T4_T5_T6_T7_T9_mT8_P12ihipStream_tbDpT10_ENKUlT_T0_E_clISt17integral_constantIbLb0EES17_EEDaS12_S13_EUlS12_E_NS1_11comp_targetILNS1_3genE0ELNS1_11target_archE4294967295ELNS1_3gpuE0ELNS1_3repE0EEENS1_30default_config_static_selectorELNS0_4arch9wavefront6targetE1EEEvT1_
	.p2align	8
	.type	_ZN7rocprim17ROCPRIM_400000_NS6detail17trampoline_kernelINS0_14default_configENS1_25partition_config_selectorILNS1_17partition_subalgoE8EtNS0_10empty_typeEbEEZZNS1_14partition_implILS5_8ELb0ES3_jPKtPS6_PKS6_NS0_5tupleIJPtS6_EEENSE_IJSB_SB_EEENS0_18inequality_wrapperIN6hipcub16HIPCUB_304000_NS8EqualityEEEPlJS6_EEE10hipError_tPvRmT3_T4_T5_T6_T7_T9_mT8_P12ihipStream_tbDpT10_ENKUlT_T0_E_clISt17integral_constantIbLb0EES17_EEDaS12_S13_EUlS12_E_NS1_11comp_targetILNS1_3genE0ELNS1_11target_archE4294967295ELNS1_3gpuE0ELNS1_3repE0EEENS1_30default_config_static_selectorELNS0_4arch9wavefront6targetE1EEEvT1_,@function
_ZN7rocprim17ROCPRIM_400000_NS6detail17trampoline_kernelINS0_14default_configENS1_25partition_config_selectorILNS1_17partition_subalgoE8EtNS0_10empty_typeEbEEZZNS1_14partition_implILS5_8ELb0ES3_jPKtPS6_PKS6_NS0_5tupleIJPtS6_EEENSE_IJSB_SB_EEENS0_18inequality_wrapperIN6hipcub16HIPCUB_304000_NS8EqualityEEEPlJS6_EEE10hipError_tPvRmT3_T4_T5_T6_T7_T9_mT8_P12ihipStream_tbDpT10_ENKUlT_T0_E_clISt17integral_constantIbLb0EES17_EEDaS12_S13_EUlS12_E_NS1_11comp_targetILNS1_3genE0ELNS1_11target_archE4294967295ELNS1_3gpuE0ELNS1_3repE0EEENS1_30default_config_static_selectorELNS0_4arch9wavefront6targetE1EEEvT1_: ; @_ZN7rocprim17ROCPRIM_400000_NS6detail17trampoline_kernelINS0_14default_configENS1_25partition_config_selectorILNS1_17partition_subalgoE8EtNS0_10empty_typeEbEEZZNS1_14partition_implILS5_8ELb0ES3_jPKtPS6_PKS6_NS0_5tupleIJPtS6_EEENSE_IJSB_SB_EEENS0_18inequality_wrapperIN6hipcub16HIPCUB_304000_NS8EqualityEEEPlJS6_EEE10hipError_tPvRmT3_T4_T5_T6_T7_T9_mT8_P12ihipStream_tbDpT10_ENKUlT_T0_E_clISt17integral_constantIbLb0EES17_EEDaS12_S13_EUlS12_E_NS1_11comp_targetILNS1_3genE0ELNS1_11target_archE4294967295ELNS1_3gpuE0ELNS1_3repE0EEENS1_30default_config_static_selectorELNS0_4arch9wavefront6targetE1EEEvT1_
; %bb.0:
	.section	.rodata,"a",@progbits
	.p2align	6, 0x0
	.amdhsa_kernel _ZN7rocprim17ROCPRIM_400000_NS6detail17trampoline_kernelINS0_14default_configENS1_25partition_config_selectorILNS1_17partition_subalgoE8EtNS0_10empty_typeEbEEZZNS1_14partition_implILS5_8ELb0ES3_jPKtPS6_PKS6_NS0_5tupleIJPtS6_EEENSE_IJSB_SB_EEENS0_18inequality_wrapperIN6hipcub16HIPCUB_304000_NS8EqualityEEEPlJS6_EEE10hipError_tPvRmT3_T4_T5_T6_T7_T9_mT8_P12ihipStream_tbDpT10_ENKUlT_T0_E_clISt17integral_constantIbLb0EES17_EEDaS12_S13_EUlS12_E_NS1_11comp_targetILNS1_3genE0ELNS1_11target_archE4294967295ELNS1_3gpuE0ELNS1_3repE0EEENS1_30default_config_static_selectorELNS0_4arch9wavefront6targetE1EEEvT1_
		.amdhsa_group_segment_fixed_size 0
		.amdhsa_private_segment_fixed_size 0
		.amdhsa_kernarg_size 112
		.amdhsa_user_sgpr_count 6
		.amdhsa_user_sgpr_private_segment_buffer 1
		.amdhsa_user_sgpr_dispatch_ptr 0
		.amdhsa_user_sgpr_queue_ptr 0
		.amdhsa_user_sgpr_kernarg_segment_ptr 1
		.amdhsa_user_sgpr_dispatch_id 0
		.amdhsa_user_sgpr_flat_scratch_init 0
		.amdhsa_user_sgpr_kernarg_preload_length 0
		.amdhsa_user_sgpr_kernarg_preload_offset 0
		.amdhsa_user_sgpr_private_segment_size 0
		.amdhsa_uses_dynamic_stack 0
		.amdhsa_system_sgpr_private_segment_wavefront_offset 0
		.amdhsa_system_sgpr_workgroup_id_x 1
		.amdhsa_system_sgpr_workgroup_id_y 0
		.amdhsa_system_sgpr_workgroup_id_z 0
		.amdhsa_system_sgpr_workgroup_info 0
		.amdhsa_system_vgpr_workitem_id 0
		.amdhsa_next_free_vgpr 1
		.amdhsa_next_free_sgpr 0
		.amdhsa_accum_offset 4
		.amdhsa_reserve_vcc 0
		.amdhsa_reserve_flat_scratch 0
		.amdhsa_float_round_mode_32 0
		.amdhsa_float_round_mode_16_64 0
		.amdhsa_float_denorm_mode_32 3
		.amdhsa_float_denorm_mode_16_64 3
		.amdhsa_dx10_clamp 1
		.amdhsa_ieee_mode 1
		.amdhsa_fp16_overflow 0
		.amdhsa_tg_split 0
		.amdhsa_exception_fp_ieee_invalid_op 0
		.amdhsa_exception_fp_denorm_src 0
		.amdhsa_exception_fp_ieee_div_zero 0
		.amdhsa_exception_fp_ieee_overflow 0
		.amdhsa_exception_fp_ieee_underflow 0
		.amdhsa_exception_fp_ieee_inexact 0
		.amdhsa_exception_int_div_zero 0
	.end_amdhsa_kernel
	.section	.text._ZN7rocprim17ROCPRIM_400000_NS6detail17trampoline_kernelINS0_14default_configENS1_25partition_config_selectorILNS1_17partition_subalgoE8EtNS0_10empty_typeEbEEZZNS1_14partition_implILS5_8ELb0ES3_jPKtPS6_PKS6_NS0_5tupleIJPtS6_EEENSE_IJSB_SB_EEENS0_18inequality_wrapperIN6hipcub16HIPCUB_304000_NS8EqualityEEEPlJS6_EEE10hipError_tPvRmT3_T4_T5_T6_T7_T9_mT8_P12ihipStream_tbDpT10_ENKUlT_T0_E_clISt17integral_constantIbLb0EES17_EEDaS12_S13_EUlS12_E_NS1_11comp_targetILNS1_3genE0ELNS1_11target_archE4294967295ELNS1_3gpuE0ELNS1_3repE0EEENS1_30default_config_static_selectorELNS0_4arch9wavefront6targetE1EEEvT1_,"axG",@progbits,_ZN7rocprim17ROCPRIM_400000_NS6detail17trampoline_kernelINS0_14default_configENS1_25partition_config_selectorILNS1_17partition_subalgoE8EtNS0_10empty_typeEbEEZZNS1_14partition_implILS5_8ELb0ES3_jPKtPS6_PKS6_NS0_5tupleIJPtS6_EEENSE_IJSB_SB_EEENS0_18inequality_wrapperIN6hipcub16HIPCUB_304000_NS8EqualityEEEPlJS6_EEE10hipError_tPvRmT3_T4_T5_T6_T7_T9_mT8_P12ihipStream_tbDpT10_ENKUlT_T0_E_clISt17integral_constantIbLb0EES17_EEDaS12_S13_EUlS12_E_NS1_11comp_targetILNS1_3genE0ELNS1_11target_archE4294967295ELNS1_3gpuE0ELNS1_3repE0EEENS1_30default_config_static_selectorELNS0_4arch9wavefront6targetE1EEEvT1_,comdat
.Lfunc_end755:
	.size	_ZN7rocprim17ROCPRIM_400000_NS6detail17trampoline_kernelINS0_14default_configENS1_25partition_config_selectorILNS1_17partition_subalgoE8EtNS0_10empty_typeEbEEZZNS1_14partition_implILS5_8ELb0ES3_jPKtPS6_PKS6_NS0_5tupleIJPtS6_EEENSE_IJSB_SB_EEENS0_18inequality_wrapperIN6hipcub16HIPCUB_304000_NS8EqualityEEEPlJS6_EEE10hipError_tPvRmT3_T4_T5_T6_T7_T9_mT8_P12ihipStream_tbDpT10_ENKUlT_T0_E_clISt17integral_constantIbLb0EES17_EEDaS12_S13_EUlS12_E_NS1_11comp_targetILNS1_3genE0ELNS1_11target_archE4294967295ELNS1_3gpuE0ELNS1_3repE0EEENS1_30default_config_static_selectorELNS0_4arch9wavefront6targetE1EEEvT1_, .Lfunc_end755-_ZN7rocprim17ROCPRIM_400000_NS6detail17trampoline_kernelINS0_14default_configENS1_25partition_config_selectorILNS1_17partition_subalgoE8EtNS0_10empty_typeEbEEZZNS1_14partition_implILS5_8ELb0ES3_jPKtPS6_PKS6_NS0_5tupleIJPtS6_EEENSE_IJSB_SB_EEENS0_18inequality_wrapperIN6hipcub16HIPCUB_304000_NS8EqualityEEEPlJS6_EEE10hipError_tPvRmT3_T4_T5_T6_T7_T9_mT8_P12ihipStream_tbDpT10_ENKUlT_T0_E_clISt17integral_constantIbLb0EES17_EEDaS12_S13_EUlS12_E_NS1_11comp_targetILNS1_3genE0ELNS1_11target_archE4294967295ELNS1_3gpuE0ELNS1_3repE0EEENS1_30default_config_static_selectorELNS0_4arch9wavefront6targetE1EEEvT1_
                                        ; -- End function
	.section	.AMDGPU.csdata,"",@progbits
; Kernel info:
; codeLenInByte = 0
; NumSgprs: 4
; NumVgprs: 0
; NumAgprs: 0
; TotalNumVgprs: 0
; ScratchSize: 0
; MemoryBound: 0
; FloatMode: 240
; IeeeMode: 1
; LDSByteSize: 0 bytes/workgroup (compile time only)
; SGPRBlocks: 0
; VGPRBlocks: 0
; NumSGPRsForWavesPerEU: 4
; NumVGPRsForWavesPerEU: 1
; AccumOffset: 4
; Occupancy: 8
; WaveLimiterHint : 0
; COMPUTE_PGM_RSRC2:SCRATCH_EN: 0
; COMPUTE_PGM_RSRC2:USER_SGPR: 6
; COMPUTE_PGM_RSRC2:TRAP_HANDLER: 0
; COMPUTE_PGM_RSRC2:TGID_X_EN: 1
; COMPUTE_PGM_RSRC2:TGID_Y_EN: 0
; COMPUTE_PGM_RSRC2:TGID_Z_EN: 0
; COMPUTE_PGM_RSRC2:TIDIG_COMP_CNT: 0
; COMPUTE_PGM_RSRC3_GFX90A:ACCUM_OFFSET: 0
; COMPUTE_PGM_RSRC3_GFX90A:TG_SPLIT: 0
	.section	.text._ZN7rocprim17ROCPRIM_400000_NS6detail17trampoline_kernelINS0_14default_configENS1_25partition_config_selectorILNS1_17partition_subalgoE8EtNS0_10empty_typeEbEEZZNS1_14partition_implILS5_8ELb0ES3_jPKtPS6_PKS6_NS0_5tupleIJPtS6_EEENSE_IJSB_SB_EEENS0_18inequality_wrapperIN6hipcub16HIPCUB_304000_NS8EqualityEEEPlJS6_EEE10hipError_tPvRmT3_T4_T5_T6_T7_T9_mT8_P12ihipStream_tbDpT10_ENKUlT_T0_E_clISt17integral_constantIbLb0EES17_EEDaS12_S13_EUlS12_E_NS1_11comp_targetILNS1_3genE5ELNS1_11target_archE942ELNS1_3gpuE9ELNS1_3repE0EEENS1_30default_config_static_selectorELNS0_4arch9wavefront6targetE1EEEvT1_,"axG",@progbits,_ZN7rocprim17ROCPRIM_400000_NS6detail17trampoline_kernelINS0_14default_configENS1_25partition_config_selectorILNS1_17partition_subalgoE8EtNS0_10empty_typeEbEEZZNS1_14partition_implILS5_8ELb0ES3_jPKtPS6_PKS6_NS0_5tupleIJPtS6_EEENSE_IJSB_SB_EEENS0_18inequality_wrapperIN6hipcub16HIPCUB_304000_NS8EqualityEEEPlJS6_EEE10hipError_tPvRmT3_T4_T5_T6_T7_T9_mT8_P12ihipStream_tbDpT10_ENKUlT_T0_E_clISt17integral_constantIbLb0EES17_EEDaS12_S13_EUlS12_E_NS1_11comp_targetILNS1_3genE5ELNS1_11target_archE942ELNS1_3gpuE9ELNS1_3repE0EEENS1_30default_config_static_selectorELNS0_4arch9wavefront6targetE1EEEvT1_,comdat
	.protected	_ZN7rocprim17ROCPRIM_400000_NS6detail17trampoline_kernelINS0_14default_configENS1_25partition_config_selectorILNS1_17partition_subalgoE8EtNS0_10empty_typeEbEEZZNS1_14partition_implILS5_8ELb0ES3_jPKtPS6_PKS6_NS0_5tupleIJPtS6_EEENSE_IJSB_SB_EEENS0_18inequality_wrapperIN6hipcub16HIPCUB_304000_NS8EqualityEEEPlJS6_EEE10hipError_tPvRmT3_T4_T5_T6_T7_T9_mT8_P12ihipStream_tbDpT10_ENKUlT_T0_E_clISt17integral_constantIbLb0EES17_EEDaS12_S13_EUlS12_E_NS1_11comp_targetILNS1_3genE5ELNS1_11target_archE942ELNS1_3gpuE9ELNS1_3repE0EEENS1_30default_config_static_selectorELNS0_4arch9wavefront6targetE1EEEvT1_ ; -- Begin function _ZN7rocprim17ROCPRIM_400000_NS6detail17trampoline_kernelINS0_14default_configENS1_25partition_config_selectorILNS1_17partition_subalgoE8EtNS0_10empty_typeEbEEZZNS1_14partition_implILS5_8ELb0ES3_jPKtPS6_PKS6_NS0_5tupleIJPtS6_EEENSE_IJSB_SB_EEENS0_18inequality_wrapperIN6hipcub16HIPCUB_304000_NS8EqualityEEEPlJS6_EEE10hipError_tPvRmT3_T4_T5_T6_T7_T9_mT8_P12ihipStream_tbDpT10_ENKUlT_T0_E_clISt17integral_constantIbLb0EES17_EEDaS12_S13_EUlS12_E_NS1_11comp_targetILNS1_3genE5ELNS1_11target_archE942ELNS1_3gpuE9ELNS1_3repE0EEENS1_30default_config_static_selectorELNS0_4arch9wavefront6targetE1EEEvT1_
	.globl	_ZN7rocprim17ROCPRIM_400000_NS6detail17trampoline_kernelINS0_14default_configENS1_25partition_config_selectorILNS1_17partition_subalgoE8EtNS0_10empty_typeEbEEZZNS1_14partition_implILS5_8ELb0ES3_jPKtPS6_PKS6_NS0_5tupleIJPtS6_EEENSE_IJSB_SB_EEENS0_18inequality_wrapperIN6hipcub16HIPCUB_304000_NS8EqualityEEEPlJS6_EEE10hipError_tPvRmT3_T4_T5_T6_T7_T9_mT8_P12ihipStream_tbDpT10_ENKUlT_T0_E_clISt17integral_constantIbLb0EES17_EEDaS12_S13_EUlS12_E_NS1_11comp_targetILNS1_3genE5ELNS1_11target_archE942ELNS1_3gpuE9ELNS1_3repE0EEENS1_30default_config_static_selectorELNS0_4arch9wavefront6targetE1EEEvT1_
	.p2align	8
	.type	_ZN7rocprim17ROCPRIM_400000_NS6detail17trampoline_kernelINS0_14default_configENS1_25partition_config_selectorILNS1_17partition_subalgoE8EtNS0_10empty_typeEbEEZZNS1_14partition_implILS5_8ELb0ES3_jPKtPS6_PKS6_NS0_5tupleIJPtS6_EEENSE_IJSB_SB_EEENS0_18inequality_wrapperIN6hipcub16HIPCUB_304000_NS8EqualityEEEPlJS6_EEE10hipError_tPvRmT3_T4_T5_T6_T7_T9_mT8_P12ihipStream_tbDpT10_ENKUlT_T0_E_clISt17integral_constantIbLb0EES17_EEDaS12_S13_EUlS12_E_NS1_11comp_targetILNS1_3genE5ELNS1_11target_archE942ELNS1_3gpuE9ELNS1_3repE0EEENS1_30default_config_static_selectorELNS0_4arch9wavefront6targetE1EEEvT1_,@function
_ZN7rocprim17ROCPRIM_400000_NS6detail17trampoline_kernelINS0_14default_configENS1_25partition_config_selectorILNS1_17partition_subalgoE8EtNS0_10empty_typeEbEEZZNS1_14partition_implILS5_8ELb0ES3_jPKtPS6_PKS6_NS0_5tupleIJPtS6_EEENSE_IJSB_SB_EEENS0_18inequality_wrapperIN6hipcub16HIPCUB_304000_NS8EqualityEEEPlJS6_EEE10hipError_tPvRmT3_T4_T5_T6_T7_T9_mT8_P12ihipStream_tbDpT10_ENKUlT_T0_E_clISt17integral_constantIbLb0EES17_EEDaS12_S13_EUlS12_E_NS1_11comp_targetILNS1_3genE5ELNS1_11target_archE942ELNS1_3gpuE9ELNS1_3repE0EEENS1_30default_config_static_selectorELNS0_4arch9wavefront6targetE1EEEvT1_: ; @_ZN7rocprim17ROCPRIM_400000_NS6detail17trampoline_kernelINS0_14default_configENS1_25partition_config_selectorILNS1_17partition_subalgoE8EtNS0_10empty_typeEbEEZZNS1_14partition_implILS5_8ELb0ES3_jPKtPS6_PKS6_NS0_5tupleIJPtS6_EEENSE_IJSB_SB_EEENS0_18inequality_wrapperIN6hipcub16HIPCUB_304000_NS8EqualityEEEPlJS6_EEE10hipError_tPvRmT3_T4_T5_T6_T7_T9_mT8_P12ihipStream_tbDpT10_ENKUlT_T0_E_clISt17integral_constantIbLb0EES17_EEDaS12_S13_EUlS12_E_NS1_11comp_targetILNS1_3genE5ELNS1_11target_archE942ELNS1_3gpuE9ELNS1_3repE0EEENS1_30default_config_static_selectorELNS0_4arch9wavefront6targetE1EEEvT1_
; %bb.0:
	.section	.rodata,"a",@progbits
	.p2align	6, 0x0
	.amdhsa_kernel _ZN7rocprim17ROCPRIM_400000_NS6detail17trampoline_kernelINS0_14default_configENS1_25partition_config_selectorILNS1_17partition_subalgoE8EtNS0_10empty_typeEbEEZZNS1_14partition_implILS5_8ELb0ES3_jPKtPS6_PKS6_NS0_5tupleIJPtS6_EEENSE_IJSB_SB_EEENS0_18inequality_wrapperIN6hipcub16HIPCUB_304000_NS8EqualityEEEPlJS6_EEE10hipError_tPvRmT3_T4_T5_T6_T7_T9_mT8_P12ihipStream_tbDpT10_ENKUlT_T0_E_clISt17integral_constantIbLb0EES17_EEDaS12_S13_EUlS12_E_NS1_11comp_targetILNS1_3genE5ELNS1_11target_archE942ELNS1_3gpuE9ELNS1_3repE0EEENS1_30default_config_static_selectorELNS0_4arch9wavefront6targetE1EEEvT1_
		.amdhsa_group_segment_fixed_size 0
		.amdhsa_private_segment_fixed_size 0
		.amdhsa_kernarg_size 112
		.amdhsa_user_sgpr_count 6
		.amdhsa_user_sgpr_private_segment_buffer 1
		.amdhsa_user_sgpr_dispatch_ptr 0
		.amdhsa_user_sgpr_queue_ptr 0
		.amdhsa_user_sgpr_kernarg_segment_ptr 1
		.amdhsa_user_sgpr_dispatch_id 0
		.amdhsa_user_sgpr_flat_scratch_init 0
		.amdhsa_user_sgpr_kernarg_preload_length 0
		.amdhsa_user_sgpr_kernarg_preload_offset 0
		.amdhsa_user_sgpr_private_segment_size 0
		.amdhsa_uses_dynamic_stack 0
		.amdhsa_system_sgpr_private_segment_wavefront_offset 0
		.amdhsa_system_sgpr_workgroup_id_x 1
		.amdhsa_system_sgpr_workgroup_id_y 0
		.amdhsa_system_sgpr_workgroup_id_z 0
		.amdhsa_system_sgpr_workgroup_info 0
		.amdhsa_system_vgpr_workitem_id 0
		.amdhsa_next_free_vgpr 1
		.amdhsa_next_free_sgpr 0
		.amdhsa_accum_offset 4
		.amdhsa_reserve_vcc 0
		.amdhsa_reserve_flat_scratch 0
		.amdhsa_float_round_mode_32 0
		.amdhsa_float_round_mode_16_64 0
		.amdhsa_float_denorm_mode_32 3
		.amdhsa_float_denorm_mode_16_64 3
		.amdhsa_dx10_clamp 1
		.amdhsa_ieee_mode 1
		.amdhsa_fp16_overflow 0
		.amdhsa_tg_split 0
		.amdhsa_exception_fp_ieee_invalid_op 0
		.amdhsa_exception_fp_denorm_src 0
		.amdhsa_exception_fp_ieee_div_zero 0
		.amdhsa_exception_fp_ieee_overflow 0
		.amdhsa_exception_fp_ieee_underflow 0
		.amdhsa_exception_fp_ieee_inexact 0
		.amdhsa_exception_int_div_zero 0
	.end_amdhsa_kernel
	.section	.text._ZN7rocprim17ROCPRIM_400000_NS6detail17trampoline_kernelINS0_14default_configENS1_25partition_config_selectorILNS1_17partition_subalgoE8EtNS0_10empty_typeEbEEZZNS1_14partition_implILS5_8ELb0ES3_jPKtPS6_PKS6_NS0_5tupleIJPtS6_EEENSE_IJSB_SB_EEENS0_18inequality_wrapperIN6hipcub16HIPCUB_304000_NS8EqualityEEEPlJS6_EEE10hipError_tPvRmT3_T4_T5_T6_T7_T9_mT8_P12ihipStream_tbDpT10_ENKUlT_T0_E_clISt17integral_constantIbLb0EES17_EEDaS12_S13_EUlS12_E_NS1_11comp_targetILNS1_3genE5ELNS1_11target_archE942ELNS1_3gpuE9ELNS1_3repE0EEENS1_30default_config_static_selectorELNS0_4arch9wavefront6targetE1EEEvT1_,"axG",@progbits,_ZN7rocprim17ROCPRIM_400000_NS6detail17trampoline_kernelINS0_14default_configENS1_25partition_config_selectorILNS1_17partition_subalgoE8EtNS0_10empty_typeEbEEZZNS1_14partition_implILS5_8ELb0ES3_jPKtPS6_PKS6_NS0_5tupleIJPtS6_EEENSE_IJSB_SB_EEENS0_18inequality_wrapperIN6hipcub16HIPCUB_304000_NS8EqualityEEEPlJS6_EEE10hipError_tPvRmT3_T4_T5_T6_T7_T9_mT8_P12ihipStream_tbDpT10_ENKUlT_T0_E_clISt17integral_constantIbLb0EES17_EEDaS12_S13_EUlS12_E_NS1_11comp_targetILNS1_3genE5ELNS1_11target_archE942ELNS1_3gpuE9ELNS1_3repE0EEENS1_30default_config_static_selectorELNS0_4arch9wavefront6targetE1EEEvT1_,comdat
.Lfunc_end756:
	.size	_ZN7rocprim17ROCPRIM_400000_NS6detail17trampoline_kernelINS0_14default_configENS1_25partition_config_selectorILNS1_17partition_subalgoE8EtNS0_10empty_typeEbEEZZNS1_14partition_implILS5_8ELb0ES3_jPKtPS6_PKS6_NS0_5tupleIJPtS6_EEENSE_IJSB_SB_EEENS0_18inequality_wrapperIN6hipcub16HIPCUB_304000_NS8EqualityEEEPlJS6_EEE10hipError_tPvRmT3_T4_T5_T6_T7_T9_mT8_P12ihipStream_tbDpT10_ENKUlT_T0_E_clISt17integral_constantIbLb0EES17_EEDaS12_S13_EUlS12_E_NS1_11comp_targetILNS1_3genE5ELNS1_11target_archE942ELNS1_3gpuE9ELNS1_3repE0EEENS1_30default_config_static_selectorELNS0_4arch9wavefront6targetE1EEEvT1_, .Lfunc_end756-_ZN7rocprim17ROCPRIM_400000_NS6detail17trampoline_kernelINS0_14default_configENS1_25partition_config_selectorILNS1_17partition_subalgoE8EtNS0_10empty_typeEbEEZZNS1_14partition_implILS5_8ELb0ES3_jPKtPS6_PKS6_NS0_5tupleIJPtS6_EEENSE_IJSB_SB_EEENS0_18inequality_wrapperIN6hipcub16HIPCUB_304000_NS8EqualityEEEPlJS6_EEE10hipError_tPvRmT3_T4_T5_T6_T7_T9_mT8_P12ihipStream_tbDpT10_ENKUlT_T0_E_clISt17integral_constantIbLb0EES17_EEDaS12_S13_EUlS12_E_NS1_11comp_targetILNS1_3genE5ELNS1_11target_archE942ELNS1_3gpuE9ELNS1_3repE0EEENS1_30default_config_static_selectorELNS0_4arch9wavefront6targetE1EEEvT1_
                                        ; -- End function
	.section	.AMDGPU.csdata,"",@progbits
; Kernel info:
; codeLenInByte = 0
; NumSgprs: 4
; NumVgprs: 0
; NumAgprs: 0
; TotalNumVgprs: 0
; ScratchSize: 0
; MemoryBound: 0
; FloatMode: 240
; IeeeMode: 1
; LDSByteSize: 0 bytes/workgroup (compile time only)
; SGPRBlocks: 0
; VGPRBlocks: 0
; NumSGPRsForWavesPerEU: 4
; NumVGPRsForWavesPerEU: 1
; AccumOffset: 4
; Occupancy: 8
; WaveLimiterHint : 0
; COMPUTE_PGM_RSRC2:SCRATCH_EN: 0
; COMPUTE_PGM_RSRC2:USER_SGPR: 6
; COMPUTE_PGM_RSRC2:TRAP_HANDLER: 0
; COMPUTE_PGM_RSRC2:TGID_X_EN: 1
; COMPUTE_PGM_RSRC2:TGID_Y_EN: 0
; COMPUTE_PGM_RSRC2:TGID_Z_EN: 0
; COMPUTE_PGM_RSRC2:TIDIG_COMP_CNT: 0
; COMPUTE_PGM_RSRC3_GFX90A:ACCUM_OFFSET: 0
; COMPUTE_PGM_RSRC3_GFX90A:TG_SPLIT: 0
	.section	.text._ZN7rocprim17ROCPRIM_400000_NS6detail17trampoline_kernelINS0_14default_configENS1_25partition_config_selectorILNS1_17partition_subalgoE8EtNS0_10empty_typeEbEEZZNS1_14partition_implILS5_8ELb0ES3_jPKtPS6_PKS6_NS0_5tupleIJPtS6_EEENSE_IJSB_SB_EEENS0_18inequality_wrapperIN6hipcub16HIPCUB_304000_NS8EqualityEEEPlJS6_EEE10hipError_tPvRmT3_T4_T5_T6_T7_T9_mT8_P12ihipStream_tbDpT10_ENKUlT_T0_E_clISt17integral_constantIbLb0EES17_EEDaS12_S13_EUlS12_E_NS1_11comp_targetILNS1_3genE4ELNS1_11target_archE910ELNS1_3gpuE8ELNS1_3repE0EEENS1_30default_config_static_selectorELNS0_4arch9wavefront6targetE1EEEvT1_,"axG",@progbits,_ZN7rocprim17ROCPRIM_400000_NS6detail17trampoline_kernelINS0_14default_configENS1_25partition_config_selectorILNS1_17partition_subalgoE8EtNS0_10empty_typeEbEEZZNS1_14partition_implILS5_8ELb0ES3_jPKtPS6_PKS6_NS0_5tupleIJPtS6_EEENSE_IJSB_SB_EEENS0_18inequality_wrapperIN6hipcub16HIPCUB_304000_NS8EqualityEEEPlJS6_EEE10hipError_tPvRmT3_T4_T5_T6_T7_T9_mT8_P12ihipStream_tbDpT10_ENKUlT_T0_E_clISt17integral_constantIbLb0EES17_EEDaS12_S13_EUlS12_E_NS1_11comp_targetILNS1_3genE4ELNS1_11target_archE910ELNS1_3gpuE8ELNS1_3repE0EEENS1_30default_config_static_selectorELNS0_4arch9wavefront6targetE1EEEvT1_,comdat
	.protected	_ZN7rocprim17ROCPRIM_400000_NS6detail17trampoline_kernelINS0_14default_configENS1_25partition_config_selectorILNS1_17partition_subalgoE8EtNS0_10empty_typeEbEEZZNS1_14partition_implILS5_8ELb0ES3_jPKtPS6_PKS6_NS0_5tupleIJPtS6_EEENSE_IJSB_SB_EEENS0_18inequality_wrapperIN6hipcub16HIPCUB_304000_NS8EqualityEEEPlJS6_EEE10hipError_tPvRmT3_T4_T5_T6_T7_T9_mT8_P12ihipStream_tbDpT10_ENKUlT_T0_E_clISt17integral_constantIbLb0EES17_EEDaS12_S13_EUlS12_E_NS1_11comp_targetILNS1_3genE4ELNS1_11target_archE910ELNS1_3gpuE8ELNS1_3repE0EEENS1_30default_config_static_selectorELNS0_4arch9wavefront6targetE1EEEvT1_ ; -- Begin function _ZN7rocprim17ROCPRIM_400000_NS6detail17trampoline_kernelINS0_14default_configENS1_25partition_config_selectorILNS1_17partition_subalgoE8EtNS0_10empty_typeEbEEZZNS1_14partition_implILS5_8ELb0ES3_jPKtPS6_PKS6_NS0_5tupleIJPtS6_EEENSE_IJSB_SB_EEENS0_18inequality_wrapperIN6hipcub16HIPCUB_304000_NS8EqualityEEEPlJS6_EEE10hipError_tPvRmT3_T4_T5_T6_T7_T9_mT8_P12ihipStream_tbDpT10_ENKUlT_T0_E_clISt17integral_constantIbLb0EES17_EEDaS12_S13_EUlS12_E_NS1_11comp_targetILNS1_3genE4ELNS1_11target_archE910ELNS1_3gpuE8ELNS1_3repE0EEENS1_30default_config_static_selectorELNS0_4arch9wavefront6targetE1EEEvT1_
	.globl	_ZN7rocprim17ROCPRIM_400000_NS6detail17trampoline_kernelINS0_14default_configENS1_25partition_config_selectorILNS1_17partition_subalgoE8EtNS0_10empty_typeEbEEZZNS1_14partition_implILS5_8ELb0ES3_jPKtPS6_PKS6_NS0_5tupleIJPtS6_EEENSE_IJSB_SB_EEENS0_18inequality_wrapperIN6hipcub16HIPCUB_304000_NS8EqualityEEEPlJS6_EEE10hipError_tPvRmT3_T4_T5_T6_T7_T9_mT8_P12ihipStream_tbDpT10_ENKUlT_T0_E_clISt17integral_constantIbLb0EES17_EEDaS12_S13_EUlS12_E_NS1_11comp_targetILNS1_3genE4ELNS1_11target_archE910ELNS1_3gpuE8ELNS1_3repE0EEENS1_30default_config_static_selectorELNS0_4arch9wavefront6targetE1EEEvT1_
	.p2align	8
	.type	_ZN7rocprim17ROCPRIM_400000_NS6detail17trampoline_kernelINS0_14default_configENS1_25partition_config_selectorILNS1_17partition_subalgoE8EtNS0_10empty_typeEbEEZZNS1_14partition_implILS5_8ELb0ES3_jPKtPS6_PKS6_NS0_5tupleIJPtS6_EEENSE_IJSB_SB_EEENS0_18inequality_wrapperIN6hipcub16HIPCUB_304000_NS8EqualityEEEPlJS6_EEE10hipError_tPvRmT3_T4_T5_T6_T7_T9_mT8_P12ihipStream_tbDpT10_ENKUlT_T0_E_clISt17integral_constantIbLb0EES17_EEDaS12_S13_EUlS12_E_NS1_11comp_targetILNS1_3genE4ELNS1_11target_archE910ELNS1_3gpuE8ELNS1_3repE0EEENS1_30default_config_static_selectorELNS0_4arch9wavefront6targetE1EEEvT1_,@function
_ZN7rocprim17ROCPRIM_400000_NS6detail17trampoline_kernelINS0_14default_configENS1_25partition_config_selectorILNS1_17partition_subalgoE8EtNS0_10empty_typeEbEEZZNS1_14partition_implILS5_8ELb0ES3_jPKtPS6_PKS6_NS0_5tupleIJPtS6_EEENSE_IJSB_SB_EEENS0_18inequality_wrapperIN6hipcub16HIPCUB_304000_NS8EqualityEEEPlJS6_EEE10hipError_tPvRmT3_T4_T5_T6_T7_T9_mT8_P12ihipStream_tbDpT10_ENKUlT_T0_E_clISt17integral_constantIbLb0EES17_EEDaS12_S13_EUlS12_E_NS1_11comp_targetILNS1_3genE4ELNS1_11target_archE910ELNS1_3gpuE8ELNS1_3repE0EEENS1_30default_config_static_selectorELNS0_4arch9wavefront6targetE1EEEvT1_: ; @_ZN7rocprim17ROCPRIM_400000_NS6detail17trampoline_kernelINS0_14default_configENS1_25partition_config_selectorILNS1_17partition_subalgoE8EtNS0_10empty_typeEbEEZZNS1_14partition_implILS5_8ELb0ES3_jPKtPS6_PKS6_NS0_5tupleIJPtS6_EEENSE_IJSB_SB_EEENS0_18inequality_wrapperIN6hipcub16HIPCUB_304000_NS8EqualityEEEPlJS6_EEE10hipError_tPvRmT3_T4_T5_T6_T7_T9_mT8_P12ihipStream_tbDpT10_ENKUlT_T0_E_clISt17integral_constantIbLb0EES17_EEDaS12_S13_EUlS12_E_NS1_11comp_targetILNS1_3genE4ELNS1_11target_archE910ELNS1_3gpuE8ELNS1_3repE0EEENS1_30default_config_static_selectorELNS0_4arch9wavefront6targetE1EEEvT1_
; %bb.0:
	s_load_dwordx2 s[8:9], s[4:5], 0x50
	s_load_dwordx4 s[0:3], s[4:5], 0x8
	s_load_dwordx4 s[48:51], s[4:5], 0x40
	s_load_dword s7, s[4:5], 0x68
	s_waitcnt lgkmcnt(0)
	v_mov_b32_e32 v3, s9
	s_lshl_b64 s[10:11], s[2:3], 1
	s_add_u32 s10, s0, s10
	s_mul_i32 s9, s7, 0x1600
	s_addc_u32 s11, s1, s11
	s_add_i32 s1, s9, s2
	s_add_i32 s12, s7, -1
	s_sub_i32 s7, s8, s1
	v_mov_b32_e32 v2, s8
	s_add_u32 s8, s2, s9
	s_addc_u32 s9, s3, 0
	s_cmp_eq_u32 s6, s12
	s_load_dwordx2 s[50:51], s[50:51], 0x0
	v_cmp_ge_u64_e32 vcc, s[8:9], v[2:3]
	s_cselect_b64 s[52:53], -1, 0
	s_mul_i32 s0, s6, 0x1600
	s_mov_b32 s1, 0
	s_and_b64 s[56:57], s[52:53], vcc
	s_xor_b64 s[54:55], s[56:57], -1
	s_lshl_b64 s[0:1], s[0:1], 1
	s_add_u32 s0, s10, s0
	s_mov_b64 s[8:9], -1
	s_addc_u32 s1, s11, s1
	s_and_b64 vcc, exec, s[54:55]
	s_cbranch_vccz .LBB757_2
; %bb.1:
	v_lshlrev_b32_e32 v1, 1, v0
	v_mov_b32_e32 v2, s1
	v_add_co_u32_e32 v4, vcc, s0, v1
	v_addc_co_u32_e32 v5, vcc, 0, v2, vcc
	v_add_co_u32_e32 v2, vcc, 0x1000, v4
	v_addc_co_u32_e32 v3, vcc, 0, v5, vcc
	global_load_ushort v6, v1, s[0:1]
	global_load_ushort v7, v1, s[0:1] offset:512
	global_load_ushort v8, v1, s[0:1] offset:1024
	;; [unrolled: 1-line block ×7, first 2 shown]
	global_load_ushort v14, v[2:3], off
	global_load_ushort v15, v[2:3], off offset:512
	global_load_ushort v16, v[2:3], off offset:1024
	;; [unrolled: 1-line block ×7, first 2 shown]
	v_add_co_u32_e32 v2, vcc, 0x2000, v4
	v_addc_co_u32_e32 v3, vcc, 0, v5, vcc
	global_load_ushort v4, v[2:3], off
	global_load_ushort v5, v[2:3], off offset:512
	global_load_ushort v22, v[2:3], off offset:1024
	;; [unrolled: 1-line block ×5, first 2 shown]
	s_mov_b64 s[8:9], 0
	s_waitcnt vmcnt(21)
	ds_write_b16 v1, v6
	s_waitcnt vmcnt(20)
	ds_write_b16 v1, v7 offset:512
	s_waitcnt vmcnt(19)
	ds_write_b16 v1, v8 offset:1024
	;; [unrolled: 2-line block ×21, first 2 shown]
	s_waitcnt lgkmcnt(0)
	s_barrier
.LBB757_2:
	s_andn2_b64 vcc, exec, s[8:9]
	s_addk_i32 s7, 0x1600
	s_cbranch_vccnz .LBB757_48
; %bb.3:
	v_cmp_gt_u32_e32 vcc, s7, v0
                                        ; implicit-def: $vgpr1
	s_and_saveexec_b64 s[8:9], vcc
	s_cbranch_execz .LBB757_5
; %bb.4:
	v_lshlrev_b32_e32 v1, 1, v0
	global_load_ushort v1, v1, s[0:1]
.LBB757_5:
	s_or_b64 exec, exec, s[8:9]
	v_or_b32_e32 v2, 0x100, v0
	v_cmp_gt_u32_e32 vcc, s7, v2
                                        ; implicit-def: $vgpr2
	s_and_saveexec_b64 s[8:9], vcc
	s_cbranch_execz .LBB757_7
; %bb.6:
	v_lshlrev_b32_e32 v2, 1, v0
	global_load_ushort v2, v2, s[0:1] offset:512
.LBB757_7:
	s_or_b64 exec, exec, s[8:9]
	v_or_b32_e32 v3, 0x200, v0
	v_cmp_gt_u32_e32 vcc, s7, v3
                                        ; implicit-def: $vgpr3
	s_and_saveexec_b64 s[8:9], vcc
	s_cbranch_execz .LBB757_9
; %bb.8:
	v_lshlrev_b32_e32 v3, 1, v0
	global_load_ushort v3, v3, s[0:1] offset:1024
.LBB757_9:
	s_or_b64 exec, exec, s[8:9]
	v_or_b32_e32 v4, 0x300, v0
	v_cmp_gt_u32_e32 vcc, s7, v4
                                        ; implicit-def: $vgpr4
	s_and_saveexec_b64 s[8:9], vcc
	s_cbranch_execz .LBB757_11
; %bb.10:
	v_lshlrev_b32_e32 v4, 1, v0
	global_load_ushort v4, v4, s[0:1] offset:1536
.LBB757_11:
	s_or_b64 exec, exec, s[8:9]
	v_or_b32_e32 v5, 0x400, v0
	v_cmp_gt_u32_e32 vcc, s7, v5
                                        ; implicit-def: $vgpr5
	s_and_saveexec_b64 s[8:9], vcc
	s_cbranch_execz .LBB757_13
; %bb.12:
	v_lshlrev_b32_e32 v5, 1, v0
	global_load_ushort v5, v5, s[0:1] offset:2048
.LBB757_13:
	s_or_b64 exec, exec, s[8:9]
	v_or_b32_e32 v6, 0x500, v0
	v_cmp_gt_u32_e32 vcc, s7, v6
                                        ; implicit-def: $vgpr6
	s_and_saveexec_b64 s[8:9], vcc
	s_cbranch_execz .LBB757_15
; %bb.14:
	v_lshlrev_b32_e32 v6, 1, v0
	global_load_ushort v6, v6, s[0:1] offset:2560
.LBB757_15:
	s_or_b64 exec, exec, s[8:9]
	v_or_b32_e32 v7, 0x600, v0
	v_cmp_gt_u32_e32 vcc, s7, v7
                                        ; implicit-def: $vgpr7
	s_and_saveexec_b64 s[8:9], vcc
	s_cbranch_execz .LBB757_17
; %bb.16:
	v_lshlrev_b32_e32 v7, 1, v0
	global_load_ushort v7, v7, s[0:1] offset:3072
.LBB757_17:
	s_or_b64 exec, exec, s[8:9]
	v_or_b32_e32 v8, 0x700, v0
	v_cmp_gt_u32_e32 vcc, s7, v8
                                        ; implicit-def: $vgpr8
	s_and_saveexec_b64 s[8:9], vcc
	s_cbranch_execz .LBB757_19
; %bb.18:
	v_lshlrev_b32_e32 v8, 1, v0
	global_load_ushort v8, v8, s[0:1] offset:3584
.LBB757_19:
	s_or_b64 exec, exec, s[8:9]
	v_or_b32_e32 v10, 0x800, v0
	v_cmp_gt_u32_e32 vcc, s7, v10
                                        ; implicit-def: $vgpr9
	s_and_saveexec_b64 s[8:9], vcc
	s_cbranch_execz .LBB757_21
; %bb.20:
	v_lshlrev_b32_e32 v9, 1, v10
	global_load_ushort v9, v9, s[0:1]
.LBB757_21:
	s_or_b64 exec, exec, s[8:9]
	v_or_b32_e32 v11, 0x900, v0
	v_cmp_gt_u32_e32 vcc, s7, v11
                                        ; implicit-def: $vgpr10
	s_and_saveexec_b64 s[8:9], vcc
	s_cbranch_execz .LBB757_23
; %bb.22:
	v_lshlrev_b32_e32 v10, 1, v11
	global_load_ushort v10, v10, s[0:1]
.LBB757_23:
	s_or_b64 exec, exec, s[8:9]
	v_or_b32_e32 v12, 0xa00, v0
	v_cmp_gt_u32_e32 vcc, s7, v12
                                        ; implicit-def: $vgpr11
	s_and_saveexec_b64 s[8:9], vcc
	s_cbranch_execz .LBB757_25
; %bb.24:
	v_lshlrev_b32_e32 v11, 1, v12
	global_load_ushort v11, v11, s[0:1]
.LBB757_25:
	s_or_b64 exec, exec, s[8:9]
	v_or_b32_e32 v13, 0xb00, v0
	v_cmp_gt_u32_e32 vcc, s7, v13
                                        ; implicit-def: $vgpr12
	s_and_saveexec_b64 s[8:9], vcc
	s_cbranch_execz .LBB757_27
; %bb.26:
	v_lshlrev_b32_e32 v12, 1, v13
	global_load_ushort v12, v12, s[0:1]
.LBB757_27:
	s_or_b64 exec, exec, s[8:9]
	v_or_b32_e32 v14, 0xc00, v0
	v_cmp_gt_u32_e32 vcc, s7, v14
                                        ; implicit-def: $vgpr13
	s_and_saveexec_b64 s[8:9], vcc
	s_cbranch_execz .LBB757_29
; %bb.28:
	v_lshlrev_b32_e32 v13, 1, v14
	global_load_ushort v13, v13, s[0:1]
.LBB757_29:
	s_or_b64 exec, exec, s[8:9]
	v_or_b32_e32 v15, 0xd00, v0
	v_cmp_gt_u32_e32 vcc, s7, v15
                                        ; implicit-def: $vgpr14
	s_and_saveexec_b64 s[8:9], vcc
	s_cbranch_execz .LBB757_31
; %bb.30:
	v_lshlrev_b32_e32 v14, 1, v15
	global_load_ushort v14, v14, s[0:1]
.LBB757_31:
	s_or_b64 exec, exec, s[8:9]
	v_or_b32_e32 v16, 0xe00, v0
	v_cmp_gt_u32_e32 vcc, s7, v16
                                        ; implicit-def: $vgpr15
	s_and_saveexec_b64 s[8:9], vcc
	s_cbranch_execz .LBB757_33
; %bb.32:
	v_lshlrev_b32_e32 v15, 1, v16
	global_load_ushort v15, v15, s[0:1]
.LBB757_33:
	s_or_b64 exec, exec, s[8:9]
	v_or_b32_e32 v17, 0xf00, v0
	v_cmp_gt_u32_e32 vcc, s7, v17
                                        ; implicit-def: $vgpr16
	s_and_saveexec_b64 s[8:9], vcc
	s_cbranch_execz .LBB757_35
; %bb.34:
	v_lshlrev_b32_e32 v16, 1, v17
	global_load_ushort v16, v16, s[0:1]
.LBB757_35:
	s_or_b64 exec, exec, s[8:9]
	v_or_b32_e32 v18, 0x1000, v0
	v_cmp_gt_u32_e32 vcc, s7, v18
                                        ; implicit-def: $vgpr17
	s_and_saveexec_b64 s[8:9], vcc
	s_cbranch_execz .LBB757_37
; %bb.36:
	v_lshlrev_b32_e32 v17, 1, v18
	global_load_ushort v17, v17, s[0:1]
.LBB757_37:
	s_or_b64 exec, exec, s[8:9]
	v_or_b32_e32 v19, 0x1100, v0
	v_cmp_gt_u32_e32 vcc, s7, v19
                                        ; implicit-def: $vgpr18
	s_and_saveexec_b64 s[8:9], vcc
	s_cbranch_execz .LBB757_39
; %bb.38:
	v_lshlrev_b32_e32 v18, 1, v19
	global_load_ushort v18, v18, s[0:1]
.LBB757_39:
	s_or_b64 exec, exec, s[8:9]
	v_or_b32_e32 v20, 0x1200, v0
	v_cmp_gt_u32_e32 vcc, s7, v20
                                        ; implicit-def: $vgpr19
	s_and_saveexec_b64 s[8:9], vcc
	s_cbranch_execz .LBB757_41
; %bb.40:
	v_lshlrev_b32_e32 v19, 1, v20
	global_load_ushort v19, v19, s[0:1]
.LBB757_41:
	s_or_b64 exec, exec, s[8:9]
	v_or_b32_e32 v21, 0x1300, v0
	v_cmp_gt_u32_e32 vcc, s7, v21
                                        ; implicit-def: $vgpr20
	s_and_saveexec_b64 s[8:9], vcc
	s_cbranch_execz .LBB757_43
; %bb.42:
	v_lshlrev_b32_e32 v20, 1, v21
	global_load_ushort v20, v20, s[0:1]
.LBB757_43:
	s_or_b64 exec, exec, s[8:9]
	v_or_b32_e32 v22, 0x1400, v0
	v_cmp_gt_u32_e32 vcc, s7, v22
                                        ; implicit-def: $vgpr21
	s_and_saveexec_b64 s[8:9], vcc
	s_cbranch_execz .LBB757_45
; %bb.44:
	v_lshlrev_b32_e32 v21, 1, v22
	global_load_ushort v21, v21, s[0:1]
.LBB757_45:
	s_or_b64 exec, exec, s[8:9]
	v_or_b32_e32 v23, 0x1500, v0
	v_cmp_gt_u32_e32 vcc, s7, v23
                                        ; implicit-def: $vgpr22
	s_and_saveexec_b64 s[8:9], vcc
	s_cbranch_execz .LBB757_47
; %bb.46:
	v_lshlrev_b32_e32 v22, 1, v23
	global_load_ushort v22, v22, s[0:1]
.LBB757_47:
	s_or_b64 exec, exec, s[8:9]
	v_lshlrev_b32_e32 v23, 1, v0
	s_waitcnt vmcnt(0)
	ds_write_b16 v23, v1
	ds_write_b16 v23, v2 offset:512
	ds_write_b16 v23, v3 offset:1024
	;; [unrolled: 1-line block ×21, first 2 shown]
	s_waitcnt lgkmcnt(0)
	s_barrier
.LBB757_48:
	v_mul_u32_u24_e32 v19, 22, v0
	v_lshlrev_b32_e32 v34, 1, v19
	s_waitcnt lgkmcnt(0)
	ds_read_b32 v60, v34 offset:40
	ds_read2_b32 v[2:3], v34 offset0:8 offset1:9
	ds_read2_b32 v[4:5], v34 offset0:6 offset1:7
	ds_read2_b32 v[10:11], v34 offset1:1
	ds_read2_b32 v[8:9], v34 offset0:2 offset1:3
	ds_read2_b32 v[6:7], v34 offset0:4 offset1:5
	s_cmp_lg_u32 s6, 0
	s_cselect_b64 s[58:59], -1, 0
	s_cmp_lg_u64 s[2:3], 0
	s_cselect_b64 s[2:3], -1, 0
	s_or_b64 s[2:3], s[58:59], s[2:3]
	v_mad_u32_u24 v12, v0, 22, 21
	v_mad_u32_u24 v13, v0, 22, 20
	s_waitcnt lgkmcnt(5)
	v_lshrrev_b32_e32 v1, 16, v60
	v_mad_u32_u24 v14, v0, 22, 19
	s_waitcnt lgkmcnt(4)
	v_lshrrev_b32_e32 v62, 16, v2
	v_lshrrev_b32_e32 v61, 16, v3
	v_mad_u32_u24 v15, v0, 22, 18
	v_mad_u32_u24 v16, v0, 22, 17
	;; [unrolled: 1-line block ×4, first 2 shown]
	s_waitcnt lgkmcnt(3)
	v_lshrrev_b32_e32 v64, 16, v4
	v_lshrrev_b32_e32 v63, 16, v5
	v_mad_u32_u24 v20, v0, 22, 14
	s_waitcnt lgkmcnt(2)
	v_lshrrev_b32_e32 v74, 16, v10
	v_lshrrev_b32_e32 v71, 16, v11
	v_or_b32_e32 v33, 1, v19
	v_mad_u32_u24 v32, v0, 22, 2
	v_mad_u32_u24 v30, v0, 22, 3
	;; [unrolled: 1-line block ×3, first 2 shown]
	s_waitcnt lgkmcnt(1)
	v_lshrrev_b32_e32 v69, 16, v8
	v_lshrrev_b32_e32 v67, 16, v9
	v_mad_u32_u24 v31, v0, 22, 5
	v_mad_u32_u24 v29, v0, 22, 6
	;; [unrolled: 1-line block ×4, first 2 shown]
	s_waitcnt lgkmcnt(0)
	v_lshrrev_b32_e32 v66, 16, v6
	v_lshrrev_b32_e32 v65, 16, v7
	v_mad_u32_u24 v27, v0, 22, 9
	v_mad_u32_u24 v25, v0, 22, 10
	;; [unrolled: 1-line block ×5, first 2 shown]
	s_mov_b64 s[60:61], 0
	s_and_b64 vcc, exec, s[2:3]
	s_barrier
	s_cbranch_vccz .LBB757_53
; %bb.49:
	v_mov_b32_e32 v35, 0
	global_load_ushort v35, v35, s[0:1] offset:-2
	v_lshlrev_b32_e32 v36, 1, v0
	s_and_b64 vcc, exec, s[54:55]
	ds_write_b16 v36, v1
	s_cbranch_vccz .LBB757_55
; %bb.50:
	v_cmp_ne_u32_e32 vcc, 0, v0
	s_waitcnt vmcnt(0)
	v_mov_b32_e32 v37, v35
	s_waitcnt lgkmcnt(0)
	s_barrier
	s_and_saveexec_b64 s[0:1], vcc
	s_cbranch_execz .LBB757_52
; %bb.51:
	v_add_u32_e32 v37, -2, v36
	ds_read_u16 v37, v37
.LBB757_52:
	s_or_b64 exec, exec, s[0:1]
	v_cmp_ne_u16_e32 vcc, v60, v1
	v_cndmask_b32_e64 v68, 0, 1, vcc
	v_cmp_ne_u16_e32 vcc, v61, v60
	v_cndmask_b32_e64 v70, 0, 1, vcc
	;; [unrolled: 2-line block ×21, first 2 shown]
	s_waitcnt lgkmcnt(0)
	v_cmp_ne_u16_e64 s[0:1], v37, v10
	s_branch .LBB757_59
.LBB757_53:
                                        ; implicit-def: $sgpr0_sgpr1
                                        ; implicit-def: $vgpr91
                                        ; implicit-def: $vgpr90
                                        ; implicit-def: $vgpr89
                                        ; implicit-def: $vgpr88
                                        ; implicit-def: $vgpr87
                                        ; implicit-def: $vgpr86
                                        ; implicit-def: $vgpr85
                                        ; implicit-def: $vgpr84
                                        ; implicit-def: $vgpr83
                                        ; implicit-def: $vgpr82
                                        ; implicit-def: $vgpr81
                                        ; implicit-def: $vgpr80
                                        ; implicit-def: $vgpr79
                                        ; implicit-def: $vgpr78
                                        ; implicit-def: $vgpr77
                                        ; implicit-def: $vgpr76
                                        ; implicit-def: $vgpr75
                                        ; implicit-def: $vgpr73
                                        ; implicit-def: $vgpr72
                                        ; implicit-def: $vgpr70
                                        ; implicit-def: $vgpr68
	s_branch .LBB757_60
.LBB757_54:
                                        ; implicit-def: $sgpr8
	s_branch .LBB757_68
.LBB757_55:
                                        ; implicit-def: $sgpr0_sgpr1
                                        ; implicit-def: $vgpr91
                                        ; implicit-def: $vgpr90
                                        ; implicit-def: $vgpr89
                                        ; implicit-def: $vgpr88
                                        ; implicit-def: $vgpr87
                                        ; implicit-def: $vgpr86
                                        ; implicit-def: $vgpr85
                                        ; implicit-def: $vgpr84
                                        ; implicit-def: $vgpr83
                                        ; implicit-def: $vgpr82
                                        ; implicit-def: $vgpr81
                                        ; implicit-def: $vgpr80
                                        ; implicit-def: $vgpr79
                                        ; implicit-def: $vgpr78
                                        ; implicit-def: $vgpr77
                                        ; implicit-def: $vgpr76
                                        ; implicit-def: $vgpr75
                                        ; implicit-def: $vgpr73
                                        ; implicit-def: $vgpr72
                                        ; implicit-def: $vgpr70
                                        ; implicit-def: $vgpr68
	s_cbranch_execz .LBB757_59
; %bb.56:
	v_cmp_ne_u32_e32 vcc, 0, v0
	s_waitcnt lgkmcnt(0)
	s_barrier
	s_and_saveexec_b64 s[0:1], vcc
	s_cbranch_execz .LBB757_58
; %bb.57:
	s_waitcnt vmcnt(0)
	v_add_u32_e32 v35, -2, v36
	ds_read_u16 v35, v35
.LBB757_58:
	s_or_b64 exec, exec, s[0:1]
	v_cmp_gt_u32_e32 vcc, s7, v12
	v_cmp_ne_u16_e64 s[0:1], v60, v1
	s_and_b64 s[0:1], vcc, s[0:1]
	v_cndmask_b32_e64 v68, 0, 1, s[0:1]
	v_cmp_gt_u32_e32 vcc, s7, v13
	v_cmp_ne_u16_e64 s[0:1], v61, v60
	s_and_b64 s[0:1], vcc, s[0:1]
	v_cndmask_b32_e64 v70, 0, 1, s[0:1]
	;; [unrolled: 4-line block ×21, first 2 shown]
	v_cmp_gt_u32_e32 vcc, s7, v19
	s_waitcnt vmcnt(0) lgkmcnt(0)
	v_cmp_ne_u16_e64 s[0:1], v35, v10
	s_and_b64 s[0:1], vcc, s[0:1]
.LBB757_59:
	s_mov_b64 s[60:61], -1
	s_cbranch_execnz .LBB757_54
.LBB757_60:
	s_movk_i32 s0, 0xffd6
	v_mad_i32_i24 v34, v0, s0, v34
	s_and_b64 vcc, exec, s[54:55]
	v_cmp_ne_u16_e64 s[0:1], v60, v1
	v_cmp_ne_u16_e64 s[2:3], v61, v60
	;; [unrolled: 1-line block ×21, first 2 shown]
	ds_write_b16 v34, v1
	s_cbranch_vccz .LBB757_64
; %bb.61:
	v_cndmask_b32_e64 v68, 0, 1, s[0:1]
	v_cndmask_b32_e64 v70, 0, 1, s[2:3]
	;; [unrolled: 1-line block ×21, first 2 shown]
	v_cmp_ne_u32_e32 vcc, 0, v0
	s_waitcnt lgkmcnt(0)
	s_barrier
	s_waitcnt lgkmcnt(0)
                                        ; implicit-def: $sgpr0_sgpr1
	s_and_saveexec_b64 s[2:3], vcc
	s_xor_b64 s[2:3], exec, s[2:3]
	s_cbranch_execz .LBB757_63
; %bb.62:
	s_waitcnt vmcnt(0)
	v_add_u32_e32 v35, -2, v34
	ds_read_u16 v35, v35
	s_or_b64 s[60:61], s[60:61], exec
	s_waitcnt lgkmcnt(0)
	v_cmp_ne_u16_e32 vcc, v35, v10
	s_and_b64 s[0:1], vcc, exec
.LBB757_63:
	s_or_b64 exec, exec, s[2:3]
	s_mov_b32 s8, 1
	s_branch .LBB757_68
.LBB757_64:
                                        ; implicit-def: $sgpr0_sgpr1
                                        ; implicit-def: $vgpr91
                                        ; implicit-def: $vgpr90
                                        ; implicit-def: $vgpr89
                                        ; implicit-def: $vgpr88
                                        ; implicit-def: $vgpr87
                                        ; implicit-def: $vgpr86
                                        ; implicit-def: $vgpr85
                                        ; implicit-def: $vgpr84
                                        ; implicit-def: $vgpr83
                                        ; implicit-def: $vgpr82
                                        ; implicit-def: $vgpr81
                                        ; implicit-def: $vgpr80
                                        ; implicit-def: $vgpr79
                                        ; implicit-def: $vgpr78
                                        ; implicit-def: $vgpr77
                                        ; implicit-def: $vgpr76
                                        ; implicit-def: $vgpr75
                                        ; implicit-def: $vgpr73
                                        ; implicit-def: $vgpr72
                                        ; implicit-def: $vgpr70
                                        ; implicit-def: $vgpr68
                                        ; implicit-def: $sgpr8
	s_cbranch_execz .LBB757_68
; %bb.65:
	v_cmp_gt_u32_e32 vcc, s7, v12
	v_cmp_ne_u16_e64 s[0:1], v60, v1
	s_and_b64 s[0:1], vcc, s[0:1]
	v_cndmask_b32_e64 v68, 0, 1, s[0:1]
	v_cmp_gt_u32_e32 vcc, s7, v13
	v_cmp_ne_u16_e64 s[0:1], v61, v60
	s_and_b64 s[0:1], vcc, s[0:1]
	v_cndmask_b32_e64 v70, 0, 1, s[0:1]
	;; [unrolled: 4-line block ×21, first 2 shown]
	v_cmp_ne_u32_e32 vcc, 0, v0
	s_waitcnt lgkmcnt(0)
	s_barrier
	s_waitcnt lgkmcnt(0)
                                        ; implicit-def: $sgpr0_sgpr1
	s_and_saveexec_b64 s[2:3], vcc
	s_cbranch_execz .LBB757_67
; %bb.66:
	v_add_u32_e32 v34, -2, v34
	ds_read_u16 v34, v34
	v_cmp_gt_u32_e32 vcc, s7, v19
	s_or_b64 s[60:61], s[60:61], exec
	s_waitcnt lgkmcnt(0)
	v_cmp_ne_u16_e64 s[0:1], v34, v10
	s_and_b64 s[0:1], vcc, s[0:1]
	s_and_b64 s[0:1], s[0:1], exec
.LBB757_67:
	s_or_b64 exec, exec, s[2:3]
	s_mov_b32 s8, 1
.LBB757_68:
	v_mov_b32_e32 v92, s8
	s_and_saveexec_b64 s[2:3], s[60:61]
; %bb.69:
	v_cndmask_b32_e64 v92, 0, 1, s[0:1]
; %bb.70:
	s_or_b64 exec, exec, s[2:3]
	s_load_dwordx2 s[20:21], s[4:5], 0x60
	s_andn2_b64 vcc, exec, s[56:57]
	s_cbranch_vccnz .LBB757_72
; %bb.71:
	v_cmp_gt_u32_e32 vcc, s7, v19
	v_cndmask_b32_e32 v92, 0, v92, vcc
	v_cmp_gt_u32_e32 vcc, s7, v33
	v_cndmask_b32_e32 v91, 0, v91, vcc
	;; [unrolled: 2-line block ×22, first 2 shown]
.LBB757_72:
	v_and_b32_e32 v47, 0xff, v73
	v_and_b32_e32 v49, 0xff, v72
	v_add_u32_sdwa v12, v70, v68 dst_sel:DWORD dst_unused:UNUSED_PAD src0_sel:BYTE_0 src1_sel:BYTE_0
	v_and_b32_e32 v43, 0xff, v76
	v_and_b32_e32 v45, 0xff, v75
	v_add3_u32 v12, v12, v49, v47
	v_and_b32_e32 v39, 0xff, v78
	v_and_b32_e32 v41, 0xff, v77
	v_add3_u32 v12, v12, v45, v43
	s_waitcnt vmcnt(0)
	v_and_b32_e32 v35, 0xff, v80
	v_and_b32_e32 v37, 0xff, v79
	v_add3_u32 v12, v12, v41, v39
	v_and_b32_e32 v32, 0xff, v82
	v_and_b32_e32 v33, 0xff, v81
	v_add3_u32 v12, v12, v37, v35
	;; [unrolled: 3-line block ×7, first 2 shown]
	v_add3_u32 v38, v12, v23, v22
	v_mbcnt_lo_u32_b32 v12, -1, 0
	v_mbcnt_hi_u32_b32 v34, -1, v12
	v_and_b32_e32 v12, 15, v34
	v_cmp_eq_u32_e64 s[14:15], 0, v12
	v_cmp_lt_u32_e64 s[12:13], 1, v12
	v_cmp_lt_u32_e64 s[10:11], 3, v12
	v_cmp_lt_u32_e64 s[8:9], 7, v12
	v_and_b32_e32 v12, 16, v34
	v_cmp_eq_u32_e64 s[18:19], 0, v12
	v_or_b32_e32 v12, 63, v0
	v_cmp_lt_u32_e64 s[0:1], 31, v34
	v_lshrrev_b32_e32 v36, 6, v0
	v_cmp_eq_u32_e64 s[2:3], v12, v0
	s_and_b64 vcc, exec, s[58:59]
	s_waitcnt lgkmcnt(0)
	s_barrier
	s_cbranch_vccz .LBB757_99
; %bb.73:
	v_mov_b32_dpp v12, v38 row_shr:1 row_mask:0xf bank_mask:0xf
	v_cndmask_b32_e64 v12, v12, 0, s[14:15]
	v_add_u32_e32 v12, v12, v38
	s_nop 1
	v_mov_b32_dpp v13, v12 row_shr:2 row_mask:0xf bank_mask:0xf
	v_cndmask_b32_e64 v13, 0, v13, s[12:13]
	v_add_u32_e32 v12, v12, v13
	s_nop 1
	;; [unrolled: 4-line block ×4, first 2 shown]
	v_mov_b32_dpp v13, v12 row_bcast:15 row_mask:0xf bank_mask:0xf
	v_cndmask_b32_e64 v13, v13, 0, s[18:19]
	v_add_u32_e32 v12, v12, v13
	s_nop 1
	v_mov_b32_dpp v13, v12 row_bcast:31 row_mask:0xf bank_mask:0xf
	v_cndmask_b32_e64 v13, 0, v13, s[0:1]
	v_add_u32_e32 v12, v12, v13
	s_and_saveexec_b64 s[16:17], s[2:3]
	s_cbranch_execz .LBB757_75
; %bb.74:
	v_lshlrev_b32_e32 v13, 2, v36
	ds_write_b32 v13, v12
.LBB757_75:
	s_or_b64 exec, exec, s[16:17]
	v_cmp_gt_u32_e32 vcc, 4, v0
	s_waitcnt lgkmcnt(0)
	s_barrier
	s_and_saveexec_b64 s[16:17], vcc
	s_cbranch_execz .LBB757_77
; %bb.76:
	v_lshlrev_b32_e32 v13, 2, v0
	ds_read_b32 v14, v13
	v_and_b32_e32 v15, 3, v34
	v_cmp_ne_u32_e32 vcc, 0, v15
	s_waitcnt lgkmcnt(0)
	v_mov_b32_dpp v16, v14 row_shr:1 row_mask:0xf bank_mask:0xf
	v_cndmask_b32_e32 v16, 0, v16, vcc
	v_add_u32_e32 v14, v16, v14
	v_cmp_lt_u32_e32 vcc, 1, v15
	s_nop 0
	v_mov_b32_dpp v16, v14 row_shr:2 row_mask:0xf bank_mask:0xf
	v_cndmask_b32_e32 v15, 0, v16, vcc
	v_add_u32_e32 v14, v14, v15
	ds_write_b32 v13, v14
.LBB757_77:
	s_or_b64 exec, exec, s[16:17]
	v_cmp_gt_u32_e32 vcc, 64, v0
	v_cmp_lt_u32_e64 s[16:17], 63, v0
	s_waitcnt lgkmcnt(0)
	s_barrier
	s_waitcnt lgkmcnt(0)
                                        ; implicit-def: $vgpr40
	s_and_saveexec_b64 s[22:23], s[16:17]
	s_cbranch_execz .LBB757_79
; %bb.78:
	v_lshl_add_u32 v13, v36, 2, -4
	ds_read_b32 v40, v13
	s_waitcnt lgkmcnt(0)
	v_add_u32_e32 v12, v40, v12
.LBB757_79:
	s_or_b64 exec, exec, s[22:23]
	v_add_u32_e32 v13, -1, v34
	v_and_b32_e32 v14, 64, v34
	v_cmp_lt_i32_e64 s[16:17], v13, v14
	v_cndmask_b32_e64 v13, v13, v34, s[16:17]
	v_lshlrev_b32_e32 v13, 2, v13
	ds_bpermute_b32 v42, v13, v12
	v_cmp_eq_u32_e64 s[16:17], 0, v34
	s_and_saveexec_b64 s[22:23], vcc
	s_cbranch_execz .LBB757_98
; %bb.80:
	v_mov_b32_e32 v19, 0
	ds_read_b32 v12, v19 offset:12
	s_and_saveexec_b64 s[24:25], s[16:17]
	s_cbranch_execz .LBB757_82
; %bb.81:
	s_add_i32 s26, s6, 64
	s_mov_b32 s27, 0
	s_lshl_b64 s[26:27], s[26:27], 3
	s_add_u32 s26, s20, s26
	v_mov_b32_e32 v13, 1
	s_addc_u32 s27, s21, s27
	s_waitcnt lgkmcnt(0)
	global_store_dwordx2 v19, v[12:13], s[26:27]
.LBB757_82:
	s_or_b64 exec, exec, s[24:25]
	v_xad_u32 v14, v34, -1, s6
	v_add_u32_e32 v18, 64, v14
	v_lshlrev_b64 v[16:17], 3, v[18:19]
	v_mov_b32_e32 v13, s21
	v_add_co_u32_e32 v20, vcc, s20, v16
	v_addc_co_u32_e32 v21, vcc, v13, v17, vcc
	global_load_dwordx2 v[16:17], v[20:21], off glc
	s_waitcnt vmcnt(0)
	v_cmp_eq_u16_sdwa s[26:27], v17, v19 src0_sel:BYTE_0 src1_sel:DWORD
	s_and_saveexec_b64 s[24:25], s[26:27]
	s_cbranch_execz .LBB757_86
; %bb.83:
	s_mov_b64 s[26:27], 0
	v_mov_b32_e32 v13, 0
.LBB757_84:                             ; =>This Inner Loop Header: Depth=1
	global_load_dwordx2 v[16:17], v[20:21], off glc
	s_waitcnt vmcnt(0)
	v_cmp_ne_u16_sdwa s[28:29], v17, v13 src0_sel:BYTE_0 src1_sel:DWORD
	s_or_b64 s[26:27], s[28:29], s[26:27]
	s_andn2_b64 exec, exec, s[26:27]
	s_cbranch_execnz .LBB757_84
; %bb.85:
	s_or_b64 exec, exec, s[26:27]
.LBB757_86:
	s_or_b64 exec, exec, s[24:25]
	v_and_b32_e32 v46, 63, v34
	v_mov_b32_e32 v44, 2
	v_cmp_ne_u32_e32 vcc, 63, v46
	v_cmp_eq_u16_sdwa s[24:25], v17, v44 src0_sel:BYTE_0 src1_sel:DWORD
	v_lshlrev_b64 v[18:19], v34, -1
	v_addc_co_u32_e32 v20, vcc, 0, v34, vcc
	v_and_b32_e32 v13, s25, v19
	v_lshlrev_b32_e32 v48, 2, v20
	v_or_b32_e32 v13, 0x80000000, v13
	ds_bpermute_b32 v20, v48, v16
	v_and_b32_e32 v15, s24, v18
	v_ffbl_b32_e32 v13, v13
	v_add_u32_e32 v13, 32, v13
	v_ffbl_b32_e32 v15, v15
	v_min_u32_e32 v13, v15, v13
	v_cmp_lt_u32_e32 vcc, v46, v13
	s_waitcnt lgkmcnt(0)
	v_cndmask_b32_e32 v15, 0, v20, vcc
	v_cmp_gt_u32_e32 vcc, 62, v46
	v_add_u32_e32 v15, v15, v16
	v_cndmask_b32_e64 v16, 0, 1, vcc
	v_lshlrev_b32_e32 v16, 1, v16
	v_add_lshl_u32 v50, v16, v34, 2
	ds_bpermute_b32 v16, v50, v15
	v_add_u32_e32 v51, 2, v46
	v_cmp_le_u32_e32 vcc, v51, v13
	v_add_u32_e32 v53, 4, v46
	v_add_u32_e32 v55, 8, v46
	s_waitcnt lgkmcnt(0)
	v_cndmask_b32_e32 v16, 0, v16, vcc
	v_cmp_gt_u32_e32 vcc, 60, v46
	v_add_u32_e32 v15, v15, v16
	v_cndmask_b32_e64 v16, 0, 1, vcc
	v_lshlrev_b32_e32 v16, 2, v16
	v_add_lshl_u32 v52, v16, v34, 2
	ds_bpermute_b32 v16, v52, v15
	v_cmp_le_u32_e32 vcc, v53, v13
	v_add_u32_e32 v57, 16, v46
	v_add_u32_e32 v59, 32, v46
	s_waitcnt lgkmcnt(0)
	v_cndmask_b32_e32 v16, 0, v16, vcc
	v_cmp_gt_u32_e32 vcc, 56, v46
	v_add_u32_e32 v15, v15, v16
	v_cndmask_b32_e64 v16, 0, 1, vcc
	v_lshlrev_b32_e32 v16, 3, v16
	v_add_lshl_u32 v54, v16, v34, 2
	ds_bpermute_b32 v16, v54, v15
	v_cmp_le_u32_e32 vcc, v55, v13
	s_waitcnt lgkmcnt(0)
	v_cndmask_b32_e32 v16, 0, v16, vcc
	v_cmp_gt_u32_e32 vcc, 48, v46
	v_add_u32_e32 v15, v15, v16
	v_cndmask_b32_e64 v16, 0, 1, vcc
	v_lshlrev_b32_e32 v16, 4, v16
	v_add_lshl_u32 v56, v16, v34, 2
	ds_bpermute_b32 v16, v56, v15
	v_cmp_le_u32_e32 vcc, v57, v13
	;; [unrolled: 9-line block ×3, first 2 shown]
	s_waitcnt lgkmcnt(0)
	v_cndmask_b32_e32 v13, 0, v16, vcc
	v_add_u32_e32 v16, v15, v13
	v_mov_b32_e32 v15, 0
	s_branch .LBB757_88
.LBB757_87:                             ;   in Loop: Header=BB757_88 Depth=1
	s_or_b64 exec, exec, s[24:25]
	v_cmp_eq_u16_sdwa s[24:25], v17, v44 src0_sel:BYTE_0 src1_sel:DWORD
	v_and_b32_e32 v20, s25, v19
	v_or_b32_e32 v20, 0x80000000, v20
	ds_bpermute_b32 v93, v48, v16
	v_and_b32_e32 v21, s24, v18
	v_ffbl_b32_e32 v20, v20
	v_add_u32_e32 v20, 32, v20
	v_ffbl_b32_e32 v21, v21
	v_min_u32_e32 v20, v21, v20
	v_cmp_lt_u32_e32 vcc, v46, v20
	s_waitcnt lgkmcnt(0)
	v_cndmask_b32_e32 v21, 0, v93, vcc
	v_add_u32_e32 v16, v21, v16
	ds_bpermute_b32 v21, v50, v16
	v_cmp_le_u32_e32 vcc, v51, v20
	v_subrev_u32_e32 v14, 64, v14
	s_waitcnt lgkmcnt(0)
	v_cndmask_b32_e32 v21, 0, v21, vcc
	v_add_u32_e32 v16, v16, v21
	ds_bpermute_b32 v21, v52, v16
	v_cmp_le_u32_e32 vcc, v53, v20
	s_waitcnt lgkmcnt(0)
	v_cndmask_b32_e32 v21, 0, v21, vcc
	v_add_u32_e32 v16, v16, v21
	ds_bpermute_b32 v21, v54, v16
	v_cmp_le_u32_e32 vcc, v55, v20
	;; [unrolled: 5-line block ×4, first 2 shown]
	s_waitcnt lgkmcnt(0)
	v_cndmask_b32_e32 v20, 0, v21, vcc
	v_add3_u32 v16, v20, v13, v16
.LBB757_88:                             ; =>This Loop Header: Depth=1
                                        ;     Child Loop BB757_91 Depth 2
	v_cmp_ne_u16_sdwa s[24:25], v17, v44 src0_sel:BYTE_0 src1_sel:DWORD
	v_cndmask_b32_e64 v13, 0, 1, s[24:25]
	;;#ASMSTART
	;;#ASMEND
	v_cmp_ne_u32_e32 vcc, 0, v13
	s_cmp_lg_u64 vcc, exec
	v_mov_b32_e32 v13, v16
	s_cbranch_scc1 .LBB757_93
; %bb.89:                               ;   in Loop: Header=BB757_88 Depth=1
	v_lshlrev_b64 v[16:17], 3, v[14:15]
	v_mov_b32_e32 v21, s21
	v_add_co_u32_e32 v20, vcc, s20, v16
	v_addc_co_u32_e32 v21, vcc, v21, v17, vcc
	global_load_dwordx2 v[16:17], v[20:21], off glc
	s_waitcnt vmcnt(0)
	v_cmp_eq_u16_sdwa s[26:27], v17, v15 src0_sel:BYTE_0 src1_sel:DWORD
	s_and_saveexec_b64 s[24:25], s[26:27]
	s_cbranch_execz .LBB757_87
; %bb.90:                               ;   in Loop: Header=BB757_88 Depth=1
	s_mov_b64 s[26:27], 0
.LBB757_91:                             ;   Parent Loop BB757_88 Depth=1
                                        ; =>  This Inner Loop Header: Depth=2
	global_load_dwordx2 v[16:17], v[20:21], off glc
	s_waitcnt vmcnt(0)
	v_cmp_ne_u16_sdwa s[28:29], v17, v15 src0_sel:BYTE_0 src1_sel:DWORD
	s_or_b64 s[26:27], s[28:29], s[26:27]
	s_andn2_b64 exec, exec, s[26:27]
	s_cbranch_execnz .LBB757_91
; %bb.92:                               ;   in Loop: Header=BB757_88 Depth=1
	s_or_b64 exec, exec, s[26:27]
	s_branch .LBB757_87
.LBB757_93:                             ;   in Loop: Header=BB757_88 Depth=1
                                        ; implicit-def: $vgpr16
                                        ; implicit-def: $vgpr17
	s_cbranch_execz .LBB757_88
; %bb.94:
	s_and_saveexec_b64 s[24:25], s[16:17]
	s_cbranch_execz .LBB757_96
; %bb.95:
	s_add_i32 s6, s6, 64
	s_mov_b32 s7, 0
	s_lshl_b64 s[6:7], s[6:7], 3
	s_add_u32 s6, s20, s6
	v_add_u32_e32 v14, v13, v12
	v_mov_b32_e32 v15, 2
	s_addc_u32 s7, s21, s7
	v_mov_b32_e32 v16, 0
	global_store_dwordx2 v16, v[14:15], s[6:7]
	ds_write_b64 v16, v[12:13] offset:11264
.LBB757_96:
	s_or_b64 exec, exec, s[24:25]
	v_cmp_eq_u32_e32 vcc, 0, v0
	s_and_b64 exec, exec, vcc
	s_cbranch_execz .LBB757_98
; %bb.97:
	v_mov_b32_e32 v12, 0
	ds_write_b32 v12, v13 offset:12
.LBB757_98:
	s_or_b64 exec, exec, s[22:23]
	v_mov_b32_e32 v12, 0
	s_waitcnt lgkmcnt(0)
	s_barrier
	ds_read_b32 v15, v12 offset:12
	s_waitcnt lgkmcnt(0)
	s_barrier
	ds_read_b64 v[12:13], v12 offset:11264
	v_cndmask_b32_e64 v14, v42, v40, s[16:17]
	v_cmp_ne_u32_e32 vcc, 0, v0
	v_cndmask_b32_e32 v14, 0, v14, vcc
	v_add_u32_e32 v52, v15, v14
	s_waitcnt lgkmcnt(0)
	v_mov_b32_e32 v14, v13
	s_load_dwordx2 s[4:5], s[4:5], 0x28
	s_branch .LBB757_109
.LBB757_99:
                                        ; implicit-def: $vgpr14
                                        ; implicit-def: $vgpr12
                                        ; implicit-def: $vgpr52
	s_load_dwordx2 s[4:5], s[4:5], 0x28
	s_cbranch_execz .LBB757_109
; %bb.100:
	v_mov_b32_dpp v12, v38 row_shr:1 row_mask:0xf bank_mask:0xf
	v_cndmask_b32_e64 v12, v12, 0, s[14:15]
	v_add_u32_e32 v12, v12, v38
	s_nop 1
	v_mov_b32_dpp v13, v12 row_shr:2 row_mask:0xf bank_mask:0xf
	v_cndmask_b32_e64 v13, 0, v13, s[12:13]
	v_add_u32_e32 v12, v12, v13
	s_nop 1
	;; [unrolled: 4-line block ×4, first 2 shown]
	v_mov_b32_dpp v13, v12 row_bcast:15 row_mask:0xf bank_mask:0xf
	v_cndmask_b32_e64 v13, v13, 0, s[18:19]
	v_add_u32_e32 v12, v12, v13
	s_nop 1
	v_mov_b32_dpp v13, v12 row_bcast:31 row_mask:0xf bank_mask:0xf
	v_cndmask_b32_e64 v13, 0, v13, s[0:1]
	v_add_u32_e32 v12, v12, v13
	s_and_saveexec_b64 s[0:1], s[2:3]
	s_cbranch_execz .LBB757_102
; %bb.101:
	v_lshlrev_b32_e32 v13, 2, v36
	ds_write_b32 v13, v12
.LBB757_102:
	s_or_b64 exec, exec, s[0:1]
	v_cmp_gt_u32_e32 vcc, 4, v0
	s_waitcnt lgkmcnt(0)
	s_barrier
	s_and_saveexec_b64 s[0:1], vcc
	s_cbranch_execz .LBB757_104
; %bb.103:
	v_lshlrev_b32_e32 v13, 2, v0
	ds_read_b32 v14, v13
	v_and_b32_e32 v15, 3, v34
	v_cmp_ne_u32_e32 vcc, 0, v15
	s_waitcnt lgkmcnt(0)
	v_mov_b32_dpp v16, v14 row_shr:1 row_mask:0xf bank_mask:0xf
	v_cndmask_b32_e32 v16, 0, v16, vcc
	v_add_u32_e32 v14, v16, v14
	v_cmp_lt_u32_e32 vcc, 1, v15
	s_nop 0
	v_mov_b32_dpp v16, v14 row_shr:2 row_mask:0xf bank_mask:0xf
	v_cndmask_b32_e32 v15, 0, v16, vcc
	v_add_u32_e32 v14, v14, v15
	ds_write_b32 v13, v14
.LBB757_104:
	s_or_b64 exec, exec, s[0:1]
	v_cmp_lt_u32_e32 vcc, 63, v0
	v_mov_b32_e32 v13, 0
	v_mov_b32_e32 v14, 0
	s_waitcnt lgkmcnt(0)
	s_barrier
	s_and_saveexec_b64 s[0:1], vcc
	s_cbranch_execz .LBB757_106
; %bb.105:
	v_lshl_add_u32 v14, v36, 2, -4
	ds_read_b32 v14, v14
.LBB757_106:
	s_or_b64 exec, exec, s[0:1]
	v_add_u32_e32 v15, -1, v34
	v_and_b32_e32 v16, 64, v34
	v_cmp_lt_i32_e32 vcc, v15, v16
	v_cndmask_b32_e32 v15, v15, v34, vcc
	s_waitcnt lgkmcnt(0)
	v_add_u32_e32 v12, v14, v12
	v_lshlrev_b32_e32 v15, 2, v15
	ds_bpermute_b32 v15, v15, v12
	ds_read_b32 v12, v13 offset:12
	v_cmp_eq_u32_e32 vcc, 0, v0
	s_and_saveexec_b64 s[0:1], vcc
	s_cbranch_execz .LBB757_108
; %bb.107:
	v_mov_b32_e32 v16, 0
	v_mov_b32_e32 v13, 2
	s_waitcnt lgkmcnt(0)
	global_store_dwordx2 v16, v[12:13], s[20:21] offset:512
.LBB757_108:
	s_or_b64 exec, exec, s[0:1]
	v_cmp_eq_u32_e64 s[0:1], 0, v34
	s_waitcnt lgkmcnt(1)
	v_cndmask_b32_e64 v13, v15, v14, s[0:1]
	v_mov_b32_e32 v14, 0
	v_cndmask_b32_e64 v52, v13, 0, vcc
	s_waitcnt lgkmcnt(0)
	s_barrier
.LBB757_109:
	v_add_u32_e32 v58, v52, v22
	v_add_u32_e32 v56, v58, v23
	;; [unrolled: 1-line block ×19, first 2 shown]
	s_movk_i32 s0, 0x101
	v_add_u32_e32 v18, v20, v49
	v_cmp_gt_u32_e32 vcc, s0, v12
	v_add_u32_sdwa v16, v18, v70 dst_sel:DWORD dst_unused:UNUSED_PAD src0_sel:DWORD src1_sel:BYTE_0
	s_mov_b64 s[0:1], -1
	s_cbranch_vccnz .LBB757_113
; %bb.110:
	s_and_b64 vcc, exec, s[0:1]
	s_cbranch_vccnz .LBB757_180
.LBB757_111:
	v_cmp_eq_u32_e32 vcc, 0, v0
	s_and_b64 s[0:1], vcc, s[52:53]
	s_and_saveexec_b64 s[2:3], s[0:1]
	s_cbranch_execnz .LBB757_240
.LBB757_112:
	s_endpgm
.LBB757_113:
	v_add_u32_e32 v13, v14, v12
	s_lshl_b64 s[0:1], s[50:51], 1
	s_waitcnt lgkmcnt(0)
	s_add_u32 s2, s4, s0
	v_cmp_lt_u32_e32 vcc, v52, v13
	s_addc_u32 s3, s5, s1
	s_or_b64 s[6:7], s[54:55], vcc
	s_and_saveexec_b64 s[0:1], s[6:7]
	s_cbranch_execz .LBB757_116
; %bb.114:
	v_and_b32_e32 v15, 1, v92
	v_cmp_eq_u32_e32 vcc, 1, v15
	s_and_b64 exec, exec, vcc
	s_cbranch_execz .LBB757_116
; %bb.115:
	v_mov_b32_e32 v53, 0
	v_lshlrev_b64 v[94:95], 1, v[52:53]
	v_mov_b32_e32 v15, s3
	v_add_co_u32_e32 v94, vcc, s2, v94
	v_addc_co_u32_e32 v95, vcc, v15, v95, vcc
	global_store_short v[94:95], v10, off
.LBB757_116:
	s_or_b64 exec, exec, s[0:1]
	v_cmp_lt_u32_e32 vcc, v58, v13
	s_or_b64 s[6:7], s[54:55], vcc
	s_and_saveexec_b64 s[0:1], s[6:7]
	s_cbranch_execz .LBB757_119
; %bb.117:
	v_and_b32_e32 v15, 1, v91
	v_cmp_eq_u32_e32 vcc, 1, v15
	s_and_b64 exec, exec, vcc
	s_cbranch_execz .LBB757_119
; %bb.118:
	v_mov_b32_e32 v59, 0
	v_lshlrev_b64 v[94:95], 1, v[58:59]
	v_mov_b32_e32 v15, s3
	v_add_co_u32_e32 v94, vcc, s2, v94
	v_addc_co_u32_e32 v95, vcc, v15, v95, vcc
	global_store_short v[94:95], v74, off
.LBB757_119:
	s_or_b64 exec, exec, s[0:1]
	v_cmp_lt_u32_e32 vcc, v56, v13
	;; [unrolled: 18-line block ×21, first 2 shown]
	s_or_b64 s[6:7], s[54:55], vcc
	s_and_saveexec_b64 s[0:1], s[6:7]
	s_cbranch_execz .LBB757_179
; %bb.177:
	v_and_b32_e32 v13, 1, v68
	v_cmp_eq_u32_e32 vcc, 1, v13
	s_and_b64 exec, exec, vcc
	s_cbranch_execz .LBB757_179
; %bb.178:
	v_mov_b32_e32 v17, 0
	v_lshlrev_b64 v[94:95], 1, v[16:17]
	v_mov_b32_e32 v13, s3
	v_add_co_u32_e32 v94, vcc, s2, v94
	v_addc_co_u32_e32 v95, vcc, v13, v95, vcc
	global_store_short v[94:95], v1, off
.LBB757_179:
	s_or_b64 exec, exec, s[0:1]
	s_branch .LBB757_111
.LBB757_180:
	v_and_b32_e32 v13, 1, v92
	v_cmp_eq_u32_e32 vcc, 1, v13
	s_and_saveexec_b64 s[0:1], vcc
	s_cbranch_execz .LBB757_182
; %bb.181:
	v_sub_u32_e32 v13, v52, v14
	v_lshlrev_b32_e32 v13, 1, v13
	ds_write_b16 v13, v10
.LBB757_182:
	s_or_b64 exec, exec, s[0:1]
	v_and_b32_e32 v10, 1, v91
	v_cmp_eq_u32_e32 vcc, 1, v10
	s_and_saveexec_b64 s[0:1], vcc
	s_cbranch_execz .LBB757_184
; %bb.183:
	v_sub_u32_e32 v10, v58, v14
	v_lshlrev_b32_e32 v10, 1, v10
	ds_write_b16 v10, v74
.LBB757_184:
	s_or_b64 exec, exec, s[0:1]
	;; [unrolled: 10-line block ×22, first 2 shown]
	v_cmp_lt_u32_e32 vcc, v0, v12
	s_waitcnt lgkmcnt(0)
	s_barrier
	s_and_saveexec_b64 s[6:7], vcc
	s_cbranch_execz .LBB757_239
; %bb.225:
	s_lshl_b64 s[0:1], s[50:51], 1
	v_mov_b32_e32 v15, 0
	s_add_u32 s0, s4, s0
	s_addc_u32 s1, s5, s1
	v_lshlrev_b64 v[2:3], 1, v[14:15]
	v_mov_b32_e32 v1, s1
	v_add_co_u32_e32 v10, vcc, s0, v2
	v_addc_co_u32_e32 v11, vcc, v1, v3, vcc
	v_xad_u32 v1, v0, -1, v12
	s_movk_i32 s0, 0x1700
	v_cmp_gt_u32_e32 vcc, s0, v1
	s_movk_i32 s0, 0x16ff
	v_cmp_lt_u32_e64 s[0:1], s0, v1
	v_mov_b32_e32 v2, v0
	s_and_saveexec_b64 s[4:5], s[0:1]
	s_cbranch_execz .LBB757_236
; %bb.226:
	v_sub_u32_e32 v2, v0, v12
	v_or_b32_e32 v2, 0xff, v2
	v_cmp_ge_u32_e64 s[0:1], v2, v0
	s_mov_b64 s[2:3], -1
	v_mov_b32_e32 v2, v0
	s_and_saveexec_b64 s[8:9], s[0:1]
	s_cbranch_execz .LBB757_235
; %bb.227:
	v_lshrrev_b32_e32 v13, 8, v1
	v_add_u32_e32 v4, -3, v13
	v_or_b32_e32 v3, 0x300, v0
	v_or_b32_e32 v2, 0x200, v0
	v_lshrrev_b32_e32 v5, 2, v4
	v_or_b32_e32 v1, 0x100, v0
	v_add_u32_e32 v16, 1, v5
	v_cmp_lt_u32_e64 s[0:1], 11, v4
	v_pk_mov_b32 v[6:7], v[2:3], v[2:3] op_sel:[0,1]
	v_mov_b32_e32 v19, 0
	v_lshlrev_b32_e32 v15, 1, v0
	v_pk_mov_b32 v[4:5], v[0:1], v[0:1] op_sel:[0,1]
	s_and_saveexec_b64 s[10:11], s[0:1]
	s_cbranch_execz .LBB757_231
; %bb.228:
	v_pk_mov_b32 v[6:7], v[2:3], v[2:3] op_sel:[0,1]
	v_and_b32_e32 v17, 0x7ffffffc, v16
	s_mov_b32 s14, 0
	s_mov_b64 s[12:13], 0
	v_mov_b32_e32 v9, 0
	v_mov_b32_e32 v18, v15
	v_pk_mov_b32 v[4:5], v[0:1], v[0:1] op_sel:[0,1]
.LBB757_229:                            ; =>This Inner Loop Header: Depth=1
	v_mov_b32_e32 v8, v4
	v_lshlrev_b64 v[36:37], 1, v[8:9]
	v_add_u32_e32 v22, 0x400, v5
	v_mov_b32_e32 v23, v9
	v_add_co_u32_e64 v36, s[2:3], v10, v36
	v_lshlrev_b64 v[22:23], 1, v[22:23]
	v_addc_co_u32_e64 v37, s[2:3], v11, v37, s[2:3]
	v_add_u32_e32 v20, 0x400, v6
	v_mov_b32_e32 v21, v9
	v_add_co_u32_e64 v22, s[2:3], v10, v22
	v_lshlrev_b64 v[20:21], 1, v[20:21]
	v_addc_co_u32_e64 v23, s[2:3], v11, v23, s[2:3]
	v_add_u32_e32 v2, 0x400, v7
	v_mov_b32_e32 v3, v9
	v_add_co_u32_e64 v20, s[2:3], v10, v20
	v_add_u32_e32 v17, -4, v17
	v_mov_b32_e32 v8, v5
	v_lshlrev_b64 v[2:3], 1, v[2:3]
	v_addc_co_u32_e64 v21, s[2:3], v11, v21, s[2:3]
	v_add_u32_e32 v28, 0x800, v5
	v_mov_b32_e32 v29, v9
	s_add_i32 s14, s14, 16
	v_cmp_eq_u32_e64 s[0:1], 0, v17
	v_lshlrev_b64 v[38:39], 1, v[8:9]
	v_add_co_u32_e64 v2, s[2:3], v10, v2
	v_lshlrev_b64 v[28:29], 1, v[28:29]
	v_mov_b32_e32 v8, v6
	v_addc_co_u32_e64 v3, s[2:3], v11, v3, s[2:3]
	s_or_b64 s[12:13], s[0:1], s[12:13]
	v_add_co_u32_e64 v38, s[0:1], v10, v38
	v_add_u32_e32 v26, 0x800, v6
	v_mov_b32_e32 v27, v9
	v_add_co_u32_e64 v28, s[2:3], v10, v28
	v_addc_co_u32_e64 v39, s[0:1], v11, v39, s[0:1]
	v_lshlrev_b64 v[40:41], 1, v[8:9]
	v_lshlrev_b64 v[26:27], 1, v[26:27]
	v_addc_co_u32_e64 v29, s[2:3], v11, v29, s[2:3]
	v_mov_b32_e32 v8, v7
	v_add_co_u32_e64 v40, s[0:1], v10, v40
	ds_read_u16 v1, v18
	ds_read_u16 v44, v18 offset:512
	ds_read_u16 v45, v18 offset:1024
	;; [unrolled: 1-line block ×7, first 2 shown]
	v_add_u32_e32 v24, 0x800, v7
	v_mov_b32_e32 v25, v9
	v_add_co_u32_e64 v26, s[2:3], v10, v26
	v_addc_co_u32_e64 v41, s[0:1], v11, v41, s[0:1]
	v_lshlrev_b64 v[42:43], 1, v[8:9]
	v_lshlrev_b64 v[24:25], 1, v[24:25]
	v_addc_co_u32_e64 v27, s[2:3], v11, v27, s[2:3]
	v_add_u32_e32 v8, 0x400, v4
	v_add_co_u32_e64 v42, s[0:1], v10, v42
	v_add_u32_e32 v34, 0xc00, v5
	ds_read_u16 v51, v18 offset:4096
	ds_read_u16 v52, v18 offset:4608
	;; [unrolled: 1-line block ×8, first 2 shown]
	v_mov_b32_e32 v35, v9
	v_add_co_u32_e64 v24, s[2:3], v10, v24
	v_addc_co_u32_e64 v43, s[0:1], v11, v43, s[0:1]
	s_waitcnt lgkmcnt(14)
	global_store_short v[36:37], v1, off
	global_store_short v[38:39], v44, off
	s_waitcnt lgkmcnt(13)
	global_store_short v[40:41], v45, off
	v_lshlrev_b64 v[36:37], 1, v[8:9]
	v_lshlrev_b64 v[34:35], 1, v[34:35]
	v_addc_co_u32_e64 v25, s[2:3], v11, v25, s[2:3]
	v_add_u32_e32 v8, 0x800, v4
	v_add_co_u32_e64 v36, s[0:1], v10, v36
	v_add_u32_e32 v32, 0xc00, v6
	v_mov_b32_e32 v33, v9
	v_add_co_u32_e64 v34, s[2:3], v10, v34
	v_addc_co_u32_e64 v37, s[0:1], v11, v37, s[0:1]
	v_lshlrev_b64 v[38:39], 1, v[8:9]
	v_lshlrev_b64 v[32:33], 1, v[32:33]
	v_addc_co_u32_e64 v35, s[2:3], v11, v35, s[2:3]
	s_waitcnt lgkmcnt(12)
	global_store_short v[42:43], v46, off
	v_add_u32_e32 v8, 0xc00, v4
	s_waitcnt lgkmcnt(11)
	global_store_short v[36:37], v47, off
	s_waitcnt lgkmcnt(10)
	global_store_short v[22:23], v48, off
	s_waitcnt lgkmcnt(9)
	global_store_short v[20:21], v49, off
	s_waitcnt lgkmcnt(8)
	global_store_short v[2:3], v50, off
	v_add_co_u32_e64 v2, s[0:1], v10, v38
	v_add_u32_e32 v30, 0xc00, v7
	v_mov_b32_e32 v31, v9
	v_add_co_u32_e64 v32, s[2:3], v10, v32
	v_addc_co_u32_e64 v3, s[0:1], v11, v39, s[0:1]
	v_lshlrev_b64 v[20:21], 1, v[8:9]
	v_lshlrev_b64 v[30:31], 1, v[30:31]
	v_addc_co_u32_e64 v33, s[2:3], v11, v33, s[2:3]
	s_waitcnt lgkmcnt(7)
	global_store_short v[2:3], v51, off
	s_waitcnt lgkmcnt(6)
	global_store_short v[28:29], v52, off
	;; [unrolled: 2-line block ×4, first 2 shown]
	v_add_co_u32_e64 v2, s[0:1], v10, v20
	v_add_u32_e32 v18, 0x2000, v18
	v_add_u32_e32 v5, 0x1000, v5
	v_mov_b32_e32 v19, s14
	v_add_co_u32_e64 v30, s[2:3], v10, v30
	v_add_u32_e32 v6, 0x1000, v6
	v_add_u32_e32 v7, 0x1000, v7
	;; [unrolled: 1-line block ×3, first 2 shown]
	v_addc_co_u32_e64 v3, s[0:1], v11, v21, s[0:1]
	v_addc_co_u32_e64 v31, s[2:3], v11, v31, s[2:3]
	s_waitcnt lgkmcnt(3)
	global_store_short v[2:3], v55, off
	s_waitcnt lgkmcnt(2)
	global_store_short v[34:35], v56, off
	s_waitcnt lgkmcnt(1)
	global_store_short v[32:33], v57, off
	s_waitcnt lgkmcnt(0)
	global_store_short v[30:31], v58, off
	s_andn2_b64 exec, exec, s[12:13]
	s_cbranch_execnz .LBB757_229
; %bb.230:
	s_or_b64 exec, exec, s[12:13]
.LBB757_231:
	s_or_b64 exec, exec, s[10:11]
	v_and_b32_e32 v1, 3, v16
	v_cmp_ne_u32_e64 s[0:1], 0, v1
	s_and_saveexec_b64 s[10:11], s[0:1]
	s_cbranch_execz .LBB757_234
; %bb.232:
	v_lshl_or_b32 v8, v19, 9, v15
	s_mov_b64 s[12:13], 0
	v_mov_b32_e32 v3, 0
.LBB757_233:                            ; =>This Inner Loop Header: Depth=1
	v_mov_b32_e32 v2, v4
	v_add_u32_e32 v1, -1, v1
	v_lshlrev_b64 v[16:17], 1, v[2:3]
	v_mov_b32_e32 v2, v5
	v_cmp_eq_u32_e64 s[0:1], 0, v1
	v_lshlrev_b64 v[18:19], 1, v[2:3]
	ds_read_u16 v9, v8
	ds_read_u16 v15, v8 offset:512
	ds_read_u16 v24, v8 offset:1024
	;; [unrolled: 1-line block ×3, first 2 shown]
	v_mov_b32_e32 v2, v6
	s_or_b64 s[12:13], s[0:1], s[12:13]
	v_add_co_u32_e64 v18, s[0:1], v10, v18
	v_addc_co_u32_e64 v19, s[0:1], v11, v19, s[0:1]
	v_lshlrev_b64 v[20:21], 1, v[2:3]
	v_mov_b32_e32 v2, v7
	v_add_co_u32_e64 v20, s[0:1], v10, v20
	v_add_co_u32_e64 v16, s[2:3], v10, v16
	v_addc_co_u32_e64 v21, s[0:1], v11, v21, s[0:1]
	v_lshlrev_b64 v[22:23], 1, v[2:3]
	v_add_u32_e32 v4, 0x400, v4
	v_add_u32_e32 v8, 0x800, v8
	;; [unrolled: 1-line block ×3, first 2 shown]
	v_addc_co_u32_e64 v17, s[2:3], v11, v17, s[2:3]
	v_add_u32_e32 v6, 0x400, v6
	v_add_u32_e32 v7, 0x400, v7
	v_add_co_u32_e64 v22, s[0:1], v10, v22
	v_addc_co_u32_e64 v23, s[0:1], v11, v23, s[0:1]
	s_waitcnt lgkmcnt(3)
	global_store_short v[16:17], v9, off
	s_waitcnt lgkmcnt(2)
	global_store_short v[18:19], v15, off
	;; [unrolled: 2-line block ×4, first 2 shown]
	s_andn2_b64 exec, exec, s[12:13]
	s_cbranch_execnz .LBB757_233
.LBB757_234:
	s_or_b64 exec, exec, s[10:11]
	v_add_u32_e32 v1, 1, v13
	v_and_b32_e32 v3, 0x1fffffc, v1
	v_cmp_ne_u32_e64 s[0:1], v1, v3
	v_lshl_or_b32 v2, v3, 8, v0
	s_orn2_b64 s[2:3], s[0:1], exec
.LBB757_235:
	s_or_b64 exec, exec, s[8:9]
	s_andn2_b64 s[0:1], vcc, exec
	s_and_b64 s[2:3], s[2:3], exec
	s_or_b64 vcc, s[0:1], s[2:3]
.LBB757_236:
	s_or_b64 exec, exec, s[4:5]
	s_and_b64 exec, exec, vcc
	s_cbranch_execz .LBB757_239
; %bb.237:
	v_lshlrev_b32_e32 v1, 1, v2
	s_mov_b64 s[0:1], 0
	v_mov_b32_e32 v3, 0
.LBB757_238:                            ; =>This Inner Loop Header: Depth=1
	ds_read_u16 v6, v1
	v_lshlrev_b64 v[4:5], 1, v[2:3]
	v_add_co_u32_e32 v4, vcc, v10, v4
	v_add_u32_e32 v2, 0x100, v2
	v_addc_co_u32_e32 v5, vcc, v11, v5, vcc
	v_cmp_ge_u32_e32 vcc, v2, v12
	v_add_u32_e32 v1, 0x200, v1
	s_or_b64 s[0:1], vcc, s[0:1]
	s_waitcnt lgkmcnt(0)
	global_store_short v[4:5], v6, off
	s_andn2_b64 exec, exec, s[0:1]
	s_cbranch_execnz .LBB757_238
.LBB757_239:
	s_or_b64 exec, exec, s[6:7]
	v_cmp_eq_u32_e32 vcc, 0, v0
	s_and_b64 s[0:1], vcc, s[52:53]
	s_and_saveexec_b64 s[2:3], s[0:1]
	s_cbranch_execz .LBB757_112
.LBB757_240:
	v_mov_b32_e32 v0, s51
	v_add_co_u32_e32 v1, vcc, s50, v12
	v_addc_co_u32_e32 v3, vcc, 0, v0, vcc
	v_add_co_u32_e32 v0, vcc, v1, v14
	v_mov_b32_e32 v2, 0
	v_addc_co_u32_e32 v1, vcc, 0, v3, vcc
	global_store_dwordx2 v2, v[0:1], s[48:49]
	s_endpgm
	.section	.rodata,"a",@progbits
	.p2align	6, 0x0
	.amdhsa_kernel _ZN7rocprim17ROCPRIM_400000_NS6detail17trampoline_kernelINS0_14default_configENS1_25partition_config_selectorILNS1_17partition_subalgoE8EtNS0_10empty_typeEbEEZZNS1_14partition_implILS5_8ELb0ES3_jPKtPS6_PKS6_NS0_5tupleIJPtS6_EEENSE_IJSB_SB_EEENS0_18inequality_wrapperIN6hipcub16HIPCUB_304000_NS8EqualityEEEPlJS6_EEE10hipError_tPvRmT3_T4_T5_T6_T7_T9_mT8_P12ihipStream_tbDpT10_ENKUlT_T0_E_clISt17integral_constantIbLb0EES17_EEDaS12_S13_EUlS12_E_NS1_11comp_targetILNS1_3genE4ELNS1_11target_archE910ELNS1_3gpuE8ELNS1_3repE0EEENS1_30default_config_static_selectorELNS0_4arch9wavefront6targetE1EEEvT1_
		.amdhsa_group_segment_fixed_size 11272
		.amdhsa_private_segment_fixed_size 0
		.amdhsa_kernarg_size 112
		.amdhsa_user_sgpr_count 6
		.amdhsa_user_sgpr_private_segment_buffer 1
		.amdhsa_user_sgpr_dispatch_ptr 0
		.amdhsa_user_sgpr_queue_ptr 0
		.amdhsa_user_sgpr_kernarg_segment_ptr 1
		.amdhsa_user_sgpr_dispatch_id 0
		.amdhsa_user_sgpr_flat_scratch_init 0
		.amdhsa_user_sgpr_kernarg_preload_length 0
		.amdhsa_user_sgpr_kernarg_preload_offset 0
		.amdhsa_user_sgpr_private_segment_size 0
		.amdhsa_uses_dynamic_stack 0
		.amdhsa_system_sgpr_private_segment_wavefront_offset 0
		.amdhsa_system_sgpr_workgroup_id_x 1
		.amdhsa_system_sgpr_workgroup_id_y 0
		.amdhsa_system_sgpr_workgroup_id_z 0
		.amdhsa_system_sgpr_workgroup_info 0
		.amdhsa_system_vgpr_workitem_id 0
		.amdhsa_next_free_vgpr 96
		.amdhsa_next_free_sgpr 62
		.amdhsa_accum_offset 96
		.amdhsa_reserve_vcc 1
		.amdhsa_reserve_flat_scratch 0
		.amdhsa_float_round_mode_32 0
		.amdhsa_float_round_mode_16_64 0
		.amdhsa_float_denorm_mode_32 3
		.amdhsa_float_denorm_mode_16_64 3
		.amdhsa_dx10_clamp 1
		.amdhsa_ieee_mode 1
		.amdhsa_fp16_overflow 0
		.amdhsa_tg_split 0
		.amdhsa_exception_fp_ieee_invalid_op 0
		.amdhsa_exception_fp_denorm_src 0
		.amdhsa_exception_fp_ieee_div_zero 0
		.amdhsa_exception_fp_ieee_overflow 0
		.amdhsa_exception_fp_ieee_underflow 0
		.amdhsa_exception_fp_ieee_inexact 0
		.amdhsa_exception_int_div_zero 0
	.end_amdhsa_kernel
	.section	.text._ZN7rocprim17ROCPRIM_400000_NS6detail17trampoline_kernelINS0_14default_configENS1_25partition_config_selectorILNS1_17partition_subalgoE8EtNS0_10empty_typeEbEEZZNS1_14partition_implILS5_8ELb0ES3_jPKtPS6_PKS6_NS0_5tupleIJPtS6_EEENSE_IJSB_SB_EEENS0_18inequality_wrapperIN6hipcub16HIPCUB_304000_NS8EqualityEEEPlJS6_EEE10hipError_tPvRmT3_T4_T5_T6_T7_T9_mT8_P12ihipStream_tbDpT10_ENKUlT_T0_E_clISt17integral_constantIbLb0EES17_EEDaS12_S13_EUlS12_E_NS1_11comp_targetILNS1_3genE4ELNS1_11target_archE910ELNS1_3gpuE8ELNS1_3repE0EEENS1_30default_config_static_selectorELNS0_4arch9wavefront6targetE1EEEvT1_,"axG",@progbits,_ZN7rocprim17ROCPRIM_400000_NS6detail17trampoline_kernelINS0_14default_configENS1_25partition_config_selectorILNS1_17partition_subalgoE8EtNS0_10empty_typeEbEEZZNS1_14partition_implILS5_8ELb0ES3_jPKtPS6_PKS6_NS0_5tupleIJPtS6_EEENSE_IJSB_SB_EEENS0_18inequality_wrapperIN6hipcub16HIPCUB_304000_NS8EqualityEEEPlJS6_EEE10hipError_tPvRmT3_T4_T5_T6_T7_T9_mT8_P12ihipStream_tbDpT10_ENKUlT_T0_E_clISt17integral_constantIbLb0EES17_EEDaS12_S13_EUlS12_E_NS1_11comp_targetILNS1_3genE4ELNS1_11target_archE910ELNS1_3gpuE8ELNS1_3repE0EEENS1_30default_config_static_selectorELNS0_4arch9wavefront6targetE1EEEvT1_,comdat
.Lfunc_end757:
	.size	_ZN7rocprim17ROCPRIM_400000_NS6detail17trampoline_kernelINS0_14default_configENS1_25partition_config_selectorILNS1_17partition_subalgoE8EtNS0_10empty_typeEbEEZZNS1_14partition_implILS5_8ELb0ES3_jPKtPS6_PKS6_NS0_5tupleIJPtS6_EEENSE_IJSB_SB_EEENS0_18inequality_wrapperIN6hipcub16HIPCUB_304000_NS8EqualityEEEPlJS6_EEE10hipError_tPvRmT3_T4_T5_T6_T7_T9_mT8_P12ihipStream_tbDpT10_ENKUlT_T0_E_clISt17integral_constantIbLb0EES17_EEDaS12_S13_EUlS12_E_NS1_11comp_targetILNS1_3genE4ELNS1_11target_archE910ELNS1_3gpuE8ELNS1_3repE0EEENS1_30default_config_static_selectorELNS0_4arch9wavefront6targetE1EEEvT1_, .Lfunc_end757-_ZN7rocprim17ROCPRIM_400000_NS6detail17trampoline_kernelINS0_14default_configENS1_25partition_config_selectorILNS1_17partition_subalgoE8EtNS0_10empty_typeEbEEZZNS1_14partition_implILS5_8ELb0ES3_jPKtPS6_PKS6_NS0_5tupleIJPtS6_EEENSE_IJSB_SB_EEENS0_18inequality_wrapperIN6hipcub16HIPCUB_304000_NS8EqualityEEEPlJS6_EEE10hipError_tPvRmT3_T4_T5_T6_T7_T9_mT8_P12ihipStream_tbDpT10_ENKUlT_T0_E_clISt17integral_constantIbLb0EES17_EEDaS12_S13_EUlS12_E_NS1_11comp_targetILNS1_3genE4ELNS1_11target_archE910ELNS1_3gpuE8ELNS1_3repE0EEENS1_30default_config_static_selectorELNS0_4arch9wavefront6targetE1EEEvT1_
                                        ; -- End function
	.section	.AMDGPU.csdata,"",@progbits
; Kernel info:
; codeLenInByte = 10412
; NumSgprs: 66
; NumVgprs: 96
; NumAgprs: 0
; TotalNumVgprs: 96
; ScratchSize: 0
; MemoryBound: 0
; FloatMode: 240
; IeeeMode: 1
; LDSByteSize: 11272 bytes/workgroup (compile time only)
; SGPRBlocks: 8
; VGPRBlocks: 11
; NumSGPRsForWavesPerEU: 66
; NumVGPRsForWavesPerEU: 96
; AccumOffset: 96
; Occupancy: 5
; WaveLimiterHint : 1
; COMPUTE_PGM_RSRC2:SCRATCH_EN: 0
; COMPUTE_PGM_RSRC2:USER_SGPR: 6
; COMPUTE_PGM_RSRC2:TRAP_HANDLER: 0
; COMPUTE_PGM_RSRC2:TGID_X_EN: 1
; COMPUTE_PGM_RSRC2:TGID_Y_EN: 0
; COMPUTE_PGM_RSRC2:TGID_Z_EN: 0
; COMPUTE_PGM_RSRC2:TIDIG_COMP_CNT: 0
; COMPUTE_PGM_RSRC3_GFX90A:ACCUM_OFFSET: 23
; COMPUTE_PGM_RSRC3_GFX90A:TG_SPLIT: 0
	.section	.text._ZN7rocprim17ROCPRIM_400000_NS6detail17trampoline_kernelINS0_14default_configENS1_25partition_config_selectorILNS1_17partition_subalgoE8EtNS0_10empty_typeEbEEZZNS1_14partition_implILS5_8ELb0ES3_jPKtPS6_PKS6_NS0_5tupleIJPtS6_EEENSE_IJSB_SB_EEENS0_18inequality_wrapperIN6hipcub16HIPCUB_304000_NS8EqualityEEEPlJS6_EEE10hipError_tPvRmT3_T4_T5_T6_T7_T9_mT8_P12ihipStream_tbDpT10_ENKUlT_T0_E_clISt17integral_constantIbLb0EES17_EEDaS12_S13_EUlS12_E_NS1_11comp_targetILNS1_3genE3ELNS1_11target_archE908ELNS1_3gpuE7ELNS1_3repE0EEENS1_30default_config_static_selectorELNS0_4arch9wavefront6targetE1EEEvT1_,"axG",@progbits,_ZN7rocprim17ROCPRIM_400000_NS6detail17trampoline_kernelINS0_14default_configENS1_25partition_config_selectorILNS1_17partition_subalgoE8EtNS0_10empty_typeEbEEZZNS1_14partition_implILS5_8ELb0ES3_jPKtPS6_PKS6_NS0_5tupleIJPtS6_EEENSE_IJSB_SB_EEENS0_18inequality_wrapperIN6hipcub16HIPCUB_304000_NS8EqualityEEEPlJS6_EEE10hipError_tPvRmT3_T4_T5_T6_T7_T9_mT8_P12ihipStream_tbDpT10_ENKUlT_T0_E_clISt17integral_constantIbLb0EES17_EEDaS12_S13_EUlS12_E_NS1_11comp_targetILNS1_3genE3ELNS1_11target_archE908ELNS1_3gpuE7ELNS1_3repE0EEENS1_30default_config_static_selectorELNS0_4arch9wavefront6targetE1EEEvT1_,comdat
	.protected	_ZN7rocprim17ROCPRIM_400000_NS6detail17trampoline_kernelINS0_14default_configENS1_25partition_config_selectorILNS1_17partition_subalgoE8EtNS0_10empty_typeEbEEZZNS1_14partition_implILS5_8ELb0ES3_jPKtPS6_PKS6_NS0_5tupleIJPtS6_EEENSE_IJSB_SB_EEENS0_18inequality_wrapperIN6hipcub16HIPCUB_304000_NS8EqualityEEEPlJS6_EEE10hipError_tPvRmT3_T4_T5_T6_T7_T9_mT8_P12ihipStream_tbDpT10_ENKUlT_T0_E_clISt17integral_constantIbLb0EES17_EEDaS12_S13_EUlS12_E_NS1_11comp_targetILNS1_3genE3ELNS1_11target_archE908ELNS1_3gpuE7ELNS1_3repE0EEENS1_30default_config_static_selectorELNS0_4arch9wavefront6targetE1EEEvT1_ ; -- Begin function _ZN7rocprim17ROCPRIM_400000_NS6detail17trampoline_kernelINS0_14default_configENS1_25partition_config_selectorILNS1_17partition_subalgoE8EtNS0_10empty_typeEbEEZZNS1_14partition_implILS5_8ELb0ES3_jPKtPS6_PKS6_NS0_5tupleIJPtS6_EEENSE_IJSB_SB_EEENS0_18inequality_wrapperIN6hipcub16HIPCUB_304000_NS8EqualityEEEPlJS6_EEE10hipError_tPvRmT3_T4_T5_T6_T7_T9_mT8_P12ihipStream_tbDpT10_ENKUlT_T0_E_clISt17integral_constantIbLb0EES17_EEDaS12_S13_EUlS12_E_NS1_11comp_targetILNS1_3genE3ELNS1_11target_archE908ELNS1_3gpuE7ELNS1_3repE0EEENS1_30default_config_static_selectorELNS0_4arch9wavefront6targetE1EEEvT1_
	.globl	_ZN7rocprim17ROCPRIM_400000_NS6detail17trampoline_kernelINS0_14default_configENS1_25partition_config_selectorILNS1_17partition_subalgoE8EtNS0_10empty_typeEbEEZZNS1_14partition_implILS5_8ELb0ES3_jPKtPS6_PKS6_NS0_5tupleIJPtS6_EEENSE_IJSB_SB_EEENS0_18inequality_wrapperIN6hipcub16HIPCUB_304000_NS8EqualityEEEPlJS6_EEE10hipError_tPvRmT3_T4_T5_T6_T7_T9_mT8_P12ihipStream_tbDpT10_ENKUlT_T0_E_clISt17integral_constantIbLb0EES17_EEDaS12_S13_EUlS12_E_NS1_11comp_targetILNS1_3genE3ELNS1_11target_archE908ELNS1_3gpuE7ELNS1_3repE0EEENS1_30default_config_static_selectorELNS0_4arch9wavefront6targetE1EEEvT1_
	.p2align	8
	.type	_ZN7rocprim17ROCPRIM_400000_NS6detail17trampoline_kernelINS0_14default_configENS1_25partition_config_selectorILNS1_17partition_subalgoE8EtNS0_10empty_typeEbEEZZNS1_14partition_implILS5_8ELb0ES3_jPKtPS6_PKS6_NS0_5tupleIJPtS6_EEENSE_IJSB_SB_EEENS0_18inequality_wrapperIN6hipcub16HIPCUB_304000_NS8EqualityEEEPlJS6_EEE10hipError_tPvRmT3_T4_T5_T6_T7_T9_mT8_P12ihipStream_tbDpT10_ENKUlT_T0_E_clISt17integral_constantIbLb0EES17_EEDaS12_S13_EUlS12_E_NS1_11comp_targetILNS1_3genE3ELNS1_11target_archE908ELNS1_3gpuE7ELNS1_3repE0EEENS1_30default_config_static_selectorELNS0_4arch9wavefront6targetE1EEEvT1_,@function
_ZN7rocprim17ROCPRIM_400000_NS6detail17trampoline_kernelINS0_14default_configENS1_25partition_config_selectorILNS1_17partition_subalgoE8EtNS0_10empty_typeEbEEZZNS1_14partition_implILS5_8ELb0ES3_jPKtPS6_PKS6_NS0_5tupleIJPtS6_EEENSE_IJSB_SB_EEENS0_18inequality_wrapperIN6hipcub16HIPCUB_304000_NS8EqualityEEEPlJS6_EEE10hipError_tPvRmT3_T4_T5_T6_T7_T9_mT8_P12ihipStream_tbDpT10_ENKUlT_T0_E_clISt17integral_constantIbLb0EES17_EEDaS12_S13_EUlS12_E_NS1_11comp_targetILNS1_3genE3ELNS1_11target_archE908ELNS1_3gpuE7ELNS1_3repE0EEENS1_30default_config_static_selectorELNS0_4arch9wavefront6targetE1EEEvT1_: ; @_ZN7rocprim17ROCPRIM_400000_NS6detail17trampoline_kernelINS0_14default_configENS1_25partition_config_selectorILNS1_17partition_subalgoE8EtNS0_10empty_typeEbEEZZNS1_14partition_implILS5_8ELb0ES3_jPKtPS6_PKS6_NS0_5tupleIJPtS6_EEENSE_IJSB_SB_EEENS0_18inequality_wrapperIN6hipcub16HIPCUB_304000_NS8EqualityEEEPlJS6_EEE10hipError_tPvRmT3_T4_T5_T6_T7_T9_mT8_P12ihipStream_tbDpT10_ENKUlT_T0_E_clISt17integral_constantIbLb0EES17_EEDaS12_S13_EUlS12_E_NS1_11comp_targetILNS1_3genE3ELNS1_11target_archE908ELNS1_3gpuE7ELNS1_3repE0EEENS1_30default_config_static_selectorELNS0_4arch9wavefront6targetE1EEEvT1_
; %bb.0:
	.section	.rodata,"a",@progbits
	.p2align	6, 0x0
	.amdhsa_kernel _ZN7rocprim17ROCPRIM_400000_NS6detail17trampoline_kernelINS0_14default_configENS1_25partition_config_selectorILNS1_17partition_subalgoE8EtNS0_10empty_typeEbEEZZNS1_14partition_implILS5_8ELb0ES3_jPKtPS6_PKS6_NS0_5tupleIJPtS6_EEENSE_IJSB_SB_EEENS0_18inequality_wrapperIN6hipcub16HIPCUB_304000_NS8EqualityEEEPlJS6_EEE10hipError_tPvRmT3_T4_T5_T6_T7_T9_mT8_P12ihipStream_tbDpT10_ENKUlT_T0_E_clISt17integral_constantIbLb0EES17_EEDaS12_S13_EUlS12_E_NS1_11comp_targetILNS1_3genE3ELNS1_11target_archE908ELNS1_3gpuE7ELNS1_3repE0EEENS1_30default_config_static_selectorELNS0_4arch9wavefront6targetE1EEEvT1_
		.amdhsa_group_segment_fixed_size 0
		.amdhsa_private_segment_fixed_size 0
		.amdhsa_kernarg_size 112
		.amdhsa_user_sgpr_count 6
		.amdhsa_user_sgpr_private_segment_buffer 1
		.amdhsa_user_sgpr_dispatch_ptr 0
		.amdhsa_user_sgpr_queue_ptr 0
		.amdhsa_user_sgpr_kernarg_segment_ptr 1
		.amdhsa_user_sgpr_dispatch_id 0
		.amdhsa_user_sgpr_flat_scratch_init 0
		.amdhsa_user_sgpr_kernarg_preload_length 0
		.amdhsa_user_sgpr_kernarg_preload_offset 0
		.amdhsa_user_sgpr_private_segment_size 0
		.amdhsa_uses_dynamic_stack 0
		.amdhsa_system_sgpr_private_segment_wavefront_offset 0
		.amdhsa_system_sgpr_workgroup_id_x 1
		.amdhsa_system_sgpr_workgroup_id_y 0
		.amdhsa_system_sgpr_workgroup_id_z 0
		.amdhsa_system_sgpr_workgroup_info 0
		.amdhsa_system_vgpr_workitem_id 0
		.amdhsa_next_free_vgpr 1
		.amdhsa_next_free_sgpr 0
		.amdhsa_accum_offset 4
		.amdhsa_reserve_vcc 0
		.amdhsa_reserve_flat_scratch 0
		.amdhsa_float_round_mode_32 0
		.amdhsa_float_round_mode_16_64 0
		.amdhsa_float_denorm_mode_32 3
		.amdhsa_float_denorm_mode_16_64 3
		.amdhsa_dx10_clamp 1
		.amdhsa_ieee_mode 1
		.amdhsa_fp16_overflow 0
		.amdhsa_tg_split 0
		.amdhsa_exception_fp_ieee_invalid_op 0
		.amdhsa_exception_fp_denorm_src 0
		.amdhsa_exception_fp_ieee_div_zero 0
		.amdhsa_exception_fp_ieee_overflow 0
		.amdhsa_exception_fp_ieee_underflow 0
		.amdhsa_exception_fp_ieee_inexact 0
		.amdhsa_exception_int_div_zero 0
	.end_amdhsa_kernel
	.section	.text._ZN7rocprim17ROCPRIM_400000_NS6detail17trampoline_kernelINS0_14default_configENS1_25partition_config_selectorILNS1_17partition_subalgoE8EtNS0_10empty_typeEbEEZZNS1_14partition_implILS5_8ELb0ES3_jPKtPS6_PKS6_NS0_5tupleIJPtS6_EEENSE_IJSB_SB_EEENS0_18inequality_wrapperIN6hipcub16HIPCUB_304000_NS8EqualityEEEPlJS6_EEE10hipError_tPvRmT3_T4_T5_T6_T7_T9_mT8_P12ihipStream_tbDpT10_ENKUlT_T0_E_clISt17integral_constantIbLb0EES17_EEDaS12_S13_EUlS12_E_NS1_11comp_targetILNS1_3genE3ELNS1_11target_archE908ELNS1_3gpuE7ELNS1_3repE0EEENS1_30default_config_static_selectorELNS0_4arch9wavefront6targetE1EEEvT1_,"axG",@progbits,_ZN7rocprim17ROCPRIM_400000_NS6detail17trampoline_kernelINS0_14default_configENS1_25partition_config_selectorILNS1_17partition_subalgoE8EtNS0_10empty_typeEbEEZZNS1_14partition_implILS5_8ELb0ES3_jPKtPS6_PKS6_NS0_5tupleIJPtS6_EEENSE_IJSB_SB_EEENS0_18inequality_wrapperIN6hipcub16HIPCUB_304000_NS8EqualityEEEPlJS6_EEE10hipError_tPvRmT3_T4_T5_T6_T7_T9_mT8_P12ihipStream_tbDpT10_ENKUlT_T0_E_clISt17integral_constantIbLb0EES17_EEDaS12_S13_EUlS12_E_NS1_11comp_targetILNS1_3genE3ELNS1_11target_archE908ELNS1_3gpuE7ELNS1_3repE0EEENS1_30default_config_static_selectorELNS0_4arch9wavefront6targetE1EEEvT1_,comdat
.Lfunc_end758:
	.size	_ZN7rocprim17ROCPRIM_400000_NS6detail17trampoline_kernelINS0_14default_configENS1_25partition_config_selectorILNS1_17partition_subalgoE8EtNS0_10empty_typeEbEEZZNS1_14partition_implILS5_8ELb0ES3_jPKtPS6_PKS6_NS0_5tupleIJPtS6_EEENSE_IJSB_SB_EEENS0_18inequality_wrapperIN6hipcub16HIPCUB_304000_NS8EqualityEEEPlJS6_EEE10hipError_tPvRmT3_T4_T5_T6_T7_T9_mT8_P12ihipStream_tbDpT10_ENKUlT_T0_E_clISt17integral_constantIbLb0EES17_EEDaS12_S13_EUlS12_E_NS1_11comp_targetILNS1_3genE3ELNS1_11target_archE908ELNS1_3gpuE7ELNS1_3repE0EEENS1_30default_config_static_selectorELNS0_4arch9wavefront6targetE1EEEvT1_, .Lfunc_end758-_ZN7rocprim17ROCPRIM_400000_NS6detail17trampoline_kernelINS0_14default_configENS1_25partition_config_selectorILNS1_17partition_subalgoE8EtNS0_10empty_typeEbEEZZNS1_14partition_implILS5_8ELb0ES3_jPKtPS6_PKS6_NS0_5tupleIJPtS6_EEENSE_IJSB_SB_EEENS0_18inequality_wrapperIN6hipcub16HIPCUB_304000_NS8EqualityEEEPlJS6_EEE10hipError_tPvRmT3_T4_T5_T6_T7_T9_mT8_P12ihipStream_tbDpT10_ENKUlT_T0_E_clISt17integral_constantIbLb0EES17_EEDaS12_S13_EUlS12_E_NS1_11comp_targetILNS1_3genE3ELNS1_11target_archE908ELNS1_3gpuE7ELNS1_3repE0EEENS1_30default_config_static_selectorELNS0_4arch9wavefront6targetE1EEEvT1_
                                        ; -- End function
	.section	.AMDGPU.csdata,"",@progbits
; Kernel info:
; codeLenInByte = 0
; NumSgprs: 4
; NumVgprs: 0
; NumAgprs: 0
; TotalNumVgprs: 0
; ScratchSize: 0
; MemoryBound: 0
; FloatMode: 240
; IeeeMode: 1
; LDSByteSize: 0 bytes/workgroup (compile time only)
; SGPRBlocks: 0
; VGPRBlocks: 0
; NumSGPRsForWavesPerEU: 4
; NumVGPRsForWavesPerEU: 1
; AccumOffset: 4
; Occupancy: 8
; WaveLimiterHint : 0
; COMPUTE_PGM_RSRC2:SCRATCH_EN: 0
; COMPUTE_PGM_RSRC2:USER_SGPR: 6
; COMPUTE_PGM_RSRC2:TRAP_HANDLER: 0
; COMPUTE_PGM_RSRC2:TGID_X_EN: 1
; COMPUTE_PGM_RSRC2:TGID_Y_EN: 0
; COMPUTE_PGM_RSRC2:TGID_Z_EN: 0
; COMPUTE_PGM_RSRC2:TIDIG_COMP_CNT: 0
; COMPUTE_PGM_RSRC3_GFX90A:ACCUM_OFFSET: 0
; COMPUTE_PGM_RSRC3_GFX90A:TG_SPLIT: 0
	.section	.text._ZN7rocprim17ROCPRIM_400000_NS6detail17trampoline_kernelINS0_14default_configENS1_25partition_config_selectorILNS1_17partition_subalgoE8EtNS0_10empty_typeEbEEZZNS1_14partition_implILS5_8ELb0ES3_jPKtPS6_PKS6_NS0_5tupleIJPtS6_EEENSE_IJSB_SB_EEENS0_18inequality_wrapperIN6hipcub16HIPCUB_304000_NS8EqualityEEEPlJS6_EEE10hipError_tPvRmT3_T4_T5_T6_T7_T9_mT8_P12ihipStream_tbDpT10_ENKUlT_T0_E_clISt17integral_constantIbLb0EES17_EEDaS12_S13_EUlS12_E_NS1_11comp_targetILNS1_3genE2ELNS1_11target_archE906ELNS1_3gpuE6ELNS1_3repE0EEENS1_30default_config_static_selectorELNS0_4arch9wavefront6targetE1EEEvT1_,"axG",@progbits,_ZN7rocprim17ROCPRIM_400000_NS6detail17trampoline_kernelINS0_14default_configENS1_25partition_config_selectorILNS1_17partition_subalgoE8EtNS0_10empty_typeEbEEZZNS1_14partition_implILS5_8ELb0ES3_jPKtPS6_PKS6_NS0_5tupleIJPtS6_EEENSE_IJSB_SB_EEENS0_18inequality_wrapperIN6hipcub16HIPCUB_304000_NS8EqualityEEEPlJS6_EEE10hipError_tPvRmT3_T4_T5_T6_T7_T9_mT8_P12ihipStream_tbDpT10_ENKUlT_T0_E_clISt17integral_constantIbLb0EES17_EEDaS12_S13_EUlS12_E_NS1_11comp_targetILNS1_3genE2ELNS1_11target_archE906ELNS1_3gpuE6ELNS1_3repE0EEENS1_30default_config_static_selectorELNS0_4arch9wavefront6targetE1EEEvT1_,comdat
	.protected	_ZN7rocprim17ROCPRIM_400000_NS6detail17trampoline_kernelINS0_14default_configENS1_25partition_config_selectorILNS1_17partition_subalgoE8EtNS0_10empty_typeEbEEZZNS1_14partition_implILS5_8ELb0ES3_jPKtPS6_PKS6_NS0_5tupleIJPtS6_EEENSE_IJSB_SB_EEENS0_18inequality_wrapperIN6hipcub16HIPCUB_304000_NS8EqualityEEEPlJS6_EEE10hipError_tPvRmT3_T4_T5_T6_T7_T9_mT8_P12ihipStream_tbDpT10_ENKUlT_T0_E_clISt17integral_constantIbLb0EES17_EEDaS12_S13_EUlS12_E_NS1_11comp_targetILNS1_3genE2ELNS1_11target_archE906ELNS1_3gpuE6ELNS1_3repE0EEENS1_30default_config_static_selectorELNS0_4arch9wavefront6targetE1EEEvT1_ ; -- Begin function _ZN7rocprim17ROCPRIM_400000_NS6detail17trampoline_kernelINS0_14default_configENS1_25partition_config_selectorILNS1_17partition_subalgoE8EtNS0_10empty_typeEbEEZZNS1_14partition_implILS5_8ELb0ES3_jPKtPS6_PKS6_NS0_5tupleIJPtS6_EEENSE_IJSB_SB_EEENS0_18inequality_wrapperIN6hipcub16HIPCUB_304000_NS8EqualityEEEPlJS6_EEE10hipError_tPvRmT3_T4_T5_T6_T7_T9_mT8_P12ihipStream_tbDpT10_ENKUlT_T0_E_clISt17integral_constantIbLb0EES17_EEDaS12_S13_EUlS12_E_NS1_11comp_targetILNS1_3genE2ELNS1_11target_archE906ELNS1_3gpuE6ELNS1_3repE0EEENS1_30default_config_static_selectorELNS0_4arch9wavefront6targetE1EEEvT1_
	.globl	_ZN7rocprim17ROCPRIM_400000_NS6detail17trampoline_kernelINS0_14default_configENS1_25partition_config_selectorILNS1_17partition_subalgoE8EtNS0_10empty_typeEbEEZZNS1_14partition_implILS5_8ELb0ES3_jPKtPS6_PKS6_NS0_5tupleIJPtS6_EEENSE_IJSB_SB_EEENS0_18inequality_wrapperIN6hipcub16HIPCUB_304000_NS8EqualityEEEPlJS6_EEE10hipError_tPvRmT3_T4_T5_T6_T7_T9_mT8_P12ihipStream_tbDpT10_ENKUlT_T0_E_clISt17integral_constantIbLb0EES17_EEDaS12_S13_EUlS12_E_NS1_11comp_targetILNS1_3genE2ELNS1_11target_archE906ELNS1_3gpuE6ELNS1_3repE0EEENS1_30default_config_static_selectorELNS0_4arch9wavefront6targetE1EEEvT1_
	.p2align	8
	.type	_ZN7rocprim17ROCPRIM_400000_NS6detail17trampoline_kernelINS0_14default_configENS1_25partition_config_selectorILNS1_17partition_subalgoE8EtNS0_10empty_typeEbEEZZNS1_14partition_implILS5_8ELb0ES3_jPKtPS6_PKS6_NS0_5tupleIJPtS6_EEENSE_IJSB_SB_EEENS0_18inequality_wrapperIN6hipcub16HIPCUB_304000_NS8EqualityEEEPlJS6_EEE10hipError_tPvRmT3_T4_T5_T6_T7_T9_mT8_P12ihipStream_tbDpT10_ENKUlT_T0_E_clISt17integral_constantIbLb0EES17_EEDaS12_S13_EUlS12_E_NS1_11comp_targetILNS1_3genE2ELNS1_11target_archE906ELNS1_3gpuE6ELNS1_3repE0EEENS1_30default_config_static_selectorELNS0_4arch9wavefront6targetE1EEEvT1_,@function
_ZN7rocprim17ROCPRIM_400000_NS6detail17trampoline_kernelINS0_14default_configENS1_25partition_config_selectorILNS1_17partition_subalgoE8EtNS0_10empty_typeEbEEZZNS1_14partition_implILS5_8ELb0ES3_jPKtPS6_PKS6_NS0_5tupleIJPtS6_EEENSE_IJSB_SB_EEENS0_18inequality_wrapperIN6hipcub16HIPCUB_304000_NS8EqualityEEEPlJS6_EEE10hipError_tPvRmT3_T4_T5_T6_T7_T9_mT8_P12ihipStream_tbDpT10_ENKUlT_T0_E_clISt17integral_constantIbLb0EES17_EEDaS12_S13_EUlS12_E_NS1_11comp_targetILNS1_3genE2ELNS1_11target_archE906ELNS1_3gpuE6ELNS1_3repE0EEENS1_30default_config_static_selectorELNS0_4arch9wavefront6targetE1EEEvT1_: ; @_ZN7rocprim17ROCPRIM_400000_NS6detail17trampoline_kernelINS0_14default_configENS1_25partition_config_selectorILNS1_17partition_subalgoE8EtNS0_10empty_typeEbEEZZNS1_14partition_implILS5_8ELb0ES3_jPKtPS6_PKS6_NS0_5tupleIJPtS6_EEENSE_IJSB_SB_EEENS0_18inequality_wrapperIN6hipcub16HIPCUB_304000_NS8EqualityEEEPlJS6_EEE10hipError_tPvRmT3_T4_T5_T6_T7_T9_mT8_P12ihipStream_tbDpT10_ENKUlT_T0_E_clISt17integral_constantIbLb0EES17_EEDaS12_S13_EUlS12_E_NS1_11comp_targetILNS1_3genE2ELNS1_11target_archE906ELNS1_3gpuE6ELNS1_3repE0EEENS1_30default_config_static_selectorELNS0_4arch9wavefront6targetE1EEEvT1_
; %bb.0:
	.section	.rodata,"a",@progbits
	.p2align	6, 0x0
	.amdhsa_kernel _ZN7rocprim17ROCPRIM_400000_NS6detail17trampoline_kernelINS0_14default_configENS1_25partition_config_selectorILNS1_17partition_subalgoE8EtNS0_10empty_typeEbEEZZNS1_14partition_implILS5_8ELb0ES3_jPKtPS6_PKS6_NS0_5tupleIJPtS6_EEENSE_IJSB_SB_EEENS0_18inequality_wrapperIN6hipcub16HIPCUB_304000_NS8EqualityEEEPlJS6_EEE10hipError_tPvRmT3_T4_T5_T6_T7_T9_mT8_P12ihipStream_tbDpT10_ENKUlT_T0_E_clISt17integral_constantIbLb0EES17_EEDaS12_S13_EUlS12_E_NS1_11comp_targetILNS1_3genE2ELNS1_11target_archE906ELNS1_3gpuE6ELNS1_3repE0EEENS1_30default_config_static_selectorELNS0_4arch9wavefront6targetE1EEEvT1_
		.amdhsa_group_segment_fixed_size 0
		.amdhsa_private_segment_fixed_size 0
		.amdhsa_kernarg_size 112
		.amdhsa_user_sgpr_count 6
		.amdhsa_user_sgpr_private_segment_buffer 1
		.amdhsa_user_sgpr_dispatch_ptr 0
		.amdhsa_user_sgpr_queue_ptr 0
		.amdhsa_user_sgpr_kernarg_segment_ptr 1
		.amdhsa_user_sgpr_dispatch_id 0
		.amdhsa_user_sgpr_flat_scratch_init 0
		.amdhsa_user_sgpr_kernarg_preload_length 0
		.amdhsa_user_sgpr_kernarg_preload_offset 0
		.amdhsa_user_sgpr_private_segment_size 0
		.amdhsa_uses_dynamic_stack 0
		.amdhsa_system_sgpr_private_segment_wavefront_offset 0
		.amdhsa_system_sgpr_workgroup_id_x 1
		.amdhsa_system_sgpr_workgroup_id_y 0
		.amdhsa_system_sgpr_workgroup_id_z 0
		.amdhsa_system_sgpr_workgroup_info 0
		.amdhsa_system_vgpr_workitem_id 0
		.amdhsa_next_free_vgpr 1
		.amdhsa_next_free_sgpr 0
		.amdhsa_accum_offset 4
		.amdhsa_reserve_vcc 0
		.amdhsa_reserve_flat_scratch 0
		.amdhsa_float_round_mode_32 0
		.amdhsa_float_round_mode_16_64 0
		.amdhsa_float_denorm_mode_32 3
		.amdhsa_float_denorm_mode_16_64 3
		.amdhsa_dx10_clamp 1
		.amdhsa_ieee_mode 1
		.amdhsa_fp16_overflow 0
		.amdhsa_tg_split 0
		.amdhsa_exception_fp_ieee_invalid_op 0
		.amdhsa_exception_fp_denorm_src 0
		.amdhsa_exception_fp_ieee_div_zero 0
		.amdhsa_exception_fp_ieee_overflow 0
		.amdhsa_exception_fp_ieee_underflow 0
		.amdhsa_exception_fp_ieee_inexact 0
		.amdhsa_exception_int_div_zero 0
	.end_amdhsa_kernel
	.section	.text._ZN7rocprim17ROCPRIM_400000_NS6detail17trampoline_kernelINS0_14default_configENS1_25partition_config_selectorILNS1_17partition_subalgoE8EtNS0_10empty_typeEbEEZZNS1_14partition_implILS5_8ELb0ES3_jPKtPS6_PKS6_NS0_5tupleIJPtS6_EEENSE_IJSB_SB_EEENS0_18inequality_wrapperIN6hipcub16HIPCUB_304000_NS8EqualityEEEPlJS6_EEE10hipError_tPvRmT3_T4_T5_T6_T7_T9_mT8_P12ihipStream_tbDpT10_ENKUlT_T0_E_clISt17integral_constantIbLb0EES17_EEDaS12_S13_EUlS12_E_NS1_11comp_targetILNS1_3genE2ELNS1_11target_archE906ELNS1_3gpuE6ELNS1_3repE0EEENS1_30default_config_static_selectorELNS0_4arch9wavefront6targetE1EEEvT1_,"axG",@progbits,_ZN7rocprim17ROCPRIM_400000_NS6detail17trampoline_kernelINS0_14default_configENS1_25partition_config_selectorILNS1_17partition_subalgoE8EtNS0_10empty_typeEbEEZZNS1_14partition_implILS5_8ELb0ES3_jPKtPS6_PKS6_NS0_5tupleIJPtS6_EEENSE_IJSB_SB_EEENS0_18inequality_wrapperIN6hipcub16HIPCUB_304000_NS8EqualityEEEPlJS6_EEE10hipError_tPvRmT3_T4_T5_T6_T7_T9_mT8_P12ihipStream_tbDpT10_ENKUlT_T0_E_clISt17integral_constantIbLb0EES17_EEDaS12_S13_EUlS12_E_NS1_11comp_targetILNS1_3genE2ELNS1_11target_archE906ELNS1_3gpuE6ELNS1_3repE0EEENS1_30default_config_static_selectorELNS0_4arch9wavefront6targetE1EEEvT1_,comdat
.Lfunc_end759:
	.size	_ZN7rocprim17ROCPRIM_400000_NS6detail17trampoline_kernelINS0_14default_configENS1_25partition_config_selectorILNS1_17partition_subalgoE8EtNS0_10empty_typeEbEEZZNS1_14partition_implILS5_8ELb0ES3_jPKtPS6_PKS6_NS0_5tupleIJPtS6_EEENSE_IJSB_SB_EEENS0_18inequality_wrapperIN6hipcub16HIPCUB_304000_NS8EqualityEEEPlJS6_EEE10hipError_tPvRmT3_T4_T5_T6_T7_T9_mT8_P12ihipStream_tbDpT10_ENKUlT_T0_E_clISt17integral_constantIbLb0EES17_EEDaS12_S13_EUlS12_E_NS1_11comp_targetILNS1_3genE2ELNS1_11target_archE906ELNS1_3gpuE6ELNS1_3repE0EEENS1_30default_config_static_selectorELNS0_4arch9wavefront6targetE1EEEvT1_, .Lfunc_end759-_ZN7rocprim17ROCPRIM_400000_NS6detail17trampoline_kernelINS0_14default_configENS1_25partition_config_selectorILNS1_17partition_subalgoE8EtNS0_10empty_typeEbEEZZNS1_14partition_implILS5_8ELb0ES3_jPKtPS6_PKS6_NS0_5tupleIJPtS6_EEENSE_IJSB_SB_EEENS0_18inequality_wrapperIN6hipcub16HIPCUB_304000_NS8EqualityEEEPlJS6_EEE10hipError_tPvRmT3_T4_T5_T6_T7_T9_mT8_P12ihipStream_tbDpT10_ENKUlT_T0_E_clISt17integral_constantIbLb0EES17_EEDaS12_S13_EUlS12_E_NS1_11comp_targetILNS1_3genE2ELNS1_11target_archE906ELNS1_3gpuE6ELNS1_3repE0EEENS1_30default_config_static_selectorELNS0_4arch9wavefront6targetE1EEEvT1_
                                        ; -- End function
	.section	.AMDGPU.csdata,"",@progbits
; Kernel info:
; codeLenInByte = 0
; NumSgprs: 4
; NumVgprs: 0
; NumAgprs: 0
; TotalNumVgprs: 0
; ScratchSize: 0
; MemoryBound: 0
; FloatMode: 240
; IeeeMode: 1
; LDSByteSize: 0 bytes/workgroup (compile time only)
; SGPRBlocks: 0
; VGPRBlocks: 0
; NumSGPRsForWavesPerEU: 4
; NumVGPRsForWavesPerEU: 1
; AccumOffset: 4
; Occupancy: 8
; WaveLimiterHint : 0
; COMPUTE_PGM_RSRC2:SCRATCH_EN: 0
; COMPUTE_PGM_RSRC2:USER_SGPR: 6
; COMPUTE_PGM_RSRC2:TRAP_HANDLER: 0
; COMPUTE_PGM_RSRC2:TGID_X_EN: 1
; COMPUTE_PGM_RSRC2:TGID_Y_EN: 0
; COMPUTE_PGM_RSRC2:TGID_Z_EN: 0
; COMPUTE_PGM_RSRC2:TIDIG_COMP_CNT: 0
; COMPUTE_PGM_RSRC3_GFX90A:ACCUM_OFFSET: 0
; COMPUTE_PGM_RSRC3_GFX90A:TG_SPLIT: 0
	.section	.text._ZN7rocprim17ROCPRIM_400000_NS6detail17trampoline_kernelINS0_14default_configENS1_25partition_config_selectorILNS1_17partition_subalgoE8EtNS0_10empty_typeEbEEZZNS1_14partition_implILS5_8ELb0ES3_jPKtPS6_PKS6_NS0_5tupleIJPtS6_EEENSE_IJSB_SB_EEENS0_18inequality_wrapperIN6hipcub16HIPCUB_304000_NS8EqualityEEEPlJS6_EEE10hipError_tPvRmT3_T4_T5_T6_T7_T9_mT8_P12ihipStream_tbDpT10_ENKUlT_T0_E_clISt17integral_constantIbLb0EES17_EEDaS12_S13_EUlS12_E_NS1_11comp_targetILNS1_3genE10ELNS1_11target_archE1200ELNS1_3gpuE4ELNS1_3repE0EEENS1_30default_config_static_selectorELNS0_4arch9wavefront6targetE1EEEvT1_,"axG",@progbits,_ZN7rocprim17ROCPRIM_400000_NS6detail17trampoline_kernelINS0_14default_configENS1_25partition_config_selectorILNS1_17partition_subalgoE8EtNS0_10empty_typeEbEEZZNS1_14partition_implILS5_8ELb0ES3_jPKtPS6_PKS6_NS0_5tupleIJPtS6_EEENSE_IJSB_SB_EEENS0_18inequality_wrapperIN6hipcub16HIPCUB_304000_NS8EqualityEEEPlJS6_EEE10hipError_tPvRmT3_T4_T5_T6_T7_T9_mT8_P12ihipStream_tbDpT10_ENKUlT_T0_E_clISt17integral_constantIbLb0EES17_EEDaS12_S13_EUlS12_E_NS1_11comp_targetILNS1_3genE10ELNS1_11target_archE1200ELNS1_3gpuE4ELNS1_3repE0EEENS1_30default_config_static_selectorELNS0_4arch9wavefront6targetE1EEEvT1_,comdat
	.protected	_ZN7rocprim17ROCPRIM_400000_NS6detail17trampoline_kernelINS0_14default_configENS1_25partition_config_selectorILNS1_17partition_subalgoE8EtNS0_10empty_typeEbEEZZNS1_14partition_implILS5_8ELb0ES3_jPKtPS6_PKS6_NS0_5tupleIJPtS6_EEENSE_IJSB_SB_EEENS0_18inequality_wrapperIN6hipcub16HIPCUB_304000_NS8EqualityEEEPlJS6_EEE10hipError_tPvRmT3_T4_T5_T6_T7_T9_mT8_P12ihipStream_tbDpT10_ENKUlT_T0_E_clISt17integral_constantIbLb0EES17_EEDaS12_S13_EUlS12_E_NS1_11comp_targetILNS1_3genE10ELNS1_11target_archE1200ELNS1_3gpuE4ELNS1_3repE0EEENS1_30default_config_static_selectorELNS0_4arch9wavefront6targetE1EEEvT1_ ; -- Begin function _ZN7rocprim17ROCPRIM_400000_NS6detail17trampoline_kernelINS0_14default_configENS1_25partition_config_selectorILNS1_17partition_subalgoE8EtNS0_10empty_typeEbEEZZNS1_14partition_implILS5_8ELb0ES3_jPKtPS6_PKS6_NS0_5tupleIJPtS6_EEENSE_IJSB_SB_EEENS0_18inequality_wrapperIN6hipcub16HIPCUB_304000_NS8EqualityEEEPlJS6_EEE10hipError_tPvRmT3_T4_T5_T6_T7_T9_mT8_P12ihipStream_tbDpT10_ENKUlT_T0_E_clISt17integral_constantIbLb0EES17_EEDaS12_S13_EUlS12_E_NS1_11comp_targetILNS1_3genE10ELNS1_11target_archE1200ELNS1_3gpuE4ELNS1_3repE0EEENS1_30default_config_static_selectorELNS0_4arch9wavefront6targetE1EEEvT1_
	.globl	_ZN7rocprim17ROCPRIM_400000_NS6detail17trampoline_kernelINS0_14default_configENS1_25partition_config_selectorILNS1_17partition_subalgoE8EtNS0_10empty_typeEbEEZZNS1_14partition_implILS5_8ELb0ES3_jPKtPS6_PKS6_NS0_5tupleIJPtS6_EEENSE_IJSB_SB_EEENS0_18inequality_wrapperIN6hipcub16HIPCUB_304000_NS8EqualityEEEPlJS6_EEE10hipError_tPvRmT3_T4_T5_T6_T7_T9_mT8_P12ihipStream_tbDpT10_ENKUlT_T0_E_clISt17integral_constantIbLb0EES17_EEDaS12_S13_EUlS12_E_NS1_11comp_targetILNS1_3genE10ELNS1_11target_archE1200ELNS1_3gpuE4ELNS1_3repE0EEENS1_30default_config_static_selectorELNS0_4arch9wavefront6targetE1EEEvT1_
	.p2align	8
	.type	_ZN7rocprim17ROCPRIM_400000_NS6detail17trampoline_kernelINS0_14default_configENS1_25partition_config_selectorILNS1_17partition_subalgoE8EtNS0_10empty_typeEbEEZZNS1_14partition_implILS5_8ELb0ES3_jPKtPS6_PKS6_NS0_5tupleIJPtS6_EEENSE_IJSB_SB_EEENS0_18inequality_wrapperIN6hipcub16HIPCUB_304000_NS8EqualityEEEPlJS6_EEE10hipError_tPvRmT3_T4_T5_T6_T7_T9_mT8_P12ihipStream_tbDpT10_ENKUlT_T0_E_clISt17integral_constantIbLb0EES17_EEDaS12_S13_EUlS12_E_NS1_11comp_targetILNS1_3genE10ELNS1_11target_archE1200ELNS1_3gpuE4ELNS1_3repE0EEENS1_30default_config_static_selectorELNS0_4arch9wavefront6targetE1EEEvT1_,@function
_ZN7rocprim17ROCPRIM_400000_NS6detail17trampoline_kernelINS0_14default_configENS1_25partition_config_selectorILNS1_17partition_subalgoE8EtNS0_10empty_typeEbEEZZNS1_14partition_implILS5_8ELb0ES3_jPKtPS6_PKS6_NS0_5tupleIJPtS6_EEENSE_IJSB_SB_EEENS0_18inequality_wrapperIN6hipcub16HIPCUB_304000_NS8EqualityEEEPlJS6_EEE10hipError_tPvRmT3_T4_T5_T6_T7_T9_mT8_P12ihipStream_tbDpT10_ENKUlT_T0_E_clISt17integral_constantIbLb0EES17_EEDaS12_S13_EUlS12_E_NS1_11comp_targetILNS1_3genE10ELNS1_11target_archE1200ELNS1_3gpuE4ELNS1_3repE0EEENS1_30default_config_static_selectorELNS0_4arch9wavefront6targetE1EEEvT1_: ; @_ZN7rocprim17ROCPRIM_400000_NS6detail17trampoline_kernelINS0_14default_configENS1_25partition_config_selectorILNS1_17partition_subalgoE8EtNS0_10empty_typeEbEEZZNS1_14partition_implILS5_8ELb0ES3_jPKtPS6_PKS6_NS0_5tupleIJPtS6_EEENSE_IJSB_SB_EEENS0_18inequality_wrapperIN6hipcub16HIPCUB_304000_NS8EqualityEEEPlJS6_EEE10hipError_tPvRmT3_T4_T5_T6_T7_T9_mT8_P12ihipStream_tbDpT10_ENKUlT_T0_E_clISt17integral_constantIbLb0EES17_EEDaS12_S13_EUlS12_E_NS1_11comp_targetILNS1_3genE10ELNS1_11target_archE1200ELNS1_3gpuE4ELNS1_3repE0EEENS1_30default_config_static_selectorELNS0_4arch9wavefront6targetE1EEEvT1_
; %bb.0:
	.section	.rodata,"a",@progbits
	.p2align	6, 0x0
	.amdhsa_kernel _ZN7rocprim17ROCPRIM_400000_NS6detail17trampoline_kernelINS0_14default_configENS1_25partition_config_selectorILNS1_17partition_subalgoE8EtNS0_10empty_typeEbEEZZNS1_14partition_implILS5_8ELb0ES3_jPKtPS6_PKS6_NS0_5tupleIJPtS6_EEENSE_IJSB_SB_EEENS0_18inequality_wrapperIN6hipcub16HIPCUB_304000_NS8EqualityEEEPlJS6_EEE10hipError_tPvRmT3_T4_T5_T6_T7_T9_mT8_P12ihipStream_tbDpT10_ENKUlT_T0_E_clISt17integral_constantIbLb0EES17_EEDaS12_S13_EUlS12_E_NS1_11comp_targetILNS1_3genE10ELNS1_11target_archE1200ELNS1_3gpuE4ELNS1_3repE0EEENS1_30default_config_static_selectorELNS0_4arch9wavefront6targetE1EEEvT1_
		.amdhsa_group_segment_fixed_size 0
		.amdhsa_private_segment_fixed_size 0
		.amdhsa_kernarg_size 112
		.amdhsa_user_sgpr_count 6
		.amdhsa_user_sgpr_private_segment_buffer 1
		.amdhsa_user_sgpr_dispatch_ptr 0
		.amdhsa_user_sgpr_queue_ptr 0
		.amdhsa_user_sgpr_kernarg_segment_ptr 1
		.amdhsa_user_sgpr_dispatch_id 0
		.amdhsa_user_sgpr_flat_scratch_init 0
		.amdhsa_user_sgpr_kernarg_preload_length 0
		.amdhsa_user_sgpr_kernarg_preload_offset 0
		.amdhsa_user_sgpr_private_segment_size 0
		.amdhsa_uses_dynamic_stack 0
		.amdhsa_system_sgpr_private_segment_wavefront_offset 0
		.amdhsa_system_sgpr_workgroup_id_x 1
		.amdhsa_system_sgpr_workgroup_id_y 0
		.amdhsa_system_sgpr_workgroup_id_z 0
		.amdhsa_system_sgpr_workgroup_info 0
		.amdhsa_system_vgpr_workitem_id 0
		.amdhsa_next_free_vgpr 1
		.amdhsa_next_free_sgpr 0
		.amdhsa_accum_offset 4
		.amdhsa_reserve_vcc 0
		.amdhsa_reserve_flat_scratch 0
		.amdhsa_float_round_mode_32 0
		.amdhsa_float_round_mode_16_64 0
		.amdhsa_float_denorm_mode_32 3
		.amdhsa_float_denorm_mode_16_64 3
		.amdhsa_dx10_clamp 1
		.amdhsa_ieee_mode 1
		.amdhsa_fp16_overflow 0
		.amdhsa_tg_split 0
		.amdhsa_exception_fp_ieee_invalid_op 0
		.amdhsa_exception_fp_denorm_src 0
		.amdhsa_exception_fp_ieee_div_zero 0
		.amdhsa_exception_fp_ieee_overflow 0
		.amdhsa_exception_fp_ieee_underflow 0
		.amdhsa_exception_fp_ieee_inexact 0
		.amdhsa_exception_int_div_zero 0
	.end_amdhsa_kernel
	.section	.text._ZN7rocprim17ROCPRIM_400000_NS6detail17trampoline_kernelINS0_14default_configENS1_25partition_config_selectorILNS1_17partition_subalgoE8EtNS0_10empty_typeEbEEZZNS1_14partition_implILS5_8ELb0ES3_jPKtPS6_PKS6_NS0_5tupleIJPtS6_EEENSE_IJSB_SB_EEENS0_18inequality_wrapperIN6hipcub16HIPCUB_304000_NS8EqualityEEEPlJS6_EEE10hipError_tPvRmT3_T4_T5_T6_T7_T9_mT8_P12ihipStream_tbDpT10_ENKUlT_T0_E_clISt17integral_constantIbLb0EES17_EEDaS12_S13_EUlS12_E_NS1_11comp_targetILNS1_3genE10ELNS1_11target_archE1200ELNS1_3gpuE4ELNS1_3repE0EEENS1_30default_config_static_selectorELNS0_4arch9wavefront6targetE1EEEvT1_,"axG",@progbits,_ZN7rocprim17ROCPRIM_400000_NS6detail17trampoline_kernelINS0_14default_configENS1_25partition_config_selectorILNS1_17partition_subalgoE8EtNS0_10empty_typeEbEEZZNS1_14partition_implILS5_8ELb0ES3_jPKtPS6_PKS6_NS0_5tupleIJPtS6_EEENSE_IJSB_SB_EEENS0_18inequality_wrapperIN6hipcub16HIPCUB_304000_NS8EqualityEEEPlJS6_EEE10hipError_tPvRmT3_T4_T5_T6_T7_T9_mT8_P12ihipStream_tbDpT10_ENKUlT_T0_E_clISt17integral_constantIbLb0EES17_EEDaS12_S13_EUlS12_E_NS1_11comp_targetILNS1_3genE10ELNS1_11target_archE1200ELNS1_3gpuE4ELNS1_3repE0EEENS1_30default_config_static_selectorELNS0_4arch9wavefront6targetE1EEEvT1_,comdat
.Lfunc_end760:
	.size	_ZN7rocprim17ROCPRIM_400000_NS6detail17trampoline_kernelINS0_14default_configENS1_25partition_config_selectorILNS1_17partition_subalgoE8EtNS0_10empty_typeEbEEZZNS1_14partition_implILS5_8ELb0ES3_jPKtPS6_PKS6_NS0_5tupleIJPtS6_EEENSE_IJSB_SB_EEENS0_18inequality_wrapperIN6hipcub16HIPCUB_304000_NS8EqualityEEEPlJS6_EEE10hipError_tPvRmT3_T4_T5_T6_T7_T9_mT8_P12ihipStream_tbDpT10_ENKUlT_T0_E_clISt17integral_constantIbLb0EES17_EEDaS12_S13_EUlS12_E_NS1_11comp_targetILNS1_3genE10ELNS1_11target_archE1200ELNS1_3gpuE4ELNS1_3repE0EEENS1_30default_config_static_selectorELNS0_4arch9wavefront6targetE1EEEvT1_, .Lfunc_end760-_ZN7rocprim17ROCPRIM_400000_NS6detail17trampoline_kernelINS0_14default_configENS1_25partition_config_selectorILNS1_17partition_subalgoE8EtNS0_10empty_typeEbEEZZNS1_14partition_implILS5_8ELb0ES3_jPKtPS6_PKS6_NS0_5tupleIJPtS6_EEENSE_IJSB_SB_EEENS0_18inequality_wrapperIN6hipcub16HIPCUB_304000_NS8EqualityEEEPlJS6_EEE10hipError_tPvRmT3_T4_T5_T6_T7_T9_mT8_P12ihipStream_tbDpT10_ENKUlT_T0_E_clISt17integral_constantIbLb0EES17_EEDaS12_S13_EUlS12_E_NS1_11comp_targetILNS1_3genE10ELNS1_11target_archE1200ELNS1_3gpuE4ELNS1_3repE0EEENS1_30default_config_static_selectorELNS0_4arch9wavefront6targetE1EEEvT1_
                                        ; -- End function
	.section	.AMDGPU.csdata,"",@progbits
; Kernel info:
; codeLenInByte = 0
; NumSgprs: 4
; NumVgprs: 0
; NumAgprs: 0
; TotalNumVgprs: 0
; ScratchSize: 0
; MemoryBound: 0
; FloatMode: 240
; IeeeMode: 1
; LDSByteSize: 0 bytes/workgroup (compile time only)
; SGPRBlocks: 0
; VGPRBlocks: 0
; NumSGPRsForWavesPerEU: 4
; NumVGPRsForWavesPerEU: 1
; AccumOffset: 4
; Occupancy: 8
; WaveLimiterHint : 0
; COMPUTE_PGM_RSRC2:SCRATCH_EN: 0
; COMPUTE_PGM_RSRC2:USER_SGPR: 6
; COMPUTE_PGM_RSRC2:TRAP_HANDLER: 0
; COMPUTE_PGM_RSRC2:TGID_X_EN: 1
; COMPUTE_PGM_RSRC2:TGID_Y_EN: 0
; COMPUTE_PGM_RSRC2:TGID_Z_EN: 0
; COMPUTE_PGM_RSRC2:TIDIG_COMP_CNT: 0
; COMPUTE_PGM_RSRC3_GFX90A:ACCUM_OFFSET: 0
; COMPUTE_PGM_RSRC3_GFX90A:TG_SPLIT: 0
	.section	.text._ZN7rocprim17ROCPRIM_400000_NS6detail17trampoline_kernelINS0_14default_configENS1_25partition_config_selectorILNS1_17partition_subalgoE8EtNS0_10empty_typeEbEEZZNS1_14partition_implILS5_8ELb0ES3_jPKtPS6_PKS6_NS0_5tupleIJPtS6_EEENSE_IJSB_SB_EEENS0_18inequality_wrapperIN6hipcub16HIPCUB_304000_NS8EqualityEEEPlJS6_EEE10hipError_tPvRmT3_T4_T5_T6_T7_T9_mT8_P12ihipStream_tbDpT10_ENKUlT_T0_E_clISt17integral_constantIbLb0EES17_EEDaS12_S13_EUlS12_E_NS1_11comp_targetILNS1_3genE9ELNS1_11target_archE1100ELNS1_3gpuE3ELNS1_3repE0EEENS1_30default_config_static_selectorELNS0_4arch9wavefront6targetE1EEEvT1_,"axG",@progbits,_ZN7rocprim17ROCPRIM_400000_NS6detail17trampoline_kernelINS0_14default_configENS1_25partition_config_selectorILNS1_17partition_subalgoE8EtNS0_10empty_typeEbEEZZNS1_14partition_implILS5_8ELb0ES3_jPKtPS6_PKS6_NS0_5tupleIJPtS6_EEENSE_IJSB_SB_EEENS0_18inequality_wrapperIN6hipcub16HIPCUB_304000_NS8EqualityEEEPlJS6_EEE10hipError_tPvRmT3_T4_T5_T6_T7_T9_mT8_P12ihipStream_tbDpT10_ENKUlT_T0_E_clISt17integral_constantIbLb0EES17_EEDaS12_S13_EUlS12_E_NS1_11comp_targetILNS1_3genE9ELNS1_11target_archE1100ELNS1_3gpuE3ELNS1_3repE0EEENS1_30default_config_static_selectorELNS0_4arch9wavefront6targetE1EEEvT1_,comdat
	.protected	_ZN7rocprim17ROCPRIM_400000_NS6detail17trampoline_kernelINS0_14default_configENS1_25partition_config_selectorILNS1_17partition_subalgoE8EtNS0_10empty_typeEbEEZZNS1_14partition_implILS5_8ELb0ES3_jPKtPS6_PKS6_NS0_5tupleIJPtS6_EEENSE_IJSB_SB_EEENS0_18inequality_wrapperIN6hipcub16HIPCUB_304000_NS8EqualityEEEPlJS6_EEE10hipError_tPvRmT3_T4_T5_T6_T7_T9_mT8_P12ihipStream_tbDpT10_ENKUlT_T0_E_clISt17integral_constantIbLb0EES17_EEDaS12_S13_EUlS12_E_NS1_11comp_targetILNS1_3genE9ELNS1_11target_archE1100ELNS1_3gpuE3ELNS1_3repE0EEENS1_30default_config_static_selectorELNS0_4arch9wavefront6targetE1EEEvT1_ ; -- Begin function _ZN7rocprim17ROCPRIM_400000_NS6detail17trampoline_kernelINS0_14default_configENS1_25partition_config_selectorILNS1_17partition_subalgoE8EtNS0_10empty_typeEbEEZZNS1_14partition_implILS5_8ELb0ES3_jPKtPS6_PKS6_NS0_5tupleIJPtS6_EEENSE_IJSB_SB_EEENS0_18inequality_wrapperIN6hipcub16HIPCUB_304000_NS8EqualityEEEPlJS6_EEE10hipError_tPvRmT3_T4_T5_T6_T7_T9_mT8_P12ihipStream_tbDpT10_ENKUlT_T0_E_clISt17integral_constantIbLb0EES17_EEDaS12_S13_EUlS12_E_NS1_11comp_targetILNS1_3genE9ELNS1_11target_archE1100ELNS1_3gpuE3ELNS1_3repE0EEENS1_30default_config_static_selectorELNS0_4arch9wavefront6targetE1EEEvT1_
	.globl	_ZN7rocprim17ROCPRIM_400000_NS6detail17trampoline_kernelINS0_14default_configENS1_25partition_config_selectorILNS1_17partition_subalgoE8EtNS0_10empty_typeEbEEZZNS1_14partition_implILS5_8ELb0ES3_jPKtPS6_PKS6_NS0_5tupleIJPtS6_EEENSE_IJSB_SB_EEENS0_18inequality_wrapperIN6hipcub16HIPCUB_304000_NS8EqualityEEEPlJS6_EEE10hipError_tPvRmT3_T4_T5_T6_T7_T9_mT8_P12ihipStream_tbDpT10_ENKUlT_T0_E_clISt17integral_constantIbLb0EES17_EEDaS12_S13_EUlS12_E_NS1_11comp_targetILNS1_3genE9ELNS1_11target_archE1100ELNS1_3gpuE3ELNS1_3repE0EEENS1_30default_config_static_selectorELNS0_4arch9wavefront6targetE1EEEvT1_
	.p2align	8
	.type	_ZN7rocprim17ROCPRIM_400000_NS6detail17trampoline_kernelINS0_14default_configENS1_25partition_config_selectorILNS1_17partition_subalgoE8EtNS0_10empty_typeEbEEZZNS1_14partition_implILS5_8ELb0ES3_jPKtPS6_PKS6_NS0_5tupleIJPtS6_EEENSE_IJSB_SB_EEENS0_18inequality_wrapperIN6hipcub16HIPCUB_304000_NS8EqualityEEEPlJS6_EEE10hipError_tPvRmT3_T4_T5_T6_T7_T9_mT8_P12ihipStream_tbDpT10_ENKUlT_T0_E_clISt17integral_constantIbLb0EES17_EEDaS12_S13_EUlS12_E_NS1_11comp_targetILNS1_3genE9ELNS1_11target_archE1100ELNS1_3gpuE3ELNS1_3repE0EEENS1_30default_config_static_selectorELNS0_4arch9wavefront6targetE1EEEvT1_,@function
_ZN7rocprim17ROCPRIM_400000_NS6detail17trampoline_kernelINS0_14default_configENS1_25partition_config_selectorILNS1_17partition_subalgoE8EtNS0_10empty_typeEbEEZZNS1_14partition_implILS5_8ELb0ES3_jPKtPS6_PKS6_NS0_5tupleIJPtS6_EEENSE_IJSB_SB_EEENS0_18inequality_wrapperIN6hipcub16HIPCUB_304000_NS8EqualityEEEPlJS6_EEE10hipError_tPvRmT3_T4_T5_T6_T7_T9_mT8_P12ihipStream_tbDpT10_ENKUlT_T0_E_clISt17integral_constantIbLb0EES17_EEDaS12_S13_EUlS12_E_NS1_11comp_targetILNS1_3genE9ELNS1_11target_archE1100ELNS1_3gpuE3ELNS1_3repE0EEENS1_30default_config_static_selectorELNS0_4arch9wavefront6targetE1EEEvT1_: ; @_ZN7rocprim17ROCPRIM_400000_NS6detail17trampoline_kernelINS0_14default_configENS1_25partition_config_selectorILNS1_17partition_subalgoE8EtNS0_10empty_typeEbEEZZNS1_14partition_implILS5_8ELb0ES3_jPKtPS6_PKS6_NS0_5tupleIJPtS6_EEENSE_IJSB_SB_EEENS0_18inequality_wrapperIN6hipcub16HIPCUB_304000_NS8EqualityEEEPlJS6_EEE10hipError_tPvRmT3_T4_T5_T6_T7_T9_mT8_P12ihipStream_tbDpT10_ENKUlT_T0_E_clISt17integral_constantIbLb0EES17_EEDaS12_S13_EUlS12_E_NS1_11comp_targetILNS1_3genE9ELNS1_11target_archE1100ELNS1_3gpuE3ELNS1_3repE0EEENS1_30default_config_static_selectorELNS0_4arch9wavefront6targetE1EEEvT1_
; %bb.0:
	.section	.rodata,"a",@progbits
	.p2align	6, 0x0
	.amdhsa_kernel _ZN7rocprim17ROCPRIM_400000_NS6detail17trampoline_kernelINS0_14default_configENS1_25partition_config_selectorILNS1_17partition_subalgoE8EtNS0_10empty_typeEbEEZZNS1_14partition_implILS5_8ELb0ES3_jPKtPS6_PKS6_NS0_5tupleIJPtS6_EEENSE_IJSB_SB_EEENS0_18inequality_wrapperIN6hipcub16HIPCUB_304000_NS8EqualityEEEPlJS6_EEE10hipError_tPvRmT3_T4_T5_T6_T7_T9_mT8_P12ihipStream_tbDpT10_ENKUlT_T0_E_clISt17integral_constantIbLb0EES17_EEDaS12_S13_EUlS12_E_NS1_11comp_targetILNS1_3genE9ELNS1_11target_archE1100ELNS1_3gpuE3ELNS1_3repE0EEENS1_30default_config_static_selectorELNS0_4arch9wavefront6targetE1EEEvT1_
		.amdhsa_group_segment_fixed_size 0
		.amdhsa_private_segment_fixed_size 0
		.amdhsa_kernarg_size 112
		.amdhsa_user_sgpr_count 6
		.amdhsa_user_sgpr_private_segment_buffer 1
		.amdhsa_user_sgpr_dispatch_ptr 0
		.amdhsa_user_sgpr_queue_ptr 0
		.amdhsa_user_sgpr_kernarg_segment_ptr 1
		.amdhsa_user_sgpr_dispatch_id 0
		.amdhsa_user_sgpr_flat_scratch_init 0
		.amdhsa_user_sgpr_kernarg_preload_length 0
		.amdhsa_user_sgpr_kernarg_preload_offset 0
		.amdhsa_user_sgpr_private_segment_size 0
		.amdhsa_uses_dynamic_stack 0
		.amdhsa_system_sgpr_private_segment_wavefront_offset 0
		.amdhsa_system_sgpr_workgroup_id_x 1
		.amdhsa_system_sgpr_workgroup_id_y 0
		.amdhsa_system_sgpr_workgroup_id_z 0
		.amdhsa_system_sgpr_workgroup_info 0
		.amdhsa_system_vgpr_workitem_id 0
		.amdhsa_next_free_vgpr 1
		.amdhsa_next_free_sgpr 0
		.amdhsa_accum_offset 4
		.amdhsa_reserve_vcc 0
		.amdhsa_reserve_flat_scratch 0
		.amdhsa_float_round_mode_32 0
		.amdhsa_float_round_mode_16_64 0
		.amdhsa_float_denorm_mode_32 3
		.amdhsa_float_denorm_mode_16_64 3
		.amdhsa_dx10_clamp 1
		.amdhsa_ieee_mode 1
		.amdhsa_fp16_overflow 0
		.amdhsa_tg_split 0
		.amdhsa_exception_fp_ieee_invalid_op 0
		.amdhsa_exception_fp_denorm_src 0
		.amdhsa_exception_fp_ieee_div_zero 0
		.amdhsa_exception_fp_ieee_overflow 0
		.amdhsa_exception_fp_ieee_underflow 0
		.amdhsa_exception_fp_ieee_inexact 0
		.amdhsa_exception_int_div_zero 0
	.end_amdhsa_kernel
	.section	.text._ZN7rocprim17ROCPRIM_400000_NS6detail17trampoline_kernelINS0_14default_configENS1_25partition_config_selectorILNS1_17partition_subalgoE8EtNS0_10empty_typeEbEEZZNS1_14partition_implILS5_8ELb0ES3_jPKtPS6_PKS6_NS0_5tupleIJPtS6_EEENSE_IJSB_SB_EEENS0_18inequality_wrapperIN6hipcub16HIPCUB_304000_NS8EqualityEEEPlJS6_EEE10hipError_tPvRmT3_T4_T5_T6_T7_T9_mT8_P12ihipStream_tbDpT10_ENKUlT_T0_E_clISt17integral_constantIbLb0EES17_EEDaS12_S13_EUlS12_E_NS1_11comp_targetILNS1_3genE9ELNS1_11target_archE1100ELNS1_3gpuE3ELNS1_3repE0EEENS1_30default_config_static_selectorELNS0_4arch9wavefront6targetE1EEEvT1_,"axG",@progbits,_ZN7rocprim17ROCPRIM_400000_NS6detail17trampoline_kernelINS0_14default_configENS1_25partition_config_selectorILNS1_17partition_subalgoE8EtNS0_10empty_typeEbEEZZNS1_14partition_implILS5_8ELb0ES3_jPKtPS6_PKS6_NS0_5tupleIJPtS6_EEENSE_IJSB_SB_EEENS0_18inequality_wrapperIN6hipcub16HIPCUB_304000_NS8EqualityEEEPlJS6_EEE10hipError_tPvRmT3_T4_T5_T6_T7_T9_mT8_P12ihipStream_tbDpT10_ENKUlT_T0_E_clISt17integral_constantIbLb0EES17_EEDaS12_S13_EUlS12_E_NS1_11comp_targetILNS1_3genE9ELNS1_11target_archE1100ELNS1_3gpuE3ELNS1_3repE0EEENS1_30default_config_static_selectorELNS0_4arch9wavefront6targetE1EEEvT1_,comdat
.Lfunc_end761:
	.size	_ZN7rocprim17ROCPRIM_400000_NS6detail17trampoline_kernelINS0_14default_configENS1_25partition_config_selectorILNS1_17partition_subalgoE8EtNS0_10empty_typeEbEEZZNS1_14partition_implILS5_8ELb0ES3_jPKtPS6_PKS6_NS0_5tupleIJPtS6_EEENSE_IJSB_SB_EEENS0_18inequality_wrapperIN6hipcub16HIPCUB_304000_NS8EqualityEEEPlJS6_EEE10hipError_tPvRmT3_T4_T5_T6_T7_T9_mT8_P12ihipStream_tbDpT10_ENKUlT_T0_E_clISt17integral_constantIbLb0EES17_EEDaS12_S13_EUlS12_E_NS1_11comp_targetILNS1_3genE9ELNS1_11target_archE1100ELNS1_3gpuE3ELNS1_3repE0EEENS1_30default_config_static_selectorELNS0_4arch9wavefront6targetE1EEEvT1_, .Lfunc_end761-_ZN7rocprim17ROCPRIM_400000_NS6detail17trampoline_kernelINS0_14default_configENS1_25partition_config_selectorILNS1_17partition_subalgoE8EtNS0_10empty_typeEbEEZZNS1_14partition_implILS5_8ELb0ES3_jPKtPS6_PKS6_NS0_5tupleIJPtS6_EEENSE_IJSB_SB_EEENS0_18inequality_wrapperIN6hipcub16HIPCUB_304000_NS8EqualityEEEPlJS6_EEE10hipError_tPvRmT3_T4_T5_T6_T7_T9_mT8_P12ihipStream_tbDpT10_ENKUlT_T0_E_clISt17integral_constantIbLb0EES17_EEDaS12_S13_EUlS12_E_NS1_11comp_targetILNS1_3genE9ELNS1_11target_archE1100ELNS1_3gpuE3ELNS1_3repE0EEENS1_30default_config_static_selectorELNS0_4arch9wavefront6targetE1EEEvT1_
                                        ; -- End function
	.section	.AMDGPU.csdata,"",@progbits
; Kernel info:
; codeLenInByte = 0
; NumSgprs: 4
; NumVgprs: 0
; NumAgprs: 0
; TotalNumVgprs: 0
; ScratchSize: 0
; MemoryBound: 0
; FloatMode: 240
; IeeeMode: 1
; LDSByteSize: 0 bytes/workgroup (compile time only)
; SGPRBlocks: 0
; VGPRBlocks: 0
; NumSGPRsForWavesPerEU: 4
; NumVGPRsForWavesPerEU: 1
; AccumOffset: 4
; Occupancy: 8
; WaveLimiterHint : 0
; COMPUTE_PGM_RSRC2:SCRATCH_EN: 0
; COMPUTE_PGM_RSRC2:USER_SGPR: 6
; COMPUTE_PGM_RSRC2:TRAP_HANDLER: 0
; COMPUTE_PGM_RSRC2:TGID_X_EN: 1
; COMPUTE_PGM_RSRC2:TGID_Y_EN: 0
; COMPUTE_PGM_RSRC2:TGID_Z_EN: 0
; COMPUTE_PGM_RSRC2:TIDIG_COMP_CNT: 0
; COMPUTE_PGM_RSRC3_GFX90A:ACCUM_OFFSET: 0
; COMPUTE_PGM_RSRC3_GFX90A:TG_SPLIT: 0
	.section	.text._ZN7rocprim17ROCPRIM_400000_NS6detail17trampoline_kernelINS0_14default_configENS1_25partition_config_selectorILNS1_17partition_subalgoE8EtNS0_10empty_typeEbEEZZNS1_14partition_implILS5_8ELb0ES3_jPKtPS6_PKS6_NS0_5tupleIJPtS6_EEENSE_IJSB_SB_EEENS0_18inequality_wrapperIN6hipcub16HIPCUB_304000_NS8EqualityEEEPlJS6_EEE10hipError_tPvRmT3_T4_T5_T6_T7_T9_mT8_P12ihipStream_tbDpT10_ENKUlT_T0_E_clISt17integral_constantIbLb0EES17_EEDaS12_S13_EUlS12_E_NS1_11comp_targetILNS1_3genE8ELNS1_11target_archE1030ELNS1_3gpuE2ELNS1_3repE0EEENS1_30default_config_static_selectorELNS0_4arch9wavefront6targetE1EEEvT1_,"axG",@progbits,_ZN7rocprim17ROCPRIM_400000_NS6detail17trampoline_kernelINS0_14default_configENS1_25partition_config_selectorILNS1_17partition_subalgoE8EtNS0_10empty_typeEbEEZZNS1_14partition_implILS5_8ELb0ES3_jPKtPS6_PKS6_NS0_5tupleIJPtS6_EEENSE_IJSB_SB_EEENS0_18inequality_wrapperIN6hipcub16HIPCUB_304000_NS8EqualityEEEPlJS6_EEE10hipError_tPvRmT3_T4_T5_T6_T7_T9_mT8_P12ihipStream_tbDpT10_ENKUlT_T0_E_clISt17integral_constantIbLb0EES17_EEDaS12_S13_EUlS12_E_NS1_11comp_targetILNS1_3genE8ELNS1_11target_archE1030ELNS1_3gpuE2ELNS1_3repE0EEENS1_30default_config_static_selectorELNS0_4arch9wavefront6targetE1EEEvT1_,comdat
	.protected	_ZN7rocprim17ROCPRIM_400000_NS6detail17trampoline_kernelINS0_14default_configENS1_25partition_config_selectorILNS1_17partition_subalgoE8EtNS0_10empty_typeEbEEZZNS1_14partition_implILS5_8ELb0ES3_jPKtPS6_PKS6_NS0_5tupleIJPtS6_EEENSE_IJSB_SB_EEENS0_18inequality_wrapperIN6hipcub16HIPCUB_304000_NS8EqualityEEEPlJS6_EEE10hipError_tPvRmT3_T4_T5_T6_T7_T9_mT8_P12ihipStream_tbDpT10_ENKUlT_T0_E_clISt17integral_constantIbLb0EES17_EEDaS12_S13_EUlS12_E_NS1_11comp_targetILNS1_3genE8ELNS1_11target_archE1030ELNS1_3gpuE2ELNS1_3repE0EEENS1_30default_config_static_selectorELNS0_4arch9wavefront6targetE1EEEvT1_ ; -- Begin function _ZN7rocprim17ROCPRIM_400000_NS6detail17trampoline_kernelINS0_14default_configENS1_25partition_config_selectorILNS1_17partition_subalgoE8EtNS0_10empty_typeEbEEZZNS1_14partition_implILS5_8ELb0ES3_jPKtPS6_PKS6_NS0_5tupleIJPtS6_EEENSE_IJSB_SB_EEENS0_18inequality_wrapperIN6hipcub16HIPCUB_304000_NS8EqualityEEEPlJS6_EEE10hipError_tPvRmT3_T4_T5_T6_T7_T9_mT8_P12ihipStream_tbDpT10_ENKUlT_T0_E_clISt17integral_constantIbLb0EES17_EEDaS12_S13_EUlS12_E_NS1_11comp_targetILNS1_3genE8ELNS1_11target_archE1030ELNS1_3gpuE2ELNS1_3repE0EEENS1_30default_config_static_selectorELNS0_4arch9wavefront6targetE1EEEvT1_
	.globl	_ZN7rocprim17ROCPRIM_400000_NS6detail17trampoline_kernelINS0_14default_configENS1_25partition_config_selectorILNS1_17partition_subalgoE8EtNS0_10empty_typeEbEEZZNS1_14partition_implILS5_8ELb0ES3_jPKtPS6_PKS6_NS0_5tupleIJPtS6_EEENSE_IJSB_SB_EEENS0_18inequality_wrapperIN6hipcub16HIPCUB_304000_NS8EqualityEEEPlJS6_EEE10hipError_tPvRmT3_T4_T5_T6_T7_T9_mT8_P12ihipStream_tbDpT10_ENKUlT_T0_E_clISt17integral_constantIbLb0EES17_EEDaS12_S13_EUlS12_E_NS1_11comp_targetILNS1_3genE8ELNS1_11target_archE1030ELNS1_3gpuE2ELNS1_3repE0EEENS1_30default_config_static_selectorELNS0_4arch9wavefront6targetE1EEEvT1_
	.p2align	8
	.type	_ZN7rocprim17ROCPRIM_400000_NS6detail17trampoline_kernelINS0_14default_configENS1_25partition_config_selectorILNS1_17partition_subalgoE8EtNS0_10empty_typeEbEEZZNS1_14partition_implILS5_8ELb0ES3_jPKtPS6_PKS6_NS0_5tupleIJPtS6_EEENSE_IJSB_SB_EEENS0_18inequality_wrapperIN6hipcub16HIPCUB_304000_NS8EqualityEEEPlJS6_EEE10hipError_tPvRmT3_T4_T5_T6_T7_T9_mT8_P12ihipStream_tbDpT10_ENKUlT_T0_E_clISt17integral_constantIbLb0EES17_EEDaS12_S13_EUlS12_E_NS1_11comp_targetILNS1_3genE8ELNS1_11target_archE1030ELNS1_3gpuE2ELNS1_3repE0EEENS1_30default_config_static_selectorELNS0_4arch9wavefront6targetE1EEEvT1_,@function
_ZN7rocprim17ROCPRIM_400000_NS6detail17trampoline_kernelINS0_14default_configENS1_25partition_config_selectorILNS1_17partition_subalgoE8EtNS0_10empty_typeEbEEZZNS1_14partition_implILS5_8ELb0ES3_jPKtPS6_PKS6_NS0_5tupleIJPtS6_EEENSE_IJSB_SB_EEENS0_18inequality_wrapperIN6hipcub16HIPCUB_304000_NS8EqualityEEEPlJS6_EEE10hipError_tPvRmT3_T4_T5_T6_T7_T9_mT8_P12ihipStream_tbDpT10_ENKUlT_T0_E_clISt17integral_constantIbLb0EES17_EEDaS12_S13_EUlS12_E_NS1_11comp_targetILNS1_3genE8ELNS1_11target_archE1030ELNS1_3gpuE2ELNS1_3repE0EEENS1_30default_config_static_selectorELNS0_4arch9wavefront6targetE1EEEvT1_: ; @_ZN7rocprim17ROCPRIM_400000_NS6detail17trampoline_kernelINS0_14default_configENS1_25partition_config_selectorILNS1_17partition_subalgoE8EtNS0_10empty_typeEbEEZZNS1_14partition_implILS5_8ELb0ES3_jPKtPS6_PKS6_NS0_5tupleIJPtS6_EEENSE_IJSB_SB_EEENS0_18inequality_wrapperIN6hipcub16HIPCUB_304000_NS8EqualityEEEPlJS6_EEE10hipError_tPvRmT3_T4_T5_T6_T7_T9_mT8_P12ihipStream_tbDpT10_ENKUlT_T0_E_clISt17integral_constantIbLb0EES17_EEDaS12_S13_EUlS12_E_NS1_11comp_targetILNS1_3genE8ELNS1_11target_archE1030ELNS1_3gpuE2ELNS1_3repE0EEENS1_30default_config_static_selectorELNS0_4arch9wavefront6targetE1EEEvT1_
; %bb.0:
	.section	.rodata,"a",@progbits
	.p2align	6, 0x0
	.amdhsa_kernel _ZN7rocprim17ROCPRIM_400000_NS6detail17trampoline_kernelINS0_14default_configENS1_25partition_config_selectorILNS1_17partition_subalgoE8EtNS0_10empty_typeEbEEZZNS1_14partition_implILS5_8ELb0ES3_jPKtPS6_PKS6_NS0_5tupleIJPtS6_EEENSE_IJSB_SB_EEENS0_18inequality_wrapperIN6hipcub16HIPCUB_304000_NS8EqualityEEEPlJS6_EEE10hipError_tPvRmT3_T4_T5_T6_T7_T9_mT8_P12ihipStream_tbDpT10_ENKUlT_T0_E_clISt17integral_constantIbLb0EES17_EEDaS12_S13_EUlS12_E_NS1_11comp_targetILNS1_3genE8ELNS1_11target_archE1030ELNS1_3gpuE2ELNS1_3repE0EEENS1_30default_config_static_selectorELNS0_4arch9wavefront6targetE1EEEvT1_
		.amdhsa_group_segment_fixed_size 0
		.amdhsa_private_segment_fixed_size 0
		.amdhsa_kernarg_size 112
		.amdhsa_user_sgpr_count 6
		.amdhsa_user_sgpr_private_segment_buffer 1
		.amdhsa_user_sgpr_dispatch_ptr 0
		.amdhsa_user_sgpr_queue_ptr 0
		.amdhsa_user_sgpr_kernarg_segment_ptr 1
		.amdhsa_user_sgpr_dispatch_id 0
		.amdhsa_user_sgpr_flat_scratch_init 0
		.amdhsa_user_sgpr_kernarg_preload_length 0
		.amdhsa_user_sgpr_kernarg_preload_offset 0
		.amdhsa_user_sgpr_private_segment_size 0
		.amdhsa_uses_dynamic_stack 0
		.amdhsa_system_sgpr_private_segment_wavefront_offset 0
		.amdhsa_system_sgpr_workgroup_id_x 1
		.amdhsa_system_sgpr_workgroup_id_y 0
		.amdhsa_system_sgpr_workgroup_id_z 0
		.amdhsa_system_sgpr_workgroup_info 0
		.amdhsa_system_vgpr_workitem_id 0
		.amdhsa_next_free_vgpr 1
		.amdhsa_next_free_sgpr 0
		.amdhsa_accum_offset 4
		.amdhsa_reserve_vcc 0
		.amdhsa_reserve_flat_scratch 0
		.amdhsa_float_round_mode_32 0
		.amdhsa_float_round_mode_16_64 0
		.amdhsa_float_denorm_mode_32 3
		.amdhsa_float_denorm_mode_16_64 3
		.amdhsa_dx10_clamp 1
		.amdhsa_ieee_mode 1
		.amdhsa_fp16_overflow 0
		.amdhsa_tg_split 0
		.amdhsa_exception_fp_ieee_invalid_op 0
		.amdhsa_exception_fp_denorm_src 0
		.amdhsa_exception_fp_ieee_div_zero 0
		.amdhsa_exception_fp_ieee_overflow 0
		.amdhsa_exception_fp_ieee_underflow 0
		.amdhsa_exception_fp_ieee_inexact 0
		.amdhsa_exception_int_div_zero 0
	.end_amdhsa_kernel
	.section	.text._ZN7rocprim17ROCPRIM_400000_NS6detail17trampoline_kernelINS0_14default_configENS1_25partition_config_selectorILNS1_17partition_subalgoE8EtNS0_10empty_typeEbEEZZNS1_14partition_implILS5_8ELb0ES3_jPKtPS6_PKS6_NS0_5tupleIJPtS6_EEENSE_IJSB_SB_EEENS0_18inequality_wrapperIN6hipcub16HIPCUB_304000_NS8EqualityEEEPlJS6_EEE10hipError_tPvRmT3_T4_T5_T6_T7_T9_mT8_P12ihipStream_tbDpT10_ENKUlT_T0_E_clISt17integral_constantIbLb0EES17_EEDaS12_S13_EUlS12_E_NS1_11comp_targetILNS1_3genE8ELNS1_11target_archE1030ELNS1_3gpuE2ELNS1_3repE0EEENS1_30default_config_static_selectorELNS0_4arch9wavefront6targetE1EEEvT1_,"axG",@progbits,_ZN7rocprim17ROCPRIM_400000_NS6detail17trampoline_kernelINS0_14default_configENS1_25partition_config_selectorILNS1_17partition_subalgoE8EtNS0_10empty_typeEbEEZZNS1_14partition_implILS5_8ELb0ES3_jPKtPS6_PKS6_NS0_5tupleIJPtS6_EEENSE_IJSB_SB_EEENS0_18inequality_wrapperIN6hipcub16HIPCUB_304000_NS8EqualityEEEPlJS6_EEE10hipError_tPvRmT3_T4_T5_T6_T7_T9_mT8_P12ihipStream_tbDpT10_ENKUlT_T0_E_clISt17integral_constantIbLb0EES17_EEDaS12_S13_EUlS12_E_NS1_11comp_targetILNS1_3genE8ELNS1_11target_archE1030ELNS1_3gpuE2ELNS1_3repE0EEENS1_30default_config_static_selectorELNS0_4arch9wavefront6targetE1EEEvT1_,comdat
.Lfunc_end762:
	.size	_ZN7rocprim17ROCPRIM_400000_NS6detail17trampoline_kernelINS0_14default_configENS1_25partition_config_selectorILNS1_17partition_subalgoE8EtNS0_10empty_typeEbEEZZNS1_14partition_implILS5_8ELb0ES3_jPKtPS6_PKS6_NS0_5tupleIJPtS6_EEENSE_IJSB_SB_EEENS0_18inequality_wrapperIN6hipcub16HIPCUB_304000_NS8EqualityEEEPlJS6_EEE10hipError_tPvRmT3_T4_T5_T6_T7_T9_mT8_P12ihipStream_tbDpT10_ENKUlT_T0_E_clISt17integral_constantIbLb0EES17_EEDaS12_S13_EUlS12_E_NS1_11comp_targetILNS1_3genE8ELNS1_11target_archE1030ELNS1_3gpuE2ELNS1_3repE0EEENS1_30default_config_static_selectorELNS0_4arch9wavefront6targetE1EEEvT1_, .Lfunc_end762-_ZN7rocprim17ROCPRIM_400000_NS6detail17trampoline_kernelINS0_14default_configENS1_25partition_config_selectorILNS1_17partition_subalgoE8EtNS0_10empty_typeEbEEZZNS1_14partition_implILS5_8ELb0ES3_jPKtPS6_PKS6_NS0_5tupleIJPtS6_EEENSE_IJSB_SB_EEENS0_18inequality_wrapperIN6hipcub16HIPCUB_304000_NS8EqualityEEEPlJS6_EEE10hipError_tPvRmT3_T4_T5_T6_T7_T9_mT8_P12ihipStream_tbDpT10_ENKUlT_T0_E_clISt17integral_constantIbLb0EES17_EEDaS12_S13_EUlS12_E_NS1_11comp_targetILNS1_3genE8ELNS1_11target_archE1030ELNS1_3gpuE2ELNS1_3repE0EEENS1_30default_config_static_selectorELNS0_4arch9wavefront6targetE1EEEvT1_
                                        ; -- End function
	.section	.AMDGPU.csdata,"",@progbits
; Kernel info:
; codeLenInByte = 0
; NumSgprs: 4
; NumVgprs: 0
; NumAgprs: 0
; TotalNumVgprs: 0
; ScratchSize: 0
; MemoryBound: 0
; FloatMode: 240
; IeeeMode: 1
; LDSByteSize: 0 bytes/workgroup (compile time only)
; SGPRBlocks: 0
; VGPRBlocks: 0
; NumSGPRsForWavesPerEU: 4
; NumVGPRsForWavesPerEU: 1
; AccumOffset: 4
; Occupancy: 8
; WaveLimiterHint : 0
; COMPUTE_PGM_RSRC2:SCRATCH_EN: 0
; COMPUTE_PGM_RSRC2:USER_SGPR: 6
; COMPUTE_PGM_RSRC2:TRAP_HANDLER: 0
; COMPUTE_PGM_RSRC2:TGID_X_EN: 1
; COMPUTE_PGM_RSRC2:TGID_Y_EN: 0
; COMPUTE_PGM_RSRC2:TGID_Z_EN: 0
; COMPUTE_PGM_RSRC2:TIDIG_COMP_CNT: 0
; COMPUTE_PGM_RSRC3_GFX90A:ACCUM_OFFSET: 0
; COMPUTE_PGM_RSRC3_GFX90A:TG_SPLIT: 0
	.section	.text._ZN7rocprim17ROCPRIM_400000_NS6detail17trampoline_kernelINS0_14default_configENS1_25partition_config_selectorILNS1_17partition_subalgoE8EtNS0_10empty_typeEbEEZZNS1_14partition_implILS5_8ELb0ES3_jPKtPS6_PKS6_NS0_5tupleIJPtS6_EEENSE_IJSB_SB_EEENS0_18inequality_wrapperIN6hipcub16HIPCUB_304000_NS8EqualityEEEPlJS6_EEE10hipError_tPvRmT3_T4_T5_T6_T7_T9_mT8_P12ihipStream_tbDpT10_ENKUlT_T0_E_clISt17integral_constantIbLb1EES17_EEDaS12_S13_EUlS12_E_NS1_11comp_targetILNS1_3genE0ELNS1_11target_archE4294967295ELNS1_3gpuE0ELNS1_3repE0EEENS1_30default_config_static_selectorELNS0_4arch9wavefront6targetE1EEEvT1_,"axG",@progbits,_ZN7rocprim17ROCPRIM_400000_NS6detail17trampoline_kernelINS0_14default_configENS1_25partition_config_selectorILNS1_17partition_subalgoE8EtNS0_10empty_typeEbEEZZNS1_14partition_implILS5_8ELb0ES3_jPKtPS6_PKS6_NS0_5tupleIJPtS6_EEENSE_IJSB_SB_EEENS0_18inequality_wrapperIN6hipcub16HIPCUB_304000_NS8EqualityEEEPlJS6_EEE10hipError_tPvRmT3_T4_T5_T6_T7_T9_mT8_P12ihipStream_tbDpT10_ENKUlT_T0_E_clISt17integral_constantIbLb1EES17_EEDaS12_S13_EUlS12_E_NS1_11comp_targetILNS1_3genE0ELNS1_11target_archE4294967295ELNS1_3gpuE0ELNS1_3repE0EEENS1_30default_config_static_selectorELNS0_4arch9wavefront6targetE1EEEvT1_,comdat
	.protected	_ZN7rocprim17ROCPRIM_400000_NS6detail17trampoline_kernelINS0_14default_configENS1_25partition_config_selectorILNS1_17partition_subalgoE8EtNS0_10empty_typeEbEEZZNS1_14partition_implILS5_8ELb0ES3_jPKtPS6_PKS6_NS0_5tupleIJPtS6_EEENSE_IJSB_SB_EEENS0_18inequality_wrapperIN6hipcub16HIPCUB_304000_NS8EqualityEEEPlJS6_EEE10hipError_tPvRmT3_T4_T5_T6_T7_T9_mT8_P12ihipStream_tbDpT10_ENKUlT_T0_E_clISt17integral_constantIbLb1EES17_EEDaS12_S13_EUlS12_E_NS1_11comp_targetILNS1_3genE0ELNS1_11target_archE4294967295ELNS1_3gpuE0ELNS1_3repE0EEENS1_30default_config_static_selectorELNS0_4arch9wavefront6targetE1EEEvT1_ ; -- Begin function _ZN7rocprim17ROCPRIM_400000_NS6detail17trampoline_kernelINS0_14default_configENS1_25partition_config_selectorILNS1_17partition_subalgoE8EtNS0_10empty_typeEbEEZZNS1_14partition_implILS5_8ELb0ES3_jPKtPS6_PKS6_NS0_5tupleIJPtS6_EEENSE_IJSB_SB_EEENS0_18inequality_wrapperIN6hipcub16HIPCUB_304000_NS8EqualityEEEPlJS6_EEE10hipError_tPvRmT3_T4_T5_T6_T7_T9_mT8_P12ihipStream_tbDpT10_ENKUlT_T0_E_clISt17integral_constantIbLb1EES17_EEDaS12_S13_EUlS12_E_NS1_11comp_targetILNS1_3genE0ELNS1_11target_archE4294967295ELNS1_3gpuE0ELNS1_3repE0EEENS1_30default_config_static_selectorELNS0_4arch9wavefront6targetE1EEEvT1_
	.globl	_ZN7rocprim17ROCPRIM_400000_NS6detail17trampoline_kernelINS0_14default_configENS1_25partition_config_selectorILNS1_17partition_subalgoE8EtNS0_10empty_typeEbEEZZNS1_14partition_implILS5_8ELb0ES3_jPKtPS6_PKS6_NS0_5tupleIJPtS6_EEENSE_IJSB_SB_EEENS0_18inequality_wrapperIN6hipcub16HIPCUB_304000_NS8EqualityEEEPlJS6_EEE10hipError_tPvRmT3_T4_T5_T6_T7_T9_mT8_P12ihipStream_tbDpT10_ENKUlT_T0_E_clISt17integral_constantIbLb1EES17_EEDaS12_S13_EUlS12_E_NS1_11comp_targetILNS1_3genE0ELNS1_11target_archE4294967295ELNS1_3gpuE0ELNS1_3repE0EEENS1_30default_config_static_selectorELNS0_4arch9wavefront6targetE1EEEvT1_
	.p2align	8
	.type	_ZN7rocprim17ROCPRIM_400000_NS6detail17trampoline_kernelINS0_14default_configENS1_25partition_config_selectorILNS1_17partition_subalgoE8EtNS0_10empty_typeEbEEZZNS1_14partition_implILS5_8ELb0ES3_jPKtPS6_PKS6_NS0_5tupleIJPtS6_EEENSE_IJSB_SB_EEENS0_18inequality_wrapperIN6hipcub16HIPCUB_304000_NS8EqualityEEEPlJS6_EEE10hipError_tPvRmT3_T4_T5_T6_T7_T9_mT8_P12ihipStream_tbDpT10_ENKUlT_T0_E_clISt17integral_constantIbLb1EES17_EEDaS12_S13_EUlS12_E_NS1_11comp_targetILNS1_3genE0ELNS1_11target_archE4294967295ELNS1_3gpuE0ELNS1_3repE0EEENS1_30default_config_static_selectorELNS0_4arch9wavefront6targetE1EEEvT1_,@function
_ZN7rocprim17ROCPRIM_400000_NS6detail17trampoline_kernelINS0_14default_configENS1_25partition_config_selectorILNS1_17partition_subalgoE8EtNS0_10empty_typeEbEEZZNS1_14partition_implILS5_8ELb0ES3_jPKtPS6_PKS6_NS0_5tupleIJPtS6_EEENSE_IJSB_SB_EEENS0_18inequality_wrapperIN6hipcub16HIPCUB_304000_NS8EqualityEEEPlJS6_EEE10hipError_tPvRmT3_T4_T5_T6_T7_T9_mT8_P12ihipStream_tbDpT10_ENKUlT_T0_E_clISt17integral_constantIbLb1EES17_EEDaS12_S13_EUlS12_E_NS1_11comp_targetILNS1_3genE0ELNS1_11target_archE4294967295ELNS1_3gpuE0ELNS1_3repE0EEENS1_30default_config_static_selectorELNS0_4arch9wavefront6targetE1EEEvT1_: ; @_ZN7rocprim17ROCPRIM_400000_NS6detail17trampoline_kernelINS0_14default_configENS1_25partition_config_selectorILNS1_17partition_subalgoE8EtNS0_10empty_typeEbEEZZNS1_14partition_implILS5_8ELb0ES3_jPKtPS6_PKS6_NS0_5tupleIJPtS6_EEENSE_IJSB_SB_EEENS0_18inequality_wrapperIN6hipcub16HIPCUB_304000_NS8EqualityEEEPlJS6_EEE10hipError_tPvRmT3_T4_T5_T6_T7_T9_mT8_P12ihipStream_tbDpT10_ENKUlT_T0_E_clISt17integral_constantIbLb1EES17_EEDaS12_S13_EUlS12_E_NS1_11comp_targetILNS1_3genE0ELNS1_11target_archE4294967295ELNS1_3gpuE0ELNS1_3repE0EEENS1_30default_config_static_selectorELNS0_4arch9wavefront6targetE1EEEvT1_
; %bb.0:
	.section	.rodata,"a",@progbits
	.p2align	6, 0x0
	.amdhsa_kernel _ZN7rocprim17ROCPRIM_400000_NS6detail17trampoline_kernelINS0_14default_configENS1_25partition_config_selectorILNS1_17partition_subalgoE8EtNS0_10empty_typeEbEEZZNS1_14partition_implILS5_8ELb0ES3_jPKtPS6_PKS6_NS0_5tupleIJPtS6_EEENSE_IJSB_SB_EEENS0_18inequality_wrapperIN6hipcub16HIPCUB_304000_NS8EqualityEEEPlJS6_EEE10hipError_tPvRmT3_T4_T5_T6_T7_T9_mT8_P12ihipStream_tbDpT10_ENKUlT_T0_E_clISt17integral_constantIbLb1EES17_EEDaS12_S13_EUlS12_E_NS1_11comp_targetILNS1_3genE0ELNS1_11target_archE4294967295ELNS1_3gpuE0ELNS1_3repE0EEENS1_30default_config_static_selectorELNS0_4arch9wavefront6targetE1EEEvT1_
		.amdhsa_group_segment_fixed_size 0
		.amdhsa_private_segment_fixed_size 0
		.amdhsa_kernarg_size 128
		.amdhsa_user_sgpr_count 6
		.amdhsa_user_sgpr_private_segment_buffer 1
		.amdhsa_user_sgpr_dispatch_ptr 0
		.amdhsa_user_sgpr_queue_ptr 0
		.amdhsa_user_sgpr_kernarg_segment_ptr 1
		.amdhsa_user_sgpr_dispatch_id 0
		.amdhsa_user_sgpr_flat_scratch_init 0
		.amdhsa_user_sgpr_kernarg_preload_length 0
		.amdhsa_user_sgpr_kernarg_preload_offset 0
		.amdhsa_user_sgpr_private_segment_size 0
		.amdhsa_uses_dynamic_stack 0
		.amdhsa_system_sgpr_private_segment_wavefront_offset 0
		.amdhsa_system_sgpr_workgroup_id_x 1
		.amdhsa_system_sgpr_workgroup_id_y 0
		.amdhsa_system_sgpr_workgroup_id_z 0
		.amdhsa_system_sgpr_workgroup_info 0
		.amdhsa_system_vgpr_workitem_id 0
		.amdhsa_next_free_vgpr 1
		.amdhsa_next_free_sgpr 0
		.amdhsa_accum_offset 4
		.amdhsa_reserve_vcc 0
		.amdhsa_reserve_flat_scratch 0
		.amdhsa_float_round_mode_32 0
		.amdhsa_float_round_mode_16_64 0
		.amdhsa_float_denorm_mode_32 3
		.amdhsa_float_denorm_mode_16_64 3
		.amdhsa_dx10_clamp 1
		.amdhsa_ieee_mode 1
		.amdhsa_fp16_overflow 0
		.amdhsa_tg_split 0
		.amdhsa_exception_fp_ieee_invalid_op 0
		.amdhsa_exception_fp_denorm_src 0
		.amdhsa_exception_fp_ieee_div_zero 0
		.amdhsa_exception_fp_ieee_overflow 0
		.amdhsa_exception_fp_ieee_underflow 0
		.amdhsa_exception_fp_ieee_inexact 0
		.amdhsa_exception_int_div_zero 0
	.end_amdhsa_kernel
	.section	.text._ZN7rocprim17ROCPRIM_400000_NS6detail17trampoline_kernelINS0_14default_configENS1_25partition_config_selectorILNS1_17partition_subalgoE8EtNS0_10empty_typeEbEEZZNS1_14partition_implILS5_8ELb0ES3_jPKtPS6_PKS6_NS0_5tupleIJPtS6_EEENSE_IJSB_SB_EEENS0_18inequality_wrapperIN6hipcub16HIPCUB_304000_NS8EqualityEEEPlJS6_EEE10hipError_tPvRmT3_T4_T5_T6_T7_T9_mT8_P12ihipStream_tbDpT10_ENKUlT_T0_E_clISt17integral_constantIbLb1EES17_EEDaS12_S13_EUlS12_E_NS1_11comp_targetILNS1_3genE0ELNS1_11target_archE4294967295ELNS1_3gpuE0ELNS1_3repE0EEENS1_30default_config_static_selectorELNS0_4arch9wavefront6targetE1EEEvT1_,"axG",@progbits,_ZN7rocprim17ROCPRIM_400000_NS6detail17trampoline_kernelINS0_14default_configENS1_25partition_config_selectorILNS1_17partition_subalgoE8EtNS0_10empty_typeEbEEZZNS1_14partition_implILS5_8ELb0ES3_jPKtPS6_PKS6_NS0_5tupleIJPtS6_EEENSE_IJSB_SB_EEENS0_18inequality_wrapperIN6hipcub16HIPCUB_304000_NS8EqualityEEEPlJS6_EEE10hipError_tPvRmT3_T4_T5_T6_T7_T9_mT8_P12ihipStream_tbDpT10_ENKUlT_T0_E_clISt17integral_constantIbLb1EES17_EEDaS12_S13_EUlS12_E_NS1_11comp_targetILNS1_3genE0ELNS1_11target_archE4294967295ELNS1_3gpuE0ELNS1_3repE0EEENS1_30default_config_static_selectorELNS0_4arch9wavefront6targetE1EEEvT1_,comdat
.Lfunc_end763:
	.size	_ZN7rocprim17ROCPRIM_400000_NS6detail17trampoline_kernelINS0_14default_configENS1_25partition_config_selectorILNS1_17partition_subalgoE8EtNS0_10empty_typeEbEEZZNS1_14partition_implILS5_8ELb0ES3_jPKtPS6_PKS6_NS0_5tupleIJPtS6_EEENSE_IJSB_SB_EEENS0_18inequality_wrapperIN6hipcub16HIPCUB_304000_NS8EqualityEEEPlJS6_EEE10hipError_tPvRmT3_T4_T5_T6_T7_T9_mT8_P12ihipStream_tbDpT10_ENKUlT_T0_E_clISt17integral_constantIbLb1EES17_EEDaS12_S13_EUlS12_E_NS1_11comp_targetILNS1_3genE0ELNS1_11target_archE4294967295ELNS1_3gpuE0ELNS1_3repE0EEENS1_30default_config_static_selectorELNS0_4arch9wavefront6targetE1EEEvT1_, .Lfunc_end763-_ZN7rocprim17ROCPRIM_400000_NS6detail17trampoline_kernelINS0_14default_configENS1_25partition_config_selectorILNS1_17partition_subalgoE8EtNS0_10empty_typeEbEEZZNS1_14partition_implILS5_8ELb0ES3_jPKtPS6_PKS6_NS0_5tupleIJPtS6_EEENSE_IJSB_SB_EEENS0_18inequality_wrapperIN6hipcub16HIPCUB_304000_NS8EqualityEEEPlJS6_EEE10hipError_tPvRmT3_T4_T5_T6_T7_T9_mT8_P12ihipStream_tbDpT10_ENKUlT_T0_E_clISt17integral_constantIbLb1EES17_EEDaS12_S13_EUlS12_E_NS1_11comp_targetILNS1_3genE0ELNS1_11target_archE4294967295ELNS1_3gpuE0ELNS1_3repE0EEENS1_30default_config_static_selectorELNS0_4arch9wavefront6targetE1EEEvT1_
                                        ; -- End function
	.section	.AMDGPU.csdata,"",@progbits
; Kernel info:
; codeLenInByte = 0
; NumSgprs: 4
; NumVgprs: 0
; NumAgprs: 0
; TotalNumVgprs: 0
; ScratchSize: 0
; MemoryBound: 0
; FloatMode: 240
; IeeeMode: 1
; LDSByteSize: 0 bytes/workgroup (compile time only)
; SGPRBlocks: 0
; VGPRBlocks: 0
; NumSGPRsForWavesPerEU: 4
; NumVGPRsForWavesPerEU: 1
; AccumOffset: 4
; Occupancy: 8
; WaveLimiterHint : 0
; COMPUTE_PGM_RSRC2:SCRATCH_EN: 0
; COMPUTE_PGM_RSRC2:USER_SGPR: 6
; COMPUTE_PGM_RSRC2:TRAP_HANDLER: 0
; COMPUTE_PGM_RSRC2:TGID_X_EN: 1
; COMPUTE_PGM_RSRC2:TGID_Y_EN: 0
; COMPUTE_PGM_RSRC2:TGID_Z_EN: 0
; COMPUTE_PGM_RSRC2:TIDIG_COMP_CNT: 0
; COMPUTE_PGM_RSRC3_GFX90A:ACCUM_OFFSET: 0
; COMPUTE_PGM_RSRC3_GFX90A:TG_SPLIT: 0
	.section	.text._ZN7rocprim17ROCPRIM_400000_NS6detail17trampoline_kernelINS0_14default_configENS1_25partition_config_selectorILNS1_17partition_subalgoE8EtNS0_10empty_typeEbEEZZNS1_14partition_implILS5_8ELb0ES3_jPKtPS6_PKS6_NS0_5tupleIJPtS6_EEENSE_IJSB_SB_EEENS0_18inequality_wrapperIN6hipcub16HIPCUB_304000_NS8EqualityEEEPlJS6_EEE10hipError_tPvRmT3_T4_T5_T6_T7_T9_mT8_P12ihipStream_tbDpT10_ENKUlT_T0_E_clISt17integral_constantIbLb1EES17_EEDaS12_S13_EUlS12_E_NS1_11comp_targetILNS1_3genE5ELNS1_11target_archE942ELNS1_3gpuE9ELNS1_3repE0EEENS1_30default_config_static_selectorELNS0_4arch9wavefront6targetE1EEEvT1_,"axG",@progbits,_ZN7rocprim17ROCPRIM_400000_NS6detail17trampoline_kernelINS0_14default_configENS1_25partition_config_selectorILNS1_17partition_subalgoE8EtNS0_10empty_typeEbEEZZNS1_14partition_implILS5_8ELb0ES3_jPKtPS6_PKS6_NS0_5tupleIJPtS6_EEENSE_IJSB_SB_EEENS0_18inequality_wrapperIN6hipcub16HIPCUB_304000_NS8EqualityEEEPlJS6_EEE10hipError_tPvRmT3_T4_T5_T6_T7_T9_mT8_P12ihipStream_tbDpT10_ENKUlT_T0_E_clISt17integral_constantIbLb1EES17_EEDaS12_S13_EUlS12_E_NS1_11comp_targetILNS1_3genE5ELNS1_11target_archE942ELNS1_3gpuE9ELNS1_3repE0EEENS1_30default_config_static_selectorELNS0_4arch9wavefront6targetE1EEEvT1_,comdat
	.protected	_ZN7rocprim17ROCPRIM_400000_NS6detail17trampoline_kernelINS0_14default_configENS1_25partition_config_selectorILNS1_17partition_subalgoE8EtNS0_10empty_typeEbEEZZNS1_14partition_implILS5_8ELb0ES3_jPKtPS6_PKS6_NS0_5tupleIJPtS6_EEENSE_IJSB_SB_EEENS0_18inequality_wrapperIN6hipcub16HIPCUB_304000_NS8EqualityEEEPlJS6_EEE10hipError_tPvRmT3_T4_T5_T6_T7_T9_mT8_P12ihipStream_tbDpT10_ENKUlT_T0_E_clISt17integral_constantIbLb1EES17_EEDaS12_S13_EUlS12_E_NS1_11comp_targetILNS1_3genE5ELNS1_11target_archE942ELNS1_3gpuE9ELNS1_3repE0EEENS1_30default_config_static_selectorELNS0_4arch9wavefront6targetE1EEEvT1_ ; -- Begin function _ZN7rocprim17ROCPRIM_400000_NS6detail17trampoline_kernelINS0_14default_configENS1_25partition_config_selectorILNS1_17partition_subalgoE8EtNS0_10empty_typeEbEEZZNS1_14partition_implILS5_8ELb0ES3_jPKtPS6_PKS6_NS0_5tupleIJPtS6_EEENSE_IJSB_SB_EEENS0_18inequality_wrapperIN6hipcub16HIPCUB_304000_NS8EqualityEEEPlJS6_EEE10hipError_tPvRmT3_T4_T5_T6_T7_T9_mT8_P12ihipStream_tbDpT10_ENKUlT_T0_E_clISt17integral_constantIbLb1EES17_EEDaS12_S13_EUlS12_E_NS1_11comp_targetILNS1_3genE5ELNS1_11target_archE942ELNS1_3gpuE9ELNS1_3repE0EEENS1_30default_config_static_selectorELNS0_4arch9wavefront6targetE1EEEvT1_
	.globl	_ZN7rocprim17ROCPRIM_400000_NS6detail17trampoline_kernelINS0_14default_configENS1_25partition_config_selectorILNS1_17partition_subalgoE8EtNS0_10empty_typeEbEEZZNS1_14partition_implILS5_8ELb0ES3_jPKtPS6_PKS6_NS0_5tupleIJPtS6_EEENSE_IJSB_SB_EEENS0_18inequality_wrapperIN6hipcub16HIPCUB_304000_NS8EqualityEEEPlJS6_EEE10hipError_tPvRmT3_T4_T5_T6_T7_T9_mT8_P12ihipStream_tbDpT10_ENKUlT_T0_E_clISt17integral_constantIbLb1EES17_EEDaS12_S13_EUlS12_E_NS1_11comp_targetILNS1_3genE5ELNS1_11target_archE942ELNS1_3gpuE9ELNS1_3repE0EEENS1_30default_config_static_selectorELNS0_4arch9wavefront6targetE1EEEvT1_
	.p2align	8
	.type	_ZN7rocprim17ROCPRIM_400000_NS6detail17trampoline_kernelINS0_14default_configENS1_25partition_config_selectorILNS1_17partition_subalgoE8EtNS0_10empty_typeEbEEZZNS1_14partition_implILS5_8ELb0ES3_jPKtPS6_PKS6_NS0_5tupleIJPtS6_EEENSE_IJSB_SB_EEENS0_18inequality_wrapperIN6hipcub16HIPCUB_304000_NS8EqualityEEEPlJS6_EEE10hipError_tPvRmT3_T4_T5_T6_T7_T9_mT8_P12ihipStream_tbDpT10_ENKUlT_T0_E_clISt17integral_constantIbLb1EES17_EEDaS12_S13_EUlS12_E_NS1_11comp_targetILNS1_3genE5ELNS1_11target_archE942ELNS1_3gpuE9ELNS1_3repE0EEENS1_30default_config_static_selectorELNS0_4arch9wavefront6targetE1EEEvT1_,@function
_ZN7rocprim17ROCPRIM_400000_NS6detail17trampoline_kernelINS0_14default_configENS1_25partition_config_selectorILNS1_17partition_subalgoE8EtNS0_10empty_typeEbEEZZNS1_14partition_implILS5_8ELb0ES3_jPKtPS6_PKS6_NS0_5tupleIJPtS6_EEENSE_IJSB_SB_EEENS0_18inequality_wrapperIN6hipcub16HIPCUB_304000_NS8EqualityEEEPlJS6_EEE10hipError_tPvRmT3_T4_T5_T6_T7_T9_mT8_P12ihipStream_tbDpT10_ENKUlT_T0_E_clISt17integral_constantIbLb1EES17_EEDaS12_S13_EUlS12_E_NS1_11comp_targetILNS1_3genE5ELNS1_11target_archE942ELNS1_3gpuE9ELNS1_3repE0EEENS1_30default_config_static_selectorELNS0_4arch9wavefront6targetE1EEEvT1_: ; @_ZN7rocprim17ROCPRIM_400000_NS6detail17trampoline_kernelINS0_14default_configENS1_25partition_config_selectorILNS1_17partition_subalgoE8EtNS0_10empty_typeEbEEZZNS1_14partition_implILS5_8ELb0ES3_jPKtPS6_PKS6_NS0_5tupleIJPtS6_EEENSE_IJSB_SB_EEENS0_18inequality_wrapperIN6hipcub16HIPCUB_304000_NS8EqualityEEEPlJS6_EEE10hipError_tPvRmT3_T4_T5_T6_T7_T9_mT8_P12ihipStream_tbDpT10_ENKUlT_T0_E_clISt17integral_constantIbLb1EES17_EEDaS12_S13_EUlS12_E_NS1_11comp_targetILNS1_3genE5ELNS1_11target_archE942ELNS1_3gpuE9ELNS1_3repE0EEENS1_30default_config_static_selectorELNS0_4arch9wavefront6targetE1EEEvT1_
; %bb.0:
	.section	.rodata,"a",@progbits
	.p2align	6, 0x0
	.amdhsa_kernel _ZN7rocprim17ROCPRIM_400000_NS6detail17trampoline_kernelINS0_14default_configENS1_25partition_config_selectorILNS1_17partition_subalgoE8EtNS0_10empty_typeEbEEZZNS1_14partition_implILS5_8ELb0ES3_jPKtPS6_PKS6_NS0_5tupleIJPtS6_EEENSE_IJSB_SB_EEENS0_18inequality_wrapperIN6hipcub16HIPCUB_304000_NS8EqualityEEEPlJS6_EEE10hipError_tPvRmT3_T4_T5_T6_T7_T9_mT8_P12ihipStream_tbDpT10_ENKUlT_T0_E_clISt17integral_constantIbLb1EES17_EEDaS12_S13_EUlS12_E_NS1_11comp_targetILNS1_3genE5ELNS1_11target_archE942ELNS1_3gpuE9ELNS1_3repE0EEENS1_30default_config_static_selectorELNS0_4arch9wavefront6targetE1EEEvT1_
		.amdhsa_group_segment_fixed_size 0
		.amdhsa_private_segment_fixed_size 0
		.amdhsa_kernarg_size 128
		.amdhsa_user_sgpr_count 6
		.amdhsa_user_sgpr_private_segment_buffer 1
		.amdhsa_user_sgpr_dispatch_ptr 0
		.amdhsa_user_sgpr_queue_ptr 0
		.amdhsa_user_sgpr_kernarg_segment_ptr 1
		.amdhsa_user_sgpr_dispatch_id 0
		.amdhsa_user_sgpr_flat_scratch_init 0
		.amdhsa_user_sgpr_kernarg_preload_length 0
		.amdhsa_user_sgpr_kernarg_preload_offset 0
		.amdhsa_user_sgpr_private_segment_size 0
		.amdhsa_uses_dynamic_stack 0
		.amdhsa_system_sgpr_private_segment_wavefront_offset 0
		.amdhsa_system_sgpr_workgroup_id_x 1
		.amdhsa_system_sgpr_workgroup_id_y 0
		.amdhsa_system_sgpr_workgroup_id_z 0
		.amdhsa_system_sgpr_workgroup_info 0
		.amdhsa_system_vgpr_workitem_id 0
		.amdhsa_next_free_vgpr 1
		.amdhsa_next_free_sgpr 0
		.amdhsa_accum_offset 4
		.amdhsa_reserve_vcc 0
		.amdhsa_reserve_flat_scratch 0
		.amdhsa_float_round_mode_32 0
		.amdhsa_float_round_mode_16_64 0
		.amdhsa_float_denorm_mode_32 3
		.amdhsa_float_denorm_mode_16_64 3
		.amdhsa_dx10_clamp 1
		.amdhsa_ieee_mode 1
		.amdhsa_fp16_overflow 0
		.amdhsa_tg_split 0
		.amdhsa_exception_fp_ieee_invalid_op 0
		.amdhsa_exception_fp_denorm_src 0
		.amdhsa_exception_fp_ieee_div_zero 0
		.amdhsa_exception_fp_ieee_overflow 0
		.amdhsa_exception_fp_ieee_underflow 0
		.amdhsa_exception_fp_ieee_inexact 0
		.amdhsa_exception_int_div_zero 0
	.end_amdhsa_kernel
	.section	.text._ZN7rocprim17ROCPRIM_400000_NS6detail17trampoline_kernelINS0_14default_configENS1_25partition_config_selectorILNS1_17partition_subalgoE8EtNS0_10empty_typeEbEEZZNS1_14partition_implILS5_8ELb0ES3_jPKtPS6_PKS6_NS0_5tupleIJPtS6_EEENSE_IJSB_SB_EEENS0_18inequality_wrapperIN6hipcub16HIPCUB_304000_NS8EqualityEEEPlJS6_EEE10hipError_tPvRmT3_T4_T5_T6_T7_T9_mT8_P12ihipStream_tbDpT10_ENKUlT_T0_E_clISt17integral_constantIbLb1EES17_EEDaS12_S13_EUlS12_E_NS1_11comp_targetILNS1_3genE5ELNS1_11target_archE942ELNS1_3gpuE9ELNS1_3repE0EEENS1_30default_config_static_selectorELNS0_4arch9wavefront6targetE1EEEvT1_,"axG",@progbits,_ZN7rocprim17ROCPRIM_400000_NS6detail17trampoline_kernelINS0_14default_configENS1_25partition_config_selectorILNS1_17partition_subalgoE8EtNS0_10empty_typeEbEEZZNS1_14partition_implILS5_8ELb0ES3_jPKtPS6_PKS6_NS0_5tupleIJPtS6_EEENSE_IJSB_SB_EEENS0_18inequality_wrapperIN6hipcub16HIPCUB_304000_NS8EqualityEEEPlJS6_EEE10hipError_tPvRmT3_T4_T5_T6_T7_T9_mT8_P12ihipStream_tbDpT10_ENKUlT_T0_E_clISt17integral_constantIbLb1EES17_EEDaS12_S13_EUlS12_E_NS1_11comp_targetILNS1_3genE5ELNS1_11target_archE942ELNS1_3gpuE9ELNS1_3repE0EEENS1_30default_config_static_selectorELNS0_4arch9wavefront6targetE1EEEvT1_,comdat
.Lfunc_end764:
	.size	_ZN7rocprim17ROCPRIM_400000_NS6detail17trampoline_kernelINS0_14default_configENS1_25partition_config_selectorILNS1_17partition_subalgoE8EtNS0_10empty_typeEbEEZZNS1_14partition_implILS5_8ELb0ES3_jPKtPS6_PKS6_NS0_5tupleIJPtS6_EEENSE_IJSB_SB_EEENS0_18inequality_wrapperIN6hipcub16HIPCUB_304000_NS8EqualityEEEPlJS6_EEE10hipError_tPvRmT3_T4_T5_T6_T7_T9_mT8_P12ihipStream_tbDpT10_ENKUlT_T0_E_clISt17integral_constantIbLb1EES17_EEDaS12_S13_EUlS12_E_NS1_11comp_targetILNS1_3genE5ELNS1_11target_archE942ELNS1_3gpuE9ELNS1_3repE0EEENS1_30default_config_static_selectorELNS0_4arch9wavefront6targetE1EEEvT1_, .Lfunc_end764-_ZN7rocprim17ROCPRIM_400000_NS6detail17trampoline_kernelINS0_14default_configENS1_25partition_config_selectorILNS1_17partition_subalgoE8EtNS0_10empty_typeEbEEZZNS1_14partition_implILS5_8ELb0ES3_jPKtPS6_PKS6_NS0_5tupleIJPtS6_EEENSE_IJSB_SB_EEENS0_18inequality_wrapperIN6hipcub16HIPCUB_304000_NS8EqualityEEEPlJS6_EEE10hipError_tPvRmT3_T4_T5_T6_T7_T9_mT8_P12ihipStream_tbDpT10_ENKUlT_T0_E_clISt17integral_constantIbLb1EES17_EEDaS12_S13_EUlS12_E_NS1_11comp_targetILNS1_3genE5ELNS1_11target_archE942ELNS1_3gpuE9ELNS1_3repE0EEENS1_30default_config_static_selectorELNS0_4arch9wavefront6targetE1EEEvT1_
                                        ; -- End function
	.section	.AMDGPU.csdata,"",@progbits
; Kernel info:
; codeLenInByte = 0
; NumSgprs: 4
; NumVgprs: 0
; NumAgprs: 0
; TotalNumVgprs: 0
; ScratchSize: 0
; MemoryBound: 0
; FloatMode: 240
; IeeeMode: 1
; LDSByteSize: 0 bytes/workgroup (compile time only)
; SGPRBlocks: 0
; VGPRBlocks: 0
; NumSGPRsForWavesPerEU: 4
; NumVGPRsForWavesPerEU: 1
; AccumOffset: 4
; Occupancy: 8
; WaveLimiterHint : 0
; COMPUTE_PGM_RSRC2:SCRATCH_EN: 0
; COMPUTE_PGM_RSRC2:USER_SGPR: 6
; COMPUTE_PGM_RSRC2:TRAP_HANDLER: 0
; COMPUTE_PGM_RSRC2:TGID_X_EN: 1
; COMPUTE_PGM_RSRC2:TGID_Y_EN: 0
; COMPUTE_PGM_RSRC2:TGID_Z_EN: 0
; COMPUTE_PGM_RSRC2:TIDIG_COMP_CNT: 0
; COMPUTE_PGM_RSRC3_GFX90A:ACCUM_OFFSET: 0
; COMPUTE_PGM_RSRC3_GFX90A:TG_SPLIT: 0
	.section	.text._ZN7rocprim17ROCPRIM_400000_NS6detail17trampoline_kernelINS0_14default_configENS1_25partition_config_selectorILNS1_17partition_subalgoE8EtNS0_10empty_typeEbEEZZNS1_14partition_implILS5_8ELb0ES3_jPKtPS6_PKS6_NS0_5tupleIJPtS6_EEENSE_IJSB_SB_EEENS0_18inequality_wrapperIN6hipcub16HIPCUB_304000_NS8EqualityEEEPlJS6_EEE10hipError_tPvRmT3_T4_T5_T6_T7_T9_mT8_P12ihipStream_tbDpT10_ENKUlT_T0_E_clISt17integral_constantIbLb1EES17_EEDaS12_S13_EUlS12_E_NS1_11comp_targetILNS1_3genE4ELNS1_11target_archE910ELNS1_3gpuE8ELNS1_3repE0EEENS1_30default_config_static_selectorELNS0_4arch9wavefront6targetE1EEEvT1_,"axG",@progbits,_ZN7rocprim17ROCPRIM_400000_NS6detail17trampoline_kernelINS0_14default_configENS1_25partition_config_selectorILNS1_17partition_subalgoE8EtNS0_10empty_typeEbEEZZNS1_14partition_implILS5_8ELb0ES3_jPKtPS6_PKS6_NS0_5tupleIJPtS6_EEENSE_IJSB_SB_EEENS0_18inequality_wrapperIN6hipcub16HIPCUB_304000_NS8EqualityEEEPlJS6_EEE10hipError_tPvRmT3_T4_T5_T6_T7_T9_mT8_P12ihipStream_tbDpT10_ENKUlT_T0_E_clISt17integral_constantIbLb1EES17_EEDaS12_S13_EUlS12_E_NS1_11comp_targetILNS1_3genE4ELNS1_11target_archE910ELNS1_3gpuE8ELNS1_3repE0EEENS1_30default_config_static_selectorELNS0_4arch9wavefront6targetE1EEEvT1_,comdat
	.protected	_ZN7rocprim17ROCPRIM_400000_NS6detail17trampoline_kernelINS0_14default_configENS1_25partition_config_selectorILNS1_17partition_subalgoE8EtNS0_10empty_typeEbEEZZNS1_14partition_implILS5_8ELb0ES3_jPKtPS6_PKS6_NS0_5tupleIJPtS6_EEENSE_IJSB_SB_EEENS0_18inequality_wrapperIN6hipcub16HIPCUB_304000_NS8EqualityEEEPlJS6_EEE10hipError_tPvRmT3_T4_T5_T6_T7_T9_mT8_P12ihipStream_tbDpT10_ENKUlT_T0_E_clISt17integral_constantIbLb1EES17_EEDaS12_S13_EUlS12_E_NS1_11comp_targetILNS1_3genE4ELNS1_11target_archE910ELNS1_3gpuE8ELNS1_3repE0EEENS1_30default_config_static_selectorELNS0_4arch9wavefront6targetE1EEEvT1_ ; -- Begin function _ZN7rocprim17ROCPRIM_400000_NS6detail17trampoline_kernelINS0_14default_configENS1_25partition_config_selectorILNS1_17partition_subalgoE8EtNS0_10empty_typeEbEEZZNS1_14partition_implILS5_8ELb0ES3_jPKtPS6_PKS6_NS0_5tupleIJPtS6_EEENSE_IJSB_SB_EEENS0_18inequality_wrapperIN6hipcub16HIPCUB_304000_NS8EqualityEEEPlJS6_EEE10hipError_tPvRmT3_T4_T5_T6_T7_T9_mT8_P12ihipStream_tbDpT10_ENKUlT_T0_E_clISt17integral_constantIbLb1EES17_EEDaS12_S13_EUlS12_E_NS1_11comp_targetILNS1_3genE4ELNS1_11target_archE910ELNS1_3gpuE8ELNS1_3repE0EEENS1_30default_config_static_selectorELNS0_4arch9wavefront6targetE1EEEvT1_
	.globl	_ZN7rocprim17ROCPRIM_400000_NS6detail17trampoline_kernelINS0_14default_configENS1_25partition_config_selectorILNS1_17partition_subalgoE8EtNS0_10empty_typeEbEEZZNS1_14partition_implILS5_8ELb0ES3_jPKtPS6_PKS6_NS0_5tupleIJPtS6_EEENSE_IJSB_SB_EEENS0_18inequality_wrapperIN6hipcub16HIPCUB_304000_NS8EqualityEEEPlJS6_EEE10hipError_tPvRmT3_T4_T5_T6_T7_T9_mT8_P12ihipStream_tbDpT10_ENKUlT_T0_E_clISt17integral_constantIbLb1EES17_EEDaS12_S13_EUlS12_E_NS1_11comp_targetILNS1_3genE4ELNS1_11target_archE910ELNS1_3gpuE8ELNS1_3repE0EEENS1_30default_config_static_selectorELNS0_4arch9wavefront6targetE1EEEvT1_
	.p2align	8
	.type	_ZN7rocprim17ROCPRIM_400000_NS6detail17trampoline_kernelINS0_14default_configENS1_25partition_config_selectorILNS1_17partition_subalgoE8EtNS0_10empty_typeEbEEZZNS1_14partition_implILS5_8ELb0ES3_jPKtPS6_PKS6_NS0_5tupleIJPtS6_EEENSE_IJSB_SB_EEENS0_18inequality_wrapperIN6hipcub16HIPCUB_304000_NS8EqualityEEEPlJS6_EEE10hipError_tPvRmT3_T4_T5_T6_T7_T9_mT8_P12ihipStream_tbDpT10_ENKUlT_T0_E_clISt17integral_constantIbLb1EES17_EEDaS12_S13_EUlS12_E_NS1_11comp_targetILNS1_3genE4ELNS1_11target_archE910ELNS1_3gpuE8ELNS1_3repE0EEENS1_30default_config_static_selectorELNS0_4arch9wavefront6targetE1EEEvT1_,@function
_ZN7rocprim17ROCPRIM_400000_NS6detail17trampoline_kernelINS0_14default_configENS1_25partition_config_selectorILNS1_17partition_subalgoE8EtNS0_10empty_typeEbEEZZNS1_14partition_implILS5_8ELb0ES3_jPKtPS6_PKS6_NS0_5tupleIJPtS6_EEENSE_IJSB_SB_EEENS0_18inequality_wrapperIN6hipcub16HIPCUB_304000_NS8EqualityEEEPlJS6_EEE10hipError_tPvRmT3_T4_T5_T6_T7_T9_mT8_P12ihipStream_tbDpT10_ENKUlT_T0_E_clISt17integral_constantIbLb1EES17_EEDaS12_S13_EUlS12_E_NS1_11comp_targetILNS1_3genE4ELNS1_11target_archE910ELNS1_3gpuE8ELNS1_3repE0EEENS1_30default_config_static_selectorELNS0_4arch9wavefront6targetE1EEEvT1_: ; @_ZN7rocprim17ROCPRIM_400000_NS6detail17trampoline_kernelINS0_14default_configENS1_25partition_config_selectorILNS1_17partition_subalgoE8EtNS0_10empty_typeEbEEZZNS1_14partition_implILS5_8ELb0ES3_jPKtPS6_PKS6_NS0_5tupleIJPtS6_EEENSE_IJSB_SB_EEENS0_18inequality_wrapperIN6hipcub16HIPCUB_304000_NS8EqualityEEEPlJS6_EEE10hipError_tPvRmT3_T4_T5_T6_T7_T9_mT8_P12ihipStream_tbDpT10_ENKUlT_T0_E_clISt17integral_constantIbLb1EES17_EEDaS12_S13_EUlS12_E_NS1_11comp_targetILNS1_3genE4ELNS1_11target_archE910ELNS1_3gpuE8ELNS1_3repE0EEENS1_30default_config_static_selectorELNS0_4arch9wavefront6targetE1EEEvT1_
; %bb.0:
	s_load_dwordx2 s[52:53], s[4:5], 0x28
	s_load_dwordx4 s[48:51], s[4:5], 0x40
	s_load_dwordx2 s[6:7], s[4:5], 0x50
	s_load_dwordx2 s[56:57], s[4:5], 0x60
	v_cmp_ne_u32_e64 s[2:3], 0, v0
	v_cmp_eq_u32_e64 s[0:1], 0, v0
	s_and_saveexec_b64 s[8:9], s[0:1]
	s_cbranch_execz .LBB765_4
; %bb.1:
	s_mov_b64 s[12:13], exec
	v_mbcnt_lo_u32_b32 v1, s12, 0
	v_mbcnt_hi_u32_b32 v1, s13, v1
	v_cmp_eq_u32_e32 vcc, 0, v1
                                        ; implicit-def: $vgpr2
	s_and_saveexec_b64 s[10:11], vcc
	s_cbranch_execz .LBB765_3
; %bb.2:
	s_load_dwordx2 s[14:15], s[4:5], 0x70
	s_bcnt1_i32_b64 s12, s[12:13]
	v_mov_b32_e32 v2, 0
	v_mov_b32_e32 v3, s12
	s_waitcnt lgkmcnt(0)
	global_atomic_add v2, v2, v3, s[14:15] glc
.LBB765_3:
	s_or_b64 exec, exec, s[10:11]
	s_waitcnt vmcnt(0)
	v_readfirstlane_b32 s10, v2
	v_add_u32_e32 v1, s10, v1
	v_mov_b32_e32 v2, 0
	ds_write_b32 v2, v1
.LBB765_4:
	s_or_b64 exec, exec, s[8:9]
	v_mov_b32_e32 v3, 0
	s_load_dwordx4 s[8:11], s[4:5], 0x8
	s_load_dword s12, s[4:5], 0x68
	s_waitcnt lgkmcnt(0)
	s_barrier
	ds_read_b32 v1, v3
	s_waitcnt lgkmcnt(0)
	s_barrier
	global_load_dwordx2 v[8:9], v3, s[50:51]
	s_lshl_b64 s[4:5], s[10:11], 1
	v_mov_b32_e32 v5, s7
	s_add_u32 s7, s8, s4
	s_movk_i32 s4, 0x1600
	v_mul_lo_u32 v2, v1, s4
	s_mul_i32 s4, s12, 0x1600
	s_addc_u32 s8, s9, s5
	s_add_i32 s5, s4, s10
	s_add_i32 s9, s12, -1
	s_sub_i32 s64, s6, s5
	s_add_u32 s4, s10, s4
	v_readfirstlane_b32 s33, v1
	s_addc_u32 s5, s11, 0
	v_mov_b32_e32 v4, s6
	s_cmp_eq_u32 s33, s9
	v_cmp_ge_u64_e32 vcc, s[4:5], v[4:5]
	s_cselect_b64 s[50:51], -1, 0
	v_lshlrev_b64 v[2:3], 1, v[2:3]
	s_and_b64 s[58:59], vcc, s[50:51]
	v_mov_b32_e32 v1, s8
	v_add_co_u32_e32 v14, vcc, s7, v2
	s_xor_b64 s[54:55], s[58:59], -1
	v_addc_co_u32_e32 v15, vcc, v1, v3, vcc
	s_mov_b64 s[4:5], -1
	s_and_b64 vcc, exec, s[54:55]
	s_cbranch_vccz .LBB765_6
; %bb.5:
	v_lshlrev_b32_e32 v1, 1, v0
	v_add_co_u32_e32 v4, vcc, v14, v1
	v_addc_co_u32_e32 v5, vcc, 0, v15, vcc
	v_add_co_u32_e32 v2, vcc, 0x1000, v4
	v_readfirstlane_b32 s4, v14
	v_readfirstlane_b32 s5, v15
	v_addc_co_u32_e32 v3, vcc, 0, v5, vcc
	s_nop 3
	global_load_ushort v6, v1, s[4:5]
	global_load_ushort v7, v1, s[4:5] offset:512
	global_load_ushort v10, v1, s[4:5] offset:1024
	;; [unrolled: 1-line block ×7, first 2 shown]
	global_load_ushort v18, v[2:3], off
	global_load_ushort v19, v[2:3], off offset:512
	global_load_ushort v20, v[2:3], off offset:1024
	;; [unrolled: 1-line block ×7, first 2 shown]
	v_add_co_u32_e32 v2, vcc, 0x2000, v4
	v_addc_co_u32_e32 v3, vcc, 0, v5, vcc
	global_load_ushort v4, v[2:3], off
	global_load_ushort v5, v[2:3], off offset:512
	global_load_ushort v26, v[2:3], off offset:1024
	;; [unrolled: 1-line block ×5, first 2 shown]
	s_mov_b64 s[4:5], 0
	s_waitcnt vmcnt(21)
	ds_write_b16 v1, v6
	s_waitcnt vmcnt(20)
	ds_write_b16 v1, v7 offset:512
	s_waitcnt vmcnt(19)
	ds_write_b16 v1, v10 offset:1024
	;; [unrolled: 2-line block ×21, first 2 shown]
	s_waitcnt lgkmcnt(0)
	s_barrier
.LBB765_6:
	s_andn2_b64 vcc, exec, s[4:5]
	s_addk_i32 s64, 0x1600
	s_cbranch_vccnz .LBB765_52
; %bb.7:
	v_cmp_gt_u32_e32 vcc, s64, v0
                                        ; implicit-def: $vgpr1
	s_and_saveexec_b64 s[4:5], vcc
	s_cbranch_execz .LBB765_9
; %bb.8:
	v_lshlrev_b32_e32 v1, 1, v0
	v_readfirstlane_b32 s6, v14
	v_readfirstlane_b32 s7, v15
	s_nop 4
	global_load_ushort v1, v1, s[6:7]
.LBB765_9:
	s_or_b64 exec, exec, s[4:5]
	v_or_b32_e32 v2, 0x100, v0
	v_cmp_gt_u32_e32 vcc, s64, v2
                                        ; implicit-def: $vgpr2
	s_and_saveexec_b64 s[4:5], vcc
	s_cbranch_execz .LBB765_11
; %bb.10:
	v_lshlrev_b32_e32 v2, 1, v0
	v_readfirstlane_b32 s6, v14
	v_readfirstlane_b32 s7, v15
	s_nop 4
	global_load_ushort v2, v2, s[6:7] offset:512
.LBB765_11:
	s_or_b64 exec, exec, s[4:5]
	v_or_b32_e32 v3, 0x200, v0
	v_cmp_gt_u32_e32 vcc, s64, v3
                                        ; implicit-def: $vgpr3
	s_and_saveexec_b64 s[4:5], vcc
	s_cbranch_execz .LBB765_13
; %bb.12:
	v_lshlrev_b32_e32 v3, 1, v0
	v_readfirstlane_b32 s6, v14
	v_readfirstlane_b32 s7, v15
	s_nop 4
	global_load_ushort v3, v3, s[6:7] offset:1024
.LBB765_13:
	s_or_b64 exec, exec, s[4:5]
	v_or_b32_e32 v4, 0x300, v0
	v_cmp_gt_u32_e32 vcc, s64, v4
                                        ; implicit-def: $vgpr4
	s_and_saveexec_b64 s[4:5], vcc
	s_cbranch_execz .LBB765_15
; %bb.14:
	v_lshlrev_b32_e32 v4, 1, v0
	v_readfirstlane_b32 s6, v14
	v_readfirstlane_b32 s7, v15
	s_nop 4
	global_load_ushort v4, v4, s[6:7] offset:1536
.LBB765_15:
	s_or_b64 exec, exec, s[4:5]
	v_or_b32_e32 v5, 0x400, v0
	v_cmp_gt_u32_e32 vcc, s64, v5
                                        ; implicit-def: $vgpr5
	s_and_saveexec_b64 s[4:5], vcc
	s_cbranch_execz .LBB765_17
; %bb.16:
	v_lshlrev_b32_e32 v5, 1, v0
	v_readfirstlane_b32 s6, v14
	v_readfirstlane_b32 s7, v15
	s_nop 4
	global_load_ushort v5, v5, s[6:7] offset:2048
.LBB765_17:
	s_or_b64 exec, exec, s[4:5]
	v_or_b32_e32 v6, 0x500, v0
	v_cmp_gt_u32_e32 vcc, s64, v6
                                        ; implicit-def: $vgpr6
	s_and_saveexec_b64 s[4:5], vcc
	s_cbranch_execz .LBB765_19
; %bb.18:
	v_lshlrev_b32_e32 v6, 1, v0
	v_readfirstlane_b32 s6, v14
	v_readfirstlane_b32 s7, v15
	s_nop 4
	global_load_ushort v6, v6, s[6:7] offset:2560
.LBB765_19:
	s_or_b64 exec, exec, s[4:5]
	v_or_b32_e32 v7, 0x600, v0
	v_cmp_gt_u32_e32 vcc, s64, v7
                                        ; implicit-def: $vgpr7
	s_and_saveexec_b64 s[4:5], vcc
	s_cbranch_execz .LBB765_21
; %bb.20:
	v_lshlrev_b32_e32 v7, 1, v0
	v_readfirstlane_b32 s6, v14
	v_readfirstlane_b32 s7, v15
	s_nop 4
	global_load_ushort v7, v7, s[6:7] offset:3072
.LBB765_21:
	s_or_b64 exec, exec, s[4:5]
	v_or_b32_e32 v10, 0x700, v0
	v_cmp_gt_u32_e32 vcc, s64, v10
                                        ; implicit-def: $vgpr10
	s_and_saveexec_b64 s[4:5], vcc
	s_cbranch_execz .LBB765_23
; %bb.22:
	v_lshlrev_b32_e32 v10, 1, v0
	v_readfirstlane_b32 s6, v14
	v_readfirstlane_b32 s7, v15
	s_nop 4
	global_load_ushort v10, v10, s[6:7] offset:3584
.LBB765_23:
	s_or_b64 exec, exec, s[4:5]
	v_or_b32_e32 v12, 0x800, v0
	v_cmp_gt_u32_e32 vcc, s64, v12
                                        ; implicit-def: $vgpr11
	s_and_saveexec_b64 s[4:5], vcc
	s_cbranch_execz .LBB765_25
; %bb.24:
	v_lshlrev_b32_e32 v11, 1, v12
	v_readfirstlane_b32 s6, v14
	v_readfirstlane_b32 s7, v15
	s_nop 4
	global_load_ushort v11, v11, s[6:7]
.LBB765_25:
	s_or_b64 exec, exec, s[4:5]
	v_or_b32_e32 v13, 0x900, v0
	v_cmp_gt_u32_e32 vcc, s64, v13
                                        ; implicit-def: $vgpr12
	s_and_saveexec_b64 s[4:5], vcc
	s_cbranch_execz .LBB765_27
; %bb.26:
	v_lshlrev_b32_e32 v12, 1, v13
	v_readfirstlane_b32 s6, v14
	v_readfirstlane_b32 s7, v15
	s_nop 4
	global_load_ushort v12, v12, s[6:7]
.LBB765_27:
	s_or_b64 exec, exec, s[4:5]
	v_or_b32_e32 v16, 0xa00, v0
	v_cmp_gt_u32_e32 vcc, s64, v16
                                        ; implicit-def: $vgpr13
	s_and_saveexec_b64 s[4:5], vcc
	s_cbranch_execz .LBB765_29
; %bb.28:
	v_lshlrev_b32_e32 v13, 1, v16
	v_readfirstlane_b32 s6, v14
	v_readfirstlane_b32 s7, v15
	s_nop 4
	global_load_ushort v13, v13, s[6:7]
.LBB765_29:
	s_or_b64 exec, exec, s[4:5]
	v_or_b32_e32 v17, 0xb00, v0
	v_cmp_gt_u32_e32 vcc, s64, v17
                                        ; implicit-def: $vgpr16
	s_and_saveexec_b64 s[4:5], vcc
	s_cbranch_execz .LBB765_31
; %bb.30:
	v_lshlrev_b32_e32 v16, 1, v17
	v_readfirstlane_b32 s6, v14
	v_readfirstlane_b32 s7, v15
	s_nop 4
	global_load_ushort v16, v16, s[6:7]
.LBB765_31:
	s_or_b64 exec, exec, s[4:5]
	v_or_b32_e32 v18, 0xc00, v0
	v_cmp_gt_u32_e32 vcc, s64, v18
                                        ; implicit-def: $vgpr17
	s_and_saveexec_b64 s[4:5], vcc
	s_cbranch_execz .LBB765_33
; %bb.32:
	v_lshlrev_b32_e32 v17, 1, v18
	v_readfirstlane_b32 s6, v14
	v_readfirstlane_b32 s7, v15
	s_nop 4
	global_load_ushort v17, v17, s[6:7]
.LBB765_33:
	s_or_b64 exec, exec, s[4:5]
	v_or_b32_e32 v19, 0xd00, v0
	v_cmp_gt_u32_e32 vcc, s64, v19
                                        ; implicit-def: $vgpr18
	s_and_saveexec_b64 s[4:5], vcc
	s_cbranch_execz .LBB765_35
; %bb.34:
	v_lshlrev_b32_e32 v18, 1, v19
	v_readfirstlane_b32 s6, v14
	v_readfirstlane_b32 s7, v15
	s_nop 4
	global_load_ushort v18, v18, s[6:7]
.LBB765_35:
	s_or_b64 exec, exec, s[4:5]
	v_or_b32_e32 v20, 0xe00, v0
	v_cmp_gt_u32_e32 vcc, s64, v20
                                        ; implicit-def: $vgpr19
	s_and_saveexec_b64 s[4:5], vcc
	s_cbranch_execz .LBB765_37
; %bb.36:
	v_lshlrev_b32_e32 v19, 1, v20
	v_readfirstlane_b32 s6, v14
	v_readfirstlane_b32 s7, v15
	s_nop 4
	global_load_ushort v19, v19, s[6:7]
.LBB765_37:
	s_or_b64 exec, exec, s[4:5]
	v_or_b32_e32 v21, 0xf00, v0
	v_cmp_gt_u32_e32 vcc, s64, v21
                                        ; implicit-def: $vgpr20
	s_and_saveexec_b64 s[4:5], vcc
	s_cbranch_execz .LBB765_39
; %bb.38:
	v_lshlrev_b32_e32 v20, 1, v21
	v_readfirstlane_b32 s6, v14
	v_readfirstlane_b32 s7, v15
	s_nop 4
	global_load_ushort v20, v20, s[6:7]
.LBB765_39:
	s_or_b64 exec, exec, s[4:5]
	v_or_b32_e32 v22, 0x1000, v0
	v_cmp_gt_u32_e32 vcc, s64, v22
                                        ; implicit-def: $vgpr21
	s_and_saveexec_b64 s[4:5], vcc
	s_cbranch_execz .LBB765_41
; %bb.40:
	v_lshlrev_b32_e32 v21, 1, v22
	v_readfirstlane_b32 s6, v14
	v_readfirstlane_b32 s7, v15
	s_nop 4
	global_load_ushort v21, v21, s[6:7]
.LBB765_41:
	s_or_b64 exec, exec, s[4:5]
	v_or_b32_e32 v23, 0x1100, v0
	v_cmp_gt_u32_e32 vcc, s64, v23
                                        ; implicit-def: $vgpr22
	s_and_saveexec_b64 s[4:5], vcc
	s_cbranch_execz .LBB765_43
; %bb.42:
	v_lshlrev_b32_e32 v22, 1, v23
	v_readfirstlane_b32 s6, v14
	v_readfirstlane_b32 s7, v15
	s_nop 4
	global_load_ushort v22, v22, s[6:7]
.LBB765_43:
	s_or_b64 exec, exec, s[4:5]
	v_or_b32_e32 v24, 0x1200, v0
	v_cmp_gt_u32_e32 vcc, s64, v24
                                        ; implicit-def: $vgpr23
	s_and_saveexec_b64 s[4:5], vcc
	s_cbranch_execz .LBB765_45
; %bb.44:
	v_lshlrev_b32_e32 v23, 1, v24
	v_readfirstlane_b32 s6, v14
	v_readfirstlane_b32 s7, v15
	s_nop 4
	global_load_ushort v23, v23, s[6:7]
.LBB765_45:
	s_or_b64 exec, exec, s[4:5]
	v_or_b32_e32 v25, 0x1300, v0
	v_cmp_gt_u32_e32 vcc, s64, v25
                                        ; implicit-def: $vgpr24
	s_and_saveexec_b64 s[4:5], vcc
	s_cbranch_execz .LBB765_47
; %bb.46:
	v_lshlrev_b32_e32 v24, 1, v25
	v_readfirstlane_b32 s6, v14
	v_readfirstlane_b32 s7, v15
	s_nop 4
	global_load_ushort v24, v24, s[6:7]
.LBB765_47:
	s_or_b64 exec, exec, s[4:5]
	v_or_b32_e32 v26, 0x1400, v0
	v_cmp_gt_u32_e32 vcc, s64, v26
                                        ; implicit-def: $vgpr25
	s_and_saveexec_b64 s[4:5], vcc
	s_cbranch_execz .LBB765_49
; %bb.48:
	v_lshlrev_b32_e32 v25, 1, v26
	v_readfirstlane_b32 s6, v14
	v_readfirstlane_b32 s7, v15
	s_nop 4
	global_load_ushort v25, v25, s[6:7]
.LBB765_49:
	s_or_b64 exec, exec, s[4:5]
	v_or_b32_e32 v27, 0x1500, v0
	v_cmp_gt_u32_e32 vcc, s64, v27
                                        ; implicit-def: $vgpr26
	s_and_saveexec_b64 s[4:5], vcc
	s_cbranch_execz .LBB765_51
; %bb.50:
	v_lshlrev_b32_e32 v26, 1, v27
	v_readfirstlane_b32 s6, v14
	v_readfirstlane_b32 s7, v15
	s_nop 4
	global_load_ushort v26, v26, s[6:7]
.LBB765_51:
	s_or_b64 exec, exec, s[4:5]
	v_lshlrev_b32_e32 v27, 1, v0
	s_waitcnt vmcnt(0)
	ds_write_b16 v27, v1
	ds_write_b16 v27, v2 offset:512
	ds_write_b16 v27, v3 offset:1024
	;; [unrolled: 1-line block ×21, first 2 shown]
	s_waitcnt lgkmcnt(0)
	s_barrier
.LBB765_52:
	v_mul_u32_u24_e32 v23, 22, v0
	v_lshlrev_b32_e32 v38, 1, v23
	ds_read_b32 v62, v38 offset:40
	ds_read2_b32 v[2:3], v38 offset0:8 offset1:9
	ds_read2_b32 v[4:5], v38 offset0:6 offset1:7
	ds_read2_b32 v[12:13], v38 offset1:1
	ds_read2_b32 v[10:11], v38 offset0:2 offset1:3
	ds_read2_b32 v[6:7], v38 offset0:4 offset1:5
	s_cmp_lg_u32 s33, 0
	s_cselect_b64 s[60:61], -1, 0
	s_cmp_lg_u64 s[10:11], 0
	s_cselect_b64 s[4:5], -1, 0
	s_or_b64 s[4:5], s[4:5], s[60:61]
	v_mad_u32_u24 v16, v0, 22, 21
	v_mad_u32_u24 v17, v0, 22, 20
	s_waitcnt lgkmcnt(5)
	v_lshrrev_b32_e32 v1, 16, v62
	v_mad_u32_u24 v18, v0, 22, 19
	s_waitcnt lgkmcnt(4)
	v_lshrrev_b32_e32 v64, 16, v2
	v_lshrrev_b32_e32 v63, 16, v3
	v_mad_u32_u24 v19, v0, 22, 18
	v_mad_u32_u24 v20, v0, 22, 17
	;; [unrolled: 1-line block ×4, first 2 shown]
	s_waitcnt lgkmcnt(3)
	v_lshrrev_b32_e32 v66, 16, v4
	v_lshrrev_b32_e32 v65, 16, v5
	v_mad_u32_u24 v24, v0, 22, 14
	s_waitcnt lgkmcnt(2)
	v_lshrrev_b32_e32 v76, 16, v12
	v_lshrrev_b32_e32 v74, 16, v13
	v_or_b32_e32 v37, 1, v23
	v_mad_u32_u24 v36, v0, 22, 2
	v_mad_u32_u24 v34, v0, 22, 3
	;; [unrolled: 1-line block ×3, first 2 shown]
	s_waitcnt lgkmcnt(1)
	v_lshrrev_b32_e32 v72, 16, v10
	v_lshrrev_b32_e32 v69, 16, v11
	v_mad_u32_u24 v35, v0, 22, 5
	v_mad_u32_u24 v33, v0, 22, 6
	;; [unrolled: 1-line block ×4, first 2 shown]
	s_waitcnt lgkmcnt(0)
	v_lshrrev_b32_e32 v68, 16, v6
	v_lshrrev_b32_e32 v67, 16, v7
	v_mad_u32_u24 v31, v0, 22, 9
	v_mad_u32_u24 v29, v0, 22, 10
	;; [unrolled: 1-line block ×5, first 2 shown]
	s_mov_b64 s[62:63], 0
	s_and_b64 vcc, exec, s[4:5]
	s_barrier
	s_cbranch_vccz .LBB765_57
; %bb.53:
	global_load_ushort v14, v[14:15], off offset:-2
	v_lshlrev_b32_e32 v15, 1, v0
	s_and_b64 vcc, exec, s[54:55]
	ds_write_b16 v15, v1
	s_cbranch_vccz .LBB765_59
; %bb.54:
	s_waitcnt vmcnt(0)
	v_mov_b32_e32 v39, v14
	s_waitcnt lgkmcnt(0)
	s_barrier
	s_and_saveexec_b64 s[4:5], s[2:3]
	s_cbranch_execz .LBB765_56
; %bb.55:
	v_add_u32_e32 v39, -2, v15
	ds_read_u16 v39, v39
.LBB765_56:
	s_or_b64 exec, exec, s[4:5]
	v_cmp_ne_u16_e32 vcc, v62, v1
	v_cndmask_b32_e64 v70, 0, 1, vcc
	v_cmp_ne_u16_e32 vcc, v63, v62
	v_cndmask_b32_e64 v71, 0, 1, vcc
	;; [unrolled: 2-line block ×21, first 2 shown]
	s_waitcnt lgkmcnt(0)
	v_cmp_ne_u16_e64 s[4:5], v39, v12
	s_branch .LBB765_63
.LBB765_57:
                                        ; implicit-def: $sgpr4_sgpr5
                                        ; implicit-def: $vgpr93
                                        ; implicit-def: $vgpr92
                                        ; implicit-def: $vgpr91
                                        ; implicit-def: $vgpr90
                                        ; implicit-def: $vgpr89
                                        ; implicit-def: $vgpr88
                                        ; implicit-def: $vgpr87
                                        ; implicit-def: $vgpr86
                                        ; implicit-def: $vgpr85
                                        ; implicit-def: $vgpr84
                                        ; implicit-def: $vgpr83
                                        ; implicit-def: $vgpr82
                                        ; implicit-def: $vgpr81
                                        ; implicit-def: $vgpr80
                                        ; implicit-def: $vgpr79
                                        ; implicit-def: $vgpr78
                                        ; implicit-def: $vgpr77
                                        ; implicit-def: $vgpr75
                                        ; implicit-def: $vgpr73
                                        ; implicit-def: $vgpr71
                                        ; implicit-def: $vgpr70
	s_branch .LBB765_64
.LBB765_58:
                                        ; implicit-def: $sgpr8
	s_branch .LBB765_72
.LBB765_59:
                                        ; implicit-def: $sgpr4_sgpr5
                                        ; implicit-def: $vgpr93
                                        ; implicit-def: $vgpr92
                                        ; implicit-def: $vgpr91
                                        ; implicit-def: $vgpr90
                                        ; implicit-def: $vgpr89
                                        ; implicit-def: $vgpr88
                                        ; implicit-def: $vgpr87
                                        ; implicit-def: $vgpr86
                                        ; implicit-def: $vgpr85
                                        ; implicit-def: $vgpr84
                                        ; implicit-def: $vgpr83
                                        ; implicit-def: $vgpr82
                                        ; implicit-def: $vgpr81
                                        ; implicit-def: $vgpr80
                                        ; implicit-def: $vgpr79
                                        ; implicit-def: $vgpr78
                                        ; implicit-def: $vgpr77
                                        ; implicit-def: $vgpr75
                                        ; implicit-def: $vgpr73
                                        ; implicit-def: $vgpr71
                                        ; implicit-def: $vgpr70
	s_cbranch_execz .LBB765_63
; %bb.60:
	s_waitcnt lgkmcnt(0)
	s_barrier
	s_and_saveexec_b64 s[4:5], s[2:3]
	s_cbranch_execz .LBB765_62
; %bb.61:
	s_waitcnt vmcnt(0)
	v_add_u32_e32 v14, -2, v15
	ds_read_u16 v14, v14
.LBB765_62:
	s_or_b64 exec, exec, s[4:5]
	v_cmp_gt_u32_e32 vcc, s64, v16
	v_cmp_ne_u16_e64 s[4:5], v62, v1
	s_and_b64 s[4:5], vcc, s[4:5]
	v_cndmask_b32_e64 v70, 0, 1, s[4:5]
	v_cmp_gt_u32_e32 vcc, s64, v17
	v_cmp_ne_u16_e64 s[4:5], v63, v62
	s_and_b64 s[4:5], vcc, s[4:5]
	v_cndmask_b32_e64 v71, 0, 1, s[4:5]
	;; [unrolled: 4-line block ×21, first 2 shown]
	v_cmp_gt_u32_e32 vcc, s64, v23
	s_waitcnt vmcnt(0) lgkmcnt(0)
	v_cmp_ne_u16_e64 s[4:5], v14, v12
	s_and_b64 s[4:5], vcc, s[4:5]
.LBB765_63:
	s_mov_b64 s[62:63], -1
	s_cbranch_execnz .LBB765_58
.LBB765_64:
	s_movk_i32 s4, 0xffd6
	s_waitcnt vmcnt(0)
	v_mad_i32_i24 v14, v0, s4, v38
	s_and_b64 vcc, exec, s[54:55]
	v_cmp_ne_u16_e64 s[4:5], v62, v1
	v_cmp_ne_u16_e64 s[6:7], v63, v62
	;; [unrolled: 1-line block ×21, first 2 shown]
	ds_write_b16 v14, v1
	s_cbranch_vccz .LBB765_68
; %bb.65:
	v_cndmask_b32_e64 v70, 0, 1, s[4:5]
	v_cndmask_b32_e64 v71, 0, 1, s[6:7]
	;; [unrolled: 1-line block ×21, first 2 shown]
	s_waitcnt lgkmcnt(0)
	s_barrier
	s_waitcnt lgkmcnt(0)
                                        ; implicit-def: $sgpr4_sgpr5
	s_and_saveexec_b64 s[6:7], s[2:3]
	s_xor_b64 s[6:7], exec, s[6:7]
	s_cbranch_execz .LBB765_67
; %bb.66:
	v_add_u32_e32 v15, -2, v14
	ds_read_u16 v15, v15
	s_or_b64 s[62:63], s[62:63], exec
	s_waitcnt lgkmcnt(0)
	v_cmp_ne_u16_e32 vcc, v15, v12
	s_and_b64 s[4:5], vcc, exec
.LBB765_67:
	s_or_b64 exec, exec, s[6:7]
	s_mov_b32 s8, 1
	s_branch .LBB765_72
.LBB765_68:
                                        ; implicit-def: $sgpr4_sgpr5
                                        ; implicit-def: $vgpr93
                                        ; implicit-def: $vgpr92
                                        ; implicit-def: $vgpr91
                                        ; implicit-def: $vgpr90
                                        ; implicit-def: $vgpr89
                                        ; implicit-def: $vgpr88
                                        ; implicit-def: $vgpr87
                                        ; implicit-def: $vgpr86
                                        ; implicit-def: $vgpr85
                                        ; implicit-def: $vgpr84
                                        ; implicit-def: $vgpr83
                                        ; implicit-def: $vgpr82
                                        ; implicit-def: $vgpr81
                                        ; implicit-def: $vgpr80
                                        ; implicit-def: $vgpr79
                                        ; implicit-def: $vgpr78
                                        ; implicit-def: $vgpr77
                                        ; implicit-def: $vgpr75
                                        ; implicit-def: $vgpr73
                                        ; implicit-def: $vgpr71
                                        ; implicit-def: $vgpr70
                                        ; implicit-def: $sgpr8
	s_cbranch_execz .LBB765_72
; %bb.69:
	v_cmp_gt_u32_e32 vcc, s64, v16
	v_cmp_ne_u16_e64 s[4:5], v62, v1
	s_and_b64 s[4:5], vcc, s[4:5]
	v_cndmask_b32_e64 v70, 0, 1, s[4:5]
	v_cmp_gt_u32_e32 vcc, s64, v17
	v_cmp_ne_u16_e64 s[4:5], v63, v62
	s_and_b64 s[4:5], vcc, s[4:5]
	v_cndmask_b32_e64 v71, 0, 1, s[4:5]
	;; [unrolled: 4-line block ×21, first 2 shown]
	s_waitcnt lgkmcnt(0)
	s_barrier
	s_waitcnt lgkmcnt(0)
                                        ; implicit-def: $sgpr4_sgpr5
	s_and_saveexec_b64 s[6:7], s[2:3]
	s_cbranch_execz .LBB765_71
; %bb.70:
	v_add_u32_e32 v14, -2, v14
	ds_read_u16 v14, v14
	v_cmp_gt_u32_e32 vcc, s64, v23
	s_or_b64 s[62:63], s[62:63], exec
	s_waitcnt lgkmcnt(0)
	v_cmp_ne_u16_e64 s[2:3], v14, v12
	s_and_b64 s[2:3], vcc, s[2:3]
	s_and_b64 s[4:5], s[2:3], exec
.LBB765_71:
	s_or_b64 exec, exec, s[6:7]
	s_mov_b32 s8, 1
.LBB765_72:
	v_mov_b32_e32 v94, s8
	s_and_saveexec_b64 s[2:3], s[62:63]
; %bb.73:
	v_cndmask_b32_e64 v94, 0, 1, s[4:5]
; %bb.74:
	s_or_b64 exec, exec, s[2:3]
	s_andn2_b64 vcc, exec, s[58:59]
	s_cbranch_vccnz .LBB765_76
; %bb.75:
	v_cmp_gt_u32_e32 vcc, s64, v23
	v_cndmask_b32_e32 v94, 0, v94, vcc
	v_cmp_gt_u32_e32 vcc, s64, v37
	v_cndmask_b32_e32 v93, 0, v93, vcc
	;; [unrolled: 2-line block ×22, first 2 shown]
.LBB765_76:
	v_and_b32_e32 v49, 0xff, v75
	v_and_b32_e32 v51, 0xff, v73
	s_waitcnt vmcnt(0)
	v_add_u32_sdwa v14, v71, v70 dst_sel:DWORD dst_unused:UNUSED_PAD src0_sel:BYTE_0 src1_sel:BYTE_0
	v_and_b32_e32 v45, 0xff, v78
	v_and_b32_e32 v47, 0xff, v77
	v_add3_u32 v14, v14, v51, v49
	v_and_b32_e32 v41, 0xff, v80
	v_and_b32_e32 v43, 0xff, v79
	v_add3_u32 v14, v14, v47, v45
	;; [unrolled: 3-line block ×9, first 2 shown]
	v_add3_u32 v40, v14, v25, v24
	v_mbcnt_lo_u32_b32 v14, -1, 0
	v_mbcnt_hi_u32_b32 v36, -1, v14
	v_and_b32_e32 v14, 15, v36
	v_cmp_eq_u32_e64 s[14:15], 0, v14
	v_cmp_lt_u32_e64 s[12:13], 1, v14
	v_cmp_lt_u32_e64 s[10:11], 3, v14
	;; [unrolled: 1-line block ×3, first 2 shown]
	v_and_b32_e32 v14, 16, v36
	v_cmp_eq_u32_e64 s[6:7], 0, v14
	v_or_b32_e32 v14, 63, v0
	v_cmp_lt_u32_e64 s[2:3], 31, v36
	v_lshrrev_b32_e32 v38, 6, v0
	v_cmp_eq_u32_e64 s[4:5], v14, v0
	s_and_b64 vcc, exec, s[60:61]
	s_waitcnt lgkmcnt(0)
	s_barrier
	s_cbranch_vccz .LBB765_107
; %bb.77:
	v_mov_b32_dpp v14, v40 row_shr:1 row_mask:0xf bank_mask:0xf
	v_cndmask_b32_e64 v14, v14, 0, s[14:15]
	v_add_u32_e32 v14, v14, v40
	s_nop 1
	v_mov_b32_dpp v15, v14 row_shr:2 row_mask:0xf bank_mask:0xf
	v_cndmask_b32_e64 v15, 0, v15, s[12:13]
	v_add_u32_e32 v14, v14, v15
	s_nop 1
	;; [unrolled: 4-line block ×4, first 2 shown]
	v_mov_b32_dpp v15, v14 row_bcast:15 row_mask:0xf bank_mask:0xf
	v_cndmask_b32_e64 v15, v15, 0, s[6:7]
	v_add_u32_e32 v14, v14, v15
	s_nop 1
	v_mov_b32_dpp v15, v14 row_bcast:31 row_mask:0xf bank_mask:0xf
	v_cndmask_b32_e64 v15, 0, v15, s[2:3]
	v_add_u32_e32 v14, v14, v15
	s_and_saveexec_b64 s[16:17], s[4:5]
	s_cbranch_execz .LBB765_79
; %bb.78:
	v_lshlrev_b32_e32 v15, 2, v38
	ds_write_b32 v15, v14
.LBB765_79:
	s_or_b64 exec, exec, s[16:17]
	v_cmp_gt_u32_e32 vcc, 4, v0
	s_waitcnt lgkmcnt(0)
	s_barrier
	s_and_saveexec_b64 s[16:17], vcc
	s_cbranch_execz .LBB765_81
; %bb.80:
	v_lshlrev_b32_e32 v15, 2, v0
	ds_read_b32 v16, v15
	v_and_b32_e32 v17, 3, v36
	v_cmp_ne_u32_e32 vcc, 0, v17
	s_waitcnt lgkmcnt(0)
	v_mov_b32_dpp v18, v16 row_shr:1 row_mask:0xf bank_mask:0xf
	v_cndmask_b32_e32 v18, 0, v18, vcc
	v_add_u32_e32 v16, v18, v16
	v_cmp_lt_u32_e32 vcc, 1, v17
	s_nop 0
	v_mov_b32_dpp v18, v16 row_shr:2 row_mask:0xf bank_mask:0xf
	v_cndmask_b32_e32 v17, 0, v18, vcc
	v_add_u32_e32 v16, v16, v17
	ds_write_b32 v15, v16
.LBB765_81:
	s_or_b64 exec, exec, s[16:17]
	v_cmp_gt_u32_e32 vcc, 64, v0
	v_cmp_lt_u32_e64 s[16:17], 63, v0
	s_waitcnt lgkmcnt(0)
	s_barrier
	s_waitcnt lgkmcnt(0)
                                        ; implicit-def: $vgpr42
	s_and_saveexec_b64 s[18:19], s[16:17]
	s_cbranch_execz .LBB765_83
; %bb.82:
	v_lshl_add_u32 v15, v38, 2, -4
	ds_read_b32 v42, v15
	s_waitcnt lgkmcnt(0)
	v_add_u32_e32 v14, v42, v14
.LBB765_83:
	s_or_b64 exec, exec, s[18:19]
	v_add_u32_e32 v15, -1, v36
	v_and_b32_e32 v16, 64, v36
	v_cmp_lt_i32_e64 s[16:17], v15, v16
	v_cndmask_b32_e64 v15, v15, v36, s[16:17]
	v_lshlrev_b32_e32 v15, 2, v15
	ds_bpermute_b32 v44, v15, v14
	v_cmp_eq_u32_e64 s[16:17], 0, v36
	s_and_saveexec_b64 s[18:19], vcc
	s_cbranch_execz .LBB765_106
; %bb.84:
	v_mov_b32_e32 v23, 0
	ds_read_b32 v14, v23 offset:12
	s_and_saveexec_b64 s[20:21], s[16:17]
	s_cbranch_execz .LBB765_86
; %bb.85:
	s_add_i32 s22, s33, 64
	s_mov_b32 s23, 0
	s_lshl_b64 s[22:23], s[22:23], 3
	s_add_u32 s22, s56, s22
	v_mov_b32_e32 v15, 1
	s_addc_u32 s23, s57, s23
	s_waitcnt lgkmcnt(0)
	global_store_dwordx2 v23, v[14:15], s[22:23]
.LBB765_86:
	s_or_b64 exec, exec, s[20:21]
	v_xad_u32 v16, v36, -1, s33
	v_add_u32_e32 v22, 64, v16
	v_lshlrev_b64 v[18:19], 3, v[22:23]
	v_mov_b32_e32 v15, s57
	v_add_co_u32_e32 v18, vcc, s56, v18
	v_addc_co_u32_e32 v19, vcc, v15, v19, vcc
	global_load_dwordx2 v[20:21], v[18:19], off glc
	s_waitcnt vmcnt(0)
	v_cmp_eq_u16_sdwa s[22:23], v21, v23 src0_sel:BYTE_0 src1_sel:DWORD
	s_and_saveexec_b64 s[20:21], s[22:23]
	s_cbranch_execz .LBB765_92
; %bb.87:
	s_mov_b32 s24, 1
	s_mov_b64 s[22:23], 0
	v_mov_b32_e32 v15, 0
.LBB765_88:                             ; =>This Loop Header: Depth=1
                                        ;     Child Loop BB765_89 Depth 2
	s_max_u32 s25, s24, 1
.LBB765_89:                             ;   Parent Loop BB765_88 Depth=1
                                        ; =>  This Inner Loop Header: Depth=2
	s_add_i32 s25, s25, -1
	s_cmp_eq_u32 s25, 0
	s_sleep 1
	s_cbranch_scc0 .LBB765_89
; %bb.90:                               ;   in Loop: Header=BB765_88 Depth=1
	global_load_dwordx2 v[20:21], v[18:19], off glc
	s_cmp_lt_u32 s24, 32
	s_cselect_b64 s[26:27], -1, 0
	s_cmp_lg_u64 s[26:27], 0
	s_addc_u32 s24, s24, 0
	s_waitcnt vmcnt(0)
	v_cmp_ne_u16_sdwa s[26:27], v21, v15 src0_sel:BYTE_0 src1_sel:DWORD
	s_or_b64 s[22:23], s[26:27], s[22:23]
	s_andn2_b64 exec, exec, s[22:23]
	s_cbranch_execnz .LBB765_88
; %bb.91:
	s_or_b64 exec, exec, s[22:23]
.LBB765_92:
	s_or_b64 exec, exec, s[20:21]
	v_and_b32_e32 v48, 63, v36
	v_mov_b32_e32 v46, 2
	v_cmp_ne_u32_e32 vcc, 63, v48
	v_cmp_eq_u16_sdwa s[20:21], v21, v46 src0_sel:BYTE_0 src1_sel:DWORD
	v_lshlrev_b64 v[18:19], v36, -1
	v_addc_co_u32_e32 v22, vcc, 0, v36, vcc
	v_and_b32_e32 v15, s21, v19
	v_lshlrev_b32_e32 v50, 2, v22
	v_or_b32_e32 v15, 0x80000000, v15
	ds_bpermute_b32 v22, v50, v20
	v_and_b32_e32 v17, s20, v18
	v_ffbl_b32_e32 v15, v15
	v_add_u32_e32 v15, 32, v15
	v_ffbl_b32_e32 v17, v17
	v_min_u32_e32 v15, v17, v15
	v_cmp_lt_u32_e32 vcc, v48, v15
	s_waitcnt lgkmcnt(0)
	v_cndmask_b32_e32 v17, 0, v22, vcc
	v_cmp_gt_u32_e32 vcc, 62, v48
	v_add_u32_e32 v17, v17, v20
	v_cndmask_b32_e64 v20, 0, 1, vcc
	v_lshlrev_b32_e32 v20, 1, v20
	v_add_lshl_u32 v52, v20, v36, 2
	ds_bpermute_b32 v20, v52, v17
	v_add_u32_e32 v53, 2, v48
	v_cmp_le_u32_e32 vcc, v53, v15
	v_add_u32_e32 v55, 4, v48
	v_add_u32_e32 v57, 8, v48
	s_waitcnt lgkmcnt(0)
	v_cndmask_b32_e32 v20, 0, v20, vcc
	v_cmp_gt_u32_e32 vcc, 60, v48
	v_add_u32_e32 v17, v17, v20
	v_cndmask_b32_e64 v20, 0, 1, vcc
	v_lshlrev_b32_e32 v20, 2, v20
	v_add_lshl_u32 v54, v20, v36, 2
	ds_bpermute_b32 v20, v54, v17
	v_cmp_le_u32_e32 vcc, v55, v15
	v_add_u32_e32 v59, 16, v48
	v_add_u32_e32 v61, 32, v48
	s_waitcnt lgkmcnt(0)
	v_cndmask_b32_e32 v20, 0, v20, vcc
	v_cmp_gt_u32_e32 vcc, 56, v48
	v_add_u32_e32 v17, v17, v20
	v_cndmask_b32_e64 v20, 0, 1, vcc
	v_lshlrev_b32_e32 v20, 3, v20
	v_add_lshl_u32 v56, v20, v36, 2
	ds_bpermute_b32 v20, v56, v17
	v_cmp_le_u32_e32 vcc, v57, v15
	s_waitcnt lgkmcnt(0)
	v_cndmask_b32_e32 v20, 0, v20, vcc
	v_cmp_gt_u32_e32 vcc, 48, v48
	v_add_u32_e32 v17, v17, v20
	v_cndmask_b32_e64 v20, 0, 1, vcc
	v_lshlrev_b32_e32 v20, 4, v20
	v_add_lshl_u32 v58, v20, v36, 2
	ds_bpermute_b32 v20, v58, v17
	v_cmp_le_u32_e32 vcc, v59, v15
	s_waitcnt lgkmcnt(0)
	v_cndmask_b32_e32 v20, 0, v20, vcc
	v_cmp_gt_u32_e32 vcc, 32, v48
	v_add_u32_e32 v17, v17, v20
	v_cndmask_b32_e64 v20, 0, 1, vcc
	v_lshlrev_b32_e32 v20, 5, v20
	v_add_lshl_u32 v60, v20, v36, 2
	ds_bpermute_b32 v20, v60, v17
	v_cmp_le_u32_e32 vcc, v61, v15
	s_waitcnt lgkmcnt(0)
	v_cndmask_b32_e32 v15, 0, v20, vcc
	v_add_u32_e32 v20, v17, v15
	v_mov_b32_e32 v17, 0
	s_branch .LBB765_94
.LBB765_93:                             ;   in Loop: Header=BB765_94 Depth=1
	s_or_b64 exec, exec, s[20:21]
	v_cmp_eq_u16_sdwa s[20:21], v21, v46 src0_sel:BYTE_0 src1_sel:DWORD
	v_and_b32_e32 v22, s21, v19
	v_or_b32_e32 v22, 0x80000000, v22
	ds_bpermute_b32 v95, v50, v20
	v_and_b32_e32 v23, s20, v18
	v_ffbl_b32_e32 v22, v22
	v_add_u32_e32 v22, 32, v22
	v_ffbl_b32_e32 v23, v23
	v_min_u32_e32 v22, v23, v22
	v_cmp_lt_u32_e32 vcc, v48, v22
	s_waitcnt lgkmcnt(0)
	v_cndmask_b32_e32 v23, 0, v95, vcc
	v_add_u32_e32 v20, v23, v20
	ds_bpermute_b32 v23, v52, v20
	v_cmp_le_u32_e32 vcc, v53, v22
	v_subrev_u32_e32 v16, 64, v16
	s_waitcnt lgkmcnt(0)
	v_cndmask_b32_e32 v23, 0, v23, vcc
	v_add_u32_e32 v20, v20, v23
	ds_bpermute_b32 v23, v54, v20
	v_cmp_le_u32_e32 vcc, v55, v22
	s_waitcnt lgkmcnt(0)
	v_cndmask_b32_e32 v23, 0, v23, vcc
	v_add_u32_e32 v20, v20, v23
	ds_bpermute_b32 v23, v56, v20
	v_cmp_le_u32_e32 vcc, v57, v22
	;; [unrolled: 5-line block ×4, first 2 shown]
	s_waitcnt lgkmcnt(0)
	v_cndmask_b32_e32 v22, 0, v23, vcc
	v_add3_u32 v20, v22, v15, v20
.LBB765_94:                             ; =>This Loop Header: Depth=1
                                        ;     Child Loop BB765_97 Depth 2
                                        ;       Child Loop BB765_98 Depth 3
	v_cmp_ne_u16_sdwa s[20:21], v21, v46 src0_sel:BYTE_0 src1_sel:DWORD
	v_cndmask_b32_e64 v15, 0, 1, s[20:21]
	;;#ASMSTART
	;;#ASMEND
	v_cmp_ne_u32_e32 vcc, 0, v15
	s_cmp_lg_u64 vcc, exec
	v_mov_b32_e32 v15, v20
	s_cbranch_scc1 .LBB765_101
; %bb.95:                               ;   in Loop: Header=BB765_94 Depth=1
	v_lshlrev_b64 v[20:21], 3, v[16:17]
	v_mov_b32_e32 v23, s57
	v_add_co_u32_e32 v22, vcc, s56, v20
	v_addc_co_u32_e32 v23, vcc, v23, v21, vcc
	global_load_dwordx2 v[20:21], v[22:23], off glc
	s_waitcnt vmcnt(0)
	v_cmp_eq_u16_sdwa s[22:23], v21, v17 src0_sel:BYTE_0 src1_sel:DWORD
	s_and_saveexec_b64 s[20:21], s[22:23]
	s_cbranch_execz .LBB765_93
; %bb.96:                               ;   in Loop: Header=BB765_94 Depth=1
	s_mov_b32 s24, 1
	s_mov_b64 s[22:23], 0
.LBB765_97:                             ;   Parent Loop BB765_94 Depth=1
                                        ; =>  This Loop Header: Depth=2
                                        ;       Child Loop BB765_98 Depth 3
	s_max_u32 s25, s24, 1
.LBB765_98:                             ;   Parent Loop BB765_94 Depth=1
                                        ;     Parent Loop BB765_97 Depth=2
                                        ; =>    This Inner Loop Header: Depth=3
	s_add_i32 s25, s25, -1
	s_cmp_eq_u32 s25, 0
	s_sleep 1
	s_cbranch_scc0 .LBB765_98
; %bb.99:                               ;   in Loop: Header=BB765_97 Depth=2
	global_load_dwordx2 v[20:21], v[22:23], off glc
	s_cmp_lt_u32 s24, 32
	s_cselect_b64 s[26:27], -1, 0
	s_cmp_lg_u64 s[26:27], 0
	s_addc_u32 s24, s24, 0
	s_waitcnt vmcnt(0)
	v_cmp_ne_u16_sdwa s[26:27], v21, v17 src0_sel:BYTE_0 src1_sel:DWORD
	s_or_b64 s[22:23], s[26:27], s[22:23]
	s_andn2_b64 exec, exec, s[22:23]
	s_cbranch_execnz .LBB765_97
; %bb.100:                              ;   in Loop: Header=BB765_94 Depth=1
	s_or_b64 exec, exec, s[22:23]
	s_branch .LBB765_93
.LBB765_101:                            ;   in Loop: Header=BB765_94 Depth=1
                                        ; implicit-def: $vgpr20
                                        ; implicit-def: $vgpr21
	s_cbranch_execz .LBB765_94
; %bb.102:
	s_and_saveexec_b64 s[20:21], s[16:17]
	s_cbranch_execz .LBB765_104
; %bb.103:
	s_add_i32 s22, s33, 64
	s_mov_b32 s23, 0
	s_lshl_b64 s[22:23], s[22:23], 3
	s_add_u32 s22, s56, s22
	v_add_u32_e32 v16, v15, v14
	v_mov_b32_e32 v17, 2
	s_addc_u32 s23, s57, s23
	v_mov_b32_e32 v18, 0
	global_store_dwordx2 v18, v[16:17], s[22:23]
	ds_write_b64 v18, v[14:15] offset:11264
.LBB765_104:
	s_or_b64 exec, exec, s[20:21]
	s_and_b64 exec, exec, s[0:1]
	s_cbranch_execz .LBB765_106
; %bb.105:
	v_mov_b32_e32 v14, 0
	ds_write_b32 v14, v15 offset:12
.LBB765_106:
	s_or_b64 exec, exec, s[18:19]
	v_mov_b32_e32 v14, 0
	s_waitcnt lgkmcnt(0)
	s_barrier
	ds_read_b32 v16, v14 offset:12
	s_waitcnt lgkmcnt(0)
	s_barrier
	ds_read_b64 v[14:15], v14 offset:11264
	v_cndmask_b32_e64 v17, v44, v42, s[16:17]
	v_cndmask_b32_e64 v17, v17, 0, s[0:1]
	v_add_u32_e32 v56, v16, v17
	s_waitcnt lgkmcnt(0)
	v_mov_b32_e32 v16, v15
	s_branch .LBB765_117
.LBB765_107:
                                        ; implicit-def: $vgpr16
                                        ; implicit-def: $vgpr14
                                        ; implicit-def: $vgpr56
	s_cbranch_execz .LBB765_117
; %bb.108:
	s_nop 0
	v_mov_b32_dpp v14, v40 row_shr:1 row_mask:0xf bank_mask:0xf
	v_cndmask_b32_e64 v14, v14, 0, s[14:15]
	v_add_u32_e32 v14, v14, v40
	s_nop 1
	v_mov_b32_dpp v15, v14 row_shr:2 row_mask:0xf bank_mask:0xf
	v_cndmask_b32_e64 v15, 0, v15, s[12:13]
	v_add_u32_e32 v14, v14, v15
	;; [unrolled: 4-line block ×4, first 2 shown]
	s_nop 1
	v_mov_b32_dpp v15, v14 row_bcast:15 row_mask:0xf bank_mask:0xf
	v_cndmask_b32_e64 v15, v15, 0, s[6:7]
	v_add_u32_e32 v14, v14, v15
	s_nop 1
	v_mov_b32_dpp v15, v14 row_bcast:31 row_mask:0xf bank_mask:0xf
	v_cndmask_b32_e64 v15, 0, v15, s[2:3]
	v_add_u32_e32 v14, v14, v15
	s_and_saveexec_b64 s[2:3], s[4:5]
	s_cbranch_execz .LBB765_110
; %bb.109:
	v_lshlrev_b32_e32 v15, 2, v38
	ds_write_b32 v15, v14
.LBB765_110:
	s_or_b64 exec, exec, s[2:3]
	v_cmp_gt_u32_e32 vcc, 4, v0
	s_waitcnt lgkmcnt(0)
	s_barrier
	s_and_saveexec_b64 s[2:3], vcc
	s_cbranch_execz .LBB765_112
; %bb.111:
	v_lshlrev_b32_e32 v15, 2, v0
	ds_read_b32 v16, v15
	v_and_b32_e32 v17, 3, v36
	v_cmp_ne_u32_e32 vcc, 0, v17
	s_waitcnt lgkmcnt(0)
	v_mov_b32_dpp v18, v16 row_shr:1 row_mask:0xf bank_mask:0xf
	v_cndmask_b32_e32 v18, 0, v18, vcc
	v_add_u32_e32 v16, v18, v16
	v_cmp_lt_u32_e32 vcc, 1, v17
	s_nop 0
	v_mov_b32_dpp v18, v16 row_shr:2 row_mask:0xf bank_mask:0xf
	v_cndmask_b32_e32 v17, 0, v18, vcc
	v_add_u32_e32 v16, v16, v17
	ds_write_b32 v15, v16
.LBB765_112:
	s_or_b64 exec, exec, s[2:3]
	v_cmp_lt_u32_e32 vcc, 63, v0
	v_mov_b32_e32 v15, 0
	v_mov_b32_e32 v16, 0
	s_waitcnt lgkmcnt(0)
	s_barrier
	s_and_saveexec_b64 s[2:3], vcc
	s_cbranch_execz .LBB765_114
; %bb.113:
	v_lshl_add_u32 v16, v38, 2, -4
	ds_read_b32 v16, v16
.LBB765_114:
	s_or_b64 exec, exec, s[2:3]
	v_add_u32_e32 v17, -1, v36
	v_and_b32_e32 v18, 64, v36
	v_cmp_lt_i32_e32 vcc, v17, v18
	v_cndmask_b32_e32 v17, v17, v36, vcc
	s_waitcnt lgkmcnt(0)
	v_add_u32_e32 v14, v16, v14
	v_lshlrev_b32_e32 v17, 2, v17
	ds_bpermute_b32 v17, v17, v14
	ds_read_b32 v14, v15 offset:12
	s_and_saveexec_b64 s[2:3], s[0:1]
	s_cbranch_execz .LBB765_116
; %bb.115:
	v_mov_b32_e32 v18, 0
	v_mov_b32_e32 v15, 2
	s_waitcnt lgkmcnt(0)
	global_store_dwordx2 v18, v[14:15], s[56:57] offset:512
.LBB765_116:
	s_or_b64 exec, exec, s[2:3]
	v_cmp_eq_u32_e32 vcc, 0, v36
	s_waitcnt lgkmcnt(1)
	v_cndmask_b32_e32 v15, v17, v16, vcc
	v_mov_b32_e32 v16, 0
	v_cndmask_b32_e64 v56, v15, 0, s[0:1]
	s_waitcnt lgkmcnt(0)
	s_barrier
.LBB765_117:
	v_add_u32_e32 v60, v56, v24
	v_add_u32_e32 v58, v60, v25
	;; [unrolled: 1-line block ×19, first 2 shown]
	s_movk_i32 s2, 0x101
	v_add_u32_e32 v20, v22, v51
	v_cmp_gt_u32_e32 vcc, s2, v14
	v_add_u32_sdwa v18, v20, v71 dst_sel:DWORD dst_unused:UNUSED_PAD src0_sel:DWORD src1_sel:BYTE_0
	s_mov_b64 s[2:3], -1
	s_cbranch_vccnz .LBB765_121
; %bb.118:
	s_and_b64 vcc, exec, s[2:3]
	s_cbranch_vccnz .LBB765_188
.LBB765_119:
	s_and_b64 s[0:1], s[0:1], s[50:51]
	s_and_saveexec_b64 s[2:3], s[0:1]
	s_cbranch_execnz .LBB765_248
.LBB765_120:
	s_endpgm
.LBB765_121:
	v_lshlrev_b64 v[96:97], 1, v[8:9]
	v_mov_b32_e32 v17, s53
	v_add_co_u32_e32 v15, vcc, s52, v96
	v_add_u32_e32 v19, v16, v14
	v_addc_co_u32_e32 v17, vcc, v17, v97, vcc
	v_cmp_lt_u32_e32 vcc, v56, v19
	s_or_b64 s[4:5], s[54:55], vcc
	s_and_saveexec_b64 s[2:3], s[4:5]
	s_cbranch_execz .LBB765_124
; %bb.122:
	v_and_b32_e32 v21, 1, v94
	v_cmp_eq_u32_e32 vcc, 1, v21
	s_and_b64 exec, exec, vcc
	s_cbranch_execz .LBB765_124
; %bb.123:
	v_mov_b32_e32 v57, 0
	v_lshlrev_b64 v[96:97], 1, v[56:57]
	v_add_co_u32_e32 v96, vcc, v15, v96
	v_addc_co_u32_e32 v97, vcc, v17, v97, vcc
	global_store_short v[96:97], v12, off
.LBB765_124:
	s_or_b64 exec, exec, s[2:3]
	v_cmp_lt_u32_e32 vcc, v60, v19
	s_or_b64 s[4:5], s[54:55], vcc
	s_and_saveexec_b64 s[2:3], s[4:5]
	s_cbranch_execz .LBB765_127
; %bb.125:
	v_and_b32_e32 v21, 1, v93
	v_cmp_eq_u32_e32 vcc, 1, v21
	s_and_b64 exec, exec, vcc
	s_cbranch_execz .LBB765_127
; %bb.126:
	v_mov_b32_e32 v61, 0
	v_lshlrev_b64 v[96:97], 1, v[60:61]
	v_add_co_u32_e32 v96, vcc, v15, v96
	v_addc_co_u32_e32 v97, vcc, v17, v97, vcc
	global_store_short v[96:97], v76, off
.LBB765_127:
	s_or_b64 exec, exec, s[2:3]
	;; [unrolled: 17-line block ×22, first 2 shown]
	s_branch .LBB765_119
.LBB765_188:
	v_and_b32_e32 v15, 1, v94
	v_cmp_eq_u32_e32 vcc, 1, v15
	s_and_saveexec_b64 s[2:3], vcc
	s_cbranch_execz .LBB765_190
; %bb.189:
	v_sub_u32_e32 v15, v56, v16
	v_lshlrev_b32_e32 v15, 1, v15
	ds_write_b16 v15, v12
.LBB765_190:
	s_or_b64 exec, exec, s[2:3]
	v_and_b32_e32 v12, 1, v93
	v_cmp_eq_u32_e32 vcc, 1, v12
	s_and_saveexec_b64 s[2:3], vcc
	s_cbranch_execz .LBB765_192
; %bb.191:
	v_sub_u32_e32 v12, v60, v16
	v_lshlrev_b32_e32 v12, 1, v12
	ds_write_b16 v12, v76
.LBB765_192:
	s_or_b64 exec, exec, s[2:3]
	;; [unrolled: 10-line block ×22, first 2 shown]
	v_cmp_lt_u32_e32 vcc, v0, v14
	s_waitcnt lgkmcnt(0)
	s_barrier
	s_and_saveexec_b64 s[6:7], vcc
	s_cbranch_execz .LBB765_247
; %bb.233:
	v_lshlrev_b64 v[2:3], 1, v[8:9]
	v_mov_b32_e32 v17, 0
	v_mov_b32_e32 v1, s53
	v_add_co_u32_e32 v4, vcc, s52, v2
	v_addc_co_u32_e32 v1, vcc, v1, v3, vcc
	v_lshlrev_b64 v[2:3], 1, v[16:17]
	v_add_co_u32_e32 v12, vcc, v4, v2
	v_addc_co_u32_e32 v13, vcc, v1, v3, vcc
	v_xad_u32 v1, v0, -1, v14
	s_movk_i32 s2, 0x1700
	v_cmp_gt_u32_e32 vcc, s2, v1
	s_movk_i32 s2, 0x16ff
	v_cmp_lt_u32_e64 s[2:3], s2, v1
	s_and_saveexec_b64 s[8:9], s[2:3]
	s_cbranch_execz .LBB765_244
; %bb.234:
	v_sub_u32_e32 v2, v0, v14
	v_or_b32_e32 v2, 0xff, v2
	v_cmp_ge_u32_e64 s[2:3], v2, v0
	s_mov_b64 s[4:5], -1
	s_and_saveexec_b64 s[10:11], s[2:3]
	s_cbranch_execz .LBB765_243
; %bb.235:
	v_lshrrev_b32_e32 v15, 8, v1
	v_add_u32_e32 v4, -3, v15
	v_or_b32_e32 v3, 0x300, v0
	v_or_b32_e32 v2, 0x200, v0
	v_lshrrev_b32_e32 v5, 2, v4
	v_or_b32_e32 v1, 0x100, v0
	v_add_u32_e32 v18, 1, v5
	v_cmp_lt_u32_e64 s[2:3], 11, v4
	v_pk_mov_b32 v[6:7], v[2:3], v[2:3] op_sel:[0,1]
	v_mov_b32_e32 v21, 0
	v_lshlrev_b32_e32 v17, 1, v0
	v_pk_mov_b32 v[4:5], v[0:1], v[0:1] op_sel:[0,1]
	s_and_saveexec_b64 s[12:13], s[2:3]
	s_cbranch_execz .LBB765_239
; %bb.236:
	v_pk_mov_b32 v[6:7], v[2:3], v[2:3] op_sel:[0,1]
	v_and_b32_e32 v19, 0x7ffffffc, v18
	s_mov_b32 s16, 0
	s_mov_b64 s[14:15], 0
	v_mov_b32_e32 v11, 0
	v_mov_b32_e32 v20, v17
	v_pk_mov_b32 v[4:5], v[0:1], v[0:1] op_sel:[0,1]
.LBB765_237:                            ; =>This Inner Loop Header: Depth=1
	v_mov_b32_e32 v10, v4
	v_lshlrev_b64 v[38:39], 1, v[10:11]
	v_add_u32_e32 v24, 0x400, v5
	v_mov_b32_e32 v25, v11
	v_add_co_u32_e64 v38, s[4:5], v12, v38
	v_lshlrev_b64 v[24:25], 1, v[24:25]
	v_addc_co_u32_e64 v39, s[4:5], v13, v39, s[4:5]
	v_add_u32_e32 v22, 0x400, v6
	v_mov_b32_e32 v23, v11
	v_add_co_u32_e64 v24, s[4:5], v12, v24
	v_lshlrev_b64 v[22:23], 1, v[22:23]
	v_addc_co_u32_e64 v25, s[4:5], v13, v25, s[4:5]
	v_add_u32_e32 v2, 0x400, v7
	v_mov_b32_e32 v3, v11
	v_add_co_u32_e64 v22, s[4:5], v12, v22
	v_add_u32_e32 v19, -4, v19
	v_mov_b32_e32 v10, v5
	v_lshlrev_b64 v[2:3], 1, v[2:3]
	v_addc_co_u32_e64 v23, s[4:5], v13, v23, s[4:5]
	v_add_u32_e32 v30, 0x800, v5
	v_mov_b32_e32 v31, v11
	s_add_i32 s16, s16, 16
	v_cmp_eq_u32_e64 s[2:3], 0, v19
	v_lshlrev_b64 v[40:41], 1, v[10:11]
	v_add_co_u32_e64 v2, s[4:5], v12, v2
	v_lshlrev_b64 v[30:31], 1, v[30:31]
	v_mov_b32_e32 v10, v6
	v_addc_co_u32_e64 v3, s[4:5], v13, v3, s[4:5]
	s_or_b64 s[14:15], s[2:3], s[14:15]
	v_add_co_u32_e64 v40, s[2:3], v12, v40
	v_add_u32_e32 v28, 0x800, v6
	v_mov_b32_e32 v29, v11
	v_add_co_u32_e64 v30, s[4:5], v12, v30
	v_addc_co_u32_e64 v41, s[2:3], v13, v41, s[2:3]
	v_lshlrev_b64 v[42:43], 1, v[10:11]
	v_lshlrev_b64 v[28:29], 1, v[28:29]
	v_addc_co_u32_e64 v31, s[4:5], v13, v31, s[4:5]
	v_mov_b32_e32 v10, v7
	v_add_co_u32_e64 v42, s[2:3], v12, v42
	ds_read_u16 v1, v20
	ds_read_u16 v46, v20 offset:512
	ds_read_u16 v47, v20 offset:1024
	;; [unrolled: 1-line block ×7, first 2 shown]
	v_add_u32_e32 v26, 0x800, v7
	v_mov_b32_e32 v27, v11
	v_add_co_u32_e64 v28, s[4:5], v12, v28
	v_addc_co_u32_e64 v43, s[2:3], v13, v43, s[2:3]
	v_lshlrev_b64 v[44:45], 1, v[10:11]
	v_lshlrev_b64 v[26:27], 1, v[26:27]
	v_addc_co_u32_e64 v29, s[4:5], v13, v29, s[4:5]
	v_add_u32_e32 v10, 0x400, v4
	v_add_co_u32_e64 v44, s[2:3], v12, v44
	v_add_u32_e32 v36, 0xc00, v5
	ds_read_u16 v53, v20 offset:4096
	ds_read_u16 v54, v20 offset:4608
	;; [unrolled: 1-line block ×8, first 2 shown]
	v_mov_b32_e32 v37, v11
	v_add_co_u32_e64 v26, s[4:5], v12, v26
	v_addc_co_u32_e64 v45, s[2:3], v13, v45, s[2:3]
	s_waitcnt lgkmcnt(14)
	global_store_short v[38:39], v1, off
	global_store_short v[40:41], v46, off
	s_waitcnt lgkmcnt(13)
	global_store_short v[42:43], v47, off
	v_lshlrev_b64 v[38:39], 1, v[10:11]
	v_lshlrev_b64 v[36:37], 1, v[36:37]
	v_addc_co_u32_e64 v27, s[4:5], v13, v27, s[4:5]
	v_add_u32_e32 v10, 0x800, v4
	v_add_co_u32_e64 v38, s[2:3], v12, v38
	v_add_u32_e32 v34, 0xc00, v6
	v_mov_b32_e32 v35, v11
	v_add_co_u32_e64 v36, s[4:5], v12, v36
	v_addc_co_u32_e64 v39, s[2:3], v13, v39, s[2:3]
	v_lshlrev_b64 v[40:41], 1, v[10:11]
	v_lshlrev_b64 v[34:35], 1, v[34:35]
	v_addc_co_u32_e64 v37, s[4:5], v13, v37, s[4:5]
	s_waitcnt lgkmcnt(12)
	global_store_short v[44:45], v48, off
	v_add_u32_e32 v10, 0xc00, v4
	s_waitcnt lgkmcnt(11)
	global_store_short v[38:39], v49, off
	s_waitcnt lgkmcnt(10)
	global_store_short v[24:25], v50, off
	;; [unrolled: 2-line block ×4, first 2 shown]
	v_add_co_u32_e64 v2, s[2:3], v12, v40
	v_add_u32_e32 v32, 0xc00, v7
	v_mov_b32_e32 v33, v11
	v_add_co_u32_e64 v34, s[4:5], v12, v34
	v_addc_co_u32_e64 v3, s[2:3], v13, v41, s[2:3]
	v_lshlrev_b64 v[22:23], 1, v[10:11]
	v_lshlrev_b64 v[32:33], 1, v[32:33]
	v_addc_co_u32_e64 v35, s[4:5], v13, v35, s[4:5]
	s_waitcnt lgkmcnt(7)
	global_store_short v[2:3], v53, off
	s_waitcnt lgkmcnt(6)
	global_store_short v[30:31], v54, off
	s_waitcnt lgkmcnt(5)
	global_store_short v[28:29], v55, off
	s_waitcnt lgkmcnt(4)
	global_store_short v[26:27], v56, off
	v_add_co_u32_e64 v2, s[2:3], v12, v22
	v_add_u32_e32 v20, 0x2000, v20
	v_add_u32_e32 v5, 0x1000, v5
	v_mov_b32_e32 v21, s16
	v_add_co_u32_e64 v32, s[4:5], v12, v32
	v_add_u32_e32 v6, 0x1000, v6
	v_add_u32_e32 v7, 0x1000, v7
	;; [unrolled: 1-line block ×3, first 2 shown]
	v_addc_co_u32_e64 v3, s[2:3], v13, v23, s[2:3]
	v_addc_co_u32_e64 v33, s[4:5], v13, v33, s[4:5]
	s_waitcnt lgkmcnt(3)
	global_store_short v[2:3], v57, off
	s_waitcnt lgkmcnt(2)
	global_store_short v[36:37], v58, off
	;; [unrolled: 2-line block ×4, first 2 shown]
	s_andn2_b64 exec, exec, s[14:15]
	s_cbranch_execnz .LBB765_237
; %bb.238:
	s_or_b64 exec, exec, s[14:15]
.LBB765_239:
	s_or_b64 exec, exec, s[12:13]
	v_and_b32_e32 v1, 3, v18
	v_cmp_ne_u32_e64 s[2:3], 0, v1
	s_and_saveexec_b64 s[12:13], s[2:3]
	s_cbranch_execz .LBB765_242
; %bb.240:
	v_lshl_or_b32 v10, v21, 9, v17
	s_mov_b64 s[14:15], 0
	v_mov_b32_e32 v3, 0
.LBB765_241:                            ; =>This Inner Loop Header: Depth=1
	v_mov_b32_e32 v2, v4
	v_add_u32_e32 v1, -1, v1
	v_lshlrev_b64 v[18:19], 1, v[2:3]
	v_mov_b32_e32 v2, v5
	v_cmp_eq_u32_e64 s[2:3], 0, v1
	v_lshlrev_b64 v[20:21], 1, v[2:3]
	ds_read_u16 v11, v10
	ds_read_u16 v17, v10 offset:512
	ds_read_u16 v26, v10 offset:1024
	;; [unrolled: 1-line block ×3, first 2 shown]
	v_mov_b32_e32 v2, v6
	s_or_b64 s[14:15], s[2:3], s[14:15]
	v_add_co_u32_e64 v20, s[2:3], v12, v20
	v_addc_co_u32_e64 v21, s[2:3], v13, v21, s[2:3]
	v_lshlrev_b64 v[22:23], 1, v[2:3]
	v_mov_b32_e32 v2, v7
	v_add_co_u32_e64 v22, s[2:3], v12, v22
	v_add_co_u32_e64 v18, s[4:5], v12, v18
	v_addc_co_u32_e64 v23, s[2:3], v13, v23, s[2:3]
	v_lshlrev_b64 v[24:25], 1, v[2:3]
	v_add_u32_e32 v4, 0x400, v4
	v_add_u32_e32 v10, 0x800, v10
	;; [unrolled: 1-line block ×3, first 2 shown]
	v_addc_co_u32_e64 v19, s[4:5], v13, v19, s[4:5]
	v_add_u32_e32 v6, 0x400, v6
	v_add_u32_e32 v7, 0x400, v7
	v_add_co_u32_e64 v24, s[2:3], v12, v24
	v_addc_co_u32_e64 v25, s[2:3], v13, v25, s[2:3]
	s_waitcnt lgkmcnt(3)
	global_store_short v[18:19], v11, off
	s_waitcnt lgkmcnt(2)
	global_store_short v[20:21], v17, off
	;; [unrolled: 2-line block ×4, first 2 shown]
	s_andn2_b64 exec, exec, s[14:15]
	s_cbranch_execnz .LBB765_241
.LBB765_242:
	s_or_b64 exec, exec, s[12:13]
	v_add_u32_e32 v1, 1, v15
	v_and_b32_e32 v2, 0x1fffffc, v1
	v_cmp_ne_u32_e64 s[2:3], v1, v2
	v_lshl_or_b32 v0, v2, 8, v0
	s_orn2_b64 s[4:5], s[2:3], exec
.LBB765_243:
	s_or_b64 exec, exec, s[10:11]
	s_andn2_b64 s[2:3], vcc, exec
	s_and_b64 s[4:5], s[4:5], exec
	s_or_b64 vcc, s[2:3], s[4:5]
.LBB765_244:
	s_or_b64 exec, exec, s[8:9]
	s_and_b64 exec, exec, vcc
	s_cbranch_execz .LBB765_247
; %bb.245:
	v_lshlrev_b32_e32 v2, 1, v0
	s_mov_b64 s[2:3], 0
	v_mov_b32_e32 v1, 0
.LBB765_246:                            ; =>This Inner Loop Header: Depth=1
	ds_read_u16 v3, v2
	v_lshlrev_b64 v[4:5], 1, v[0:1]
	v_add_co_u32_e32 v4, vcc, v12, v4
	v_add_u32_e32 v0, 0x100, v0
	v_addc_co_u32_e32 v5, vcc, v13, v5, vcc
	v_cmp_ge_u32_e32 vcc, v0, v14
	v_add_u32_e32 v2, 0x200, v2
	s_or_b64 s[2:3], vcc, s[2:3]
	s_waitcnt lgkmcnt(0)
	global_store_short v[4:5], v3, off
	s_andn2_b64 exec, exec, s[2:3]
	s_cbranch_execnz .LBB765_246
.LBB765_247:
	s_or_b64 exec, exec, s[6:7]
	s_and_b64 s[0:1], s[0:1], s[50:51]
	s_and_saveexec_b64 s[2:3], s[0:1]
	s_cbranch_execz .LBB765_120
.LBB765_248:
	v_add_co_u32_e32 v0, vcc, v8, v14
	v_addc_co_u32_e32 v1, vcc, 0, v9, vcc
	v_add_co_u32_e32 v0, vcc, v0, v16
	v_mov_b32_e32 v2, 0
	v_addc_co_u32_e32 v1, vcc, 0, v1, vcc
	global_store_dwordx2 v2, v[0:1], s[48:49]
	s_endpgm
	.section	.rodata,"a",@progbits
	.p2align	6, 0x0
	.amdhsa_kernel _ZN7rocprim17ROCPRIM_400000_NS6detail17trampoline_kernelINS0_14default_configENS1_25partition_config_selectorILNS1_17partition_subalgoE8EtNS0_10empty_typeEbEEZZNS1_14partition_implILS5_8ELb0ES3_jPKtPS6_PKS6_NS0_5tupleIJPtS6_EEENSE_IJSB_SB_EEENS0_18inequality_wrapperIN6hipcub16HIPCUB_304000_NS8EqualityEEEPlJS6_EEE10hipError_tPvRmT3_T4_T5_T6_T7_T9_mT8_P12ihipStream_tbDpT10_ENKUlT_T0_E_clISt17integral_constantIbLb1EES17_EEDaS12_S13_EUlS12_E_NS1_11comp_targetILNS1_3genE4ELNS1_11target_archE910ELNS1_3gpuE8ELNS1_3repE0EEENS1_30default_config_static_selectorELNS0_4arch9wavefront6targetE1EEEvT1_
		.amdhsa_group_segment_fixed_size 11272
		.amdhsa_private_segment_fixed_size 0
		.amdhsa_kernarg_size 128
		.amdhsa_user_sgpr_count 6
		.amdhsa_user_sgpr_private_segment_buffer 1
		.amdhsa_user_sgpr_dispatch_ptr 0
		.amdhsa_user_sgpr_queue_ptr 0
		.amdhsa_user_sgpr_kernarg_segment_ptr 1
		.amdhsa_user_sgpr_dispatch_id 0
		.amdhsa_user_sgpr_flat_scratch_init 0
		.amdhsa_user_sgpr_kernarg_preload_length 0
		.amdhsa_user_sgpr_kernarg_preload_offset 0
		.amdhsa_user_sgpr_private_segment_size 0
		.amdhsa_uses_dynamic_stack 0
		.amdhsa_system_sgpr_private_segment_wavefront_offset 0
		.amdhsa_system_sgpr_workgroup_id_x 1
		.amdhsa_system_sgpr_workgroup_id_y 0
		.amdhsa_system_sgpr_workgroup_id_z 0
		.amdhsa_system_sgpr_workgroup_info 0
		.amdhsa_system_vgpr_workitem_id 0
		.amdhsa_next_free_vgpr 98
		.amdhsa_next_free_sgpr 65
		.amdhsa_accum_offset 100
		.amdhsa_reserve_vcc 1
		.amdhsa_reserve_flat_scratch 0
		.amdhsa_float_round_mode_32 0
		.amdhsa_float_round_mode_16_64 0
		.amdhsa_float_denorm_mode_32 3
		.amdhsa_float_denorm_mode_16_64 3
		.amdhsa_dx10_clamp 1
		.amdhsa_ieee_mode 1
		.amdhsa_fp16_overflow 0
		.amdhsa_tg_split 0
		.amdhsa_exception_fp_ieee_invalid_op 0
		.amdhsa_exception_fp_denorm_src 0
		.amdhsa_exception_fp_ieee_div_zero 0
		.amdhsa_exception_fp_ieee_overflow 0
		.amdhsa_exception_fp_ieee_underflow 0
		.amdhsa_exception_fp_ieee_inexact 0
		.amdhsa_exception_int_div_zero 0
	.end_amdhsa_kernel
	.section	.text._ZN7rocprim17ROCPRIM_400000_NS6detail17trampoline_kernelINS0_14default_configENS1_25partition_config_selectorILNS1_17partition_subalgoE8EtNS0_10empty_typeEbEEZZNS1_14partition_implILS5_8ELb0ES3_jPKtPS6_PKS6_NS0_5tupleIJPtS6_EEENSE_IJSB_SB_EEENS0_18inequality_wrapperIN6hipcub16HIPCUB_304000_NS8EqualityEEEPlJS6_EEE10hipError_tPvRmT3_T4_T5_T6_T7_T9_mT8_P12ihipStream_tbDpT10_ENKUlT_T0_E_clISt17integral_constantIbLb1EES17_EEDaS12_S13_EUlS12_E_NS1_11comp_targetILNS1_3genE4ELNS1_11target_archE910ELNS1_3gpuE8ELNS1_3repE0EEENS1_30default_config_static_selectorELNS0_4arch9wavefront6targetE1EEEvT1_,"axG",@progbits,_ZN7rocprim17ROCPRIM_400000_NS6detail17trampoline_kernelINS0_14default_configENS1_25partition_config_selectorILNS1_17partition_subalgoE8EtNS0_10empty_typeEbEEZZNS1_14partition_implILS5_8ELb0ES3_jPKtPS6_PKS6_NS0_5tupleIJPtS6_EEENSE_IJSB_SB_EEENS0_18inequality_wrapperIN6hipcub16HIPCUB_304000_NS8EqualityEEEPlJS6_EEE10hipError_tPvRmT3_T4_T5_T6_T7_T9_mT8_P12ihipStream_tbDpT10_ENKUlT_T0_E_clISt17integral_constantIbLb1EES17_EEDaS12_S13_EUlS12_E_NS1_11comp_targetILNS1_3genE4ELNS1_11target_archE910ELNS1_3gpuE8ELNS1_3repE0EEENS1_30default_config_static_selectorELNS0_4arch9wavefront6targetE1EEEvT1_,comdat
.Lfunc_end765:
	.size	_ZN7rocprim17ROCPRIM_400000_NS6detail17trampoline_kernelINS0_14default_configENS1_25partition_config_selectorILNS1_17partition_subalgoE8EtNS0_10empty_typeEbEEZZNS1_14partition_implILS5_8ELb0ES3_jPKtPS6_PKS6_NS0_5tupleIJPtS6_EEENSE_IJSB_SB_EEENS0_18inequality_wrapperIN6hipcub16HIPCUB_304000_NS8EqualityEEEPlJS6_EEE10hipError_tPvRmT3_T4_T5_T6_T7_T9_mT8_P12ihipStream_tbDpT10_ENKUlT_T0_E_clISt17integral_constantIbLb1EES17_EEDaS12_S13_EUlS12_E_NS1_11comp_targetILNS1_3genE4ELNS1_11target_archE910ELNS1_3gpuE8ELNS1_3repE0EEENS1_30default_config_static_selectorELNS0_4arch9wavefront6targetE1EEEvT1_, .Lfunc_end765-_ZN7rocprim17ROCPRIM_400000_NS6detail17trampoline_kernelINS0_14default_configENS1_25partition_config_selectorILNS1_17partition_subalgoE8EtNS0_10empty_typeEbEEZZNS1_14partition_implILS5_8ELb0ES3_jPKtPS6_PKS6_NS0_5tupleIJPtS6_EEENSE_IJSB_SB_EEENS0_18inequality_wrapperIN6hipcub16HIPCUB_304000_NS8EqualityEEEPlJS6_EEE10hipError_tPvRmT3_T4_T5_T6_T7_T9_mT8_P12ihipStream_tbDpT10_ENKUlT_T0_E_clISt17integral_constantIbLb1EES17_EEDaS12_S13_EUlS12_E_NS1_11comp_targetILNS1_3genE4ELNS1_11target_archE910ELNS1_3gpuE8ELNS1_3repE0EEENS1_30default_config_static_selectorELNS0_4arch9wavefront6targetE1EEEvT1_
                                        ; -- End function
	.section	.AMDGPU.csdata,"",@progbits
; Kernel info:
; codeLenInByte = 10776
; NumSgprs: 69
; NumVgprs: 98
; NumAgprs: 0
; TotalNumVgprs: 98
; ScratchSize: 0
; MemoryBound: 0
; FloatMode: 240
; IeeeMode: 1
; LDSByteSize: 11272 bytes/workgroup (compile time only)
; SGPRBlocks: 8
; VGPRBlocks: 12
; NumSGPRsForWavesPerEU: 69
; NumVGPRsForWavesPerEU: 98
; AccumOffset: 100
; Occupancy: 4
; WaveLimiterHint : 1
; COMPUTE_PGM_RSRC2:SCRATCH_EN: 0
; COMPUTE_PGM_RSRC2:USER_SGPR: 6
; COMPUTE_PGM_RSRC2:TRAP_HANDLER: 0
; COMPUTE_PGM_RSRC2:TGID_X_EN: 1
; COMPUTE_PGM_RSRC2:TGID_Y_EN: 0
; COMPUTE_PGM_RSRC2:TGID_Z_EN: 0
; COMPUTE_PGM_RSRC2:TIDIG_COMP_CNT: 0
; COMPUTE_PGM_RSRC3_GFX90A:ACCUM_OFFSET: 24
; COMPUTE_PGM_RSRC3_GFX90A:TG_SPLIT: 0
	.section	.text._ZN7rocprim17ROCPRIM_400000_NS6detail17trampoline_kernelINS0_14default_configENS1_25partition_config_selectorILNS1_17partition_subalgoE8EtNS0_10empty_typeEbEEZZNS1_14partition_implILS5_8ELb0ES3_jPKtPS6_PKS6_NS0_5tupleIJPtS6_EEENSE_IJSB_SB_EEENS0_18inequality_wrapperIN6hipcub16HIPCUB_304000_NS8EqualityEEEPlJS6_EEE10hipError_tPvRmT3_T4_T5_T6_T7_T9_mT8_P12ihipStream_tbDpT10_ENKUlT_T0_E_clISt17integral_constantIbLb1EES17_EEDaS12_S13_EUlS12_E_NS1_11comp_targetILNS1_3genE3ELNS1_11target_archE908ELNS1_3gpuE7ELNS1_3repE0EEENS1_30default_config_static_selectorELNS0_4arch9wavefront6targetE1EEEvT1_,"axG",@progbits,_ZN7rocprim17ROCPRIM_400000_NS6detail17trampoline_kernelINS0_14default_configENS1_25partition_config_selectorILNS1_17partition_subalgoE8EtNS0_10empty_typeEbEEZZNS1_14partition_implILS5_8ELb0ES3_jPKtPS6_PKS6_NS0_5tupleIJPtS6_EEENSE_IJSB_SB_EEENS0_18inequality_wrapperIN6hipcub16HIPCUB_304000_NS8EqualityEEEPlJS6_EEE10hipError_tPvRmT3_T4_T5_T6_T7_T9_mT8_P12ihipStream_tbDpT10_ENKUlT_T0_E_clISt17integral_constantIbLb1EES17_EEDaS12_S13_EUlS12_E_NS1_11comp_targetILNS1_3genE3ELNS1_11target_archE908ELNS1_3gpuE7ELNS1_3repE0EEENS1_30default_config_static_selectorELNS0_4arch9wavefront6targetE1EEEvT1_,comdat
	.protected	_ZN7rocprim17ROCPRIM_400000_NS6detail17trampoline_kernelINS0_14default_configENS1_25partition_config_selectorILNS1_17partition_subalgoE8EtNS0_10empty_typeEbEEZZNS1_14partition_implILS5_8ELb0ES3_jPKtPS6_PKS6_NS0_5tupleIJPtS6_EEENSE_IJSB_SB_EEENS0_18inequality_wrapperIN6hipcub16HIPCUB_304000_NS8EqualityEEEPlJS6_EEE10hipError_tPvRmT3_T4_T5_T6_T7_T9_mT8_P12ihipStream_tbDpT10_ENKUlT_T0_E_clISt17integral_constantIbLb1EES17_EEDaS12_S13_EUlS12_E_NS1_11comp_targetILNS1_3genE3ELNS1_11target_archE908ELNS1_3gpuE7ELNS1_3repE0EEENS1_30default_config_static_selectorELNS0_4arch9wavefront6targetE1EEEvT1_ ; -- Begin function _ZN7rocprim17ROCPRIM_400000_NS6detail17trampoline_kernelINS0_14default_configENS1_25partition_config_selectorILNS1_17partition_subalgoE8EtNS0_10empty_typeEbEEZZNS1_14partition_implILS5_8ELb0ES3_jPKtPS6_PKS6_NS0_5tupleIJPtS6_EEENSE_IJSB_SB_EEENS0_18inequality_wrapperIN6hipcub16HIPCUB_304000_NS8EqualityEEEPlJS6_EEE10hipError_tPvRmT3_T4_T5_T6_T7_T9_mT8_P12ihipStream_tbDpT10_ENKUlT_T0_E_clISt17integral_constantIbLb1EES17_EEDaS12_S13_EUlS12_E_NS1_11comp_targetILNS1_3genE3ELNS1_11target_archE908ELNS1_3gpuE7ELNS1_3repE0EEENS1_30default_config_static_selectorELNS0_4arch9wavefront6targetE1EEEvT1_
	.globl	_ZN7rocprim17ROCPRIM_400000_NS6detail17trampoline_kernelINS0_14default_configENS1_25partition_config_selectorILNS1_17partition_subalgoE8EtNS0_10empty_typeEbEEZZNS1_14partition_implILS5_8ELb0ES3_jPKtPS6_PKS6_NS0_5tupleIJPtS6_EEENSE_IJSB_SB_EEENS0_18inequality_wrapperIN6hipcub16HIPCUB_304000_NS8EqualityEEEPlJS6_EEE10hipError_tPvRmT3_T4_T5_T6_T7_T9_mT8_P12ihipStream_tbDpT10_ENKUlT_T0_E_clISt17integral_constantIbLb1EES17_EEDaS12_S13_EUlS12_E_NS1_11comp_targetILNS1_3genE3ELNS1_11target_archE908ELNS1_3gpuE7ELNS1_3repE0EEENS1_30default_config_static_selectorELNS0_4arch9wavefront6targetE1EEEvT1_
	.p2align	8
	.type	_ZN7rocprim17ROCPRIM_400000_NS6detail17trampoline_kernelINS0_14default_configENS1_25partition_config_selectorILNS1_17partition_subalgoE8EtNS0_10empty_typeEbEEZZNS1_14partition_implILS5_8ELb0ES3_jPKtPS6_PKS6_NS0_5tupleIJPtS6_EEENSE_IJSB_SB_EEENS0_18inequality_wrapperIN6hipcub16HIPCUB_304000_NS8EqualityEEEPlJS6_EEE10hipError_tPvRmT3_T4_T5_T6_T7_T9_mT8_P12ihipStream_tbDpT10_ENKUlT_T0_E_clISt17integral_constantIbLb1EES17_EEDaS12_S13_EUlS12_E_NS1_11comp_targetILNS1_3genE3ELNS1_11target_archE908ELNS1_3gpuE7ELNS1_3repE0EEENS1_30default_config_static_selectorELNS0_4arch9wavefront6targetE1EEEvT1_,@function
_ZN7rocprim17ROCPRIM_400000_NS6detail17trampoline_kernelINS0_14default_configENS1_25partition_config_selectorILNS1_17partition_subalgoE8EtNS0_10empty_typeEbEEZZNS1_14partition_implILS5_8ELb0ES3_jPKtPS6_PKS6_NS0_5tupleIJPtS6_EEENSE_IJSB_SB_EEENS0_18inequality_wrapperIN6hipcub16HIPCUB_304000_NS8EqualityEEEPlJS6_EEE10hipError_tPvRmT3_T4_T5_T6_T7_T9_mT8_P12ihipStream_tbDpT10_ENKUlT_T0_E_clISt17integral_constantIbLb1EES17_EEDaS12_S13_EUlS12_E_NS1_11comp_targetILNS1_3genE3ELNS1_11target_archE908ELNS1_3gpuE7ELNS1_3repE0EEENS1_30default_config_static_selectorELNS0_4arch9wavefront6targetE1EEEvT1_: ; @_ZN7rocprim17ROCPRIM_400000_NS6detail17trampoline_kernelINS0_14default_configENS1_25partition_config_selectorILNS1_17partition_subalgoE8EtNS0_10empty_typeEbEEZZNS1_14partition_implILS5_8ELb0ES3_jPKtPS6_PKS6_NS0_5tupleIJPtS6_EEENSE_IJSB_SB_EEENS0_18inequality_wrapperIN6hipcub16HIPCUB_304000_NS8EqualityEEEPlJS6_EEE10hipError_tPvRmT3_T4_T5_T6_T7_T9_mT8_P12ihipStream_tbDpT10_ENKUlT_T0_E_clISt17integral_constantIbLb1EES17_EEDaS12_S13_EUlS12_E_NS1_11comp_targetILNS1_3genE3ELNS1_11target_archE908ELNS1_3gpuE7ELNS1_3repE0EEENS1_30default_config_static_selectorELNS0_4arch9wavefront6targetE1EEEvT1_
; %bb.0:
	.section	.rodata,"a",@progbits
	.p2align	6, 0x0
	.amdhsa_kernel _ZN7rocprim17ROCPRIM_400000_NS6detail17trampoline_kernelINS0_14default_configENS1_25partition_config_selectorILNS1_17partition_subalgoE8EtNS0_10empty_typeEbEEZZNS1_14partition_implILS5_8ELb0ES3_jPKtPS6_PKS6_NS0_5tupleIJPtS6_EEENSE_IJSB_SB_EEENS0_18inequality_wrapperIN6hipcub16HIPCUB_304000_NS8EqualityEEEPlJS6_EEE10hipError_tPvRmT3_T4_T5_T6_T7_T9_mT8_P12ihipStream_tbDpT10_ENKUlT_T0_E_clISt17integral_constantIbLb1EES17_EEDaS12_S13_EUlS12_E_NS1_11comp_targetILNS1_3genE3ELNS1_11target_archE908ELNS1_3gpuE7ELNS1_3repE0EEENS1_30default_config_static_selectorELNS0_4arch9wavefront6targetE1EEEvT1_
		.amdhsa_group_segment_fixed_size 0
		.amdhsa_private_segment_fixed_size 0
		.amdhsa_kernarg_size 128
		.amdhsa_user_sgpr_count 6
		.amdhsa_user_sgpr_private_segment_buffer 1
		.amdhsa_user_sgpr_dispatch_ptr 0
		.amdhsa_user_sgpr_queue_ptr 0
		.amdhsa_user_sgpr_kernarg_segment_ptr 1
		.amdhsa_user_sgpr_dispatch_id 0
		.amdhsa_user_sgpr_flat_scratch_init 0
		.amdhsa_user_sgpr_kernarg_preload_length 0
		.amdhsa_user_sgpr_kernarg_preload_offset 0
		.amdhsa_user_sgpr_private_segment_size 0
		.amdhsa_uses_dynamic_stack 0
		.amdhsa_system_sgpr_private_segment_wavefront_offset 0
		.amdhsa_system_sgpr_workgroup_id_x 1
		.amdhsa_system_sgpr_workgroup_id_y 0
		.amdhsa_system_sgpr_workgroup_id_z 0
		.amdhsa_system_sgpr_workgroup_info 0
		.amdhsa_system_vgpr_workitem_id 0
		.amdhsa_next_free_vgpr 1
		.amdhsa_next_free_sgpr 0
		.amdhsa_accum_offset 4
		.amdhsa_reserve_vcc 0
		.amdhsa_reserve_flat_scratch 0
		.amdhsa_float_round_mode_32 0
		.amdhsa_float_round_mode_16_64 0
		.amdhsa_float_denorm_mode_32 3
		.amdhsa_float_denorm_mode_16_64 3
		.amdhsa_dx10_clamp 1
		.amdhsa_ieee_mode 1
		.amdhsa_fp16_overflow 0
		.amdhsa_tg_split 0
		.amdhsa_exception_fp_ieee_invalid_op 0
		.amdhsa_exception_fp_denorm_src 0
		.amdhsa_exception_fp_ieee_div_zero 0
		.amdhsa_exception_fp_ieee_overflow 0
		.amdhsa_exception_fp_ieee_underflow 0
		.amdhsa_exception_fp_ieee_inexact 0
		.amdhsa_exception_int_div_zero 0
	.end_amdhsa_kernel
	.section	.text._ZN7rocprim17ROCPRIM_400000_NS6detail17trampoline_kernelINS0_14default_configENS1_25partition_config_selectorILNS1_17partition_subalgoE8EtNS0_10empty_typeEbEEZZNS1_14partition_implILS5_8ELb0ES3_jPKtPS6_PKS6_NS0_5tupleIJPtS6_EEENSE_IJSB_SB_EEENS0_18inequality_wrapperIN6hipcub16HIPCUB_304000_NS8EqualityEEEPlJS6_EEE10hipError_tPvRmT3_T4_T5_T6_T7_T9_mT8_P12ihipStream_tbDpT10_ENKUlT_T0_E_clISt17integral_constantIbLb1EES17_EEDaS12_S13_EUlS12_E_NS1_11comp_targetILNS1_3genE3ELNS1_11target_archE908ELNS1_3gpuE7ELNS1_3repE0EEENS1_30default_config_static_selectorELNS0_4arch9wavefront6targetE1EEEvT1_,"axG",@progbits,_ZN7rocprim17ROCPRIM_400000_NS6detail17trampoline_kernelINS0_14default_configENS1_25partition_config_selectorILNS1_17partition_subalgoE8EtNS0_10empty_typeEbEEZZNS1_14partition_implILS5_8ELb0ES3_jPKtPS6_PKS6_NS0_5tupleIJPtS6_EEENSE_IJSB_SB_EEENS0_18inequality_wrapperIN6hipcub16HIPCUB_304000_NS8EqualityEEEPlJS6_EEE10hipError_tPvRmT3_T4_T5_T6_T7_T9_mT8_P12ihipStream_tbDpT10_ENKUlT_T0_E_clISt17integral_constantIbLb1EES17_EEDaS12_S13_EUlS12_E_NS1_11comp_targetILNS1_3genE3ELNS1_11target_archE908ELNS1_3gpuE7ELNS1_3repE0EEENS1_30default_config_static_selectorELNS0_4arch9wavefront6targetE1EEEvT1_,comdat
.Lfunc_end766:
	.size	_ZN7rocprim17ROCPRIM_400000_NS6detail17trampoline_kernelINS0_14default_configENS1_25partition_config_selectorILNS1_17partition_subalgoE8EtNS0_10empty_typeEbEEZZNS1_14partition_implILS5_8ELb0ES3_jPKtPS6_PKS6_NS0_5tupleIJPtS6_EEENSE_IJSB_SB_EEENS0_18inequality_wrapperIN6hipcub16HIPCUB_304000_NS8EqualityEEEPlJS6_EEE10hipError_tPvRmT3_T4_T5_T6_T7_T9_mT8_P12ihipStream_tbDpT10_ENKUlT_T0_E_clISt17integral_constantIbLb1EES17_EEDaS12_S13_EUlS12_E_NS1_11comp_targetILNS1_3genE3ELNS1_11target_archE908ELNS1_3gpuE7ELNS1_3repE0EEENS1_30default_config_static_selectorELNS0_4arch9wavefront6targetE1EEEvT1_, .Lfunc_end766-_ZN7rocprim17ROCPRIM_400000_NS6detail17trampoline_kernelINS0_14default_configENS1_25partition_config_selectorILNS1_17partition_subalgoE8EtNS0_10empty_typeEbEEZZNS1_14partition_implILS5_8ELb0ES3_jPKtPS6_PKS6_NS0_5tupleIJPtS6_EEENSE_IJSB_SB_EEENS0_18inequality_wrapperIN6hipcub16HIPCUB_304000_NS8EqualityEEEPlJS6_EEE10hipError_tPvRmT3_T4_T5_T6_T7_T9_mT8_P12ihipStream_tbDpT10_ENKUlT_T0_E_clISt17integral_constantIbLb1EES17_EEDaS12_S13_EUlS12_E_NS1_11comp_targetILNS1_3genE3ELNS1_11target_archE908ELNS1_3gpuE7ELNS1_3repE0EEENS1_30default_config_static_selectorELNS0_4arch9wavefront6targetE1EEEvT1_
                                        ; -- End function
	.section	.AMDGPU.csdata,"",@progbits
; Kernel info:
; codeLenInByte = 0
; NumSgprs: 4
; NumVgprs: 0
; NumAgprs: 0
; TotalNumVgprs: 0
; ScratchSize: 0
; MemoryBound: 0
; FloatMode: 240
; IeeeMode: 1
; LDSByteSize: 0 bytes/workgroup (compile time only)
; SGPRBlocks: 0
; VGPRBlocks: 0
; NumSGPRsForWavesPerEU: 4
; NumVGPRsForWavesPerEU: 1
; AccumOffset: 4
; Occupancy: 8
; WaveLimiterHint : 0
; COMPUTE_PGM_RSRC2:SCRATCH_EN: 0
; COMPUTE_PGM_RSRC2:USER_SGPR: 6
; COMPUTE_PGM_RSRC2:TRAP_HANDLER: 0
; COMPUTE_PGM_RSRC2:TGID_X_EN: 1
; COMPUTE_PGM_RSRC2:TGID_Y_EN: 0
; COMPUTE_PGM_RSRC2:TGID_Z_EN: 0
; COMPUTE_PGM_RSRC2:TIDIG_COMP_CNT: 0
; COMPUTE_PGM_RSRC3_GFX90A:ACCUM_OFFSET: 0
; COMPUTE_PGM_RSRC3_GFX90A:TG_SPLIT: 0
	.section	.text._ZN7rocprim17ROCPRIM_400000_NS6detail17trampoline_kernelINS0_14default_configENS1_25partition_config_selectorILNS1_17partition_subalgoE8EtNS0_10empty_typeEbEEZZNS1_14partition_implILS5_8ELb0ES3_jPKtPS6_PKS6_NS0_5tupleIJPtS6_EEENSE_IJSB_SB_EEENS0_18inequality_wrapperIN6hipcub16HIPCUB_304000_NS8EqualityEEEPlJS6_EEE10hipError_tPvRmT3_T4_T5_T6_T7_T9_mT8_P12ihipStream_tbDpT10_ENKUlT_T0_E_clISt17integral_constantIbLb1EES17_EEDaS12_S13_EUlS12_E_NS1_11comp_targetILNS1_3genE2ELNS1_11target_archE906ELNS1_3gpuE6ELNS1_3repE0EEENS1_30default_config_static_selectorELNS0_4arch9wavefront6targetE1EEEvT1_,"axG",@progbits,_ZN7rocprim17ROCPRIM_400000_NS6detail17trampoline_kernelINS0_14default_configENS1_25partition_config_selectorILNS1_17partition_subalgoE8EtNS0_10empty_typeEbEEZZNS1_14partition_implILS5_8ELb0ES3_jPKtPS6_PKS6_NS0_5tupleIJPtS6_EEENSE_IJSB_SB_EEENS0_18inequality_wrapperIN6hipcub16HIPCUB_304000_NS8EqualityEEEPlJS6_EEE10hipError_tPvRmT3_T4_T5_T6_T7_T9_mT8_P12ihipStream_tbDpT10_ENKUlT_T0_E_clISt17integral_constantIbLb1EES17_EEDaS12_S13_EUlS12_E_NS1_11comp_targetILNS1_3genE2ELNS1_11target_archE906ELNS1_3gpuE6ELNS1_3repE0EEENS1_30default_config_static_selectorELNS0_4arch9wavefront6targetE1EEEvT1_,comdat
	.protected	_ZN7rocprim17ROCPRIM_400000_NS6detail17trampoline_kernelINS0_14default_configENS1_25partition_config_selectorILNS1_17partition_subalgoE8EtNS0_10empty_typeEbEEZZNS1_14partition_implILS5_8ELb0ES3_jPKtPS6_PKS6_NS0_5tupleIJPtS6_EEENSE_IJSB_SB_EEENS0_18inequality_wrapperIN6hipcub16HIPCUB_304000_NS8EqualityEEEPlJS6_EEE10hipError_tPvRmT3_T4_T5_T6_T7_T9_mT8_P12ihipStream_tbDpT10_ENKUlT_T0_E_clISt17integral_constantIbLb1EES17_EEDaS12_S13_EUlS12_E_NS1_11comp_targetILNS1_3genE2ELNS1_11target_archE906ELNS1_3gpuE6ELNS1_3repE0EEENS1_30default_config_static_selectorELNS0_4arch9wavefront6targetE1EEEvT1_ ; -- Begin function _ZN7rocprim17ROCPRIM_400000_NS6detail17trampoline_kernelINS0_14default_configENS1_25partition_config_selectorILNS1_17partition_subalgoE8EtNS0_10empty_typeEbEEZZNS1_14partition_implILS5_8ELb0ES3_jPKtPS6_PKS6_NS0_5tupleIJPtS6_EEENSE_IJSB_SB_EEENS0_18inequality_wrapperIN6hipcub16HIPCUB_304000_NS8EqualityEEEPlJS6_EEE10hipError_tPvRmT3_T4_T5_T6_T7_T9_mT8_P12ihipStream_tbDpT10_ENKUlT_T0_E_clISt17integral_constantIbLb1EES17_EEDaS12_S13_EUlS12_E_NS1_11comp_targetILNS1_3genE2ELNS1_11target_archE906ELNS1_3gpuE6ELNS1_3repE0EEENS1_30default_config_static_selectorELNS0_4arch9wavefront6targetE1EEEvT1_
	.globl	_ZN7rocprim17ROCPRIM_400000_NS6detail17trampoline_kernelINS0_14default_configENS1_25partition_config_selectorILNS1_17partition_subalgoE8EtNS0_10empty_typeEbEEZZNS1_14partition_implILS5_8ELb0ES3_jPKtPS6_PKS6_NS0_5tupleIJPtS6_EEENSE_IJSB_SB_EEENS0_18inequality_wrapperIN6hipcub16HIPCUB_304000_NS8EqualityEEEPlJS6_EEE10hipError_tPvRmT3_T4_T5_T6_T7_T9_mT8_P12ihipStream_tbDpT10_ENKUlT_T0_E_clISt17integral_constantIbLb1EES17_EEDaS12_S13_EUlS12_E_NS1_11comp_targetILNS1_3genE2ELNS1_11target_archE906ELNS1_3gpuE6ELNS1_3repE0EEENS1_30default_config_static_selectorELNS0_4arch9wavefront6targetE1EEEvT1_
	.p2align	8
	.type	_ZN7rocprim17ROCPRIM_400000_NS6detail17trampoline_kernelINS0_14default_configENS1_25partition_config_selectorILNS1_17partition_subalgoE8EtNS0_10empty_typeEbEEZZNS1_14partition_implILS5_8ELb0ES3_jPKtPS6_PKS6_NS0_5tupleIJPtS6_EEENSE_IJSB_SB_EEENS0_18inequality_wrapperIN6hipcub16HIPCUB_304000_NS8EqualityEEEPlJS6_EEE10hipError_tPvRmT3_T4_T5_T6_T7_T9_mT8_P12ihipStream_tbDpT10_ENKUlT_T0_E_clISt17integral_constantIbLb1EES17_EEDaS12_S13_EUlS12_E_NS1_11comp_targetILNS1_3genE2ELNS1_11target_archE906ELNS1_3gpuE6ELNS1_3repE0EEENS1_30default_config_static_selectorELNS0_4arch9wavefront6targetE1EEEvT1_,@function
_ZN7rocprim17ROCPRIM_400000_NS6detail17trampoline_kernelINS0_14default_configENS1_25partition_config_selectorILNS1_17partition_subalgoE8EtNS0_10empty_typeEbEEZZNS1_14partition_implILS5_8ELb0ES3_jPKtPS6_PKS6_NS0_5tupleIJPtS6_EEENSE_IJSB_SB_EEENS0_18inequality_wrapperIN6hipcub16HIPCUB_304000_NS8EqualityEEEPlJS6_EEE10hipError_tPvRmT3_T4_T5_T6_T7_T9_mT8_P12ihipStream_tbDpT10_ENKUlT_T0_E_clISt17integral_constantIbLb1EES17_EEDaS12_S13_EUlS12_E_NS1_11comp_targetILNS1_3genE2ELNS1_11target_archE906ELNS1_3gpuE6ELNS1_3repE0EEENS1_30default_config_static_selectorELNS0_4arch9wavefront6targetE1EEEvT1_: ; @_ZN7rocprim17ROCPRIM_400000_NS6detail17trampoline_kernelINS0_14default_configENS1_25partition_config_selectorILNS1_17partition_subalgoE8EtNS0_10empty_typeEbEEZZNS1_14partition_implILS5_8ELb0ES3_jPKtPS6_PKS6_NS0_5tupleIJPtS6_EEENSE_IJSB_SB_EEENS0_18inequality_wrapperIN6hipcub16HIPCUB_304000_NS8EqualityEEEPlJS6_EEE10hipError_tPvRmT3_T4_T5_T6_T7_T9_mT8_P12ihipStream_tbDpT10_ENKUlT_T0_E_clISt17integral_constantIbLb1EES17_EEDaS12_S13_EUlS12_E_NS1_11comp_targetILNS1_3genE2ELNS1_11target_archE906ELNS1_3gpuE6ELNS1_3repE0EEENS1_30default_config_static_selectorELNS0_4arch9wavefront6targetE1EEEvT1_
; %bb.0:
	.section	.rodata,"a",@progbits
	.p2align	6, 0x0
	.amdhsa_kernel _ZN7rocprim17ROCPRIM_400000_NS6detail17trampoline_kernelINS0_14default_configENS1_25partition_config_selectorILNS1_17partition_subalgoE8EtNS0_10empty_typeEbEEZZNS1_14partition_implILS5_8ELb0ES3_jPKtPS6_PKS6_NS0_5tupleIJPtS6_EEENSE_IJSB_SB_EEENS0_18inequality_wrapperIN6hipcub16HIPCUB_304000_NS8EqualityEEEPlJS6_EEE10hipError_tPvRmT3_T4_T5_T6_T7_T9_mT8_P12ihipStream_tbDpT10_ENKUlT_T0_E_clISt17integral_constantIbLb1EES17_EEDaS12_S13_EUlS12_E_NS1_11comp_targetILNS1_3genE2ELNS1_11target_archE906ELNS1_3gpuE6ELNS1_3repE0EEENS1_30default_config_static_selectorELNS0_4arch9wavefront6targetE1EEEvT1_
		.amdhsa_group_segment_fixed_size 0
		.amdhsa_private_segment_fixed_size 0
		.amdhsa_kernarg_size 128
		.amdhsa_user_sgpr_count 6
		.amdhsa_user_sgpr_private_segment_buffer 1
		.amdhsa_user_sgpr_dispatch_ptr 0
		.amdhsa_user_sgpr_queue_ptr 0
		.amdhsa_user_sgpr_kernarg_segment_ptr 1
		.amdhsa_user_sgpr_dispatch_id 0
		.amdhsa_user_sgpr_flat_scratch_init 0
		.amdhsa_user_sgpr_kernarg_preload_length 0
		.amdhsa_user_sgpr_kernarg_preload_offset 0
		.amdhsa_user_sgpr_private_segment_size 0
		.amdhsa_uses_dynamic_stack 0
		.amdhsa_system_sgpr_private_segment_wavefront_offset 0
		.amdhsa_system_sgpr_workgroup_id_x 1
		.amdhsa_system_sgpr_workgroup_id_y 0
		.amdhsa_system_sgpr_workgroup_id_z 0
		.amdhsa_system_sgpr_workgroup_info 0
		.amdhsa_system_vgpr_workitem_id 0
		.amdhsa_next_free_vgpr 1
		.amdhsa_next_free_sgpr 0
		.amdhsa_accum_offset 4
		.amdhsa_reserve_vcc 0
		.amdhsa_reserve_flat_scratch 0
		.amdhsa_float_round_mode_32 0
		.amdhsa_float_round_mode_16_64 0
		.amdhsa_float_denorm_mode_32 3
		.amdhsa_float_denorm_mode_16_64 3
		.amdhsa_dx10_clamp 1
		.amdhsa_ieee_mode 1
		.amdhsa_fp16_overflow 0
		.amdhsa_tg_split 0
		.amdhsa_exception_fp_ieee_invalid_op 0
		.amdhsa_exception_fp_denorm_src 0
		.amdhsa_exception_fp_ieee_div_zero 0
		.amdhsa_exception_fp_ieee_overflow 0
		.amdhsa_exception_fp_ieee_underflow 0
		.amdhsa_exception_fp_ieee_inexact 0
		.amdhsa_exception_int_div_zero 0
	.end_amdhsa_kernel
	.section	.text._ZN7rocprim17ROCPRIM_400000_NS6detail17trampoline_kernelINS0_14default_configENS1_25partition_config_selectorILNS1_17partition_subalgoE8EtNS0_10empty_typeEbEEZZNS1_14partition_implILS5_8ELb0ES3_jPKtPS6_PKS6_NS0_5tupleIJPtS6_EEENSE_IJSB_SB_EEENS0_18inequality_wrapperIN6hipcub16HIPCUB_304000_NS8EqualityEEEPlJS6_EEE10hipError_tPvRmT3_T4_T5_T6_T7_T9_mT8_P12ihipStream_tbDpT10_ENKUlT_T0_E_clISt17integral_constantIbLb1EES17_EEDaS12_S13_EUlS12_E_NS1_11comp_targetILNS1_3genE2ELNS1_11target_archE906ELNS1_3gpuE6ELNS1_3repE0EEENS1_30default_config_static_selectorELNS0_4arch9wavefront6targetE1EEEvT1_,"axG",@progbits,_ZN7rocprim17ROCPRIM_400000_NS6detail17trampoline_kernelINS0_14default_configENS1_25partition_config_selectorILNS1_17partition_subalgoE8EtNS0_10empty_typeEbEEZZNS1_14partition_implILS5_8ELb0ES3_jPKtPS6_PKS6_NS0_5tupleIJPtS6_EEENSE_IJSB_SB_EEENS0_18inequality_wrapperIN6hipcub16HIPCUB_304000_NS8EqualityEEEPlJS6_EEE10hipError_tPvRmT3_T4_T5_T6_T7_T9_mT8_P12ihipStream_tbDpT10_ENKUlT_T0_E_clISt17integral_constantIbLb1EES17_EEDaS12_S13_EUlS12_E_NS1_11comp_targetILNS1_3genE2ELNS1_11target_archE906ELNS1_3gpuE6ELNS1_3repE0EEENS1_30default_config_static_selectorELNS0_4arch9wavefront6targetE1EEEvT1_,comdat
.Lfunc_end767:
	.size	_ZN7rocprim17ROCPRIM_400000_NS6detail17trampoline_kernelINS0_14default_configENS1_25partition_config_selectorILNS1_17partition_subalgoE8EtNS0_10empty_typeEbEEZZNS1_14partition_implILS5_8ELb0ES3_jPKtPS6_PKS6_NS0_5tupleIJPtS6_EEENSE_IJSB_SB_EEENS0_18inequality_wrapperIN6hipcub16HIPCUB_304000_NS8EqualityEEEPlJS6_EEE10hipError_tPvRmT3_T4_T5_T6_T7_T9_mT8_P12ihipStream_tbDpT10_ENKUlT_T0_E_clISt17integral_constantIbLb1EES17_EEDaS12_S13_EUlS12_E_NS1_11comp_targetILNS1_3genE2ELNS1_11target_archE906ELNS1_3gpuE6ELNS1_3repE0EEENS1_30default_config_static_selectorELNS0_4arch9wavefront6targetE1EEEvT1_, .Lfunc_end767-_ZN7rocprim17ROCPRIM_400000_NS6detail17trampoline_kernelINS0_14default_configENS1_25partition_config_selectorILNS1_17partition_subalgoE8EtNS0_10empty_typeEbEEZZNS1_14partition_implILS5_8ELb0ES3_jPKtPS6_PKS6_NS0_5tupleIJPtS6_EEENSE_IJSB_SB_EEENS0_18inequality_wrapperIN6hipcub16HIPCUB_304000_NS8EqualityEEEPlJS6_EEE10hipError_tPvRmT3_T4_T5_T6_T7_T9_mT8_P12ihipStream_tbDpT10_ENKUlT_T0_E_clISt17integral_constantIbLb1EES17_EEDaS12_S13_EUlS12_E_NS1_11comp_targetILNS1_3genE2ELNS1_11target_archE906ELNS1_3gpuE6ELNS1_3repE0EEENS1_30default_config_static_selectorELNS0_4arch9wavefront6targetE1EEEvT1_
                                        ; -- End function
	.section	.AMDGPU.csdata,"",@progbits
; Kernel info:
; codeLenInByte = 0
; NumSgprs: 4
; NumVgprs: 0
; NumAgprs: 0
; TotalNumVgprs: 0
; ScratchSize: 0
; MemoryBound: 0
; FloatMode: 240
; IeeeMode: 1
; LDSByteSize: 0 bytes/workgroup (compile time only)
; SGPRBlocks: 0
; VGPRBlocks: 0
; NumSGPRsForWavesPerEU: 4
; NumVGPRsForWavesPerEU: 1
; AccumOffset: 4
; Occupancy: 8
; WaveLimiterHint : 0
; COMPUTE_PGM_RSRC2:SCRATCH_EN: 0
; COMPUTE_PGM_RSRC2:USER_SGPR: 6
; COMPUTE_PGM_RSRC2:TRAP_HANDLER: 0
; COMPUTE_PGM_RSRC2:TGID_X_EN: 1
; COMPUTE_PGM_RSRC2:TGID_Y_EN: 0
; COMPUTE_PGM_RSRC2:TGID_Z_EN: 0
; COMPUTE_PGM_RSRC2:TIDIG_COMP_CNT: 0
; COMPUTE_PGM_RSRC3_GFX90A:ACCUM_OFFSET: 0
; COMPUTE_PGM_RSRC3_GFX90A:TG_SPLIT: 0
	.section	.text._ZN7rocprim17ROCPRIM_400000_NS6detail17trampoline_kernelINS0_14default_configENS1_25partition_config_selectorILNS1_17partition_subalgoE8EtNS0_10empty_typeEbEEZZNS1_14partition_implILS5_8ELb0ES3_jPKtPS6_PKS6_NS0_5tupleIJPtS6_EEENSE_IJSB_SB_EEENS0_18inequality_wrapperIN6hipcub16HIPCUB_304000_NS8EqualityEEEPlJS6_EEE10hipError_tPvRmT3_T4_T5_T6_T7_T9_mT8_P12ihipStream_tbDpT10_ENKUlT_T0_E_clISt17integral_constantIbLb1EES17_EEDaS12_S13_EUlS12_E_NS1_11comp_targetILNS1_3genE10ELNS1_11target_archE1200ELNS1_3gpuE4ELNS1_3repE0EEENS1_30default_config_static_selectorELNS0_4arch9wavefront6targetE1EEEvT1_,"axG",@progbits,_ZN7rocprim17ROCPRIM_400000_NS6detail17trampoline_kernelINS0_14default_configENS1_25partition_config_selectorILNS1_17partition_subalgoE8EtNS0_10empty_typeEbEEZZNS1_14partition_implILS5_8ELb0ES3_jPKtPS6_PKS6_NS0_5tupleIJPtS6_EEENSE_IJSB_SB_EEENS0_18inequality_wrapperIN6hipcub16HIPCUB_304000_NS8EqualityEEEPlJS6_EEE10hipError_tPvRmT3_T4_T5_T6_T7_T9_mT8_P12ihipStream_tbDpT10_ENKUlT_T0_E_clISt17integral_constantIbLb1EES17_EEDaS12_S13_EUlS12_E_NS1_11comp_targetILNS1_3genE10ELNS1_11target_archE1200ELNS1_3gpuE4ELNS1_3repE0EEENS1_30default_config_static_selectorELNS0_4arch9wavefront6targetE1EEEvT1_,comdat
	.protected	_ZN7rocprim17ROCPRIM_400000_NS6detail17trampoline_kernelINS0_14default_configENS1_25partition_config_selectorILNS1_17partition_subalgoE8EtNS0_10empty_typeEbEEZZNS1_14partition_implILS5_8ELb0ES3_jPKtPS6_PKS6_NS0_5tupleIJPtS6_EEENSE_IJSB_SB_EEENS0_18inequality_wrapperIN6hipcub16HIPCUB_304000_NS8EqualityEEEPlJS6_EEE10hipError_tPvRmT3_T4_T5_T6_T7_T9_mT8_P12ihipStream_tbDpT10_ENKUlT_T0_E_clISt17integral_constantIbLb1EES17_EEDaS12_S13_EUlS12_E_NS1_11comp_targetILNS1_3genE10ELNS1_11target_archE1200ELNS1_3gpuE4ELNS1_3repE0EEENS1_30default_config_static_selectorELNS0_4arch9wavefront6targetE1EEEvT1_ ; -- Begin function _ZN7rocprim17ROCPRIM_400000_NS6detail17trampoline_kernelINS0_14default_configENS1_25partition_config_selectorILNS1_17partition_subalgoE8EtNS0_10empty_typeEbEEZZNS1_14partition_implILS5_8ELb0ES3_jPKtPS6_PKS6_NS0_5tupleIJPtS6_EEENSE_IJSB_SB_EEENS0_18inequality_wrapperIN6hipcub16HIPCUB_304000_NS8EqualityEEEPlJS6_EEE10hipError_tPvRmT3_T4_T5_T6_T7_T9_mT8_P12ihipStream_tbDpT10_ENKUlT_T0_E_clISt17integral_constantIbLb1EES17_EEDaS12_S13_EUlS12_E_NS1_11comp_targetILNS1_3genE10ELNS1_11target_archE1200ELNS1_3gpuE4ELNS1_3repE0EEENS1_30default_config_static_selectorELNS0_4arch9wavefront6targetE1EEEvT1_
	.globl	_ZN7rocprim17ROCPRIM_400000_NS6detail17trampoline_kernelINS0_14default_configENS1_25partition_config_selectorILNS1_17partition_subalgoE8EtNS0_10empty_typeEbEEZZNS1_14partition_implILS5_8ELb0ES3_jPKtPS6_PKS6_NS0_5tupleIJPtS6_EEENSE_IJSB_SB_EEENS0_18inequality_wrapperIN6hipcub16HIPCUB_304000_NS8EqualityEEEPlJS6_EEE10hipError_tPvRmT3_T4_T5_T6_T7_T9_mT8_P12ihipStream_tbDpT10_ENKUlT_T0_E_clISt17integral_constantIbLb1EES17_EEDaS12_S13_EUlS12_E_NS1_11comp_targetILNS1_3genE10ELNS1_11target_archE1200ELNS1_3gpuE4ELNS1_3repE0EEENS1_30default_config_static_selectorELNS0_4arch9wavefront6targetE1EEEvT1_
	.p2align	8
	.type	_ZN7rocprim17ROCPRIM_400000_NS6detail17trampoline_kernelINS0_14default_configENS1_25partition_config_selectorILNS1_17partition_subalgoE8EtNS0_10empty_typeEbEEZZNS1_14partition_implILS5_8ELb0ES3_jPKtPS6_PKS6_NS0_5tupleIJPtS6_EEENSE_IJSB_SB_EEENS0_18inequality_wrapperIN6hipcub16HIPCUB_304000_NS8EqualityEEEPlJS6_EEE10hipError_tPvRmT3_T4_T5_T6_T7_T9_mT8_P12ihipStream_tbDpT10_ENKUlT_T0_E_clISt17integral_constantIbLb1EES17_EEDaS12_S13_EUlS12_E_NS1_11comp_targetILNS1_3genE10ELNS1_11target_archE1200ELNS1_3gpuE4ELNS1_3repE0EEENS1_30default_config_static_selectorELNS0_4arch9wavefront6targetE1EEEvT1_,@function
_ZN7rocprim17ROCPRIM_400000_NS6detail17trampoline_kernelINS0_14default_configENS1_25partition_config_selectorILNS1_17partition_subalgoE8EtNS0_10empty_typeEbEEZZNS1_14partition_implILS5_8ELb0ES3_jPKtPS6_PKS6_NS0_5tupleIJPtS6_EEENSE_IJSB_SB_EEENS0_18inequality_wrapperIN6hipcub16HIPCUB_304000_NS8EqualityEEEPlJS6_EEE10hipError_tPvRmT3_T4_T5_T6_T7_T9_mT8_P12ihipStream_tbDpT10_ENKUlT_T0_E_clISt17integral_constantIbLb1EES17_EEDaS12_S13_EUlS12_E_NS1_11comp_targetILNS1_3genE10ELNS1_11target_archE1200ELNS1_3gpuE4ELNS1_3repE0EEENS1_30default_config_static_selectorELNS0_4arch9wavefront6targetE1EEEvT1_: ; @_ZN7rocprim17ROCPRIM_400000_NS6detail17trampoline_kernelINS0_14default_configENS1_25partition_config_selectorILNS1_17partition_subalgoE8EtNS0_10empty_typeEbEEZZNS1_14partition_implILS5_8ELb0ES3_jPKtPS6_PKS6_NS0_5tupleIJPtS6_EEENSE_IJSB_SB_EEENS0_18inequality_wrapperIN6hipcub16HIPCUB_304000_NS8EqualityEEEPlJS6_EEE10hipError_tPvRmT3_T4_T5_T6_T7_T9_mT8_P12ihipStream_tbDpT10_ENKUlT_T0_E_clISt17integral_constantIbLb1EES17_EEDaS12_S13_EUlS12_E_NS1_11comp_targetILNS1_3genE10ELNS1_11target_archE1200ELNS1_3gpuE4ELNS1_3repE0EEENS1_30default_config_static_selectorELNS0_4arch9wavefront6targetE1EEEvT1_
; %bb.0:
	.section	.rodata,"a",@progbits
	.p2align	6, 0x0
	.amdhsa_kernel _ZN7rocprim17ROCPRIM_400000_NS6detail17trampoline_kernelINS0_14default_configENS1_25partition_config_selectorILNS1_17partition_subalgoE8EtNS0_10empty_typeEbEEZZNS1_14partition_implILS5_8ELb0ES3_jPKtPS6_PKS6_NS0_5tupleIJPtS6_EEENSE_IJSB_SB_EEENS0_18inequality_wrapperIN6hipcub16HIPCUB_304000_NS8EqualityEEEPlJS6_EEE10hipError_tPvRmT3_T4_T5_T6_T7_T9_mT8_P12ihipStream_tbDpT10_ENKUlT_T0_E_clISt17integral_constantIbLb1EES17_EEDaS12_S13_EUlS12_E_NS1_11comp_targetILNS1_3genE10ELNS1_11target_archE1200ELNS1_3gpuE4ELNS1_3repE0EEENS1_30default_config_static_selectorELNS0_4arch9wavefront6targetE1EEEvT1_
		.amdhsa_group_segment_fixed_size 0
		.amdhsa_private_segment_fixed_size 0
		.amdhsa_kernarg_size 128
		.amdhsa_user_sgpr_count 6
		.amdhsa_user_sgpr_private_segment_buffer 1
		.amdhsa_user_sgpr_dispatch_ptr 0
		.amdhsa_user_sgpr_queue_ptr 0
		.amdhsa_user_sgpr_kernarg_segment_ptr 1
		.amdhsa_user_sgpr_dispatch_id 0
		.amdhsa_user_sgpr_flat_scratch_init 0
		.amdhsa_user_sgpr_kernarg_preload_length 0
		.amdhsa_user_sgpr_kernarg_preload_offset 0
		.amdhsa_user_sgpr_private_segment_size 0
		.amdhsa_uses_dynamic_stack 0
		.amdhsa_system_sgpr_private_segment_wavefront_offset 0
		.amdhsa_system_sgpr_workgroup_id_x 1
		.amdhsa_system_sgpr_workgroup_id_y 0
		.amdhsa_system_sgpr_workgroup_id_z 0
		.amdhsa_system_sgpr_workgroup_info 0
		.amdhsa_system_vgpr_workitem_id 0
		.amdhsa_next_free_vgpr 1
		.amdhsa_next_free_sgpr 0
		.amdhsa_accum_offset 4
		.amdhsa_reserve_vcc 0
		.amdhsa_reserve_flat_scratch 0
		.amdhsa_float_round_mode_32 0
		.amdhsa_float_round_mode_16_64 0
		.amdhsa_float_denorm_mode_32 3
		.amdhsa_float_denorm_mode_16_64 3
		.amdhsa_dx10_clamp 1
		.amdhsa_ieee_mode 1
		.amdhsa_fp16_overflow 0
		.amdhsa_tg_split 0
		.amdhsa_exception_fp_ieee_invalid_op 0
		.amdhsa_exception_fp_denorm_src 0
		.amdhsa_exception_fp_ieee_div_zero 0
		.amdhsa_exception_fp_ieee_overflow 0
		.amdhsa_exception_fp_ieee_underflow 0
		.amdhsa_exception_fp_ieee_inexact 0
		.amdhsa_exception_int_div_zero 0
	.end_amdhsa_kernel
	.section	.text._ZN7rocprim17ROCPRIM_400000_NS6detail17trampoline_kernelINS0_14default_configENS1_25partition_config_selectorILNS1_17partition_subalgoE8EtNS0_10empty_typeEbEEZZNS1_14partition_implILS5_8ELb0ES3_jPKtPS6_PKS6_NS0_5tupleIJPtS6_EEENSE_IJSB_SB_EEENS0_18inequality_wrapperIN6hipcub16HIPCUB_304000_NS8EqualityEEEPlJS6_EEE10hipError_tPvRmT3_T4_T5_T6_T7_T9_mT8_P12ihipStream_tbDpT10_ENKUlT_T0_E_clISt17integral_constantIbLb1EES17_EEDaS12_S13_EUlS12_E_NS1_11comp_targetILNS1_3genE10ELNS1_11target_archE1200ELNS1_3gpuE4ELNS1_3repE0EEENS1_30default_config_static_selectorELNS0_4arch9wavefront6targetE1EEEvT1_,"axG",@progbits,_ZN7rocprim17ROCPRIM_400000_NS6detail17trampoline_kernelINS0_14default_configENS1_25partition_config_selectorILNS1_17partition_subalgoE8EtNS0_10empty_typeEbEEZZNS1_14partition_implILS5_8ELb0ES3_jPKtPS6_PKS6_NS0_5tupleIJPtS6_EEENSE_IJSB_SB_EEENS0_18inequality_wrapperIN6hipcub16HIPCUB_304000_NS8EqualityEEEPlJS6_EEE10hipError_tPvRmT3_T4_T5_T6_T7_T9_mT8_P12ihipStream_tbDpT10_ENKUlT_T0_E_clISt17integral_constantIbLb1EES17_EEDaS12_S13_EUlS12_E_NS1_11comp_targetILNS1_3genE10ELNS1_11target_archE1200ELNS1_3gpuE4ELNS1_3repE0EEENS1_30default_config_static_selectorELNS0_4arch9wavefront6targetE1EEEvT1_,comdat
.Lfunc_end768:
	.size	_ZN7rocprim17ROCPRIM_400000_NS6detail17trampoline_kernelINS0_14default_configENS1_25partition_config_selectorILNS1_17partition_subalgoE8EtNS0_10empty_typeEbEEZZNS1_14partition_implILS5_8ELb0ES3_jPKtPS6_PKS6_NS0_5tupleIJPtS6_EEENSE_IJSB_SB_EEENS0_18inequality_wrapperIN6hipcub16HIPCUB_304000_NS8EqualityEEEPlJS6_EEE10hipError_tPvRmT3_T4_T5_T6_T7_T9_mT8_P12ihipStream_tbDpT10_ENKUlT_T0_E_clISt17integral_constantIbLb1EES17_EEDaS12_S13_EUlS12_E_NS1_11comp_targetILNS1_3genE10ELNS1_11target_archE1200ELNS1_3gpuE4ELNS1_3repE0EEENS1_30default_config_static_selectorELNS0_4arch9wavefront6targetE1EEEvT1_, .Lfunc_end768-_ZN7rocprim17ROCPRIM_400000_NS6detail17trampoline_kernelINS0_14default_configENS1_25partition_config_selectorILNS1_17partition_subalgoE8EtNS0_10empty_typeEbEEZZNS1_14partition_implILS5_8ELb0ES3_jPKtPS6_PKS6_NS0_5tupleIJPtS6_EEENSE_IJSB_SB_EEENS0_18inequality_wrapperIN6hipcub16HIPCUB_304000_NS8EqualityEEEPlJS6_EEE10hipError_tPvRmT3_T4_T5_T6_T7_T9_mT8_P12ihipStream_tbDpT10_ENKUlT_T0_E_clISt17integral_constantIbLb1EES17_EEDaS12_S13_EUlS12_E_NS1_11comp_targetILNS1_3genE10ELNS1_11target_archE1200ELNS1_3gpuE4ELNS1_3repE0EEENS1_30default_config_static_selectorELNS0_4arch9wavefront6targetE1EEEvT1_
                                        ; -- End function
	.section	.AMDGPU.csdata,"",@progbits
; Kernel info:
; codeLenInByte = 0
; NumSgprs: 4
; NumVgprs: 0
; NumAgprs: 0
; TotalNumVgprs: 0
; ScratchSize: 0
; MemoryBound: 0
; FloatMode: 240
; IeeeMode: 1
; LDSByteSize: 0 bytes/workgroup (compile time only)
; SGPRBlocks: 0
; VGPRBlocks: 0
; NumSGPRsForWavesPerEU: 4
; NumVGPRsForWavesPerEU: 1
; AccumOffset: 4
; Occupancy: 8
; WaveLimiterHint : 0
; COMPUTE_PGM_RSRC2:SCRATCH_EN: 0
; COMPUTE_PGM_RSRC2:USER_SGPR: 6
; COMPUTE_PGM_RSRC2:TRAP_HANDLER: 0
; COMPUTE_PGM_RSRC2:TGID_X_EN: 1
; COMPUTE_PGM_RSRC2:TGID_Y_EN: 0
; COMPUTE_PGM_RSRC2:TGID_Z_EN: 0
; COMPUTE_PGM_RSRC2:TIDIG_COMP_CNT: 0
; COMPUTE_PGM_RSRC3_GFX90A:ACCUM_OFFSET: 0
; COMPUTE_PGM_RSRC3_GFX90A:TG_SPLIT: 0
	.section	.text._ZN7rocprim17ROCPRIM_400000_NS6detail17trampoline_kernelINS0_14default_configENS1_25partition_config_selectorILNS1_17partition_subalgoE8EtNS0_10empty_typeEbEEZZNS1_14partition_implILS5_8ELb0ES3_jPKtPS6_PKS6_NS0_5tupleIJPtS6_EEENSE_IJSB_SB_EEENS0_18inequality_wrapperIN6hipcub16HIPCUB_304000_NS8EqualityEEEPlJS6_EEE10hipError_tPvRmT3_T4_T5_T6_T7_T9_mT8_P12ihipStream_tbDpT10_ENKUlT_T0_E_clISt17integral_constantIbLb1EES17_EEDaS12_S13_EUlS12_E_NS1_11comp_targetILNS1_3genE9ELNS1_11target_archE1100ELNS1_3gpuE3ELNS1_3repE0EEENS1_30default_config_static_selectorELNS0_4arch9wavefront6targetE1EEEvT1_,"axG",@progbits,_ZN7rocprim17ROCPRIM_400000_NS6detail17trampoline_kernelINS0_14default_configENS1_25partition_config_selectorILNS1_17partition_subalgoE8EtNS0_10empty_typeEbEEZZNS1_14partition_implILS5_8ELb0ES3_jPKtPS6_PKS6_NS0_5tupleIJPtS6_EEENSE_IJSB_SB_EEENS0_18inequality_wrapperIN6hipcub16HIPCUB_304000_NS8EqualityEEEPlJS6_EEE10hipError_tPvRmT3_T4_T5_T6_T7_T9_mT8_P12ihipStream_tbDpT10_ENKUlT_T0_E_clISt17integral_constantIbLb1EES17_EEDaS12_S13_EUlS12_E_NS1_11comp_targetILNS1_3genE9ELNS1_11target_archE1100ELNS1_3gpuE3ELNS1_3repE0EEENS1_30default_config_static_selectorELNS0_4arch9wavefront6targetE1EEEvT1_,comdat
	.protected	_ZN7rocprim17ROCPRIM_400000_NS6detail17trampoline_kernelINS0_14default_configENS1_25partition_config_selectorILNS1_17partition_subalgoE8EtNS0_10empty_typeEbEEZZNS1_14partition_implILS5_8ELb0ES3_jPKtPS6_PKS6_NS0_5tupleIJPtS6_EEENSE_IJSB_SB_EEENS0_18inequality_wrapperIN6hipcub16HIPCUB_304000_NS8EqualityEEEPlJS6_EEE10hipError_tPvRmT3_T4_T5_T6_T7_T9_mT8_P12ihipStream_tbDpT10_ENKUlT_T0_E_clISt17integral_constantIbLb1EES17_EEDaS12_S13_EUlS12_E_NS1_11comp_targetILNS1_3genE9ELNS1_11target_archE1100ELNS1_3gpuE3ELNS1_3repE0EEENS1_30default_config_static_selectorELNS0_4arch9wavefront6targetE1EEEvT1_ ; -- Begin function _ZN7rocprim17ROCPRIM_400000_NS6detail17trampoline_kernelINS0_14default_configENS1_25partition_config_selectorILNS1_17partition_subalgoE8EtNS0_10empty_typeEbEEZZNS1_14partition_implILS5_8ELb0ES3_jPKtPS6_PKS6_NS0_5tupleIJPtS6_EEENSE_IJSB_SB_EEENS0_18inequality_wrapperIN6hipcub16HIPCUB_304000_NS8EqualityEEEPlJS6_EEE10hipError_tPvRmT3_T4_T5_T6_T7_T9_mT8_P12ihipStream_tbDpT10_ENKUlT_T0_E_clISt17integral_constantIbLb1EES17_EEDaS12_S13_EUlS12_E_NS1_11comp_targetILNS1_3genE9ELNS1_11target_archE1100ELNS1_3gpuE3ELNS1_3repE0EEENS1_30default_config_static_selectorELNS0_4arch9wavefront6targetE1EEEvT1_
	.globl	_ZN7rocprim17ROCPRIM_400000_NS6detail17trampoline_kernelINS0_14default_configENS1_25partition_config_selectorILNS1_17partition_subalgoE8EtNS0_10empty_typeEbEEZZNS1_14partition_implILS5_8ELb0ES3_jPKtPS6_PKS6_NS0_5tupleIJPtS6_EEENSE_IJSB_SB_EEENS0_18inequality_wrapperIN6hipcub16HIPCUB_304000_NS8EqualityEEEPlJS6_EEE10hipError_tPvRmT3_T4_T5_T6_T7_T9_mT8_P12ihipStream_tbDpT10_ENKUlT_T0_E_clISt17integral_constantIbLb1EES17_EEDaS12_S13_EUlS12_E_NS1_11comp_targetILNS1_3genE9ELNS1_11target_archE1100ELNS1_3gpuE3ELNS1_3repE0EEENS1_30default_config_static_selectorELNS0_4arch9wavefront6targetE1EEEvT1_
	.p2align	8
	.type	_ZN7rocprim17ROCPRIM_400000_NS6detail17trampoline_kernelINS0_14default_configENS1_25partition_config_selectorILNS1_17partition_subalgoE8EtNS0_10empty_typeEbEEZZNS1_14partition_implILS5_8ELb0ES3_jPKtPS6_PKS6_NS0_5tupleIJPtS6_EEENSE_IJSB_SB_EEENS0_18inequality_wrapperIN6hipcub16HIPCUB_304000_NS8EqualityEEEPlJS6_EEE10hipError_tPvRmT3_T4_T5_T6_T7_T9_mT8_P12ihipStream_tbDpT10_ENKUlT_T0_E_clISt17integral_constantIbLb1EES17_EEDaS12_S13_EUlS12_E_NS1_11comp_targetILNS1_3genE9ELNS1_11target_archE1100ELNS1_3gpuE3ELNS1_3repE0EEENS1_30default_config_static_selectorELNS0_4arch9wavefront6targetE1EEEvT1_,@function
_ZN7rocprim17ROCPRIM_400000_NS6detail17trampoline_kernelINS0_14default_configENS1_25partition_config_selectorILNS1_17partition_subalgoE8EtNS0_10empty_typeEbEEZZNS1_14partition_implILS5_8ELb0ES3_jPKtPS6_PKS6_NS0_5tupleIJPtS6_EEENSE_IJSB_SB_EEENS0_18inequality_wrapperIN6hipcub16HIPCUB_304000_NS8EqualityEEEPlJS6_EEE10hipError_tPvRmT3_T4_T5_T6_T7_T9_mT8_P12ihipStream_tbDpT10_ENKUlT_T0_E_clISt17integral_constantIbLb1EES17_EEDaS12_S13_EUlS12_E_NS1_11comp_targetILNS1_3genE9ELNS1_11target_archE1100ELNS1_3gpuE3ELNS1_3repE0EEENS1_30default_config_static_selectorELNS0_4arch9wavefront6targetE1EEEvT1_: ; @_ZN7rocprim17ROCPRIM_400000_NS6detail17trampoline_kernelINS0_14default_configENS1_25partition_config_selectorILNS1_17partition_subalgoE8EtNS0_10empty_typeEbEEZZNS1_14partition_implILS5_8ELb0ES3_jPKtPS6_PKS6_NS0_5tupleIJPtS6_EEENSE_IJSB_SB_EEENS0_18inequality_wrapperIN6hipcub16HIPCUB_304000_NS8EqualityEEEPlJS6_EEE10hipError_tPvRmT3_T4_T5_T6_T7_T9_mT8_P12ihipStream_tbDpT10_ENKUlT_T0_E_clISt17integral_constantIbLb1EES17_EEDaS12_S13_EUlS12_E_NS1_11comp_targetILNS1_3genE9ELNS1_11target_archE1100ELNS1_3gpuE3ELNS1_3repE0EEENS1_30default_config_static_selectorELNS0_4arch9wavefront6targetE1EEEvT1_
; %bb.0:
	.section	.rodata,"a",@progbits
	.p2align	6, 0x0
	.amdhsa_kernel _ZN7rocprim17ROCPRIM_400000_NS6detail17trampoline_kernelINS0_14default_configENS1_25partition_config_selectorILNS1_17partition_subalgoE8EtNS0_10empty_typeEbEEZZNS1_14partition_implILS5_8ELb0ES3_jPKtPS6_PKS6_NS0_5tupleIJPtS6_EEENSE_IJSB_SB_EEENS0_18inequality_wrapperIN6hipcub16HIPCUB_304000_NS8EqualityEEEPlJS6_EEE10hipError_tPvRmT3_T4_T5_T6_T7_T9_mT8_P12ihipStream_tbDpT10_ENKUlT_T0_E_clISt17integral_constantIbLb1EES17_EEDaS12_S13_EUlS12_E_NS1_11comp_targetILNS1_3genE9ELNS1_11target_archE1100ELNS1_3gpuE3ELNS1_3repE0EEENS1_30default_config_static_selectorELNS0_4arch9wavefront6targetE1EEEvT1_
		.amdhsa_group_segment_fixed_size 0
		.amdhsa_private_segment_fixed_size 0
		.amdhsa_kernarg_size 128
		.amdhsa_user_sgpr_count 6
		.amdhsa_user_sgpr_private_segment_buffer 1
		.amdhsa_user_sgpr_dispatch_ptr 0
		.amdhsa_user_sgpr_queue_ptr 0
		.amdhsa_user_sgpr_kernarg_segment_ptr 1
		.amdhsa_user_sgpr_dispatch_id 0
		.amdhsa_user_sgpr_flat_scratch_init 0
		.amdhsa_user_sgpr_kernarg_preload_length 0
		.amdhsa_user_sgpr_kernarg_preload_offset 0
		.amdhsa_user_sgpr_private_segment_size 0
		.amdhsa_uses_dynamic_stack 0
		.amdhsa_system_sgpr_private_segment_wavefront_offset 0
		.amdhsa_system_sgpr_workgroup_id_x 1
		.amdhsa_system_sgpr_workgroup_id_y 0
		.amdhsa_system_sgpr_workgroup_id_z 0
		.amdhsa_system_sgpr_workgroup_info 0
		.amdhsa_system_vgpr_workitem_id 0
		.amdhsa_next_free_vgpr 1
		.amdhsa_next_free_sgpr 0
		.amdhsa_accum_offset 4
		.amdhsa_reserve_vcc 0
		.amdhsa_reserve_flat_scratch 0
		.amdhsa_float_round_mode_32 0
		.amdhsa_float_round_mode_16_64 0
		.amdhsa_float_denorm_mode_32 3
		.amdhsa_float_denorm_mode_16_64 3
		.amdhsa_dx10_clamp 1
		.amdhsa_ieee_mode 1
		.amdhsa_fp16_overflow 0
		.amdhsa_tg_split 0
		.amdhsa_exception_fp_ieee_invalid_op 0
		.amdhsa_exception_fp_denorm_src 0
		.amdhsa_exception_fp_ieee_div_zero 0
		.amdhsa_exception_fp_ieee_overflow 0
		.amdhsa_exception_fp_ieee_underflow 0
		.amdhsa_exception_fp_ieee_inexact 0
		.amdhsa_exception_int_div_zero 0
	.end_amdhsa_kernel
	.section	.text._ZN7rocprim17ROCPRIM_400000_NS6detail17trampoline_kernelINS0_14default_configENS1_25partition_config_selectorILNS1_17partition_subalgoE8EtNS0_10empty_typeEbEEZZNS1_14partition_implILS5_8ELb0ES3_jPKtPS6_PKS6_NS0_5tupleIJPtS6_EEENSE_IJSB_SB_EEENS0_18inequality_wrapperIN6hipcub16HIPCUB_304000_NS8EqualityEEEPlJS6_EEE10hipError_tPvRmT3_T4_T5_T6_T7_T9_mT8_P12ihipStream_tbDpT10_ENKUlT_T0_E_clISt17integral_constantIbLb1EES17_EEDaS12_S13_EUlS12_E_NS1_11comp_targetILNS1_3genE9ELNS1_11target_archE1100ELNS1_3gpuE3ELNS1_3repE0EEENS1_30default_config_static_selectorELNS0_4arch9wavefront6targetE1EEEvT1_,"axG",@progbits,_ZN7rocprim17ROCPRIM_400000_NS6detail17trampoline_kernelINS0_14default_configENS1_25partition_config_selectorILNS1_17partition_subalgoE8EtNS0_10empty_typeEbEEZZNS1_14partition_implILS5_8ELb0ES3_jPKtPS6_PKS6_NS0_5tupleIJPtS6_EEENSE_IJSB_SB_EEENS0_18inequality_wrapperIN6hipcub16HIPCUB_304000_NS8EqualityEEEPlJS6_EEE10hipError_tPvRmT3_T4_T5_T6_T7_T9_mT8_P12ihipStream_tbDpT10_ENKUlT_T0_E_clISt17integral_constantIbLb1EES17_EEDaS12_S13_EUlS12_E_NS1_11comp_targetILNS1_3genE9ELNS1_11target_archE1100ELNS1_3gpuE3ELNS1_3repE0EEENS1_30default_config_static_selectorELNS0_4arch9wavefront6targetE1EEEvT1_,comdat
.Lfunc_end769:
	.size	_ZN7rocprim17ROCPRIM_400000_NS6detail17trampoline_kernelINS0_14default_configENS1_25partition_config_selectorILNS1_17partition_subalgoE8EtNS0_10empty_typeEbEEZZNS1_14partition_implILS5_8ELb0ES3_jPKtPS6_PKS6_NS0_5tupleIJPtS6_EEENSE_IJSB_SB_EEENS0_18inequality_wrapperIN6hipcub16HIPCUB_304000_NS8EqualityEEEPlJS6_EEE10hipError_tPvRmT3_T4_T5_T6_T7_T9_mT8_P12ihipStream_tbDpT10_ENKUlT_T0_E_clISt17integral_constantIbLb1EES17_EEDaS12_S13_EUlS12_E_NS1_11comp_targetILNS1_3genE9ELNS1_11target_archE1100ELNS1_3gpuE3ELNS1_3repE0EEENS1_30default_config_static_selectorELNS0_4arch9wavefront6targetE1EEEvT1_, .Lfunc_end769-_ZN7rocprim17ROCPRIM_400000_NS6detail17trampoline_kernelINS0_14default_configENS1_25partition_config_selectorILNS1_17partition_subalgoE8EtNS0_10empty_typeEbEEZZNS1_14partition_implILS5_8ELb0ES3_jPKtPS6_PKS6_NS0_5tupleIJPtS6_EEENSE_IJSB_SB_EEENS0_18inequality_wrapperIN6hipcub16HIPCUB_304000_NS8EqualityEEEPlJS6_EEE10hipError_tPvRmT3_T4_T5_T6_T7_T9_mT8_P12ihipStream_tbDpT10_ENKUlT_T0_E_clISt17integral_constantIbLb1EES17_EEDaS12_S13_EUlS12_E_NS1_11comp_targetILNS1_3genE9ELNS1_11target_archE1100ELNS1_3gpuE3ELNS1_3repE0EEENS1_30default_config_static_selectorELNS0_4arch9wavefront6targetE1EEEvT1_
                                        ; -- End function
	.section	.AMDGPU.csdata,"",@progbits
; Kernel info:
; codeLenInByte = 0
; NumSgprs: 4
; NumVgprs: 0
; NumAgprs: 0
; TotalNumVgprs: 0
; ScratchSize: 0
; MemoryBound: 0
; FloatMode: 240
; IeeeMode: 1
; LDSByteSize: 0 bytes/workgroup (compile time only)
; SGPRBlocks: 0
; VGPRBlocks: 0
; NumSGPRsForWavesPerEU: 4
; NumVGPRsForWavesPerEU: 1
; AccumOffset: 4
; Occupancy: 8
; WaveLimiterHint : 0
; COMPUTE_PGM_RSRC2:SCRATCH_EN: 0
; COMPUTE_PGM_RSRC2:USER_SGPR: 6
; COMPUTE_PGM_RSRC2:TRAP_HANDLER: 0
; COMPUTE_PGM_RSRC2:TGID_X_EN: 1
; COMPUTE_PGM_RSRC2:TGID_Y_EN: 0
; COMPUTE_PGM_RSRC2:TGID_Z_EN: 0
; COMPUTE_PGM_RSRC2:TIDIG_COMP_CNT: 0
; COMPUTE_PGM_RSRC3_GFX90A:ACCUM_OFFSET: 0
; COMPUTE_PGM_RSRC3_GFX90A:TG_SPLIT: 0
	.section	.text._ZN7rocprim17ROCPRIM_400000_NS6detail17trampoline_kernelINS0_14default_configENS1_25partition_config_selectorILNS1_17partition_subalgoE8EtNS0_10empty_typeEbEEZZNS1_14partition_implILS5_8ELb0ES3_jPKtPS6_PKS6_NS0_5tupleIJPtS6_EEENSE_IJSB_SB_EEENS0_18inequality_wrapperIN6hipcub16HIPCUB_304000_NS8EqualityEEEPlJS6_EEE10hipError_tPvRmT3_T4_T5_T6_T7_T9_mT8_P12ihipStream_tbDpT10_ENKUlT_T0_E_clISt17integral_constantIbLb1EES17_EEDaS12_S13_EUlS12_E_NS1_11comp_targetILNS1_3genE8ELNS1_11target_archE1030ELNS1_3gpuE2ELNS1_3repE0EEENS1_30default_config_static_selectorELNS0_4arch9wavefront6targetE1EEEvT1_,"axG",@progbits,_ZN7rocprim17ROCPRIM_400000_NS6detail17trampoline_kernelINS0_14default_configENS1_25partition_config_selectorILNS1_17partition_subalgoE8EtNS0_10empty_typeEbEEZZNS1_14partition_implILS5_8ELb0ES3_jPKtPS6_PKS6_NS0_5tupleIJPtS6_EEENSE_IJSB_SB_EEENS0_18inequality_wrapperIN6hipcub16HIPCUB_304000_NS8EqualityEEEPlJS6_EEE10hipError_tPvRmT3_T4_T5_T6_T7_T9_mT8_P12ihipStream_tbDpT10_ENKUlT_T0_E_clISt17integral_constantIbLb1EES17_EEDaS12_S13_EUlS12_E_NS1_11comp_targetILNS1_3genE8ELNS1_11target_archE1030ELNS1_3gpuE2ELNS1_3repE0EEENS1_30default_config_static_selectorELNS0_4arch9wavefront6targetE1EEEvT1_,comdat
	.protected	_ZN7rocprim17ROCPRIM_400000_NS6detail17trampoline_kernelINS0_14default_configENS1_25partition_config_selectorILNS1_17partition_subalgoE8EtNS0_10empty_typeEbEEZZNS1_14partition_implILS5_8ELb0ES3_jPKtPS6_PKS6_NS0_5tupleIJPtS6_EEENSE_IJSB_SB_EEENS0_18inequality_wrapperIN6hipcub16HIPCUB_304000_NS8EqualityEEEPlJS6_EEE10hipError_tPvRmT3_T4_T5_T6_T7_T9_mT8_P12ihipStream_tbDpT10_ENKUlT_T0_E_clISt17integral_constantIbLb1EES17_EEDaS12_S13_EUlS12_E_NS1_11comp_targetILNS1_3genE8ELNS1_11target_archE1030ELNS1_3gpuE2ELNS1_3repE0EEENS1_30default_config_static_selectorELNS0_4arch9wavefront6targetE1EEEvT1_ ; -- Begin function _ZN7rocprim17ROCPRIM_400000_NS6detail17trampoline_kernelINS0_14default_configENS1_25partition_config_selectorILNS1_17partition_subalgoE8EtNS0_10empty_typeEbEEZZNS1_14partition_implILS5_8ELb0ES3_jPKtPS6_PKS6_NS0_5tupleIJPtS6_EEENSE_IJSB_SB_EEENS0_18inequality_wrapperIN6hipcub16HIPCUB_304000_NS8EqualityEEEPlJS6_EEE10hipError_tPvRmT3_T4_T5_T6_T7_T9_mT8_P12ihipStream_tbDpT10_ENKUlT_T0_E_clISt17integral_constantIbLb1EES17_EEDaS12_S13_EUlS12_E_NS1_11comp_targetILNS1_3genE8ELNS1_11target_archE1030ELNS1_3gpuE2ELNS1_3repE0EEENS1_30default_config_static_selectorELNS0_4arch9wavefront6targetE1EEEvT1_
	.globl	_ZN7rocprim17ROCPRIM_400000_NS6detail17trampoline_kernelINS0_14default_configENS1_25partition_config_selectorILNS1_17partition_subalgoE8EtNS0_10empty_typeEbEEZZNS1_14partition_implILS5_8ELb0ES3_jPKtPS6_PKS6_NS0_5tupleIJPtS6_EEENSE_IJSB_SB_EEENS0_18inequality_wrapperIN6hipcub16HIPCUB_304000_NS8EqualityEEEPlJS6_EEE10hipError_tPvRmT3_T4_T5_T6_T7_T9_mT8_P12ihipStream_tbDpT10_ENKUlT_T0_E_clISt17integral_constantIbLb1EES17_EEDaS12_S13_EUlS12_E_NS1_11comp_targetILNS1_3genE8ELNS1_11target_archE1030ELNS1_3gpuE2ELNS1_3repE0EEENS1_30default_config_static_selectorELNS0_4arch9wavefront6targetE1EEEvT1_
	.p2align	8
	.type	_ZN7rocprim17ROCPRIM_400000_NS6detail17trampoline_kernelINS0_14default_configENS1_25partition_config_selectorILNS1_17partition_subalgoE8EtNS0_10empty_typeEbEEZZNS1_14partition_implILS5_8ELb0ES3_jPKtPS6_PKS6_NS0_5tupleIJPtS6_EEENSE_IJSB_SB_EEENS0_18inequality_wrapperIN6hipcub16HIPCUB_304000_NS8EqualityEEEPlJS6_EEE10hipError_tPvRmT3_T4_T5_T6_T7_T9_mT8_P12ihipStream_tbDpT10_ENKUlT_T0_E_clISt17integral_constantIbLb1EES17_EEDaS12_S13_EUlS12_E_NS1_11comp_targetILNS1_3genE8ELNS1_11target_archE1030ELNS1_3gpuE2ELNS1_3repE0EEENS1_30default_config_static_selectorELNS0_4arch9wavefront6targetE1EEEvT1_,@function
_ZN7rocprim17ROCPRIM_400000_NS6detail17trampoline_kernelINS0_14default_configENS1_25partition_config_selectorILNS1_17partition_subalgoE8EtNS0_10empty_typeEbEEZZNS1_14partition_implILS5_8ELb0ES3_jPKtPS6_PKS6_NS0_5tupleIJPtS6_EEENSE_IJSB_SB_EEENS0_18inequality_wrapperIN6hipcub16HIPCUB_304000_NS8EqualityEEEPlJS6_EEE10hipError_tPvRmT3_T4_T5_T6_T7_T9_mT8_P12ihipStream_tbDpT10_ENKUlT_T0_E_clISt17integral_constantIbLb1EES17_EEDaS12_S13_EUlS12_E_NS1_11comp_targetILNS1_3genE8ELNS1_11target_archE1030ELNS1_3gpuE2ELNS1_3repE0EEENS1_30default_config_static_selectorELNS0_4arch9wavefront6targetE1EEEvT1_: ; @_ZN7rocprim17ROCPRIM_400000_NS6detail17trampoline_kernelINS0_14default_configENS1_25partition_config_selectorILNS1_17partition_subalgoE8EtNS0_10empty_typeEbEEZZNS1_14partition_implILS5_8ELb0ES3_jPKtPS6_PKS6_NS0_5tupleIJPtS6_EEENSE_IJSB_SB_EEENS0_18inequality_wrapperIN6hipcub16HIPCUB_304000_NS8EqualityEEEPlJS6_EEE10hipError_tPvRmT3_T4_T5_T6_T7_T9_mT8_P12ihipStream_tbDpT10_ENKUlT_T0_E_clISt17integral_constantIbLb1EES17_EEDaS12_S13_EUlS12_E_NS1_11comp_targetILNS1_3genE8ELNS1_11target_archE1030ELNS1_3gpuE2ELNS1_3repE0EEENS1_30default_config_static_selectorELNS0_4arch9wavefront6targetE1EEEvT1_
; %bb.0:
	.section	.rodata,"a",@progbits
	.p2align	6, 0x0
	.amdhsa_kernel _ZN7rocprim17ROCPRIM_400000_NS6detail17trampoline_kernelINS0_14default_configENS1_25partition_config_selectorILNS1_17partition_subalgoE8EtNS0_10empty_typeEbEEZZNS1_14partition_implILS5_8ELb0ES3_jPKtPS6_PKS6_NS0_5tupleIJPtS6_EEENSE_IJSB_SB_EEENS0_18inequality_wrapperIN6hipcub16HIPCUB_304000_NS8EqualityEEEPlJS6_EEE10hipError_tPvRmT3_T4_T5_T6_T7_T9_mT8_P12ihipStream_tbDpT10_ENKUlT_T0_E_clISt17integral_constantIbLb1EES17_EEDaS12_S13_EUlS12_E_NS1_11comp_targetILNS1_3genE8ELNS1_11target_archE1030ELNS1_3gpuE2ELNS1_3repE0EEENS1_30default_config_static_selectorELNS0_4arch9wavefront6targetE1EEEvT1_
		.amdhsa_group_segment_fixed_size 0
		.amdhsa_private_segment_fixed_size 0
		.amdhsa_kernarg_size 128
		.amdhsa_user_sgpr_count 6
		.amdhsa_user_sgpr_private_segment_buffer 1
		.amdhsa_user_sgpr_dispatch_ptr 0
		.amdhsa_user_sgpr_queue_ptr 0
		.amdhsa_user_sgpr_kernarg_segment_ptr 1
		.amdhsa_user_sgpr_dispatch_id 0
		.amdhsa_user_sgpr_flat_scratch_init 0
		.amdhsa_user_sgpr_kernarg_preload_length 0
		.amdhsa_user_sgpr_kernarg_preload_offset 0
		.amdhsa_user_sgpr_private_segment_size 0
		.amdhsa_uses_dynamic_stack 0
		.amdhsa_system_sgpr_private_segment_wavefront_offset 0
		.amdhsa_system_sgpr_workgroup_id_x 1
		.amdhsa_system_sgpr_workgroup_id_y 0
		.amdhsa_system_sgpr_workgroup_id_z 0
		.amdhsa_system_sgpr_workgroup_info 0
		.amdhsa_system_vgpr_workitem_id 0
		.amdhsa_next_free_vgpr 1
		.amdhsa_next_free_sgpr 0
		.amdhsa_accum_offset 4
		.amdhsa_reserve_vcc 0
		.amdhsa_reserve_flat_scratch 0
		.amdhsa_float_round_mode_32 0
		.amdhsa_float_round_mode_16_64 0
		.amdhsa_float_denorm_mode_32 3
		.amdhsa_float_denorm_mode_16_64 3
		.amdhsa_dx10_clamp 1
		.amdhsa_ieee_mode 1
		.amdhsa_fp16_overflow 0
		.amdhsa_tg_split 0
		.amdhsa_exception_fp_ieee_invalid_op 0
		.amdhsa_exception_fp_denorm_src 0
		.amdhsa_exception_fp_ieee_div_zero 0
		.amdhsa_exception_fp_ieee_overflow 0
		.amdhsa_exception_fp_ieee_underflow 0
		.amdhsa_exception_fp_ieee_inexact 0
		.amdhsa_exception_int_div_zero 0
	.end_amdhsa_kernel
	.section	.text._ZN7rocprim17ROCPRIM_400000_NS6detail17trampoline_kernelINS0_14default_configENS1_25partition_config_selectorILNS1_17partition_subalgoE8EtNS0_10empty_typeEbEEZZNS1_14partition_implILS5_8ELb0ES3_jPKtPS6_PKS6_NS0_5tupleIJPtS6_EEENSE_IJSB_SB_EEENS0_18inequality_wrapperIN6hipcub16HIPCUB_304000_NS8EqualityEEEPlJS6_EEE10hipError_tPvRmT3_T4_T5_T6_T7_T9_mT8_P12ihipStream_tbDpT10_ENKUlT_T0_E_clISt17integral_constantIbLb1EES17_EEDaS12_S13_EUlS12_E_NS1_11comp_targetILNS1_3genE8ELNS1_11target_archE1030ELNS1_3gpuE2ELNS1_3repE0EEENS1_30default_config_static_selectorELNS0_4arch9wavefront6targetE1EEEvT1_,"axG",@progbits,_ZN7rocprim17ROCPRIM_400000_NS6detail17trampoline_kernelINS0_14default_configENS1_25partition_config_selectorILNS1_17partition_subalgoE8EtNS0_10empty_typeEbEEZZNS1_14partition_implILS5_8ELb0ES3_jPKtPS6_PKS6_NS0_5tupleIJPtS6_EEENSE_IJSB_SB_EEENS0_18inequality_wrapperIN6hipcub16HIPCUB_304000_NS8EqualityEEEPlJS6_EEE10hipError_tPvRmT3_T4_T5_T6_T7_T9_mT8_P12ihipStream_tbDpT10_ENKUlT_T0_E_clISt17integral_constantIbLb1EES17_EEDaS12_S13_EUlS12_E_NS1_11comp_targetILNS1_3genE8ELNS1_11target_archE1030ELNS1_3gpuE2ELNS1_3repE0EEENS1_30default_config_static_selectorELNS0_4arch9wavefront6targetE1EEEvT1_,comdat
.Lfunc_end770:
	.size	_ZN7rocprim17ROCPRIM_400000_NS6detail17trampoline_kernelINS0_14default_configENS1_25partition_config_selectorILNS1_17partition_subalgoE8EtNS0_10empty_typeEbEEZZNS1_14partition_implILS5_8ELb0ES3_jPKtPS6_PKS6_NS0_5tupleIJPtS6_EEENSE_IJSB_SB_EEENS0_18inequality_wrapperIN6hipcub16HIPCUB_304000_NS8EqualityEEEPlJS6_EEE10hipError_tPvRmT3_T4_T5_T6_T7_T9_mT8_P12ihipStream_tbDpT10_ENKUlT_T0_E_clISt17integral_constantIbLb1EES17_EEDaS12_S13_EUlS12_E_NS1_11comp_targetILNS1_3genE8ELNS1_11target_archE1030ELNS1_3gpuE2ELNS1_3repE0EEENS1_30default_config_static_selectorELNS0_4arch9wavefront6targetE1EEEvT1_, .Lfunc_end770-_ZN7rocprim17ROCPRIM_400000_NS6detail17trampoline_kernelINS0_14default_configENS1_25partition_config_selectorILNS1_17partition_subalgoE8EtNS0_10empty_typeEbEEZZNS1_14partition_implILS5_8ELb0ES3_jPKtPS6_PKS6_NS0_5tupleIJPtS6_EEENSE_IJSB_SB_EEENS0_18inequality_wrapperIN6hipcub16HIPCUB_304000_NS8EqualityEEEPlJS6_EEE10hipError_tPvRmT3_T4_T5_T6_T7_T9_mT8_P12ihipStream_tbDpT10_ENKUlT_T0_E_clISt17integral_constantIbLb1EES17_EEDaS12_S13_EUlS12_E_NS1_11comp_targetILNS1_3genE8ELNS1_11target_archE1030ELNS1_3gpuE2ELNS1_3repE0EEENS1_30default_config_static_selectorELNS0_4arch9wavefront6targetE1EEEvT1_
                                        ; -- End function
	.section	.AMDGPU.csdata,"",@progbits
; Kernel info:
; codeLenInByte = 0
; NumSgprs: 4
; NumVgprs: 0
; NumAgprs: 0
; TotalNumVgprs: 0
; ScratchSize: 0
; MemoryBound: 0
; FloatMode: 240
; IeeeMode: 1
; LDSByteSize: 0 bytes/workgroup (compile time only)
; SGPRBlocks: 0
; VGPRBlocks: 0
; NumSGPRsForWavesPerEU: 4
; NumVGPRsForWavesPerEU: 1
; AccumOffset: 4
; Occupancy: 8
; WaveLimiterHint : 0
; COMPUTE_PGM_RSRC2:SCRATCH_EN: 0
; COMPUTE_PGM_RSRC2:USER_SGPR: 6
; COMPUTE_PGM_RSRC2:TRAP_HANDLER: 0
; COMPUTE_PGM_RSRC2:TGID_X_EN: 1
; COMPUTE_PGM_RSRC2:TGID_Y_EN: 0
; COMPUTE_PGM_RSRC2:TGID_Z_EN: 0
; COMPUTE_PGM_RSRC2:TIDIG_COMP_CNT: 0
; COMPUTE_PGM_RSRC3_GFX90A:ACCUM_OFFSET: 0
; COMPUTE_PGM_RSRC3_GFX90A:TG_SPLIT: 0
	.section	.text._ZN7rocprim17ROCPRIM_400000_NS6detail17trampoline_kernelINS0_14default_configENS1_25partition_config_selectorILNS1_17partition_subalgoE8EtNS0_10empty_typeEbEEZZNS1_14partition_implILS5_8ELb0ES3_jPKtPS6_PKS6_NS0_5tupleIJPtS6_EEENSE_IJSB_SB_EEENS0_18inequality_wrapperIN6hipcub16HIPCUB_304000_NS8EqualityEEEPlJS6_EEE10hipError_tPvRmT3_T4_T5_T6_T7_T9_mT8_P12ihipStream_tbDpT10_ENKUlT_T0_E_clISt17integral_constantIbLb1EES16_IbLb0EEEEDaS12_S13_EUlS12_E_NS1_11comp_targetILNS1_3genE0ELNS1_11target_archE4294967295ELNS1_3gpuE0ELNS1_3repE0EEENS1_30default_config_static_selectorELNS0_4arch9wavefront6targetE1EEEvT1_,"axG",@progbits,_ZN7rocprim17ROCPRIM_400000_NS6detail17trampoline_kernelINS0_14default_configENS1_25partition_config_selectorILNS1_17partition_subalgoE8EtNS0_10empty_typeEbEEZZNS1_14partition_implILS5_8ELb0ES3_jPKtPS6_PKS6_NS0_5tupleIJPtS6_EEENSE_IJSB_SB_EEENS0_18inequality_wrapperIN6hipcub16HIPCUB_304000_NS8EqualityEEEPlJS6_EEE10hipError_tPvRmT3_T4_T5_T6_T7_T9_mT8_P12ihipStream_tbDpT10_ENKUlT_T0_E_clISt17integral_constantIbLb1EES16_IbLb0EEEEDaS12_S13_EUlS12_E_NS1_11comp_targetILNS1_3genE0ELNS1_11target_archE4294967295ELNS1_3gpuE0ELNS1_3repE0EEENS1_30default_config_static_selectorELNS0_4arch9wavefront6targetE1EEEvT1_,comdat
	.protected	_ZN7rocprim17ROCPRIM_400000_NS6detail17trampoline_kernelINS0_14default_configENS1_25partition_config_selectorILNS1_17partition_subalgoE8EtNS0_10empty_typeEbEEZZNS1_14partition_implILS5_8ELb0ES3_jPKtPS6_PKS6_NS0_5tupleIJPtS6_EEENSE_IJSB_SB_EEENS0_18inequality_wrapperIN6hipcub16HIPCUB_304000_NS8EqualityEEEPlJS6_EEE10hipError_tPvRmT3_T4_T5_T6_T7_T9_mT8_P12ihipStream_tbDpT10_ENKUlT_T0_E_clISt17integral_constantIbLb1EES16_IbLb0EEEEDaS12_S13_EUlS12_E_NS1_11comp_targetILNS1_3genE0ELNS1_11target_archE4294967295ELNS1_3gpuE0ELNS1_3repE0EEENS1_30default_config_static_selectorELNS0_4arch9wavefront6targetE1EEEvT1_ ; -- Begin function _ZN7rocprim17ROCPRIM_400000_NS6detail17trampoline_kernelINS0_14default_configENS1_25partition_config_selectorILNS1_17partition_subalgoE8EtNS0_10empty_typeEbEEZZNS1_14partition_implILS5_8ELb0ES3_jPKtPS6_PKS6_NS0_5tupleIJPtS6_EEENSE_IJSB_SB_EEENS0_18inequality_wrapperIN6hipcub16HIPCUB_304000_NS8EqualityEEEPlJS6_EEE10hipError_tPvRmT3_T4_T5_T6_T7_T9_mT8_P12ihipStream_tbDpT10_ENKUlT_T0_E_clISt17integral_constantIbLb1EES16_IbLb0EEEEDaS12_S13_EUlS12_E_NS1_11comp_targetILNS1_3genE0ELNS1_11target_archE4294967295ELNS1_3gpuE0ELNS1_3repE0EEENS1_30default_config_static_selectorELNS0_4arch9wavefront6targetE1EEEvT1_
	.globl	_ZN7rocprim17ROCPRIM_400000_NS6detail17trampoline_kernelINS0_14default_configENS1_25partition_config_selectorILNS1_17partition_subalgoE8EtNS0_10empty_typeEbEEZZNS1_14partition_implILS5_8ELb0ES3_jPKtPS6_PKS6_NS0_5tupleIJPtS6_EEENSE_IJSB_SB_EEENS0_18inequality_wrapperIN6hipcub16HIPCUB_304000_NS8EqualityEEEPlJS6_EEE10hipError_tPvRmT3_T4_T5_T6_T7_T9_mT8_P12ihipStream_tbDpT10_ENKUlT_T0_E_clISt17integral_constantIbLb1EES16_IbLb0EEEEDaS12_S13_EUlS12_E_NS1_11comp_targetILNS1_3genE0ELNS1_11target_archE4294967295ELNS1_3gpuE0ELNS1_3repE0EEENS1_30default_config_static_selectorELNS0_4arch9wavefront6targetE1EEEvT1_
	.p2align	8
	.type	_ZN7rocprim17ROCPRIM_400000_NS6detail17trampoline_kernelINS0_14default_configENS1_25partition_config_selectorILNS1_17partition_subalgoE8EtNS0_10empty_typeEbEEZZNS1_14partition_implILS5_8ELb0ES3_jPKtPS6_PKS6_NS0_5tupleIJPtS6_EEENSE_IJSB_SB_EEENS0_18inequality_wrapperIN6hipcub16HIPCUB_304000_NS8EqualityEEEPlJS6_EEE10hipError_tPvRmT3_T4_T5_T6_T7_T9_mT8_P12ihipStream_tbDpT10_ENKUlT_T0_E_clISt17integral_constantIbLb1EES16_IbLb0EEEEDaS12_S13_EUlS12_E_NS1_11comp_targetILNS1_3genE0ELNS1_11target_archE4294967295ELNS1_3gpuE0ELNS1_3repE0EEENS1_30default_config_static_selectorELNS0_4arch9wavefront6targetE1EEEvT1_,@function
_ZN7rocprim17ROCPRIM_400000_NS6detail17trampoline_kernelINS0_14default_configENS1_25partition_config_selectorILNS1_17partition_subalgoE8EtNS0_10empty_typeEbEEZZNS1_14partition_implILS5_8ELb0ES3_jPKtPS6_PKS6_NS0_5tupleIJPtS6_EEENSE_IJSB_SB_EEENS0_18inequality_wrapperIN6hipcub16HIPCUB_304000_NS8EqualityEEEPlJS6_EEE10hipError_tPvRmT3_T4_T5_T6_T7_T9_mT8_P12ihipStream_tbDpT10_ENKUlT_T0_E_clISt17integral_constantIbLb1EES16_IbLb0EEEEDaS12_S13_EUlS12_E_NS1_11comp_targetILNS1_3genE0ELNS1_11target_archE4294967295ELNS1_3gpuE0ELNS1_3repE0EEENS1_30default_config_static_selectorELNS0_4arch9wavefront6targetE1EEEvT1_: ; @_ZN7rocprim17ROCPRIM_400000_NS6detail17trampoline_kernelINS0_14default_configENS1_25partition_config_selectorILNS1_17partition_subalgoE8EtNS0_10empty_typeEbEEZZNS1_14partition_implILS5_8ELb0ES3_jPKtPS6_PKS6_NS0_5tupleIJPtS6_EEENSE_IJSB_SB_EEENS0_18inequality_wrapperIN6hipcub16HIPCUB_304000_NS8EqualityEEEPlJS6_EEE10hipError_tPvRmT3_T4_T5_T6_T7_T9_mT8_P12ihipStream_tbDpT10_ENKUlT_T0_E_clISt17integral_constantIbLb1EES16_IbLb0EEEEDaS12_S13_EUlS12_E_NS1_11comp_targetILNS1_3genE0ELNS1_11target_archE4294967295ELNS1_3gpuE0ELNS1_3repE0EEENS1_30default_config_static_selectorELNS0_4arch9wavefront6targetE1EEEvT1_
; %bb.0:
	.section	.rodata,"a",@progbits
	.p2align	6, 0x0
	.amdhsa_kernel _ZN7rocprim17ROCPRIM_400000_NS6detail17trampoline_kernelINS0_14default_configENS1_25partition_config_selectorILNS1_17partition_subalgoE8EtNS0_10empty_typeEbEEZZNS1_14partition_implILS5_8ELb0ES3_jPKtPS6_PKS6_NS0_5tupleIJPtS6_EEENSE_IJSB_SB_EEENS0_18inequality_wrapperIN6hipcub16HIPCUB_304000_NS8EqualityEEEPlJS6_EEE10hipError_tPvRmT3_T4_T5_T6_T7_T9_mT8_P12ihipStream_tbDpT10_ENKUlT_T0_E_clISt17integral_constantIbLb1EES16_IbLb0EEEEDaS12_S13_EUlS12_E_NS1_11comp_targetILNS1_3genE0ELNS1_11target_archE4294967295ELNS1_3gpuE0ELNS1_3repE0EEENS1_30default_config_static_selectorELNS0_4arch9wavefront6targetE1EEEvT1_
		.amdhsa_group_segment_fixed_size 0
		.amdhsa_private_segment_fixed_size 0
		.amdhsa_kernarg_size 112
		.amdhsa_user_sgpr_count 6
		.amdhsa_user_sgpr_private_segment_buffer 1
		.amdhsa_user_sgpr_dispatch_ptr 0
		.amdhsa_user_sgpr_queue_ptr 0
		.amdhsa_user_sgpr_kernarg_segment_ptr 1
		.amdhsa_user_sgpr_dispatch_id 0
		.amdhsa_user_sgpr_flat_scratch_init 0
		.amdhsa_user_sgpr_kernarg_preload_length 0
		.amdhsa_user_sgpr_kernarg_preload_offset 0
		.amdhsa_user_sgpr_private_segment_size 0
		.amdhsa_uses_dynamic_stack 0
		.amdhsa_system_sgpr_private_segment_wavefront_offset 0
		.amdhsa_system_sgpr_workgroup_id_x 1
		.amdhsa_system_sgpr_workgroup_id_y 0
		.amdhsa_system_sgpr_workgroup_id_z 0
		.amdhsa_system_sgpr_workgroup_info 0
		.amdhsa_system_vgpr_workitem_id 0
		.amdhsa_next_free_vgpr 1
		.amdhsa_next_free_sgpr 0
		.amdhsa_accum_offset 4
		.amdhsa_reserve_vcc 0
		.amdhsa_reserve_flat_scratch 0
		.amdhsa_float_round_mode_32 0
		.amdhsa_float_round_mode_16_64 0
		.amdhsa_float_denorm_mode_32 3
		.amdhsa_float_denorm_mode_16_64 3
		.amdhsa_dx10_clamp 1
		.amdhsa_ieee_mode 1
		.amdhsa_fp16_overflow 0
		.amdhsa_tg_split 0
		.amdhsa_exception_fp_ieee_invalid_op 0
		.amdhsa_exception_fp_denorm_src 0
		.amdhsa_exception_fp_ieee_div_zero 0
		.amdhsa_exception_fp_ieee_overflow 0
		.amdhsa_exception_fp_ieee_underflow 0
		.amdhsa_exception_fp_ieee_inexact 0
		.amdhsa_exception_int_div_zero 0
	.end_amdhsa_kernel
	.section	.text._ZN7rocprim17ROCPRIM_400000_NS6detail17trampoline_kernelINS0_14default_configENS1_25partition_config_selectorILNS1_17partition_subalgoE8EtNS0_10empty_typeEbEEZZNS1_14partition_implILS5_8ELb0ES3_jPKtPS6_PKS6_NS0_5tupleIJPtS6_EEENSE_IJSB_SB_EEENS0_18inequality_wrapperIN6hipcub16HIPCUB_304000_NS8EqualityEEEPlJS6_EEE10hipError_tPvRmT3_T4_T5_T6_T7_T9_mT8_P12ihipStream_tbDpT10_ENKUlT_T0_E_clISt17integral_constantIbLb1EES16_IbLb0EEEEDaS12_S13_EUlS12_E_NS1_11comp_targetILNS1_3genE0ELNS1_11target_archE4294967295ELNS1_3gpuE0ELNS1_3repE0EEENS1_30default_config_static_selectorELNS0_4arch9wavefront6targetE1EEEvT1_,"axG",@progbits,_ZN7rocprim17ROCPRIM_400000_NS6detail17trampoline_kernelINS0_14default_configENS1_25partition_config_selectorILNS1_17partition_subalgoE8EtNS0_10empty_typeEbEEZZNS1_14partition_implILS5_8ELb0ES3_jPKtPS6_PKS6_NS0_5tupleIJPtS6_EEENSE_IJSB_SB_EEENS0_18inequality_wrapperIN6hipcub16HIPCUB_304000_NS8EqualityEEEPlJS6_EEE10hipError_tPvRmT3_T4_T5_T6_T7_T9_mT8_P12ihipStream_tbDpT10_ENKUlT_T0_E_clISt17integral_constantIbLb1EES16_IbLb0EEEEDaS12_S13_EUlS12_E_NS1_11comp_targetILNS1_3genE0ELNS1_11target_archE4294967295ELNS1_3gpuE0ELNS1_3repE0EEENS1_30default_config_static_selectorELNS0_4arch9wavefront6targetE1EEEvT1_,comdat
.Lfunc_end771:
	.size	_ZN7rocprim17ROCPRIM_400000_NS6detail17trampoline_kernelINS0_14default_configENS1_25partition_config_selectorILNS1_17partition_subalgoE8EtNS0_10empty_typeEbEEZZNS1_14partition_implILS5_8ELb0ES3_jPKtPS6_PKS6_NS0_5tupleIJPtS6_EEENSE_IJSB_SB_EEENS0_18inequality_wrapperIN6hipcub16HIPCUB_304000_NS8EqualityEEEPlJS6_EEE10hipError_tPvRmT3_T4_T5_T6_T7_T9_mT8_P12ihipStream_tbDpT10_ENKUlT_T0_E_clISt17integral_constantIbLb1EES16_IbLb0EEEEDaS12_S13_EUlS12_E_NS1_11comp_targetILNS1_3genE0ELNS1_11target_archE4294967295ELNS1_3gpuE0ELNS1_3repE0EEENS1_30default_config_static_selectorELNS0_4arch9wavefront6targetE1EEEvT1_, .Lfunc_end771-_ZN7rocprim17ROCPRIM_400000_NS6detail17trampoline_kernelINS0_14default_configENS1_25partition_config_selectorILNS1_17partition_subalgoE8EtNS0_10empty_typeEbEEZZNS1_14partition_implILS5_8ELb0ES3_jPKtPS6_PKS6_NS0_5tupleIJPtS6_EEENSE_IJSB_SB_EEENS0_18inequality_wrapperIN6hipcub16HIPCUB_304000_NS8EqualityEEEPlJS6_EEE10hipError_tPvRmT3_T4_T5_T6_T7_T9_mT8_P12ihipStream_tbDpT10_ENKUlT_T0_E_clISt17integral_constantIbLb1EES16_IbLb0EEEEDaS12_S13_EUlS12_E_NS1_11comp_targetILNS1_3genE0ELNS1_11target_archE4294967295ELNS1_3gpuE0ELNS1_3repE0EEENS1_30default_config_static_selectorELNS0_4arch9wavefront6targetE1EEEvT1_
                                        ; -- End function
	.section	.AMDGPU.csdata,"",@progbits
; Kernel info:
; codeLenInByte = 0
; NumSgprs: 4
; NumVgprs: 0
; NumAgprs: 0
; TotalNumVgprs: 0
; ScratchSize: 0
; MemoryBound: 0
; FloatMode: 240
; IeeeMode: 1
; LDSByteSize: 0 bytes/workgroup (compile time only)
; SGPRBlocks: 0
; VGPRBlocks: 0
; NumSGPRsForWavesPerEU: 4
; NumVGPRsForWavesPerEU: 1
; AccumOffset: 4
; Occupancy: 8
; WaveLimiterHint : 0
; COMPUTE_PGM_RSRC2:SCRATCH_EN: 0
; COMPUTE_PGM_RSRC2:USER_SGPR: 6
; COMPUTE_PGM_RSRC2:TRAP_HANDLER: 0
; COMPUTE_PGM_RSRC2:TGID_X_EN: 1
; COMPUTE_PGM_RSRC2:TGID_Y_EN: 0
; COMPUTE_PGM_RSRC2:TGID_Z_EN: 0
; COMPUTE_PGM_RSRC2:TIDIG_COMP_CNT: 0
; COMPUTE_PGM_RSRC3_GFX90A:ACCUM_OFFSET: 0
; COMPUTE_PGM_RSRC3_GFX90A:TG_SPLIT: 0
	.section	.text._ZN7rocprim17ROCPRIM_400000_NS6detail17trampoline_kernelINS0_14default_configENS1_25partition_config_selectorILNS1_17partition_subalgoE8EtNS0_10empty_typeEbEEZZNS1_14partition_implILS5_8ELb0ES3_jPKtPS6_PKS6_NS0_5tupleIJPtS6_EEENSE_IJSB_SB_EEENS0_18inequality_wrapperIN6hipcub16HIPCUB_304000_NS8EqualityEEEPlJS6_EEE10hipError_tPvRmT3_T4_T5_T6_T7_T9_mT8_P12ihipStream_tbDpT10_ENKUlT_T0_E_clISt17integral_constantIbLb1EES16_IbLb0EEEEDaS12_S13_EUlS12_E_NS1_11comp_targetILNS1_3genE5ELNS1_11target_archE942ELNS1_3gpuE9ELNS1_3repE0EEENS1_30default_config_static_selectorELNS0_4arch9wavefront6targetE1EEEvT1_,"axG",@progbits,_ZN7rocprim17ROCPRIM_400000_NS6detail17trampoline_kernelINS0_14default_configENS1_25partition_config_selectorILNS1_17partition_subalgoE8EtNS0_10empty_typeEbEEZZNS1_14partition_implILS5_8ELb0ES3_jPKtPS6_PKS6_NS0_5tupleIJPtS6_EEENSE_IJSB_SB_EEENS0_18inequality_wrapperIN6hipcub16HIPCUB_304000_NS8EqualityEEEPlJS6_EEE10hipError_tPvRmT3_T4_T5_T6_T7_T9_mT8_P12ihipStream_tbDpT10_ENKUlT_T0_E_clISt17integral_constantIbLb1EES16_IbLb0EEEEDaS12_S13_EUlS12_E_NS1_11comp_targetILNS1_3genE5ELNS1_11target_archE942ELNS1_3gpuE9ELNS1_3repE0EEENS1_30default_config_static_selectorELNS0_4arch9wavefront6targetE1EEEvT1_,comdat
	.protected	_ZN7rocprim17ROCPRIM_400000_NS6detail17trampoline_kernelINS0_14default_configENS1_25partition_config_selectorILNS1_17partition_subalgoE8EtNS0_10empty_typeEbEEZZNS1_14partition_implILS5_8ELb0ES3_jPKtPS6_PKS6_NS0_5tupleIJPtS6_EEENSE_IJSB_SB_EEENS0_18inequality_wrapperIN6hipcub16HIPCUB_304000_NS8EqualityEEEPlJS6_EEE10hipError_tPvRmT3_T4_T5_T6_T7_T9_mT8_P12ihipStream_tbDpT10_ENKUlT_T0_E_clISt17integral_constantIbLb1EES16_IbLb0EEEEDaS12_S13_EUlS12_E_NS1_11comp_targetILNS1_3genE5ELNS1_11target_archE942ELNS1_3gpuE9ELNS1_3repE0EEENS1_30default_config_static_selectorELNS0_4arch9wavefront6targetE1EEEvT1_ ; -- Begin function _ZN7rocprim17ROCPRIM_400000_NS6detail17trampoline_kernelINS0_14default_configENS1_25partition_config_selectorILNS1_17partition_subalgoE8EtNS0_10empty_typeEbEEZZNS1_14partition_implILS5_8ELb0ES3_jPKtPS6_PKS6_NS0_5tupleIJPtS6_EEENSE_IJSB_SB_EEENS0_18inequality_wrapperIN6hipcub16HIPCUB_304000_NS8EqualityEEEPlJS6_EEE10hipError_tPvRmT3_T4_T5_T6_T7_T9_mT8_P12ihipStream_tbDpT10_ENKUlT_T0_E_clISt17integral_constantIbLb1EES16_IbLb0EEEEDaS12_S13_EUlS12_E_NS1_11comp_targetILNS1_3genE5ELNS1_11target_archE942ELNS1_3gpuE9ELNS1_3repE0EEENS1_30default_config_static_selectorELNS0_4arch9wavefront6targetE1EEEvT1_
	.globl	_ZN7rocprim17ROCPRIM_400000_NS6detail17trampoline_kernelINS0_14default_configENS1_25partition_config_selectorILNS1_17partition_subalgoE8EtNS0_10empty_typeEbEEZZNS1_14partition_implILS5_8ELb0ES3_jPKtPS6_PKS6_NS0_5tupleIJPtS6_EEENSE_IJSB_SB_EEENS0_18inequality_wrapperIN6hipcub16HIPCUB_304000_NS8EqualityEEEPlJS6_EEE10hipError_tPvRmT3_T4_T5_T6_T7_T9_mT8_P12ihipStream_tbDpT10_ENKUlT_T0_E_clISt17integral_constantIbLb1EES16_IbLb0EEEEDaS12_S13_EUlS12_E_NS1_11comp_targetILNS1_3genE5ELNS1_11target_archE942ELNS1_3gpuE9ELNS1_3repE0EEENS1_30default_config_static_selectorELNS0_4arch9wavefront6targetE1EEEvT1_
	.p2align	8
	.type	_ZN7rocprim17ROCPRIM_400000_NS6detail17trampoline_kernelINS0_14default_configENS1_25partition_config_selectorILNS1_17partition_subalgoE8EtNS0_10empty_typeEbEEZZNS1_14partition_implILS5_8ELb0ES3_jPKtPS6_PKS6_NS0_5tupleIJPtS6_EEENSE_IJSB_SB_EEENS0_18inequality_wrapperIN6hipcub16HIPCUB_304000_NS8EqualityEEEPlJS6_EEE10hipError_tPvRmT3_T4_T5_T6_T7_T9_mT8_P12ihipStream_tbDpT10_ENKUlT_T0_E_clISt17integral_constantIbLb1EES16_IbLb0EEEEDaS12_S13_EUlS12_E_NS1_11comp_targetILNS1_3genE5ELNS1_11target_archE942ELNS1_3gpuE9ELNS1_3repE0EEENS1_30default_config_static_selectorELNS0_4arch9wavefront6targetE1EEEvT1_,@function
_ZN7rocprim17ROCPRIM_400000_NS6detail17trampoline_kernelINS0_14default_configENS1_25partition_config_selectorILNS1_17partition_subalgoE8EtNS0_10empty_typeEbEEZZNS1_14partition_implILS5_8ELb0ES3_jPKtPS6_PKS6_NS0_5tupleIJPtS6_EEENSE_IJSB_SB_EEENS0_18inequality_wrapperIN6hipcub16HIPCUB_304000_NS8EqualityEEEPlJS6_EEE10hipError_tPvRmT3_T4_T5_T6_T7_T9_mT8_P12ihipStream_tbDpT10_ENKUlT_T0_E_clISt17integral_constantIbLb1EES16_IbLb0EEEEDaS12_S13_EUlS12_E_NS1_11comp_targetILNS1_3genE5ELNS1_11target_archE942ELNS1_3gpuE9ELNS1_3repE0EEENS1_30default_config_static_selectorELNS0_4arch9wavefront6targetE1EEEvT1_: ; @_ZN7rocprim17ROCPRIM_400000_NS6detail17trampoline_kernelINS0_14default_configENS1_25partition_config_selectorILNS1_17partition_subalgoE8EtNS0_10empty_typeEbEEZZNS1_14partition_implILS5_8ELb0ES3_jPKtPS6_PKS6_NS0_5tupleIJPtS6_EEENSE_IJSB_SB_EEENS0_18inequality_wrapperIN6hipcub16HIPCUB_304000_NS8EqualityEEEPlJS6_EEE10hipError_tPvRmT3_T4_T5_T6_T7_T9_mT8_P12ihipStream_tbDpT10_ENKUlT_T0_E_clISt17integral_constantIbLb1EES16_IbLb0EEEEDaS12_S13_EUlS12_E_NS1_11comp_targetILNS1_3genE5ELNS1_11target_archE942ELNS1_3gpuE9ELNS1_3repE0EEENS1_30default_config_static_selectorELNS0_4arch9wavefront6targetE1EEEvT1_
; %bb.0:
	.section	.rodata,"a",@progbits
	.p2align	6, 0x0
	.amdhsa_kernel _ZN7rocprim17ROCPRIM_400000_NS6detail17trampoline_kernelINS0_14default_configENS1_25partition_config_selectorILNS1_17partition_subalgoE8EtNS0_10empty_typeEbEEZZNS1_14partition_implILS5_8ELb0ES3_jPKtPS6_PKS6_NS0_5tupleIJPtS6_EEENSE_IJSB_SB_EEENS0_18inequality_wrapperIN6hipcub16HIPCUB_304000_NS8EqualityEEEPlJS6_EEE10hipError_tPvRmT3_T4_T5_T6_T7_T9_mT8_P12ihipStream_tbDpT10_ENKUlT_T0_E_clISt17integral_constantIbLb1EES16_IbLb0EEEEDaS12_S13_EUlS12_E_NS1_11comp_targetILNS1_3genE5ELNS1_11target_archE942ELNS1_3gpuE9ELNS1_3repE0EEENS1_30default_config_static_selectorELNS0_4arch9wavefront6targetE1EEEvT1_
		.amdhsa_group_segment_fixed_size 0
		.amdhsa_private_segment_fixed_size 0
		.amdhsa_kernarg_size 112
		.amdhsa_user_sgpr_count 6
		.amdhsa_user_sgpr_private_segment_buffer 1
		.amdhsa_user_sgpr_dispatch_ptr 0
		.amdhsa_user_sgpr_queue_ptr 0
		.amdhsa_user_sgpr_kernarg_segment_ptr 1
		.amdhsa_user_sgpr_dispatch_id 0
		.amdhsa_user_sgpr_flat_scratch_init 0
		.amdhsa_user_sgpr_kernarg_preload_length 0
		.amdhsa_user_sgpr_kernarg_preload_offset 0
		.amdhsa_user_sgpr_private_segment_size 0
		.amdhsa_uses_dynamic_stack 0
		.amdhsa_system_sgpr_private_segment_wavefront_offset 0
		.amdhsa_system_sgpr_workgroup_id_x 1
		.amdhsa_system_sgpr_workgroup_id_y 0
		.amdhsa_system_sgpr_workgroup_id_z 0
		.amdhsa_system_sgpr_workgroup_info 0
		.amdhsa_system_vgpr_workitem_id 0
		.amdhsa_next_free_vgpr 1
		.amdhsa_next_free_sgpr 0
		.amdhsa_accum_offset 4
		.amdhsa_reserve_vcc 0
		.amdhsa_reserve_flat_scratch 0
		.amdhsa_float_round_mode_32 0
		.amdhsa_float_round_mode_16_64 0
		.amdhsa_float_denorm_mode_32 3
		.amdhsa_float_denorm_mode_16_64 3
		.amdhsa_dx10_clamp 1
		.amdhsa_ieee_mode 1
		.amdhsa_fp16_overflow 0
		.amdhsa_tg_split 0
		.amdhsa_exception_fp_ieee_invalid_op 0
		.amdhsa_exception_fp_denorm_src 0
		.amdhsa_exception_fp_ieee_div_zero 0
		.amdhsa_exception_fp_ieee_overflow 0
		.amdhsa_exception_fp_ieee_underflow 0
		.amdhsa_exception_fp_ieee_inexact 0
		.amdhsa_exception_int_div_zero 0
	.end_amdhsa_kernel
	.section	.text._ZN7rocprim17ROCPRIM_400000_NS6detail17trampoline_kernelINS0_14default_configENS1_25partition_config_selectorILNS1_17partition_subalgoE8EtNS0_10empty_typeEbEEZZNS1_14partition_implILS5_8ELb0ES3_jPKtPS6_PKS6_NS0_5tupleIJPtS6_EEENSE_IJSB_SB_EEENS0_18inequality_wrapperIN6hipcub16HIPCUB_304000_NS8EqualityEEEPlJS6_EEE10hipError_tPvRmT3_T4_T5_T6_T7_T9_mT8_P12ihipStream_tbDpT10_ENKUlT_T0_E_clISt17integral_constantIbLb1EES16_IbLb0EEEEDaS12_S13_EUlS12_E_NS1_11comp_targetILNS1_3genE5ELNS1_11target_archE942ELNS1_3gpuE9ELNS1_3repE0EEENS1_30default_config_static_selectorELNS0_4arch9wavefront6targetE1EEEvT1_,"axG",@progbits,_ZN7rocprim17ROCPRIM_400000_NS6detail17trampoline_kernelINS0_14default_configENS1_25partition_config_selectorILNS1_17partition_subalgoE8EtNS0_10empty_typeEbEEZZNS1_14partition_implILS5_8ELb0ES3_jPKtPS6_PKS6_NS0_5tupleIJPtS6_EEENSE_IJSB_SB_EEENS0_18inequality_wrapperIN6hipcub16HIPCUB_304000_NS8EqualityEEEPlJS6_EEE10hipError_tPvRmT3_T4_T5_T6_T7_T9_mT8_P12ihipStream_tbDpT10_ENKUlT_T0_E_clISt17integral_constantIbLb1EES16_IbLb0EEEEDaS12_S13_EUlS12_E_NS1_11comp_targetILNS1_3genE5ELNS1_11target_archE942ELNS1_3gpuE9ELNS1_3repE0EEENS1_30default_config_static_selectorELNS0_4arch9wavefront6targetE1EEEvT1_,comdat
.Lfunc_end772:
	.size	_ZN7rocprim17ROCPRIM_400000_NS6detail17trampoline_kernelINS0_14default_configENS1_25partition_config_selectorILNS1_17partition_subalgoE8EtNS0_10empty_typeEbEEZZNS1_14partition_implILS5_8ELb0ES3_jPKtPS6_PKS6_NS0_5tupleIJPtS6_EEENSE_IJSB_SB_EEENS0_18inequality_wrapperIN6hipcub16HIPCUB_304000_NS8EqualityEEEPlJS6_EEE10hipError_tPvRmT3_T4_T5_T6_T7_T9_mT8_P12ihipStream_tbDpT10_ENKUlT_T0_E_clISt17integral_constantIbLb1EES16_IbLb0EEEEDaS12_S13_EUlS12_E_NS1_11comp_targetILNS1_3genE5ELNS1_11target_archE942ELNS1_3gpuE9ELNS1_3repE0EEENS1_30default_config_static_selectorELNS0_4arch9wavefront6targetE1EEEvT1_, .Lfunc_end772-_ZN7rocprim17ROCPRIM_400000_NS6detail17trampoline_kernelINS0_14default_configENS1_25partition_config_selectorILNS1_17partition_subalgoE8EtNS0_10empty_typeEbEEZZNS1_14partition_implILS5_8ELb0ES3_jPKtPS6_PKS6_NS0_5tupleIJPtS6_EEENSE_IJSB_SB_EEENS0_18inequality_wrapperIN6hipcub16HIPCUB_304000_NS8EqualityEEEPlJS6_EEE10hipError_tPvRmT3_T4_T5_T6_T7_T9_mT8_P12ihipStream_tbDpT10_ENKUlT_T0_E_clISt17integral_constantIbLb1EES16_IbLb0EEEEDaS12_S13_EUlS12_E_NS1_11comp_targetILNS1_3genE5ELNS1_11target_archE942ELNS1_3gpuE9ELNS1_3repE0EEENS1_30default_config_static_selectorELNS0_4arch9wavefront6targetE1EEEvT1_
                                        ; -- End function
	.section	.AMDGPU.csdata,"",@progbits
; Kernel info:
; codeLenInByte = 0
; NumSgprs: 4
; NumVgprs: 0
; NumAgprs: 0
; TotalNumVgprs: 0
; ScratchSize: 0
; MemoryBound: 0
; FloatMode: 240
; IeeeMode: 1
; LDSByteSize: 0 bytes/workgroup (compile time only)
; SGPRBlocks: 0
; VGPRBlocks: 0
; NumSGPRsForWavesPerEU: 4
; NumVGPRsForWavesPerEU: 1
; AccumOffset: 4
; Occupancy: 8
; WaveLimiterHint : 0
; COMPUTE_PGM_RSRC2:SCRATCH_EN: 0
; COMPUTE_PGM_RSRC2:USER_SGPR: 6
; COMPUTE_PGM_RSRC2:TRAP_HANDLER: 0
; COMPUTE_PGM_RSRC2:TGID_X_EN: 1
; COMPUTE_PGM_RSRC2:TGID_Y_EN: 0
; COMPUTE_PGM_RSRC2:TGID_Z_EN: 0
; COMPUTE_PGM_RSRC2:TIDIG_COMP_CNT: 0
; COMPUTE_PGM_RSRC3_GFX90A:ACCUM_OFFSET: 0
; COMPUTE_PGM_RSRC3_GFX90A:TG_SPLIT: 0
	.section	.text._ZN7rocprim17ROCPRIM_400000_NS6detail17trampoline_kernelINS0_14default_configENS1_25partition_config_selectorILNS1_17partition_subalgoE8EtNS0_10empty_typeEbEEZZNS1_14partition_implILS5_8ELb0ES3_jPKtPS6_PKS6_NS0_5tupleIJPtS6_EEENSE_IJSB_SB_EEENS0_18inequality_wrapperIN6hipcub16HIPCUB_304000_NS8EqualityEEEPlJS6_EEE10hipError_tPvRmT3_T4_T5_T6_T7_T9_mT8_P12ihipStream_tbDpT10_ENKUlT_T0_E_clISt17integral_constantIbLb1EES16_IbLb0EEEEDaS12_S13_EUlS12_E_NS1_11comp_targetILNS1_3genE4ELNS1_11target_archE910ELNS1_3gpuE8ELNS1_3repE0EEENS1_30default_config_static_selectorELNS0_4arch9wavefront6targetE1EEEvT1_,"axG",@progbits,_ZN7rocprim17ROCPRIM_400000_NS6detail17trampoline_kernelINS0_14default_configENS1_25partition_config_selectorILNS1_17partition_subalgoE8EtNS0_10empty_typeEbEEZZNS1_14partition_implILS5_8ELb0ES3_jPKtPS6_PKS6_NS0_5tupleIJPtS6_EEENSE_IJSB_SB_EEENS0_18inequality_wrapperIN6hipcub16HIPCUB_304000_NS8EqualityEEEPlJS6_EEE10hipError_tPvRmT3_T4_T5_T6_T7_T9_mT8_P12ihipStream_tbDpT10_ENKUlT_T0_E_clISt17integral_constantIbLb1EES16_IbLb0EEEEDaS12_S13_EUlS12_E_NS1_11comp_targetILNS1_3genE4ELNS1_11target_archE910ELNS1_3gpuE8ELNS1_3repE0EEENS1_30default_config_static_selectorELNS0_4arch9wavefront6targetE1EEEvT1_,comdat
	.protected	_ZN7rocprim17ROCPRIM_400000_NS6detail17trampoline_kernelINS0_14default_configENS1_25partition_config_selectorILNS1_17partition_subalgoE8EtNS0_10empty_typeEbEEZZNS1_14partition_implILS5_8ELb0ES3_jPKtPS6_PKS6_NS0_5tupleIJPtS6_EEENSE_IJSB_SB_EEENS0_18inequality_wrapperIN6hipcub16HIPCUB_304000_NS8EqualityEEEPlJS6_EEE10hipError_tPvRmT3_T4_T5_T6_T7_T9_mT8_P12ihipStream_tbDpT10_ENKUlT_T0_E_clISt17integral_constantIbLb1EES16_IbLb0EEEEDaS12_S13_EUlS12_E_NS1_11comp_targetILNS1_3genE4ELNS1_11target_archE910ELNS1_3gpuE8ELNS1_3repE0EEENS1_30default_config_static_selectorELNS0_4arch9wavefront6targetE1EEEvT1_ ; -- Begin function _ZN7rocprim17ROCPRIM_400000_NS6detail17trampoline_kernelINS0_14default_configENS1_25partition_config_selectorILNS1_17partition_subalgoE8EtNS0_10empty_typeEbEEZZNS1_14partition_implILS5_8ELb0ES3_jPKtPS6_PKS6_NS0_5tupleIJPtS6_EEENSE_IJSB_SB_EEENS0_18inequality_wrapperIN6hipcub16HIPCUB_304000_NS8EqualityEEEPlJS6_EEE10hipError_tPvRmT3_T4_T5_T6_T7_T9_mT8_P12ihipStream_tbDpT10_ENKUlT_T0_E_clISt17integral_constantIbLb1EES16_IbLb0EEEEDaS12_S13_EUlS12_E_NS1_11comp_targetILNS1_3genE4ELNS1_11target_archE910ELNS1_3gpuE8ELNS1_3repE0EEENS1_30default_config_static_selectorELNS0_4arch9wavefront6targetE1EEEvT1_
	.globl	_ZN7rocprim17ROCPRIM_400000_NS6detail17trampoline_kernelINS0_14default_configENS1_25partition_config_selectorILNS1_17partition_subalgoE8EtNS0_10empty_typeEbEEZZNS1_14partition_implILS5_8ELb0ES3_jPKtPS6_PKS6_NS0_5tupleIJPtS6_EEENSE_IJSB_SB_EEENS0_18inequality_wrapperIN6hipcub16HIPCUB_304000_NS8EqualityEEEPlJS6_EEE10hipError_tPvRmT3_T4_T5_T6_T7_T9_mT8_P12ihipStream_tbDpT10_ENKUlT_T0_E_clISt17integral_constantIbLb1EES16_IbLb0EEEEDaS12_S13_EUlS12_E_NS1_11comp_targetILNS1_3genE4ELNS1_11target_archE910ELNS1_3gpuE8ELNS1_3repE0EEENS1_30default_config_static_selectorELNS0_4arch9wavefront6targetE1EEEvT1_
	.p2align	8
	.type	_ZN7rocprim17ROCPRIM_400000_NS6detail17trampoline_kernelINS0_14default_configENS1_25partition_config_selectorILNS1_17partition_subalgoE8EtNS0_10empty_typeEbEEZZNS1_14partition_implILS5_8ELb0ES3_jPKtPS6_PKS6_NS0_5tupleIJPtS6_EEENSE_IJSB_SB_EEENS0_18inequality_wrapperIN6hipcub16HIPCUB_304000_NS8EqualityEEEPlJS6_EEE10hipError_tPvRmT3_T4_T5_T6_T7_T9_mT8_P12ihipStream_tbDpT10_ENKUlT_T0_E_clISt17integral_constantIbLb1EES16_IbLb0EEEEDaS12_S13_EUlS12_E_NS1_11comp_targetILNS1_3genE4ELNS1_11target_archE910ELNS1_3gpuE8ELNS1_3repE0EEENS1_30default_config_static_selectorELNS0_4arch9wavefront6targetE1EEEvT1_,@function
_ZN7rocprim17ROCPRIM_400000_NS6detail17trampoline_kernelINS0_14default_configENS1_25partition_config_selectorILNS1_17partition_subalgoE8EtNS0_10empty_typeEbEEZZNS1_14partition_implILS5_8ELb0ES3_jPKtPS6_PKS6_NS0_5tupleIJPtS6_EEENSE_IJSB_SB_EEENS0_18inequality_wrapperIN6hipcub16HIPCUB_304000_NS8EqualityEEEPlJS6_EEE10hipError_tPvRmT3_T4_T5_T6_T7_T9_mT8_P12ihipStream_tbDpT10_ENKUlT_T0_E_clISt17integral_constantIbLb1EES16_IbLb0EEEEDaS12_S13_EUlS12_E_NS1_11comp_targetILNS1_3genE4ELNS1_11target_archE910ELNS1_3gpuE8ELNS1_3repE0EEENS1_30default_config_static_selectorELNS0_4arch9wavefront6targetE1EEEvT1_: ; @_ZN7rocprim17ROCPRIM_400000_NS6detail17trampoline_kernelINS0_14default_configENS1_25partition_config_selectorILNS1_17partition_subalgoE8EtNS0_10empty_typeEbEEZZNS1_14partition_implILS5_8ELb0ES3_jPKtPS6_PKS6_NS0_5tupleIJPtS6_EEENSE_IJSB_SB_EEENS0_18inequality_wrapperIN6hipcub16HIPCUB_304000_NS8EqualityEEEPlJS6_EEE10hipError_tPvRmT3_T4_T5_T6_T7_T9_mT8_P12ihipStream_tbDpT10_ENKUlT_T0_E_clISt17integral_constantIbLb1EES16_IbLb0EEEEDaS12_S13_EUlS12_E_NS1_11comp_targetILNS1_3genE4ELNS1_11target_archE910ELNS1_3gpuE8ELNS1_3repE0EEENS1_30default_config_static_selectorELNS0_4arch9wavefront6targetE1EEEvT1_
; %bb.0:
	s_load_dwordx2 s[8:9], s[4:5], 0x50
	s_load_dwordx4 s[0:3], s[4:5], 0x8
	s_load_dwordx4 s[48:51], s[4:5], 0x40
	s_load_dword s7, s[4:5], 0x68
	s_waitcnt lgkmcnt(0)
	v_mov_b32_e32 v3, s9
	s_lshl_b64 s[10:11], s[2:3], 1
	s_add_u32 s10, s0, s10
	s_mul_i32 s9, s7, 0x1600
	s_addc_u32 s11, s1, s11
	s_add_i32 s1, s9, s2
	s_add_i32 s12, s7, -1
	s_sub_i32 s7, s8, s1
	v_mov_b32_e32 v2, s8
	s_add_u32 s8, s2, s9
	s_addc_u32 s9, s3, 0
	s_cmp_eq_u32 s6, s12
	s_load_dwordx2 s[50:51], s[50:51], 0x0
	v_cmp_ge_u64_e32 vcc, s[8:9], v[2:3]
	s_cselect_b64 s[52:53], -1, 0
	s_mul_i32 s0, s6, 0x1600
	s_mov_b32 s1, 0
	s_and_b64 s[56:57], s[52:53], vcc
	s_xor_b64 s[54:55], s[56:57], -1
	s_lshl_b64 s[0:1], s[0:1], 1
	s_add_u32 s0, s10, s0
	s_mov_b64 s[8:9], -1
	s_addc_u32 s1, s11, s1
	s_and_b64 vcc, exec, s[54:55]
	s_cbranch_vccz .LBB773_2
; %bb.1:
	v_lshlrev_b32_e32 v1, 1, v0
	v_mov_b32_e32 v2, s1
	v_add_co_u32_e32 v4, vcc, s0, v1
	v_addc_co_u32_e32 v5, vcc, 0, v2, vcc
	v_add_co_u32_e32 v2, vcc, 0x1000, v4
	v_addc_co_u32_e32 v3, vcc, 0, v5, vcc
	global_load_ushort v6, v1, s[0:1]
	global_load_ushort v7, v1, s[0:1] offset:512
	global_load_ushort v8, v1, s[0:1] offset:1024
	;; [unrolled: 1-line block ×7, first 2 shown]
	global_load_ushort v14, v[2:3], off
	global_load_ushort v15, v[2:3], off offset:512
	global_load_ushort v16, v[2:3], off offset:1024
	;; [unrolled: 1-line block ×7, first 2 shown]
	v_add_co_u32_e32 v2, vcc, 0x2000, v4
	v_addc_co_u32_e32 v3, vcc, 0, v5, vcc
	global_load_ushort v4, v[2:3], off
	global_load_ushort v5, v[2:3], off offset:512
	global_load_ushort v22, v[2:3], off offset:1024
	;; [unrolled: 1-line block ×5, first 2 shown]
	s_mov_b64 s[8:9], 0
	s_waitcnt vmcnt(21)
	ds_write_b16 v1, v6
	s_waitcnt vmcnt(20)
	ds_write_b16 v1, v7 offset:512
	s_waitcnt vmcnt(19)
	ds_write_b16 v1, v8 offset:1024
	;; [unrolled: 2-line block ×21, first 2 shown]
	s_waitcnt lgkmcnt(0)
	s_barrier
.LBB773_2:
	s_andn2_b64 vcc, exec, s[8:9]
	s_addk_i32 s7, 0x1600
	s_cbranch_vccnz .LBB773_48
; %bb.3:
	v_cmp_gt_u32_e32 vcc, s7, v0
                                        ; implicit-def: $vgpr1
	s_and_saveexec_b64 s[8:9], vcc
	s_cbranch_execz .LBB773_5
; %bb.4:
	v_lshlrev_b32_e32 v1, 1, v0
	global_load_ushort v1, v1, s[0:1]
.LBB773_5:
	s_or_b64 exec, exec, s[8:9]
	v_or_b32_e32 v2, 0x100, v0
	v_cmp_gt_u32_e32 vcc, s7, v2
                                        ; implicit-def: $vgpr2
	s_and_saveexec_b64 s[8:9], vcc
	s_cbranch_execz .LBB773_7
; %bb.6:
	v_lshlrev_b32_e32 v2, 1, v0
	global_load_ushort v2, v2, s[0:1] offset:512
.LBB773_7:
	s_or_b64 exec, exec, s[8:9]
	v_or_b32_e32 v3, 0x200, v0
	v_cmp_gt_u32_e32 vcc, s7, v3
                                        ; implicit-def: $vgpr3
	s_and_saveexec_b64 s[8:9], vcc
	s_cbranch_execz .LBB773_9
; %bb.8:
	v_lshlrev_b32_e32 v3, 1, v0
	global_load_ushort v3, v3, s[0:1] offset:1024
.LBB773_9:
	s_or_b64 exec, exec, s[8:9]
	v_or_b32_e32 v4, 0x300, v0
	v_cmp_gt_u32_e32 vcc, s7, v4
                                        ; implicit-def: $vgpr4
	s_and_saveexec_b64 s[8:9], vcc
	s_cbranch_execz .LBB773_11
; %bb.10:
	v_lshlrev_b32_e32 v4, 1, v0
	global_load_ushort v4, v4, s[0:1] offset:1536
.LBB773_11:
	s_or_b64 exec, exec, s[8:9]
	v_or_b32_e32 v5, 0x400, v0
	v_cmp_gt_u32_e32 vcc, s7, v5
                                        ; implicit-def: $vgpr5
	s_and_saveexec_b64 s[8:9], vcc
	s_cbranch_execz .LBB773_13
; %bb.12:
	v_lshlrev_b32_e32 v5, 1, v0
	global_load_ushort v5, v5, s[0:1] offset:2048
.LBB773_13:
	s_or_b64 exec, exec, s[8:9]
	v_or_b32_e32 v6, 0x500, v0
	v_cmp_gt_u32_e32 vcc, s7, v6
                                        ; implicit-def: $vgpr6
	s_and_saveexec_b64 s[8:9], vcc
	s_cbranch_execz .LBB773_15
; %bb.14:
	v_lshlrev_b32_e32 v6, 1, v0
	global_load_ushort v6, v6, s[0:1] offset:2560
.LBB773_15:
	s_or_b64 exec, exec, s[8:9]
	v_or_b32_e32 v7, 0x600, v0
	v_cmp_gt_u32_e32 vcc, s7, v7
                                        ; implicit-def: $vgpr7
	s_and_saveexec_b64 s[8:9], vcc
	s_cbranch_execz .LBB773_17
; %bb.16:
	v_lshlrev_b32_e32 v7, 1, v0
	global_load_ushort v7, v7, s[0:1] offset:3072
.LBB773_17:
	s_or_b64 exec, exec, s[8:9]
	v_or_b32_e32 v8, 0x700, v0
	v_cmp_gt_u32_e32 vcc, s7, v8
                                        ; implicit-def: $vgpr8
	s_and_saveexec_b64 s[8:9], vcc
	s_cbranch_execz .LBB773_19
; %bb.18:
	v_lshlrev_b32_e32 v8, 1, v0
	global_load_ushort v8, v8, s[0:1] offset:3584
.LBB773_19:
	s_or_b64 exec, exec, s[8:9]
	v_or_b32_e32 v10, 0x800, v0
	v_cmp_gt_u32_e32 vcc, s7, v10
                                        ; implicit-def: $vgpr9
	s_and_saveexec_b64 s[8:9], vcc
	s_cbranch_execz .LBB773_21
; %bb.20:
	v_lshlrev_b32_e32 v9, 1, v10
	global_load_ushort v9, v9, s[0:1]
.LBB773_21:
	s_or_b64 exec, exec, s[8:9]
	v_or_b32_e32 v11, 0x900, v0
	v_cmp_gt_u32_e32 vcc, s7, v11
                                        ; implicit-def: $vgpr10
	s_and_saveexec_b64 s[8:9], vcc
	s_cbranch_execz .LBB773_23
; %bb.22:
	v_lshlrev_b32_e32 v10, 1, v11
	global_load_ushort v10, v10, s[0:1]
.LBB773_23:
	s_or_b64 exec, exec, s[8:9]
	v_or_b32_e32 v12, 0xa00, v0
	v_cmp_gt_u32_e32 vcc, s7, v12
                                        ; implicit-def: $vgpr11
	s_and_saveexec_b64 s[8:9], vcc
	s_cbranch_execz .LBB773_25
; %bb.24:
	v_lshlrev_b32_e32 v11, 1, v12
	global_load_ushort v11, v11, s[0:1]
.LBB773_25:
	s_or_b64 exec, exec, s[8:9]
	v_or_b32_e32 v13, 0xb00, v0
	v_cmp_gt_u32_e32 vcc, s7, v13
                                        ; implicit-def: $vgpr12
	s_and_saveexec_b64 s[8:9], vcc
	s_cbranch_execz .LBB773_27
; %bb.26:
	v_lshlrev_b32_e32 v12, 1, v13
	global_load_ushort v12, v12, s[0:1]
.LBB773_27:
	s_or_b64 exec, exec, s[8:9]
	v_or_b32_e32 v14, 0xc00, v0
	v_cmp_gt_u32_e32 vcc, s7, v14
                                        ; implicit-def: $vgpr13
	s_and_saveexec_b64 s[8:9], vcc
	s_cbranch_execz .LBB773_29
; %bb.28:
	v_lshlrev_b32_e32 v13, 1, v14
	global_load_ushort v13, v13, s[0:1]
.LBB773_29:
	s_or_b64 exec, exec, s[8:9]
	v_or_b32_e32 v15, 0xd00, v0
	v_cmp_gt_u32_e32 vcc, s7, v15
                                        ; implicit-def: $vgpr14
	s_and_saveexec_b64 s[8:9], vcc
	s_cbranch_execz .LBB773_31
; %bb.30:
	v_lshlrev_b32_e32 v14, 1, v15
	global_load_ushort v14, v14, s[0:1]
.LBB773_31:
	s_or_b64 exec, exec, s[8:9]
	v_or_b32_e32 v16, 0xe00, v0
	v_cmp_gt_u32_e32 vcc, s7, v16
                                        ; implicit-def: $vgpr15
	s_and_saveexec_b64 s[8:9], vcc
	s_cbranch_execz .LBB773_33
; %bb.32:
	v_lshlrev_b32_e32 v15, 1, v16
	global_load_ushort v15, v15, s[0:1]
.LBB773_33:
	s_or_b64 exec, exec, s[8:9]
	v_or_b32_e32 v17, 0xf00, v0
	v_cmp_gt_u32_e32 vcc, s7, v17
                                        ; implicit-def: $vgpr16
	s_and_saveexec_b64 s[8:9], vcc
	s_cbranch_execz .LBB773_35
; %bb.34:
	v_lshlrev_b32_e32 v16, 1, v17
	global_load_ushort v16, v16, s[0:1]
.LBB773_35:
	s_or_b64 exec, exec, s[8:9]
	v_or_b32_e32 v18, 0x1000, v0
	v_cmp_gt_u32_e32 vcc, s7, v18
                                        ; implicit-def: $vgpr17
	s_and_saveexec_b64 s[8:9], vcc
	s_cbranch_execz .LBB773_37
; %bb.36:
	v_lshlrev_b32_e32 v17, 1, v18
	global_load_ushort v17, v17, s[0:1]
.LBB773_37:
	s_or_b64 exec, exec, s[8:9]
	v_or_b32_e32 v19, 0x1100, v0
	v_cmp_gt_u32_e32 vcc, s7, v19
                                        ; implicit-def: $vgpr18
	s_and_saveexec_b64 s[8:9], vcc
	s_cbranch_execz .LBB773_39
; %bb.38:
	v_lshlrev_b32_e32 v18, 1, v19
	global_load_ushort v18, v18, s[0:1]
.LBB773_39:
	s_or_b64 exec, exec, s[8:9]
	v_or_b32_e32 v20, 0x1200, v0
	v_cmp_gt_u32_e32 vcc, s7, v20
                                        ; implicit-def: $vgpr19
	s_and_saveexec_b64 s[8:9], vcc
	s_cbranch_execz .LBB773_41
; %bb.40:
	v_lshlrev_b32_e32 v19, 1, v20
	global_load_ushort v19, v19, s[0:1]
.LBB773_41:
	s_or_b64 exec, exec, s[8:9]
	v_or_b32_e32 v21, 0x1300, v0
	v_cmp_gt_u32_e32 vcc, s7, v21
                                        ; implicit-def: $vgpr20
	s_and_saveexec_b64 s[8:9], vcc
	s_cbranch_execz .LBB773_43
; %bb.42:
	v_lshlrev_b32_e32 v20, 1, v21
	global_load_ushort v20, v20, s[0:1]
.LBB773_43:
	s_or_b64 exec, exec, s[8:9]
	v_or_b32_e32 v22, 0x1400, v0
	v_cmp_gt_u32_e32 vcc, s7, v22
                                        ; implicit-def: $vgpr21
	s_and_saveexec_b64 s[8:9], vcc
	s_cbranch_execz .LBB773_45
; %bb.44:
	v_lshlrev_b32_e32 v21, 1, v22
	global_load_ushort v21, v21, s[0:1]
.LBB773_45:
	s_or_b64 exec, exec, s[8:9]
	v_or_b32_e32 v23, 0x1500, v0
	v_cmp_gt_u32_e32 vcc, s7, v23
                                        ; implicit-def: $vgpr22
	s_and_saveexec_b64 s[8:9], vcc
	s_cbranch_execz .LBB773_47
; %bb.46:
	v_lshlrev_b32_e32 v22, 1, v23
	global_load_ushort v22, v22, s[0:1]
.LBB773_47:
	s_or_b64 exec, exec, s[8:9]
	v_lshlrev_b32_e32 v23, 1, v0
	s_waitcnt vmcnt(0)
	ds_write_b16 v23, v1
	ds_write_b16 v23, v2 offset:512
	ds_write_b16 v23, v3 offset:1024
	;; [unrolled: 1-line block ×21, first 2 shown]
	s_waitcnt lgkmcnt(0)
	s_barrier
.LBB773_48:
	v_mul_u32_u24_e32 v19, 22, v0
	v_lshlrev_b32_e32 v34, 1, v19
	s_waitcnt lgkmcnt(0)
	ds_read_b32 v60, v34 offset:40
	ds_read2_b32 v[2:3], v34 offset0:8 offset1:9
	ds_read2_b32 v[4:5], v34 offset0:6 offset1:7
	ds_read2_b32 v[10:11], v34 offset1:1
	ds_read2_b32 v[8:9], v34 offset0:2 offset1:3
	ds_read2_b32 v[6:7], v34 offset0:4 offset1:5
	s_cmp_lg_u32 s6, 0
	s_cselect_b64 s[58:59], -1, 0
	s_cmp_lg_u64 s[2:3], 0
	s_cselect_b64 s[2:3], -1, 0
	s_or_b64 s[2:3], s[58:59], s[2:3]
	v_mad_u32_u24 v12, v0, 22, 21
	v_mad_u32_u24 v13, v0, 22, 20
	s_waitcnt lgkmcnt(5)
	v_lshrrev_b32_e32 v1, 16, v60
	v_mad_u32_u24 v14, v0, 22, 19
	s_waitcnt lgkmcnt(4)
	v_lshrrev_b32_e32 v62, 16, v2
	v_lshrrev_b32_e32 v61, 16, v3
	v_mad_u32_u24 v15, v0, 22, 18
	v_mad_u32_u24 v16, v0, 22, 17
	;; [unrolled: 1-line block ×4, first 2 shown]
	s_waitcnt lgkmcnt(3)
	v_lshrrev_b32_e32 v64, 16, v4
	v_lshrrev_b32_e32 v63, 16, v5
	v_mad_u32_u24 v20, v0, 22, 14
	s_waitcnt lgkmcnt(2)
	v_lshrrev_b32_e32 v74, 16, v10
	v_lshrrev_b32_e32 v71, 16, v11
	v_or_b32_e32 v33, 1, v19
	v_mad_u32_u24 v32, v0, 22, 2
	v_mad_u32_u24 v30, v0, 22, 3
	;; [unrolled: 1-line block ×3, first 2 shown]
	s_waitcnt lgkmcnt(1)
	v_lshrrev_b32_e32 v69, 16, v8
	v_lshrrev_b32_e32 v67, 16, v9
	v_mad_u32_u24 v31, v0, 22, 5
	v_mad_u32_u24 v29, v0, 22, 6
	;; [unrolled: 1-line block ×4, first 2 shown]
	s_waitcnt lgkmcnt(0)
	v_lshrrev_b32_e32 v66, 16, v6
	v_lshrrev_b32_e32 v65, 16, v7
	v_mad_u32_u24 v27, v0, 22, 9
	v_mad_u32_u24 v25, v0, 22, 10
	;; [unrolled: 1-line block ×5, first 2 shown]
	s_mov_b64 s[60:61], 0
	s_and_b64 vcc, exec, s[2:3]
	s_barrier
	s_cbranch_vccz .LBB773_53
; %bb.49:
	v_mov_b32_e32 v35, 0
	global_load_ushort v35, v35, s[0:1] offset:-2
	v_lshlrev_b32_e32 v36, 1, v0
	s_and_b64 vcc, exec, s[54:55]
	ds_write_b16 v36, v1
	s_cbranch_vccz .LBB773_55
; %bb.50:
	v_cmp_ne_u32_e32 vcc, 0, v0
	s_waitcnt vmcnt(0)
	v_mov_b32_e32 v37, v35
	s_waitcnt lgkmcnt(0)
	s_barrier
	s_and_saveexec_b64 s[0:1], vcc
	s_cbranch_execz .LBB773_52
; %bb.51:
	v_add_u32_e32 v37, -2, v36
	ds_read_u16 v37, v37
.LBB773_52:
	s_or_b64 exec, exec, s[0:1]
	v_cmp_ne_u16_e32 vcc, v60, v1
	v_cndmask_b32_e64 v68, 0, 1, vcc
	v_cmp_ne_u16_e32 vcc, v61, v60
	v_cndmask_b32_e64 v70, 0, 1, vcc
	;; [unrolled: 2-line block ×21, first 2 shown]
	s_waitcnt lgkmcnt(0)
	v_cmp_ne_u16_e64 s[0:1], v37, v10
	s_branch .LBB773_59
.LBB773_53:
                                        ; implicit-def: $sgpr0_sgpr1
                                        ; implicit-def: $vgpr91
                                        ; implicit-def: $vgpr90
                                        ; implicit-def: $vgpr89
                                        ; implicit-def: $vgpr88
                                        ; implicit-def: $vgpr87
                                        ; implicit-def: $vgpr86
                                        ; implicit-def: $vgpr85
                                        ; implicit-def: $vgpr84
                                        ; implicit-def: $vgpr83
                                        ; implicit-def: $vgpr82
                                        ; implicit-def: $vgpr81
                                        ; implicit-def: $vgpr80
                                        ; implicit-def: $vgpr79
                                        ; implicit-def: $vgpr78
                                        ; implicit-def: $vgpr77
                                        ; implicit-def: $vgpr76
                                        ; implicit-def: $vgpr75
                                        ; implicit-def: $vgpr73
                                        ; implicit-def: $vgpr72
                                        ; implicit-def: $vgpr70
                                        ; implicit-def: $vgpr68
	s_branch .LBB773_60
.LBB773_54:
                                        ; implicit-def: $sgpr8
	s_branch .LBB773_68
.LBB773_55:
                                        ; implicit-def: $sgpr0_sgpr1
                                        ; implicit-def: $vgpr91
                                        ; implicit-def: $vgpr90
                                        ; implicit-def: $vgpr89
                                        ; implicit-def: $vgpr88
                                        ; implicit-def: $vgpr87
                                        ; implicit-def: $vgpr86
                                        ; implicit-def: $vgpr85
                                        ; implicit-def: $vgpr84
                                        ; implicit-def: $vgpr83
                                        ; implicit-def: $vgpr82
                                        ; implicit-def: $vgpr81
                                        ; implicit-def: $vgpr80
                                        ; implicit-def: $vgpr79
                                        ; implicit-def: $vgpr78
                                        ; implicit-def: $vgpr77
                                        ; implicit-def: $vgpr76
                                        ; implicit-def: $vgpr75
                                        ; implicit-def: $vgpr73
                                        ; implicit-def: $vgpr72
                                        ; implicit-def: $vgpr70
                                        ; implicit-def: $vgpr68
	s_cbranch_execz .LBB773_59
; %bb.56:
	v_cmp_ne_u32_e32 vcc, 0, v0
	s_waitcnt lgkmcnt(0)
	s_barrier
	s_and_saveexec_b64 s[0:1], vcc
	s_cbranch_execz .LBB773_58
; %bb.57:
	s_waitcnt vmcnt(0)
	v_add_u32_e32 v35, -2, v36
	ds_read_u16 v35, v35
.LBB773_58:
	s_or_b64 exec, exec, s[0:1]
	v_cmp_gt_u32_e32 vcc, s7, v12
	v_cmp_ne_u16_e64 s[0:1], v60, v1
	s_and_b64 s[0:1], vcc, s[0:1]
	v_cndmask_b32_e64 v68, 0, 1, s[0:1]
	v_cmp_gt_u32_e32 vcc, s7, v13
	v_cmp_ne_u16_e64 s[0:1], v61, v60
	s_and_b64 s[0:1], vcc, s[0:1]
	v_cndmask_b32_e64 v70, 0, 1, s[0:1]
	;; [unrolled: 4-line block ×21, first 2 shown]
	v_cmp_gt_u32_e32 vcc, s7, v19
	s_waitcnt vmcnt(0) lgkmcnt(0)
	v_cmp_ne_u16_e64 s[0:1], v35, v10
	s_and_b64 s[0:1], vcc, s[0:1]
.LBB773_59:
	s_mov_b64 s[60:61], -1
	s_cbranch_execnz .LBB773_54
.LBB773_60:
	s_movk_i32 s0, 0xffd6
	v_mad_i32_i24 v34, v0, s0, v34
	s_and_b64 vcc, exec, s[54:55]
	v_cmp_ne_u16_e64 s[0:1], v60, v1
	v_cmp_ne_u16_e64 s[2:3], v61, v60
	;; [unrolled: 1-line block ×21, first 2 shown]
	ds_write_b16 v34, v1
	s_cbranch_vccz .LBB773_64
; %bb.61:
	v_cndmask_b32_e64 v68, 0, 1, s[0:1]
	v_cndmask_b32_e64 v70, 0, 1, s[2:3]
	;; [unrolled: 1-line block ×21, first 2 shown]
	v_cmp_ne_u32_e32 vcc, 0, v0
	s_waitcnt lgkmcnt(0)
	s_barrier
	s_waitcnt lgkmcnt(0)
                                        ; implicit-def: $sgpr0_sgpr1
	s_and_saveexec_b64 s[2:3], vcc
	s_xor_b64 s[2:3], exec, s[2:3]
	s_cbranch_execz .LBB773_63
; %bb.62:
	s_waitcnt vmcnt(0)
	v_add_u32_e32 v35, -2, v34
	ds_read_u16 v35, v35
	s_or_b64 s[60:61], s[60:61], exec
	s_waitcnt lgkmcnt(0)
	v_cmp_ne_u16_e32 vcc, v35, v10
	s_and_b64 s[0:1], vcc, exec
.LBB773_63:
	s_or_b64 exec, exec, s[2:3]
	s_mov_b32 s8, 1
	s_branch .LBB773_68
.LBB773_64:
                                        ; implicit-def: $sgpr0_sgpr1
                                        ; implicit-def: $vgpr91
                                        ; implicit-def: $vgpr90
                                        ; implicit-def: $vgpr89
                                        ; implicit-def: $vgpr88
                                        ; implicit-def: $vgpr87
                                        ; implicit-def: $vgpr86
                                        ; implicit-def: $vgpr85
                                        ; implicit-def: $vgpr84
                                        ; implicit-def: $vgpr83
                                        ; implicit-def: $vgpr82
                                        ; implicit-def: $vgpr81
                                        ; implicit-def: $vgpr80
                                        ; implicit-def: $vgpr79
                                        ; implicit-def: $vgpr78
                                        ; implicit-def: $vgpr77
                                        ; implicit-def: $vgpr76
                                        ; implicit-def: $vgpr75
                                        ; implicit-def: $vgpr73
                                        ; implicit-def: $vgpr72
                                        ; implicit-def: $vgpr70
                                        ; implicit-def: $vgpr68
                                        ; implicit-def: $sgpr8
	s_cbranch_execz .LBB773_68
; %bb.65:
	v_cmp_gt_u32_e32 vcc, s7, v12
	v_cmp_ne_u16_e64 s[0:1], v60, v1
	s_and_b64 s[0:1], vcc, s[0:1]
	v_cndmask_b32_e64 v68, 0, 1, s[0:1]
	v_cmp_gt_u32_e32 vcc, s7, v13
	v_cmp_ne_u16_e64 s[0:1], v61, v60
	s_and_b64 s[0:1], vcc, s[0:1]
	v_cndmask_b32_e64 v70, 0, 1, s[0:1]
	;; [unrolled: 4-line block ×21, first 2 shown]
	v_cmp_ne_u32_e32 vcc, 0, v0
	s_waitcnt lgkmcnt(0)
	s_barrier
	s_waitcnt lgkmcnt(0)
                                        ; implicit-def: $sgpr0_sgpr1
	s_and_saveexec_b64 s[2:3], vcc
	s_cbranch_execz .LBB773_67
; %bb.66:
	v_add_u32_e32 v34, -2, v34
	ds_read_u16 v34, v34
	v_cmp_gt_u32_e32 vcc, s7, v19
	s_or_b64 s[60:61], s[60:61], exec
	s_waitcnt lgkmcnt(0)
	v_cmp_ne_u16_e64 s[0:1], v34, v10
	s_and_b64 s[0:1], vcc, s[0:1]
	s_and_b64 s[0:1], s[0:1], exec
.LBB773_67:
	s_or_b64 exec, exec, s[2:3]
	s_mov_b32 s8, 1
.LBB773_68:
	v_mov_b32_e32 v92, s8
	s_and_saveexec_b64 s[2:3], s[60:61]
; %bb.69:
	v_cndmask_b32_e64 v92, 0, 1, s[0:1]
; %bb.70:
	s_or_b64 exec, exec, s[2:3]
	s_load_dwordx2 s[20:21], s[4:5], 0x60
	s_andn2_b64 vcc, exec, s[56:57]
	s_cbranch_vccnz .LBB773_72
; %bb.71:
	v_cmp_gt_u32_e32 vcc, s7, v19
	v_cndmask_b32_e32 v92, 0, v92, vcc
	v_cmp_gt_u32_e32 vcc, s7, v33
	v_cndmask_b32_e32 v91, 0, v91, vcc
	;; [unrolled: 2-line block ×22, first 2 shown]
.LBB773_72:
	v_and_b32_e32 v47, 0xff, v73
	v_and_b32_e32 v49, 0xff, v72
	v_add_u32_sdwa v12, v70, v68 dst_sel:DWORD dst_unused:UNUSED_PAD src0_sel:BYTE_0 src1_sel:BYTE_0
	v_and_b32_e32 v43, 0xff, v76
	v_and_b32_e32 v45, 0xff, v75
	v_add3_u32 v12, v12, v49, v47
	v_and_b32_e32 v39, 0xff, v78
	v_and_b32_e32 v41, 0xff, v77
	v_add3_u32 v12, v12, v45, v43
	s_waitcnt vmcnt(0)
	v_and_b32_e32 v35, 0xff, v80
	v_and_b32_e32 v37, 0xff, v79
	v_add3_u32 v12, v12, v41, v39
	v_and_b32_e32 v32, 0xff, v82
	v_and_b32_e32 v33, 0xff, v81
	v_add3_u32 v12, v12, v37, v35
	v_and_b32_e32 v30, 0xff, v84
	v_and_b32_e32 v31, 0xff, v83
	v_add3_u32 v12, v12, v33, v32
	v_and_b32_e32 v28, 0xff, v86
	v_and_b32_e32 v29, 0xff, v85
	v_add3_u32 v12, v12, v31, v30
	v_and_b32_e32 v26, 0xff, v88
	v_and_b32_e32 v27, 0xff, v87
	v_add3_u32 v12, v12, v29, v28
	v_and_b32_e32 v24, 0xff, v90
	v_and_b32_e32 v25, 0xff, v89
	v_add3_u32 v12, v12, v27, v26
	v_and_b32_e32 v22, 0xff, v92
	v_and_b32_e32 v23, 0xff, v91
	v_add3_u32 v12, v12, v25, v24
	v_add3_u32 v38, v12, v23, v22
	v_mbcnt_lo_u32_b32 v12, -1, 0
	v_mbcnt_hi_u32_b32 v34, -1, v12
	v_and_b32_e32 v12, 15, v34
	v_cmp_eq_u32_e64 s[14:15], 0, v12
	v_cmp_lt_u32_e64 s[12:13], 1, v12
	v_cmp_lt_u32_e64 s[10:11], 3, v12
	;; [unrolled: 1-line block ×3, first 2 shown]
	v_and_b32_e32 v12, 16, v34
	v_cmp_eq_u32_e64 s[18:19], 0, v12
	v_or_b32_e32 v12, 63, v0
	v_cmp_lt_u32_e64 s[0:1], 31, v34
	v_lshrrev_b32_e32 v36, 6, v0
	v_cmp_eq_u32_e64 s[2:3], v12, v0
	s_and_b64 vcc, exec, s[58:59]
	s_waitcnt lgkmcnt(0)
	s_barrier
	s_cbranch_vccz .LBB773_103
; %bb.73:
	v_mov_b32_dpp v12, v38 row_shr:1 row_mask:0xf bank_mask:0xf
	v_cndmask_b32_e64 v12, v12, 0, s[14:15]
	v_add_u32_e32 v12, v12, v38
	s_nop 1
	v_mov_b32_dpp v13, v12 row_shr:2 row_mask:0xf bank_mask:0xf
	v_cndmask_b32_e64 v13, 0, v13, s[12:13]
	v_add_u32_e32 v12, v12, v13
	s_nop 1
	;; [unrolled: 4-line block ×4, first 2 shown]
	v_mov_b32_dpp v13, v12 row_bcast:15 row_mask:0xf bank_mask:0xf
	v_cndmask_b32_e64 v13, v13, 0, s[18:19]
	v_add_u32_e32 v12, v12, v13
	s_nop 1
	v_mov_b32_dpp v13, v12 row_bcast:31 row_mask:0xf bank_mask:0xf
	v_cndmask_b32_e64 v13, 0, v13, s[0:1]
	v_add_u32_e32 v12, v12, v13
	s_and_saveexec_b64 s[16:17], s[2:3]
	s_cbranch_execz .LBB773_75
; %bb.74:
	v_lshlrev_b32_e32 v13, 2, v36
	ds_write_b32 v13, v12
.LBB773_75:
	s_or_b64 exec, exec, s[16:17]
	v_cmp_gt_u32_e32 vcc, 4, v0
	s_waitcnt lgkmcnt(0)
	s_barrier
	s_and_saveexec_b64 s[16:17], vcc
	s_cbranch_execz .LBB773_77
; %bb.76:
	v_lshlrev_b32_e32 v13, 2, v0
	ds_read_b32 v14, v13
	v_and_b32_e32 v15, 3, v34
	v_cmp_ne_u32_e32 vcc, 0, v15
	s_waitcnt lgkmcnt(0)
	v_mov_b32_dpp v16, v14 row_shr:1 row_mask:0xf bank_mask:0xf
	v_cndmask_b32_e32 v16, 0, v16, vcc
	v_add_u32_e32 v14, v16, v14
	v_cmp_lt_u32_e32 vcc, 1, v15
	s_nop 0
	v_mov_b32_dpp v16, v14 row_shr:2 row_mask:0xf bank_mask:0xf
	v_cndmask_b32_e32 v15, 0, v16, vcc
	v_add_u32_e32 v14, v14, v15
	ds_write_b32 v13, v14
.LBB773_77:
	s_or_b64 exec, exec, s[16:17]
	v_cmp_gt_u32_e32 vcc, 64, v0
	v_cmp_lt_u32_e64 s[16:17], 63, v0
	s_waitcnt lgkmcnt(0)
	s_barrier
	s_waitcnt lgkmcnt(0)
                                        ; implicit-def: $vgpr40
	s_and_saveexec_b64 s[22:23], s[16:17]
	s_cbranch_execz .LBB773_79
; %bb.78:
	v_lshl_add_u32 v13, v36, 2, -4
	ds_read_b32 v40, v13
	s_waitcnt lgkmcnt(0)
	v_add_u32_e32 v12, v40, v12
.LBB773_79:
	s_or_b64 exec, exec, s[22:23]
	v_add_u32_e32 v13, -1, v34
	v_and_b32_e32 v14, 64, v34
	v_cmp_lt_i32_e64 s[16:17], v13, v14
	v_cndmask_b32_e64 v13, v13, v34, s[16:17]
	v_lshlrev_b32_e32 v13, 2, v13
	ds_bpermute_b32 v42, v13, v12
	v_cmp_eq_u32_e64 s[16:17], 0, v34
	s_and_saveexec_b64 s[22:23], vcc
	s_cbranch_execz .LBB773_102
; %bb.80:
	v_mov_b32_e32 v21, 0
	ds_read_b32 v12, v21 offset:12
	s_and_saveexec_b64 s[24:25], s[16:17]
	s_cbranch_execz .LBB773_82
; %bb.81:
	s_add_i32 s26, s6, 64
	s_mov_b32 s27, 0
	s_lshl_b64 s[26:27], s[26:27], 3
	s_add_u32 s26, s20, s26
	v_mov_b32_e32 v13, 1
	s_addc_u32 s27, s21, s27
	s_waitcnt lgkmcnt(0)
	global_store_dwordx2 v21, v[12:13], s[26:27]
.LBB773_82:
	s_or_b64 exec, exec, s[24:25]
	v_xad_u32 v14, v34, -1, s6
	v_add_u32_e32 v20, 64, v14
	v_lshlrev_b64 v[16:17], 3, v[20:21]
	v_mov_b32_e32 v13, s21
	v_add_co_u32_e32 v16, vcc, s20, v16
	v_addc_co_u32_e32 v17, vcc, v13, v17, vcc
	global_load_dwordx2 v[18:19], v[16:17], off glc
	s_waitcnt vmcnt(0)
	v_cmp_eq_u16_sdwa s[26:27], v19, v21 src0_sel:BYTE_0 src1_sel:DWORD
	s_and_saveexec_b64 s[24:25], s[26:27]
	s_cbranch_execz .LBB773_88
; %bb.83:
	s_mov_b32 s7, 1
	s_mov_b64 s[26:27], 0
	v_mov_b32_e32 v13, 0
.LBB773_84:                             ; =>This Loop Header: Depth=1
                                        ;     Child Loop BB773_85 Depth 2
	s_max_u32 s28, s7, 1
.LBB773_85:                             ;   Parent Loop BB773_84 Depth=1
                                        ; =>  This Inner Loop Header: Depth=2
	s_add_i32 s28, s28, -1
	s_cmp_eq_u32 s28, 0
	s_sleep 1
	s_cbranch_scc0 .LBB773_85
; %bb.86:                               ;   in Loop: Header=BB773_84 Depth=1
	global_load_dwordx2 v[18:19], v[16:17], off glc
	s_cmp_lt_u32 s7, 32
	s_cselect_b64 s[28:29], -1, 0
	s_cmp_lg_u64 s[28:29], 0
	s_addc_u32 s7, s7, 0
	s_waitcnt vmcnt(0)
	v_cmp_ne_u16_sdwa s[28:29], v19, v13 src0_sel:BYTE_0 src1_sel:DWORD
	s_or_b64 s[26:27], s[28:29], s[26:27]
	s_andn2_b64 exec, exec, s[26:27]
	s_cbranch_execnz .LBB773_84
; %bb.87:
	s_or_b64 exec, exec, s[26:27]
.LBB773_88:
	s_or_b64 exec, exec, s[24:25]
	v_and_b32_e32 v46, 63, v34
	v_mov_b32_e32 v44, 2
	v_cmp_ne_u32_e32 vcc, 63, v46
	v_cmp_eq_u16_sdwa s[24:25], v19, v44 src0_sel:BYTE_0 src1_sel:DWORD
	v_lshlrev_b64 v[16:17], v34, -1
	v_addc_co_u32_e32 v20, vcc, 0, v34, vcc
	v_and_b32_e32 v13, s25, v17
	v_lshlrev_b32_e32 v48, 2, v20
	v_or_b32_e32 v13, 0x80000000, v13
	ds_bpermute_b32 v20, v48, v18
	v_and_b32_e32 v15, s24, v16
	v_ffbl_b32_e32 v13, v13
	v_add_u32_e32 v13, 32, v13
	v_ffbl_b32_e32 v15, v15
	v_min_u32_e32 v13, v15, v13
	v_cmp_lt_u32_e32 vcc, v46, v13
	s_waitcnt lgkmcnt(0)
	v_cndmask_b32_e32 v15, 0, v20, vcc
	v_cmp_gt_u32_e32 vcc, 62, v46
	v_add_u32_e32 v15, v15, v18
	v_cndmask_b32_e64 v18, 0, 1, vcc
	v_lshlrev_b32_e32 v18, 1, v18
	v_add_lshl_u32 v50, v18, v34, 2
	ds_bpermute_b32 v18, v50, v15
	v_add_u32_e32 v51, 2, v46
	v_cmp_le_u32_e32 vcc, v51, v13
	v_add_u32_e32 v53, 4, v46
	v_add_u32_e32 v55, 8, v46
	s_waitcnt lgkmcnt(0)
	v_cndmask_b32_e32 v18, 0, v18, vcc
	v_cmp_gt_u32_e32 vcc, 60, v46
	v_add_u32_e32 v15, v15, v18
	v_cndmask_b32_e64 v18, 0, 1, vcc
	v_lshlrev_b32_e32 v18, 2, v18
	v_add_lshl_u32 v52, v18, v34, 2
	ds_bpermute_b32 v18, v52, v15
	v_cmp_le_u32_e32 vcc, v53, v13
	v_add_u32_e32 v57, 16, v46
	v_add_u32_e32 v59, 32, v46
	s_waitcnt lgkmcnt(0)
	v_cndmask_b32_e32 v18, 0, v18, vcc
	v_cmp_gt_u32_e32 vcc, 56, v46
	v_add_u32_e32 v15, v15, v18
	v_cndmask_b32_e64 v18, 0, 1, vcc
	v_lshlrev_b32_e32 v18, 3, v18
	v_add_lshl_u32 v54, v18, v34, 2
	ds_bpermute_b32 v18, v54, v15
	v_cmp_le_u32_e32 vcc, v55, v13
	s_waitcnt lgkmcnt(0)
	v_cndmask_b32_e32 v18, 0, v18, vcc
	v_cmp_gt_u32_e32 vcc, 48, v46
	v_add_u32_e32 v15, v15, v18
	v_cndmask_b32_e64 v18, 0, 1, vcc
	v_lshlrev_b32_e32 v18, 4, v18
	v_add_lshl_u32 v56, v18, v34, 2
	ds_bpermute_b32 v18, v56, v15
	v_cmp_le_u32_e32 vcc, v57, v13
	;; [unrolled: 9-line block ×3, first 2 shown]
	s_waitcnt lgkmcnt(0)
	v_cndmask_b32_e32 v13, 0, v18, vcc
	v_add_u32_e32 v18, v15, v13
	v_mov_b32_e32 v15, 0
	s_branch .LBB773_90
.LBB773_89:                             ;   in Loop: Header=BB773_90 Depth=1
	s_or_b64 exec, exec, s[24:25]
	v_cmp_eq_u16_sdwa s[24:25], v19, v44 src0_sel:BYTE_0 src1_sel:DWORD
	v_and_b32_e32 v20, s25, v17
	v_or_b32_e32 v20, 0x80000000, v20
	ds_bpermute_b32 v93, v48, v18
	v_and_b32_e32 v21, s24, v16
	v_ffbl_b32_e32 v20, v20
	v_add_u32_e32 v20, 32, v20
	v_ffbl_b32_e32 v21, v21
	v_min_u32_e32 v20, v21, v20
	v_cmp_lt_u32_e32 vcc, v46, v20
	s_waitcnt lgkmcnt(0)
	v_cndmask_b32_e32 v21, 0, v93, vcc
	v_add_u32_e32 v18, v21, v18
	ds_bpermute_b32 v21, v50, v18
	v_cmp_le_u32_e32 vcc, v51, v20
	v_subrev_u32_e32 v14, 64, v14
	s_waitcnt lgkmcnt(0)
	v_cndmask_b32_e32 v21, 0, v21, vcc
	v_add_u32_e32 v18, v18, v21
	ds_bpermute_b32 v21, v52, v18
	v_cmp_le_u32_e32 vcc, v53, v20
	s_waitcnt lgkmcnt(0)
	v_cndmask_b32_e32 v21, 0, v21, vcc
	v_add_u32_e32 v18, v18, v21
	ds_bpermute_b32 v21, v54, v18
	v_cmp_le_u32_e32 vcc, v55, v20
	;; [unrolled: 5-line block ×4, first 2 shown]
	s_waitcnt lgkmcnt(0)
	v_cndmask_b32_e32 v20, 0, v21, vcc
	v_add3_u32 v18, v20, v13, v18
.LBB773_90:                             ; =>This Loop Header: Depth=1
                                        ;     Child Loop BB773_93 Depth 2
                                        ;       Child Loop BB773_94 Depth 3
	v_cmp_ne_u16_sdwa s[24:25], v19, v44 src0_sel:BYTE_0 src1_sel:DWORD
	v_cndmask_b32_e64 v13, 0, 1, s[24:25]
	;;#ASMSTART
	;;#ASMEND
	v_cmp_ne_u32_e32 vcc, 0, v13
	s_cmp_lg_u64 vcc, exec
	v_mov_b32_e32 v13, v18
	s_cbranch_scc1 .LBB773_97
; %bb.91:                               ;   in Loop: Header=BB773_90 Depth=1
	v_lshlrev_b64 v[18:19], 3, v[14:15]
	v_mov_b32_e32 v21, s21
	v_add_co_u32_e32 v20, vcc, s20, v18
	v_addc_co_u32_e32 v21, vcc, v21, v19, vcc
	global_load_dwordx2 v[18:19], v[20:21], off glc
	s_waitcnt vmcnt(0)
	v_cmp_eq_u16_sdwa s[26:27], v19, v15 src0_sel:BYTE_0 src1_sel:DWORD
	s_and_saveexec_b64 s[24:25], s[26:27]
	s_cbranch_execz .LBB773_89
; %bb.92:                               ;   in Loop: Header=BB773_90 Depth=1
	s_mov_b32 s7, 1
	s_mov_b64 s[26:27], 0
.LBB773_93:                             ;   Parent Loop BB773_90 Depth=1
                                        ; =>  This Loop Header: Depth=2
                                        ;       Child Loop BB773_94 Depth 3
	s_max_u32 s28, s7, 1
.LBB773_94:                             ;   Parent Loop BB773_90 Depth=1
                                        ;     Parent Loop BB773_93 Depth=2
                                        ; =>    This Inner Loop Header: Depth=3
	s_add_i32 s28, s28, -1
	s_cmp_eq_u32 s28, 0
	s_sleep 1
	s_cbranch_scc0 .LBB773_94
; %bb.95:                               ;   in Loop: Header=BB773_93 Depth=2
	global_load_dwordx2 v[18:19], v[20:21], off glc
	s_cmp_lt_u32 s7, 32
	s_cselect_b64 s[28:29], -1, 0
	s_cmp_lg_u64 s[28:29], 0
	s_addc_u32 s7, s7, 0
	s_waitcnt vmcnt(0)
	v_cmp_ne_u16_sdwa s[28:29], v19, v15 src0_sel:BYTE_0 src1_sel:DWORD
	s_or_b64 s[26:27], s[28:29], s[26:27]
	s_andn2_b64 exec, exec, s[26:27]
	s_cbranch_execnz .LBB773_93
; %bb.96:                               ;   in Loop: Header=BB773_90 Depth=1
	s_or_b64 exec, exec, s[26:27]
	s_branch .LBB773_89
.LBB773_97:                             ;   in Loop: Header=BB773_90 Depth=1
                                        ; implicit-def: $vgpr18
                                        ; implicit-def: $vgpr19
	s_cbranch_execz .LBB773_90
; %bb.98:
	s_and_saveexec_b64 s[24:25], s[16:17]
	s_cbranch_execz .LBB773_100
; %bb.99:
	s_add_i32 s6, s6, 64
	s_mov_b32 s7, 0
	s_lshl_b64 s[6:7], s[6:7], 3
	s_add_u32 s6, s20, s6
	v_add_u32_e32 v14, v13, v12
	v_mov_b32_e32 v15, 2
	s_addc_u32 s7, s21, s7
	v_mov_b32_e32 v16, 0
	global_store_dwordx2 v16, v[14:15], s[6:7]
	ds_write_b64 v16, v[12:13] offset:11264
.LBB773_100:
	s_or_b64 exec, exec, s[24:25]
	v_cmp_eq_u32_e32 vcc, 0, v0
	s_and_b64 exec, exec, vcc
	s_cbranch_execz .LBB773_102
; %bb.101:
	v_mov_b32_e32 v12, 0
	ds_write_b32 v12, v13 offset:12
.LBB773_102:
	s_or_b64 exec, exec, s[22:23]
	v_mov_b32_e32 v12, 0
	s_waitcnt lgkmcnt(0)
	s_barrier
	ds_read_b32 v15, v12 offset:12
	s_waitcnt lgkmcnt(0)
	s_barrier
	ds_read_b64 v[12:13], v12 offset:11264
	v_cndmask_b32_e64 v14, v42, v40, s[16:17]
	v_cmp_ne_u32_e32 vcc, 0, v0
	v_cndmask_b32_e32 v14, 0, v14, vcc
	v_add_u32_e32 v52, v15, v14
	s_waitcnt lgkmcnt(0)
	v_mov_b32_e32 v14, v13
	s_load_dwordx2 s[4:5], s[4:5], 0x28
	s_branch .LBB773_113
.LBB773_103:
                                        ; implicit-def: $vgpr14
                                        ; implicit-def: $vgpr12
                                        ; implicit-def: $vgpr52
	s_load_dwordx2 s[4:5], s[4:5], 0x28
	s_cbranch_execz .LBB773_113
; %bb.104:
	v_mov_b32_dpp v12, v38 row_shr:1 row_mask:0xf bank_mask:0xf
	v_cndmask_b32_e64 v12, v12, 0, s[14:15]
	v_add_u32_e32 v12, v12, v38
	s_nop 1
	v_mov_b32_dpp v13, v12 row_shr:2 row_mask:0xf bank_mask:0xf
	v_cndmask_b32_e64 v13, 0, v13, s[12:13]
	v_add_u32_e32 v12, v12, v13
	s_nop 1
	v_mov_b32_dpp v13, v12 row_shr:4 row_mask:0xf bank_mask:0xf
	v_cndmask_b32_e64 v13, 0, v13, s[10:11]
	v_add_u32_e32 v12, v12, v13
	s_nop 1
	v_mov_b32_dpp v13, v12 row_shr:8 row_mask:0xf bank_mask:0xf
	v_cndmask_b32_e64 v13, 0, v13, s[8:9]
	v_add_u32_e32 v12, v12, v13
	s_nop 1
	v_mov_b32_dpp v13, v12 row_bcast:15 row_mask:0xf bank_mask:0xf
	v_cndmask_b32_e64 v13, v13, 0, s[18:19]
	v_add_u32_e32 v12, v12, v13
	s_nop 1
	v_mov_b32_dpp v13, v12 row_bcast:31 row_mask:0xf bank_mask:0xf
	v_cndmask_b32_e64 v13, 0, v13, s[0:1]
	v_add_u32_e32 v12, v12, v13
	s_and_saveexec_b64 s[0:1], s[2:3]
	s_cbranch_execz .LBB773_106
; %bb.105:
	v_lshlrev_b32_e32 v13, 2, v36
	ds_write_b32 v13, v12
.LBB773_106:
	s_or_b64 exec, exec, s[0:1]
	v_cmp_gt_u32_e32 vcc, 4, v0
	s_waitcnt lgkmcnt(0)
	s_barrier
	s_and_saveexec_b64 s[0:1], vcc
	s_cbranch_execz .LBB773_108
; %bb.107:
	v_lshlrev_b32_e32 v13, 2, v0
	ds_read_b32 v14, v13
	v_and_b32_e32 v15, 3, v34
	v_cmp_ne_u32_e32 vcc, 0, v15
	s_waitcnt lgkmcnt(0)
	v_mov_b32_dpp v16, v14 row_shr:1 row_mask:0xf bank_mask:0xf
	v_cndmask_b32_e32 v16, 0, v16, vcc
	v_add_u32_e32 v14, v16, v14
	v_cmp_lt_u32_e32 vcc, 1, v15
	s_nop 0
	v_mov_b32_dpp v16, v14 row_shr:2 row_mask:0xf bank_mask:0xf
	v_cndmask_b32_e32 v15, 0, v16, vcc
	v_add_u32_e32 v14, v14, v15
	ds_write_b32 v13, v14
.LBB773_108:
	s_or_b64 exec, exec, s[0:1]
	v_cmp_lt_u32_e32 vcc, 63, v0
	v_mov_b32_e32 v13, 0
	v_mov_b32_e32 v14, 0
	s_waitcnt lgkmcnt(0)
	s_barrier
	s_and_saveexec_b64 s[0:1], vcc
	s_cbranch_execz .LBB773_110
; %bb.109:
	v_lshl_add_u32 v14, v36, 2, -4
	ds_read_b32 v14, v14
.LBB773_110:
	s_or_b64 exec, exec, s[0:1]
	v_add_u32_e32 v15, -1, v34
	v_and_b32_e32 v16, 64, v34
	v_cmp_lt_i32_e32 vcc, v15, v16
	v_cndmask_b32_e32 v15, v15, v34, vcc
	s_waitcnt lgkmcnt(0)
	v_add_u32_e32 v12, v14, v12
	v_lshlrev_b32_e32 v15, 2, v15
	ds_bpermute_b32 v15, v15, v12
	ds_read_b32 v12, v13 offset:12
	v_cmp_eq_u32_e32 vcc, 0, v0
	s_and_saveexec_b64 s[0:1], vcc
	s_cbranch_execz .LBB773_112
; %bb.111:
	v_mov_b32_e32 v16, 0
	v_mov_b32_e32 v13, 2
	s_waitcnt lgkmcnt(0)
	global_store_dwordx2 v16, v[12:13], s[20:21] offset:512
.LBB773_112:
	s_or_b64 exec, exec, s[0:1]
	v_cmp_eq_u32_e64 s[0:1], 0, v34
	s_waitcnt lgkmcnt(1)
	v_cndmask_b32_e64 v13, v15, v14, s[0:1]
	v_mov_b32_e32 v14, 0
	v_cndmask_b32_e64 v52, v13, 0, vcc
	s_waitcnt lgkmcnt(0)
	s_barrier
.LBB773_113:
	v_add_u32_e32 v58, v52, v22
	v_add_u32_e32 v56, v58, v23
	v_add_u32_e32 v54, v56, v24
	v_add_u32_e32 v50, v54, v25
	v_add_u32_e32 v48, v50, v26
	v_add_u32_e32 v46, v48, v27
	v_add_u32_e32 v44, v46, v28
	v_add_u32_e32 v42, v44, v29
	v_add_u32_e32 v40, v42, v30
	v_add_u32_e32 v38, v40, v31
	v_add_u32_e32 v36, v38, v32
	v_add_u32_e32 v34, v36, v33
	v_add_u32_e32 v32, v34, v35
	v_add_u32_e32 v30, v32, v37
	v_add_u32_e32 v28, v30, v39
	v_add_u32_e32 v26, v28, v41
	v_add_u32_e32 v24, v26, v43
	v_add_u32_e32 v22, v24, v45
	v_add_u32_e32 v20, v22, v47
	s_movk_i32 s0, 0x101
	v_add_u32_e32 v18, v20, v49
	v_cmp_gt_u32_e32 vcc, s0, v12
	v_add_u32_sdwa v16, v18, v70 dst_sel:DWORD dst_unused:UNUSED_PAD src0_sel:DWORD src1_sel:BYTE_0
	s_mov_b64 s[0:1], -1
	s_cbranch_vccnz .LBB773_117
; %bb.114:
	s_and_b64 vcc, exec, s[0:1]
	s_cbranch_vccnz .LBB773_184
.LBB773_115:
	v_cmp_eq_u32_e32 vcc, 0, v0
	s_and_b64 s[0:1], vcc, s[52:53]
	s_and_saveexec_b64 s[2:3], s[0:1]
	s_cbranch_execnz .LBB773_244
.LBB773_116:
	s_endpgm
.LBB773_117:
	v_add_u32_e32 v13, v14, v12
	s_lshl_b64 s[0:1], s[50:51], 1
	s_waitcnt lgkmcnt(0)
	s_add_u32 s2, s4, s0
	v_cmp_lt_u32_e32 vcc, v52, v13
	s_addc_u32 s3, s5, s1
	s_or_b64 s[6:7], s[54:55], vcc
	s_and_saveexec_b64 s[0:1], s[6:7]
	s_cbranch_execz .LBB773_120
; %bb.118:
	v_and_b32_e32 v15, 1, v92
	v_cmp_eq_u32_e32 vcc, 1, v15
	s_and_b64 exec, exec, vcc
	s_cbranch_execz .LBB773_120
; %bb.119:
	v_mov_b32_e32 v53, 0
	v_lshlrev_b64 v[94:95], 1, v[52:53]
	v_mov_b32_e32 v15, s3
	v_add_co_u32_e32 v94, vcc, s2, v94
	v_addc_co_u32_e32 v95, vcc, v15, v95, vcc
	global_store_short v[94:95], v10, off
.LBB773_120:
	s_or_b64 exec, exec, s[0:1]
	v_cmp_lt_u32_e32 vcc, v58, v13
	s_or_b64 s[6:7], s[54:55], vcc
	s_and_saveexec_b64 s[0:1], s[6:7]
	s_cbranch_execz .LBB773_123
; %bb.121:
	v_and_b32_e32 v15, 1, v91
	v_cmp_eq_u32_e32 vcc, 1, v15
	s_and_b64 exec, exec, vcc
	s_cbranch_execz .LBB773_123
; %bb.122:
	v_mov_b32_e32 v59, 0
	v_lshlrev_b64 v[94:95], 1, v[58:59]
	v_mov_b32_e32 v15, s3
	v_add_co_u32_e32 v94, vcc, s2, v94
	v_addc_co_u32_e32 v95, vcc, v15, v95, vcc
	global_store_short v[94:95], v74, off
.LBB773_123:
	s_or_b64 exec, exec, s[0:1]
	v_cmp_lt_u32_e32 vcc, v56, v13
	;; [unrolled: 18-line block ×21, first 2 shown]
	s_or_b64 s[6:7], s[54:55], vcc
	s_and_saveexec_b64 s[0:1], s[6:7]
	s_cbranch_execz .LBB773_183
; %bb.181:
	v_and_b32_e32 v13, 1, v68
	v_cmp_eq_u32_e32 vcc, 1, v13
	s_and_b64 exec, exec, vcc
	s_cbranch_execz .LBB773_183
; %bb.182:
	v_mov_b32_e32 v17, 0
	v_lshlrev_b64 v[94:95], 1, v[16:17]
	v_mov_b32_e32 v13, s3
	v_add_co_u32_e32 v94, vcc, s2, v94
	v_addc_co_u32_e32 v95, vcc, v13, v95, vcc
	global_store_short v[94:95], v1, off
.LBB773_183:
	s_or_b64 exec, exec, s[0:1]
	s_branch .LBB773_115
.LBB773_184:
	v_and_b32_e32 v13, 1, v92
	v_cmp_eq_u32_e32 vcc, 1, v13
	s_and_saveexec_b64 s[0:1], vcc
	s_cbranch_execz .LBB773_186
; %bb.185:
	v_sub_u32_e32 v13, v52, v14
	v_lshlrev_b32_e32 v13, 1, v13
	ds_write_b16 v13, v10
.LBB773_186:
	s_or_b64 exec, exec, s[0:1]
	v_and_b32_e32 v10, 1, v91
	v_cmp_eq_u32_e32 vcc, 1, v10
	s_and_saveexec_b64 s[0:1], vcc
	s_cbranch_execz .LBB773_188
; %bb.187:
	v_sub_u32_e32 v10, v58, v14
	v_lshlrev_b32_e32 v10, 1, v10
	ds_write_b16 v10, v74
.LBB773_188:
	s_or_b64 exec, exec, s[0:1]
	;; [unrolled: 10-line block ×22, first 2 shown]
	v_cmp_lt_u32_e32 vcc, v0, v12
	s_waitcnt lgkmcnt(0)
	s_barrier
	s_and_saveexec_b64 s[6:7], vcc
	s_cbranch_execz .LBB773_243
; %bb.229:
	s_lshl_b64 s[0:1], s[50:51], 1
	v_mov_b32_e32 v15, 0
	s_add_u32 s0, s4, s0
	s_addc_u32 s1, s5, s1
	v_lshlrev_b64 v[2:3], 1, v[14:15]
	v_mov_b32_e32 v1, s1
	v_add_co_u32_e32 v10, vcc, s0, v2
	v_addc_co_u32_e32 v11, vcc, v1, v3, vcc
	v_xad_u32 v1, v0, -1, v12
	s_movk_i32 s0, 0x1700
	v_cmp_gt_u32_e32 vcc, s0, v1
	s_movk_i32 s0, 0x16ff
	v_cmp_lt_u32_e64 s[0:1], s0, v1
	v_mov_b32_e32 v2, v0
	s_and_saveexec_b64 s[4:5], s[0:1]
	s_cbranch_execz .LBB773_240
; %bb.230:
	v_sub_u32_e32 v2, v0, v12
	v_or_b32_e32 v2, 0xff, v2
	v_cmp_ge_u32_e64 s[0:1], v2, v0
	s_mov_b64 s[2:3], -1
	v_mov_b32_e32 v2, v0
	s_and_saveexec_b64 s[8:9], s[0:1]
	s_cbranch_execz .LBB773_239
; %bb.231:
	v_lshrrev_b32_e32 v13, 8, v1
	v_add_u32_e32 v4, -3, v13
	v_or_b32_e32 v3, 0x300, v0
	v_or_b32_e32 v2, 0x200, v0
	v_lshrrev_b32_e32 v5, 2, v4
	v_or_b32_e32 v1, 0x100, v0
	v_add_u32_e32 v16, 1, v5
	v_cmp_lt_u32_e64 s[0:1], 11, v4
	v_pk_mov_b32 v[6:7], v[2:3], v[2:3] op_sel:[0,1]
	v_mov_b32_e32 v19, 0
	v_lshlrev_b32_e32 v15, 1, v0
	v_pk_mov_b32 v[4:5], v[0:1], v[0:1] op_sel:[0,1]
	s_and_saveexec_b64 s[10:11], s[0:1]
	s_cbranch_execz .LBB773_235
; %bb.232:
	v_pk_mov_b32 v[6:7], v[2:3], v[2:3] op_sel:[0,1]
	v_and_b32_e32 v17, 0x7ffffffc, v16
	s_mov_b32 s14, 0
	s_mov_b64 s[12:13], 0
	v_mov_b32_e32 v9, 0
	v_mov_b32_e32 v18, v15
	v_pk_mov_b32 v[4:5], v[0:1], v[0:1] op_sel:[0,1]
.LBB773_233:                            ; =>This Inner Loop Header: Depth=1
	v_mov_b32_e32 v8, v4
	v_lshlrev_b64 v[36:37], 1, v[8:9]
	v_add_u32_e32 v22, 0x400, v5
	v_mov_b32_e32 v23, v9
	v_add_co_u32_e64 v36, s[2:3], v10, v36
	v_lshlrev_b64 v[22:23], 1, v[22:23]
	v_addc_co_u32_e64 v37, s[2:3], v11, v37, s[2:3]
	v_add_u32_e32 v20, 0x400, v6
	v_mov_b32_e32 v21, v9
	v_add_co_u32_e64 v22, s[2:3], v10, v22
	v_lshlrev_b64 v[20:21], 1, v[20:21]
	v_addc_co_u32_e64 v23, s[2:3], v11, v23, s[2:3]
	v_add_u32_e32 v2, 0x400, v7
	v_mov_b32_e32 v3, v9
	v_add_co_u32_e64 v20, s[2:3], v10, v20
	v_add_u32_e32 v17, -4, v17
	v_mov_b32_e32 v8, v5
	v_lshlrev_b64 v[2:3], 1, v[2:3]
	v_addc_co_u32_e64 v21, s[2:3], v11, v21, s[2:3]
	v_add_u32_e32 v28, 0x800, v5
	v_mov_b32_e32 v29, v9
	s_add_i32 s14, s14, 16
	v_cmp_eq_u32_e64 s[0:1], 0, v17
	v_lshlrev_b64 v[38:39], 1, v[8:9]
	v_add_co_u32_e64 v2, s[2:3], v10, v2
	v_lshlrev_b64 v[28:29], 1, v[28:29]
	v_mov_b32_e32 v8, v6
	v_addc_co_u32_e64 v3, s[2:3], v11, v3, s[2:3]
	s_or_b64 s[12:13], s[0:1], s[12:13]
	v_add_co_u32_e64 v38, s[0:1], v10, v38
	v_add_u32_e32 v26, 0x800, v6
	v_mov_b32_e32 v27, v9
	v_add_co_u32_e64 v28, s[2:3], v10, v28
	v_addc_co_u32_e64 v39, s[0:1], v11, v39, s[0:1]
	v_lshlrev_b64 v[40:41], 1, v[8:9]
	v_lshlrev_b64 v[26:27], 1, v[26:27]
	v_addc_co_u32_e64 v29, s[2:3], v11, v29, s[2:3]
	v_mov_b32_e32 v8, v7
	v_add_co_u32_e64 v40, s[0:1], v10, v40
	ds_read_u16 v1, v18
	ds_read_u16 v44, v18 offset:512
	ds_read_u16 v45, v18 offset:1024
	;; [unrolled: 1-line block ×7, first 2 shown]
	v_add_u32_e32 v24, 0x800, v7
	v_mov_b32_e32 v25, v9
	v_add_co_u32_e64 v26, s[2:3], v10, v26
	v_addc_co_u32_e64 v41, s[0:1], v11, v41, s[0:1]
	v_lshlrev_b64 v[42:43], 1, v[8:9]
	v_lshlrev_b64 v[24:25], 1, v[24:25]
	v_addc_co_u32_e64 v27, s[2:3], v11, v27, s[2:3]
	v_add_u32_e32 v8, 0x400, v4
	v_add_co_u32_e64 v42, s[0:1], v10, v42
	v_add_u32_e32 v34, 0xc00, v5
	ds_read_u16 v51, v18 offset:4096
	ds_read_u16 v52, v18 offset:4608
	;; [unrolled: 1-line block ×8, first 2 shown]
	v_mov_b32_e32 v35, v9
	v_add_co_u32_e64 v24, s[2:3], v10, v24
	v_addc_co_u32_e64 v43, s[0:1], v11, v43, s[0:1]
	s_waitcnt lgkmcnt(14)
	global_store_short v[36:37], v1, off
	global_store_short v[38:39], v44, off
	s_waitcnt lgkmcnt(13)
	global_store_short v[40:41], v45, off
	v_lshlrev_b64 v[36:37], 1, v[8:9]
	v_lshlrev_b64 v[34:35], 1, v[34:35]
	v_addc_co_u32_e64 v25, s[2:3], v11, v25, s[2:3]
	v_add_u32_e32 v8, 0x800, v4
	v_add_co_u32_e64 v36, s[0:1], v10, v36
	v_add_u32_e32 v32, 0xc00, v6
	v_mov_b32_e32 v33, v9
	v_add_co_u32_e64 v34, s[2:3], v10, v34
	v_addc_co_u32_e64 v37, s[0:1], v11, v37, s[0:1]
	v_lshlrev_b64 v[38:39], 1, v[8:9]
	v_lshlrev_b64 v[32:33], 1, v[32:33]
	v_addc_co_u32_e64 v35, s[2:3], v11, v35, s[2:3]
	s_waitcnt lgkmcnt(12)
	global_store_short v[42:43], v46, off
	v_add_u32_e32 v8, 0xc00, v4
	s_waitcnt lgkmcnt(11)
	global_store_short v[36:37], v47, off
	s_waitcnt lgkmcnt(10)
	global_store_short v[22:23], v48, off
	;; [unrolled: 2-line block ×4, first 2 shown]
	v_add_co_u32_e64 v2, s[0:1], v10, v38
	v_add_u32_e32 v30, 0xc00, v7
	v_mov_b32_e32 v31, v9
	v_add_co_u32_e64 v32, s[2:3], v10, v32
	v_addc_co_u32_e64 v3, s[0:1], v11, v39, s[0:1]
	v_lshlrev_b64 v[20:21], 1, v[8:9]
	v_lshlrev_b64 v[30:31], 1, v[30:31]
	v_addc_co_u32_e64 v33, s[2:3], v11, v33, s[2:3]
	s_waitcnt lgkmcnt(7)
	global_store_short v[2:3], v51, off
	s_waitcnt lgkmcnt(6)
	global_store_short v[28:29], v52, off
	;; [unrolled: 2-line block ×4, first 2 shown]
	v_add_co_u32_e64 v2, s[0:1], v10, v20
	v_add_u32_e32 v18, 0x2000, v18
	v_add_u32_e32 v5, 0x1000, v5
	v_mov_b32_e32 v19, s14
	v_add_co_u32_e64 v30, s[2:3], v10, v30
	v_add_u32_e32 v6, 0x1000, v6
	v_add_u32_e32 v7, 0x1000, v7
	;; [unrolled: 1-line block ×3, first 2 shown]
	v_addc_co_u32_e64 v3, s[0:1], v11, v21, s[0:1]
	v_addc_co_u32_e64 v31, s[2:3], v11, v31, s[2:3]
	s_waitcnt lgkmcnt(3)
	global_store_short v[2:3], v55, off
	s_waitcnt lgkmcnt(2)
	global_store_short v[34:35], v56, off
	;; [unrolled: 2-line block ×4, first 2 shown]
	s_andn2_b64 exec, exec, s[12:13]
	s_cbranch_execnz .LBB773_233
; %bb.234:
	s_or_b64 exec, exec, s[12:13]
.LBB773_235:
	s_or_b64 exec, exec, s[10:11]
	v_and_b32_e32 v1, 3, v16
	v_cmp_ne_u32_e64 s[0:1], 0, v1
	s_and_saveexec_b64 s[10:11], s[0:1]
	s_cbranch_execz .LBB773_238
; %bb.236:
	v_lshl_or_b32 v8, v19, 9, v15
	s_mov_b64 s[12:13], 0
	v_mov_b32_e32 v3, 0
.LBB773_237:                            ; =>This Inner Loop Header: Depth=1
	v_mov_b32_e32 v2, v4
	v_add_u32_e32 v1, -1, v1
	v_lshlrev_b64 v[16:17], 1, v[2:3]
	v_mov_b32_e32 v2, v5
	v_cmp_eq_u32_e64 s[0:1], 0, v1
	v_lshlrev_b64 v[18:19], 1, v[2:3]
	ds_read_u16 v9, v8
	ds_read_u16 v15, v8 offset:512
	ds_read_u16 v24, v8 offset:1024
	;; [unrolled: 1-line block ×3, first 2 shown]
	v_mov_b32_e32 v2, v6
	s_or_b64 s[12:13], s[0:1], s[12:13]
	v_add_co_u32_e64 v18, s[0:1], v10, v18
	v_addc_co_u32_e64 v19, s[0:1], v11, v19, s[0:1]
	v_lshlrev_b64 v[20:21], 1, v[2:3]
	v_mov_b32_e32 v2, v7
	v_add_co_u32_e64 v20, s[0:1], v10, v20
	v_add_co_u32_e64 v16, s[2:3], v10, v16
	v_addc_co_u32_e64 v21, s[0:1], v11, v21, s[0:1]
	v_lshlrev_b64 v[22:23], 1, v[2:3]
	v_add_u32_e32 v4, 0x400, v4
	v_add_u32_e32 v8, 0x800, v8
	;; [unrolled: 1-line block ×3, first 2 shown]
	v_addc_co_u32_e64 v17, s[2:3], v11, v17, s[2:3]
	v_add_u32_e32 v6, 0x400, v6
	v_add_u32_e32 v7, 0x400, v7
	v_add_co_u32_e64 v22, s[0:1], v10, v22
	v_addc_co_u32_e64 v23, s[0:1], v11, v23, s[0:1]
	s_waitcnt lgkmcnt(3)
	global_store_short v[16:17], v9, off
	s_waitcnt lgkmcnt(2)
	global_store_short v[18:19], v15, off
	;; [unrolled: 2-line block ×4, first 2 shown]
	s_andn2_b64 exec, exec, s[12:13]
	s_cbranch_execnz .LBB773_237
.LBB773_238:
	s_or_b64 exec, exec, s[10:11]
	v_add_u32_e32 v1, 1, v13
	v_and_b32_e32 v3, 0x1fffffc, v1
	v_cmp_ne_u32_e64 s[0:1], v1, v3
	v_lshl_or_b32 v2, v3, 8, v0
	s_orn2_b64 s[2:3], s[0:1], exec
.LBB773_239:
	s_or_b64 exec, exec, s[8:9]
	s_andn2_b64 s[0:1], vcc, exec
	s_and_b64 s[2:3], s[2:3], exec
	s_or_b64 vcc, s[0:1], s[2:3]
.LBB773_240:
	s_or_b64 exec, exec, s[4:5]
	s_and_b64 exec, exec, vcc
	s_cbranch_execz .LBB773_243
; %bb.241:
	v_lshlrev_b32_e32 v1, 1, v2
	s_mov_b64 s[0:1], 0
	v_mov_b32_e32 v3, 0
.LBB773_242:                            ; =>This Inner Loop Header: Depth=1
	ds_read_u16 v6, v1
	v_lshlrev_b64 v[4:5], 1, v[2:3]
	v_add_co_u32_e32 v4, vcc, v10, v4
	v_add_u32_e32 v2, 0x100, v2
	v_addc_co_u32_e32 v5, vcc, v11, v5, vcc
	v_cmp_ge_u32_e32 vcc, v2, v12
	v_add_u32_e32 v1, 0x200, v1
	s_or_b64 s[0:1], vcc, s[0:1]
	s_waitcnt lgkmcnt(0)
	global_store_short v[4:5], v6, off
	s_andn2_b64 exec, exec, s[0:1]
	s_cbranch_execnz .LBB773_242
.LBB773_243:
	s_or_b64 exec, exec, s[6:7]
	v_cmp_eq_u32_e32 vcc, 0, v0
	s_and_b64 s[0:1], vcc, s[52:53]
	s_and_saveexec_b64 s[2:3], s[0:1]
	s_cbranch_execz .LBB773_116
.LBB773_244:
	v_mov_b32_e32 v0, s51
	v_add_co_u32_e32 v1, vcc, s50, v12
	v_addc_co_u32_e32 v3, vcc, 0, v0, vcc
	v_add_co_u32_e32 v0, vcc, v1, v14
	v_mov_b32_e32 v2, 0
	v_addc_co_u32_e32 v1, vcc, 0, v3, vcc
	global_store_dwordx2 v2, v[0:1], s[48:49]
	s_endpgm
	.section	.rodata,"a",@progbits
	.p2align	6, 0x0
	.amdhsa_kernel _ZN7rocprim17ROCPRIM_400000_NS6detail17trampoline_kernelINS0_14default_configENS1_25partition_config_selectorILNS1_17partition_subalgoE8EtNS0_10empty_typeEbEEZZNS1_14partition_implILS5_8ELb0ES3_jPKtPS6_PKS6_NS0_5tupleIJPtS6_EEENSE_IJSB_SB_EEENS0_18inequality_wrapperIN6hipcub16HIPCUB_304000_NS8EqualityEEEPlJS6_EEE10hipError_tPvRmT3_T4_T5_T6_T7_T9_mT8_P12ihipStream_tbDpT10_ENKUlT_T0_E_clISt17integral_constantIbLb1EES16_IbLb0EEEEDaS12_S13_EUlS12_E_NS1_11comp_targetILNS1_3genE4ELNS1_11target_archE910ELNS1_3gpuE8ELNS1_3repE0EEENS1_30default_config_static_selectorELNS0_4arch9wavefront6targetE1EEEvT1_
		.amdhsa_group_segment_fixed_size 11272
		.amdhsa_private_segment_fixed_size 0
		.amdhsa_kernarg_size 112
		.amdhsa_user_sgpr_count 6
		.amdhsa_user_sgpr_private_segment_buffer 1
		.amdhsa_user_sgpr_dispatch_ptr 0
		.amdhsa_user_sgpr_queue_ptr 0
		.amdhsa_user_sgpr_kernarg_segment_ptr 1
		.amdhsa_user_sgpr_dispatch_id 0
		.amdhsa_user_sgpr_flat_scratch_init 0
		.amdhsa_user_sgpr_kernarg_preload_length 0
		.amdhsa_user_sgpr_kernarg_preload_offset 0
		.amdhsa_user_sgpr_private_segment_size 0
		.amdhsa_uses_dynamic_stack 0
		.amdhsa_system_sgpr_private_segment_wavefront_offset 0
		.amdhsa_system_sgpr_workgroup_id_x 1
		.amdhsa_system_sgpr_workgroup_id_y 0
		.amdhsa_system_sgpr_workgroup_id_z 0
		.amdhsa_system_sgpr_workgroup_info 0
		.amdhsa_system_vgpr_workitem_id 0
		.amdhsa_next_free_vgpr 96
		.amdhsa_next_free_sgpr 62
		.amdhsa_accum_offset 96
		.amdhsa_reserve_vcc 1
		.amdhsa_reserve_flat_scratch 0
		.amdhsa_float_round_mode_32 0
		.amdhsa_float_round_mode_16_64 0
		.amdhsa_float_denorm_mode_32 3
		.amdhsa_float_denorm_mode_16_64 3
		.amdhsa_dx10_clamp 1
		.amdhsa_ieee_mode 1
		.amdhsa_fp16_overflow 0
		.amdhsa_tg_split 0
		.amdhsa_exception_fp_ieee_invalid_op 0
		.amdhsa_exception_fp_denorm_src 0
		.amdhsa_exception_fp_ieee_div_zero 0
		.amdhsa_exception_fp_ieee_overflow 0
		.amdhsa_exception_fp_ieee_underflow 0
		.amdhsa_exception_fp_ieee_inexact 0
		.amdhsa_exception_int_div_zero 0
	.end_amdhsa_kernel
	.section	.text._ZN7rocprim17ROCPRIM_400000_NS6detail17trampoline_kernelINS0_14default_configENS1_25partition_config_selectorILNS1_17partition_subalgoE8EtNS0_10empty_typeEbEEZZNS1_14partition_implILS5_8ELb0ES3_jPKtPS6_PKS6_NS0_5tupleIJPtS6_EEENSE_IJSB_SB_EEENS0_18inequality_wrapperIN6hipcub16HIPCUB_304000_NS8EqualityEEEPlJS6_EEE10hipError_tPvRmT3_T4_T5_T6_T7_T9_mT8_P12ihipStream_tbDpT10_ENKUlT_T0_E_clISt17integral_constantIbLb1EES16_IbLb0EEEEDaS12_S13_EUlS12_E_NS1_11comp_targetILNS1_3genE4ELNS1_11target_archE910ELNS1_3gpuE8ELNS1_3repE0EEENS1_30default_config_static_selectorELNS0_4arch9wavefront6targetE1EEEvT1_,"axG",@progbits,_ZN7rocprim17ROCPRIM_400000_NS6detail17trampoline_kernelINS0_14default_configENS1_25partition_config_selectorILNS1_17partition_subalgoE8EtNS0_10empty_typeEbEEZZNS1_14partition_implILS5_8ELb0ES3_jPKtPS6_PKS6_NS0_5tupleIJPtS6_EEENSE_IJSB_SB_EEENS0_18inequality_wrapperIN6hipcub16HIPCUB_304000_NS8EqualityEEEPlJS6_EEE10hipError_tPvRmT3_T4_T5_T6_T7_T9_mT8_P12ihipStream_tbDpT10_ENKUlT_T0_E_clISt17integral_constantIbLb1EES16_IbLb0EEEEDaS12_S13_EUlS12_E_NS1_11comp_targetILNS1_3genE4ELNS1_11target_archE910ELNS1_3gpuE8ELNS1_3repE0EEENS1_30default_config_static_selectorELNS0_4arch9wavefront6targetE1EEEvT1_,comdat
.Lfunc_end773:
	.size	_ZN7rocprim17ROCPRIM_400000_NS6detail17trampoline_kernelINS0_14default_configENS1_25partition_config_selectorILNS1_17partition_subalgoE8EtNS0_10empty_typeEbEEZZNS1_14partition_implILS5_8ELb0ES3_jPKtPS6_PKS6_NS0_5tupleIJPtS6_EEENSE_IJSB_SB_EEENS0_18inequality_wrapperIN6hipcub16HIPCUB_304000_NS8EqualityEEEPlJS6_EEE10hipError_tPvRmT3_T4_T5_T6_T7_T9_mT8_P12ihipStream_tbDpT10_ENKUlT_T0_E_clISt17integral_constantIbLb1EES16_IbLb0EEEEDaS12_S13_EUlS12_E_NS1_11comp_targetILNS1_3genE4ELNS1_11target_archE910ELNS1_3gpuE8ELNS1_3repE0EEENS1_30default_config_static_selectorELNS0_4arch9wavefront6targetE1EEEvT1_, .Lfunc_end773-_ZN7rocprim17ROCPRIM_400000_NS6detail17trampoline_kernelINS0_14default_configENS1_25partition_config_selectorILNS1_17partition_subalgoE8EtNS0_10empty_typeEbEEZZNS1_14partition_implILS5_8ELb0ES3_jPKtPS6_PKS6_NS0_5tupleIJPtS6_EEENSE_IJSB_SB_EEENS0_18inequality_wrapperIN6hipcub16HIPCUB_304000_NS8EqualityEEEPlJS6_EEE10hipError_tPvRmT3_T4_T5_T6_T7_T9_mT8_P12ihipStream_tbDpT10_ENKUlT_T0_E_clISt17integral_constantIbLb1EES16_IbLb0EEEEDaS12_S13_EUlS12_E_NS1_11comp_targetILNS1_3genE4ELNS1_11target_archE910ELNS1_3gpuE8ELNS1_3repE0EEENS1_30default_config_static_selectorELNS0_4arch9wavefront6targetE1EEEvT1_
                                        ; -- End function
	.section	.AMDGPU.csdata,"",@progbits
; Kernel info:
; codeLenInByte = 10492
; NumSgprs: 66
; NumVgprs: 96
; NumAgprs: 0
; TotalNumVgprs: 96
; ScratchSize: 0
; MemoryBound: 0
; FloatMode: 240
; IeeeMode: 1
; LDSByteSize: 11272 bytes/workgroup (compile time only)
; SGPRBlocks: 8
; VGPRBlocks: 11
; NumSGPRsForWavesPerEU: 66
; NumVGPRsForWavesPerEU: 96
; AccumOffset: 96
; Occupancy: 5
; WaveLimiterHint : 1
; COMPUTE_PGM_RSRC2:SCRATCH_EN: 0
; COMPUTE_PGM_RSRC2:USER_SGPR: 6
; COMPUTE_PGM_RSRC2:TRAP_HANDLER: 0
; COMPUTE_PGM_RSRC2:TGID_X_EN: 1
; COMPUTE_PGM_RSRC2:TGID_Y_EN: 0
; COMPUTE_PGM_RSRC2:TGID_Z_EN: 0
; COMPUTE_PGM_RSRC2:TIDIG_COMP_CNT: 0
; COMPUTE_PGM_RSRC3_GFX90A:ACCUM_OFFSET: 23
; COMPUTE_PGM_RSRC3_GFX90A:TG_SPLIT: 0
	.section	.text._ZN7rocprim17ROCPRIM_400000_NS6detail17trampoline_kernelINS0_14default_configENS1_25partition_config_selectorILNS1_17partition_subalgoE8EtNS0_10empty_typeEbEEZZNS1_14partition_implILS5_8ELb0ES3_jPKtPS6_PKS6_NS0_5tupleIJPtS6_EEENSE_IJSB_SB_EEENS0_18inequality_wrapperIN6hipcub16HIPCUB_304000_NS8EqualityEEEPlJS6_EEE10hipError_tPvRmT3_T4_T5_T6_T7_T9_mT8_P12ihipStream_tbDpT10_ENKUlT_T0_E_clISt17integral_constantIbLb1EES16_IbLb0EEEEDaS12_S13_EUlS12_E_NS1_11comp_targetILNS1_3genE3ELNS1_11target_archE908ELNS1_3gpuE7ELNS1_3repE0EEENS1_30default_config_static_selectorELNS0_4arch9wavefront6targetE1EEEvT1_,"axG",@progbits,_ZN7rocprim17ROCPRIM_400000_NS6detail17trampoline_kernelINS0_14default_configENS1_25partition_config_selectorILNS1_17partition_subalgoE8EtNS0_10empty_typeEbEEZZNS1_14partition_implILS5_8ELb0ES3_jPKtPS6_PKS6_NS0_5tupleIJPtS6_EEENSE_IJSB_SB_EEENS0_18inequality_wrapperIN6hipcub16HIPCUB_304000_NS8EqualityEEEPlJS6_EEE10hipError_tPvRmT3_T4_T5_T6_T7_T9_mT8_P12ihipStream_tbDpT10_ENKUlT_T0_E_clISt17integral_constantIbLb1EES16_IbLb0EEEEDaS12_S13_EUlS12_E_NS1_11comp_targetILNS1_3genE3ELNS1_11target_archE908ELNS1_3gpuE7ELNS1_3repE0EEENS1_30default_config_static_selectorELNS0_4arch9wavefront6targetE1EEEvT1_,comdat
	.protected	_ZN7rocprim17ROCPRIM_400000_NS6detail17trampoline_kernelINS0_14default_configENS1_25partition_config_selectorILNS1_17partition_subalgoE8EtNS0_10empty_typeEbEEZZNS1_14partition_implILS5_8ELb0ES3_jPKtPS6_PKS6_NS0_5tupleIJPtS6_EEENSE_IJSB_SB_EEENS0_18inequality_wrapperIN6hipcub16HIPCUB_304000_NS8EqualityEEEPlJS6_EEE10hipError_tPvRmT3_T4_T5_T6_T7_T9_mT8_P12ihipStream_tbDpT10_ENKUlT_T0_E_clISt17integral_constantIbLb1EES16_IbLb0EEEEDaS12_S13_EUlS12_E_NS1_11comp_targetILNS1_3genE3ELNS1_11target_archE908ELNS1_3gpuE7ELNS1_3repE0EEENS1_30default_config_static_selectorELNS0_4arch9wavefront6targetE1EEEvT1_ ; -- Begin function _ZN7rocprim17ROCPRIM_400000_NS6detail17trampoline_kernelINS0_14default_configENS1_25partition_config_selectorILNS1_17partition_subalgoE8EtNS0_10empty_typeEbEEZZNS1_14partition_implILS5_8ELb0ES3_jPKtPS6_PKS6_NS0_5tupleIJPtS6_EEENSE_IJSB_SB_EEENS0_18inequality_wrapperIN6hipcub16HIPCUB_304000_NS8EqualityEEEPlJS6_EEE10hipError_tPvRmT3_T4_T5_T6_T7_T9_mT8_P12ihipStream_tbDpT10_ENKUlT_T0_E_clISt17integral_constantIbLb1EES16_IbLb0EEEEDaS12_S13_EUlS12_E_NS1_11comp_targetILNS1_3genE3ELNS1_11target_archE908ELNS1_3gpuE7ELNS1_3repE0EEENS1_30default_config_static_selectorELNS0_4arch9wavefront6targetE1EEEvT1_
	.globl	_ZN7rocprim17ROCPRIM_400000_NS6detail17trampoline_kernelINS0_14default_configENS1_25partition_config_selectorILNS1_17partition_subalgoE8EtNS0_10empty_typeEbEEZZNS1_14partition_implILS5_8ELb0ES3_jPKtPS6_PKS6_NS0_5tupleIJPtS6_EEENSE_IJSB_SB_EEENS0_18inequality_wrapperIN6hipcub16HIPCUB_304000_NS8EqualityEEEPlJS6_EEE10hipError_tPvRmT3_T4_T5_T6_T7_T9_mT8_P12ihipStream_tbDpT10_ENKUlT_T0_E_clISt17integral_constantIbLb1EES16_IbLb0EEEEDaS12_S13_EUlS12_E_NS1_11comp_targetILNS1_3genE3ELNS1_11target_archE908ELNS1_3gpuE7ELNS1_3repE0EEENS1_30default_config_static_selectorELNS0_4arch9wavefront6targetE1EEEvT1_
	.p2align	8
	.type	_ZN7rocprim17ROCPRIM_400000_NS6detail17trampoline_kernelINS0_14default_configENS1_25partition_config_selectorILNS1_17partition_subalgoE8EtNS0_10empty_typeEbEEZZNS1_14partition_implILS5_8ELb0ES3_jPKtPS6_PKS6_NS0_5tupleIJPtS6_EEENSE_IJSB_SB_EEENS0_18inequality_wrapperIN6hipcub16HIPCUB_304000_NS8EqualityEEEPlJS6_EEE10hipError_tPvRmT3_T4_T5_T6_T7_T9_mT8_P12ihipStream_tbDpT10_ENKUlT_T0_E_clISt17integral_constantIbLb1EES16_IbLb0EEEEDaS12_S13_EUlS12_E_NS1_11comp_targetILNS1_3genE3ELNS1_11target_archE908ELNS1_3gpuE7ELNS1_3repE0EEENS1_30default_config_static_selectorELNS0_4arch9wavefront6targetE1EEEvT1_,@function
_ZN7rocprim17ROCPRIM_400000_NS6detail17trampoline_kernelINS0_14default_configENS1_25partition_config_selectorILNS1_17partition_subalgoE8EtNS0_10empty_typeEbEEZZNS1_14partition_implILS5_8ELb0ES3_jPKtPS6_PKS6_NS0_5tupleIJPtS6_EEENSE_IJSB_SB_EEENS0_18inequality_wrapperIN6hipcub16HIPCUB_304000_NS8EqualityEEEPlJS6_EEE10hipError_tPvRmT3_T4_T5_T6_T7_T9_mT8_P12ihipStream_tbDpT10_ENKUlT_T0_E_clISt17integral_constantIbLb1EES16_IbLb0EEEEDaS12_S13_EUlS12_E_NS1_11comp_targetILNS1_3genE3ELNS1_11target_archE908ELNS1_3gpuE7ELNS1_3repE0EEENS1_30default_config_static_selectorELNS0_4arch9wavefront6targetE1EEEvT1_: ; @_ZN7rocprim17ROCPRIM_400000_NS6detail17trampoline_kernelINS0_14default_configENS1_25partition_config_selectorILNS1_17partition_subalgoE8EtNS0_10empty_typeEbEEZZNS1_14partition_implILS5_8ELb0ES3_jPKtPS6_PKS6_NS0_5tupleIJPtS6_EEENSE_IJSB_SB_EEENS0_18inequality_wrapperIN6hipcub16HIPCUB_304000_NS8EqualityEEEPlJS6_EEE10hipError_tPvRmT3_T4_T5_T6_T7_T9_mT8_P12ihipStream_tbDpT10_ENKUlT_T0_E_clISt17integral_constantIbLb1EES16_IbLb0EEEEDaS12_S13_EUlS12_E_NS1_11comp_targetILNS1_3genE3ELNS1_11target_archE908ELNS1_3gpuE7ELNS1_3repE0EEENS1_30default_config_static_selectorELNS0_4arch9wavefront6targetE1EEEvT1_
; %bb.0:
	.section	.rodata,"a",@progbits
	.p2align	6, 0x0
	.amdhsa_kernel _ZN7rocprim17ROCPRIM_400000_NS6detail17trampoline_kernelINS0_14default_configENS1_25partition_config_selectorILNS1_17partition_subalgoE8EtNS0_10empty_typeEbEEZZNS1_14partition_implILS5_8ELb0ES3_jPKtPS6_PKS6_NS0_5tupleIJPtS6_EEENSE_IJSB_SB_EEENS0_18inequality_wrapperIN6hipcub16HIPCUB_304000_NS8EqualityEEEPlJS6_EEE10hipError_tPvRmT3_T4_T5_T6_T7_T9_mT8_P12ihipStream_tbDpT10_ENKUlT_T0_E_clISt17integral_constantIbLb1EES16_IbLb0EEEEDaS12_S13_EUlS12_E_NS1_11comp_targetILNS1_3genE3ELNS1_11target_archE908ELNS1_3gpuE7ELNS1_3repE0EEENS1_30default_config_static_selectorELNS0_4arch9wavefront6targetE1EEEvT1_
		.amdhsa_group_segment_fixed_size 0
		.amdhsa_private_segment_fixed_size 0
		.amdhsa_kernarg_size 112
		.amdhsa_user_sgpr_count 6
		.amdhsa_user_sgpr_private_segment_buffer 1
		.amdhsa_user_sgpr_dispatch_ptr 0
		.amdhsa_user_sgpr_queue_ptr 0
		.amdhsa_user_sgpr_kernarg_segment_ptr 1
		.amdhsa_user_sgpr_dispatch_id 0
		.amdhsa_user_sgpr_flat_scratch_init 0
		.amdhsa_user_sgpr_kernarg_preload_length 0
		.amdhsa_user_sgpr_kernarg_preload_offset 0
		.amdhsa_user_sgpr_private_segment_size 0
		.amdhsa_uses_dynamic_stack 0
		.amdhsa_system_sgpr_private_segment_wavefront_offset 0
		.amdhsa_system_sgpr_workgroup_id_x 1
		.amdhsa_system_sgpr_workgroup_id_y 0
		.amdhsa_system_sgpr_workgroup_id_z 0
		.amdhsa_system_sgpr_workgroup_info 0
		.amdhsa_system_vgpr_workitem_id 0
		.amdhsa_next_free_vgpr 1
		.amdhsa_next_free_sgpr 0
		.amdhsa_accum_offset 4
		.amdhsa_reserve_vcc 0
		.amdhsa_reserve_flat_scratch 0
		.amdhsa_float_round_mode_32 0
		.amdhsa_float_round_mode_16_64 0
		.amdhsa_float_denorm_mode_32 3
		.amdhsa_float_denorm_mode_16_64 3
		.amdhsa_dx10_clamp 1
		.amdhsa_ieee_mode 1
		.amdhsa_fp16_overflow 0
		.amdhsa_tg_split 0
		.amdhsa_exception_fp_ieee_invalid_op 0
		.amdhsa_exception_fp_denorm_src 0
		.amdhsa_exception_fp_ieee_div_zero 0
		.amdhsa_exception_fp_ieee_overflow 0
		.amdhsa_exception_fp_ieee_underflow 0
		.amdhsa_exception_fp_ieee_inexact 0
		.amdhsa_exception_int_div_zero 0
	.end_amdhsa_kernel
	.section	.text._ZN7rocprim17ROCPRIM_400000_NS6detail17trampoline_kernelINS0_14default_configENS1_25partition_config_selectorILNS1_17partition_subalgoE8EtNS0_10empty_typeEbEEZZNS1_14partition_implILS5_8ELb0ES3_jPKtPS6_PKS6_NS0_5tupleIJPtS6_EEENSE_IJSB_SB_EEENS0_18inequality_wrapperIN6hipcub16HIPCUB_304000_NS8EqualityEEEPlJS6_EEE10hipError_tPvRmT3_T4_T5_T6_T7_T9_mT8_P12ihipStream_tbDpT10_ENKUlT_T0_E_clISt17integral_constantIbLb1EES16_IbLb0EEEEDaS12_S13_EUlS12_E_NS1_11comp_targetILNS1_3genE3ELNS1_11target_archE908ELNS1_3gpuE7ELNS1_3repE0EEENS1_30default_config_static_selectorELNS0_4arch9wavefront6targetE1EEEvT1_,"axG",@progbits,_ZN7rocprim17ROCPRIM_400000_NS6detail17trampoline_kernelINS0_14default_configENS1_25partition_config_selectorILNS1_17partition_subalgoE8EtNS0_10empty_typeEbEEZZNS1_14partition_implILS5_8ELb0ES3_jPKtPS6_PKS6_NS0_5tupleIJPtS6_EEENSE_IJSB_SB_EEENS0_18inequality_wrapperIN6hipcub16HIPCUB_304000_NS8EqualityEEEPlJS6_EEE10hipError_tPvRmT3_T4_T5_T6_T7_T9_mT8_P12ihipStream_tbDpT10_ENKUlT_T0_E_clISt17integral_constantIbLb1EES16_IbLb0EEEEDaS12_S13_EUlS12_E_NS1_11comp_targetILNS1_3genE3ELNS1_11target_archE908ELNS1_3gpuE7ELNS1_3repE0EEENS1_30default_config_static_selectorELNS0_4arch9wavefront6targetE1EEEvT1_,comdat
.Lfunc_end774:
	.size	_ZN7rocprim17ROCPRIM_400000_NS6detail17trampoline_kernelINS0_14default_configENS1_25partition_config_selectorILNS1_17partition_subalgoE8EtNS0_10empty_typeEbEEZZNS1_14partition_implILS5_8ELb0ES3_jPKtPS6_PKS6_NS0_5tupleIJPtS6_EEENSE_IJSB_SB_EEENS0_18inequality_wrapperIN6hipcub16HIPCUB_304000_NS8EqualityEEEPlJS6_EEE10hipError_tPvRmT3_T4_T5_T6_T7_T9_mT8_P12ihipStream_tbDpT10_ENKUlT_T0_E_clISt17integral_constantIbLb1EES16_IbLb0EEEEDaS12_S13_EUlS12_E_NS1_11comp_targetILNS1_3genE3ELNS1_11target_archE908ELNS1_3gpuE7ELNS1_3repE0EEENS1_30default_config_static_selectorELNS0_4arch9wavefront6targetE1EEEvT1_, .Lfunc_end774-_ZN7rocprim17ROCPRIM_400000_NS6detail17trampoline_kernelINS0_14default_configENS1_25partition_config_selectorILNS1_17partition_subalgoE8EtNS0_10empty_typeEbEEZZNS1_14partition_implILS5_8ELb0ES3_jPKtPS6_PKS6_NS0_5tupleIJPtS6_EEENSE_IJSB_SB_EEENS0_18inequality_wrapperIN6hipcub16HIPCUB_304000_NS8EqualityEEEPlJS6_EEE10hipError_tPvRmT3_T4_T5_T6_T7_T9_mT8_P12ihipStream_tbDpT10_ENKUlT_T0_E_clISt17integral_constantIbLb1EES16_IbLb0EEEEDaS12_S13_EUlS12_E_NS1_11comp_targetILNS1_3genE3ELNS1_11target_archE908ELNS1_3gpuE7ELNS1_3repE0EEENS1_30default_config_static_selectorELNS0_4arch9wavefront6targetE1EEEvT1_
                                        ; -- End function
	.section	.AMDGPU.csdata,"",@progbits
; Kernel info:
; codeLenInByte = 0
; NumSgprs: 4
; NumVgprs: 0
; NumAgprs: 0
; TotalNumVgprs: 0
; ScratchSize: 0
; MemoryBound: 0
; FloatMode: 240
; IeeeMode: 1
; LDSByteSize: 0 bytes/workgroup (compile time only)
; SGPRBlocks: 0
; VGPRBlocks: 0
; NumSGPRsForWavesPerEU: 4
; NumVGPRsForWavesPerEU: 1
; AccumOffset: 4
; Occupancy: 8
; WaveLimiterHint : 0
; COMPUTE_PGM_RSRC2:SCRATCH_EN: 0
; COMPUTE_PGM_RSRC2:USER_SGPR: 6
; COMPUTE_PGM_RSRC2:TRAP_HANDLER: 0
; COMPUTE_PGM_RSRC2:TGID_X_EN: 1
; COMPUTE_PGM_RSRC2:TGID_Y_EN: 0
; COMPUTE_PGM_RSRC2:TGID_Z_EN: 0
; COMPUTE_PGM_RSRC2:TIDIG_COMP_CNT: 0
; COMPUTE_PGM_RSRC3_GFX90A:ACCUM_OFFSET: 0
; COMPUTE_PGM_RSRC3_GFX90A:TG_SPLIT: 0
	.section	.text._ZN7rocprim17ROCPRIM_400000_NS6detail17trampoline_kernelINS0_14default_configENS1_25partition_config_selectorILNS1_17partition_subalgoE8EtNS0_10empty_typeEbEEZZNS1_14partition_implILS5_8ELb0ES3_jPKtPS6_PKS6_NS0_5tupleIJPtS6_EEENSE_IJSB_SB_EEENS0_18inequality_wrapperIN6hipcub16HIPCUB_304000_NS8EqualityEEEPlJS6_EEE10hipError_tPvRmT3_T4_T5_T6_T7_T9_mT8_P12ihipStream_tbDpT10_ENKUlT_T0_E_clISt17integral_constantIbLb1EES16_IbLb0EEEEDaS12_S13_EUlS12_E_NS1_11comp_targetILNS1_3genE2ELNS1_11target_archE906ELNS1_3gpuE6ELNS1_3repE0EEENS1_30default_config_static_selectorELNS0_4arch9wavefront6targetE1EEEvT1_,"axG",@progbits,_ZN7rocprim17ROCPRIM_400000_NS6detail17trampoline_kernelINS0_14default_configENS1_25partition_config_selectorILNS1_17partition_subalgoE8EtNS0_10empty_typeEbEEZZNS1_14partition_implILS5_8ELb0ES3_jPKtPS6_PKS6_NS0_5tupleIJPtS6_EEENSE_IJSB_SB_EEENS0_18inequality_wrapperIN6hipcub16HIPCUB_304000_NS8EqualityEEEPlJS6_EEE10hipError_tPvRmT3_T4_T5_T6_T7_T9_mT8_P12ihipStream_tbDpT10_ENKUlT_T0_E_clISt17integral_constantIbLb1EES16_IbLb0EEEEDaS12_S13_EUlS12_E_NS1_11comp_targetILNS1_3genE2ELNS1_11target_archE906ELNS1_3gpuE6ELNS1_3repE0EEENS1_30default_config_static_selectorELNS0_4arch9wavefront6targetE1EEEvT1_,comdat
	.protected	_ZN7rocprim17ROCPRIM_400000_NS6detail17trampoline_kernelINS0_14default_configENS1_25partition_config_selectorILNS1_17partition_subalgoE8EtNS0_10empty_typeEbEEZZNS1_14partition_implILS5_8ELb0ES3_jPKtPS6_PKS6_NS0_5tupleIJPtS6_EEENSE_IJSB_SB_EEENS0_18inequality_wrapperIN6hipcub16HIPCUB_304000_NS8EqualityEEEPlJS6_EEE10hipError_tPvRmT3_T4_T5_T6_T7_T9_mT8_P12ihipStream_tbDpT10_ENKUlT_T0_E_clISt17integral_constantIbLb1EES16_IbLb0EEEEDaS12_S13_EUlS12_E_NS1_11comp_targetILNS1_3genE2ELNS1_11target_archE906ELNS1_3gpuE6ELNS1_3repE0EEENS1_30default_config_static_selectorELNS0_4arch9wavefront6targetE1EEEvT1_ ; -- Begin function _ZN7rocprim17ROCPRIM_400000_NS6detail17trampoline_kernelINS0_14default_configENS1_25partition_config_selectorILNS1_17partition_subalgoE8EtNS0_10empty_typeEbEEZZNS1_14partition_implILS5_8ELb0ES3_jPKtPS6_PKS6_NS0_5tupleIJPtS6_EEENSE_IJSB_SB_EEENS0_18inequality_wrapperIN6hipcub16HIPCUB_304000_NS8EqualityEEEPlJS6_EEE10hipError_tPvRmT3_T4_T5_T6_T7_T9_mT8_P12ihipStream_tbDpT10_ENKUlT_T0_E_clISt17integral_constantIbLb1EES16_IbLb0EEEEDaS12_S13_EUlS12_E_NS1_11comp_targetILNS1_3genE2ELNS1_11target_archE906ELNS1_3gpuE6ELNS1_3repE0EEENS1_30default_config_static_selectorELNS0_4arch9wavefront6targetE1EEEvT1_
	.globl	_ZN7rocprim17ROCPRIM_400000_NS6detail17trampoline_kernelINS0_14default_configENS1_25partition_config_selectorILNS1_17partition_subalgoE8EtNS0_10empty_typeEbEEZZNS1_14partition_implILS5_8ELb0ES3_jPKtPS6_PKS6_NS0_5tupleIJPtS6_EEENSE_IJSB_SB_EEENS0_18inequality_wrapperIN6hipcub16HIPCUB_304000_NS8EqualityEEEPlJS6_EEE10hipError_tPvRmT3_T4_T5_T6_T7_T9_mT8_P12ihipStream_tbDpT10_ENKUlT_T0_E_clISt17integral_constantIbLb1EES16_IbLb0EEEEDaS12_S13_EUlS12_E_NS1_11comp_targetILNS1_3genE2ELNS1_11target_archE906ELNS1_3gpuE6ELNS1_3repE0EEENS1_30default_config_static_selectorELNS0_4arch9wavefront6targetE1EEEvT1_
	.p2align	8
	.type	_ZN7rocprim17ROCPRIM_400000_NS6detail17trampoline_kernelINS0_14default_configENS1_25partition_config_selectorILNS1_17partition_subalgoE8EtNS0_10empty_typeEbEEZZNS1_14partition_implILS5_8ELb0ES3_jPKtPS6_PKS6_NS0_5tupleIJPtS6_EEENSE_IJSB_SB_EEENS0_18inequality_wrapperIN6hipcub16HIPCUB_304000_NS8EqualityEEEPlJS6_EEE10hipError_tPvRmT3_T4_T5_T6_T7_T9_mT8_P12ihipStream_tbDpT10_ENKUlT_T0_E_clISt17integral_constantIbLb1EES16_IbLb0EEEEDaS12_S13_EUlS12_E_NS1_11comp_targetILNS1_3genE2ELNS1_11target_archE906ELNS1_3gpuE6ELNS1_3repE0EEENS1_30default_config_static_selectorELNS0_4arch9wavefront6targetE1EEEvT1_,@function
_ZN7rocprim17ROCPRIM_400000_NS6detail17trampoline_kernelINS0_14default_configENS1_25partition_config_selectorILNS1_17partition_subalgoE8EtNS0_10empty_typeEbEEZZNS1_14partition_implILS5_8ELb0ES3_jPKtPS6_PKS6_NS0_5tupleIJPtS6_EEENSE_IJSB_SB_EEENS0_18inequality_wrapperIN6hipcub16HIPCUB_304000_NS8EqualityEEEPlJS6_EEE10hipError_tPvRmT3_T4_T5_T6_T7_T9_mT8_P12ihipStream_tbDpT10_ENKUlT_T0_E_clISt17integral_constantIbLb1EES16_IbLb0EEEEDaS12_S13_EUlS12_E_NS1_11comp_targetILNS1_3genE2ELNS1_11target_archE906ELNS1_3gpuE6ELNS1_3repE0EEENS1_30default_config_static_selectorELNS0_4arch9wavefront6targetE1EEEvT1_: ; @_ZN7rocprim17ROCPRIM_400000_NS6detail17trampoline_kernelINS0_14default_configENS1_25partition_config_selectorILNS1_17partition_subalgoE8EtNS0_10empty_typeEbEEZZNS1_14partition_implILS5_8ELb0ES3_jPKtPS6_PKS6_NS0_5tupleIJPtS6_EEENSE_IJSB_SB_EEENS0_18inequality_wrapperIN6hipcub16HIPCUB_304000_NS8EqualityEEEPlJS6_EEE10hipError_tPvRmT3_T4_T5_T6_T7_T9_mT8_P12ihipStream_tbDpT10_ENKUlT_T0_E_clISt17integral_constantIbLb1EES16_IbLb0EEEEDaS12_S13_EUlS12_E_NS1_11comp_targetILNS1_3genE2ELNS1_11target_archE906ELNS1_3gpuE6ELNS1_3repE0EEENS1_30default_config_static_selectorELNS0_4arch9wavefront6targetE1EEEvT1_
; %bb.0:
	.section	.rodata,"a",@progbits
	.p2align	6, 0x0
	.amdhsa_kernel _ZN7rocprim17ROCPRIM_400000_NS6detail17trampoline_kernelINS0_14default_configENS1_25partition_config_selectorILNS1_17partition_subalgoE8EtNS0_10empty_typeEbEEZZNS1_14partition_implILS5_8ELb0ES3_jPKtPS6_PKS6_NS0_5tupleIJPtS6_EEENSE_IJSB_SB_EEENS0_18inequality_wrapperIN6hipcub16HIPCUB_304000_NS8EqualityEEEPlJS6_EEE10hipError_tPvRmT3_T4_T5_T6_T7_T9_mT8_P12ihipStream_tbDpT10_ENKUlT_T0_E_clISt17integral_constantIbLb1EES16_IbLb0EEEEDaS12_S13_EUlS12_E_NS1_11comp_targetILNS1_3genE2ELNS1_11target_archE906ELNS1_3gpuE6ELNS1_3repE0EEENS1_30default_config_static_selectorELNS0_4arch9wavefront6targetE1EEEvT1_
		.amdhsa_group_segment_fixed_size 0
		.amdhsa_private_segment_fixed_size 0
		.amdhsa_kernarg_size 112
		.amdhsa_user_sgpr_count 6
		.amdhsa_user_sgpr_private_segment_buffer 1
		.amdhsa_user_sgpr_dispatch_ptr 0
		.amdhsa_user_sgpr_queue_ptr 0
		.amdhsa_user_sgpr_kernarg_segment_ptr 1
		.amdhsa_user_sgpr_dispatch_id 0
		.amdhsa_user_sgpr_flat_scratch_init 0
		.amdhsa_user_sgpr_kernarg_preload_length 0
		.amdhsa_user_sgpr_kernarg_preload_offset 0
		.amdhsa_user_sgpr_private_segment_size 0
		.amdhsa_uses_dynamic_stack 0
		.amdhsa_system_sgpr_private_segment_wavefront_offset 0
		.amdhsa_system_sgpr_workgroup_id_x 1
		.amdhsa_system_sgpr_workgroup_id_y 0
		.amdhsa_system_sgpr_workgroup_id_z 0
		.amdhsa_system_sgpr_workgroup_info 0
		.amdhsa_system_vgpr_workitem_id 0
		.amdhsa_next_free_vgpr 1
		.amdhsa_next_free_sgpr 0
		.amdhsa_accum_offset 4
		.amdhsa_reserve_vcc 0
		.amdhsa_reserve_flat_scratch 0
		.amdhsa_float_round_mode_32 0
		.amdhsa_float_round_mode_16_64 0
		.amdhsa_float_denorm_mode_32 3
		.amdhsa_float_denorm_mode_16_64 3
		.amdhsa_dx10_clamp 1
		.amdhsa_ieee_mode 1
		.amdhsa_fp16_overflow 0
		.amdhsa_tg_split 0
		.amdhsa_exception_fp_ieee_invalid_op 0
		.amdhsa_exception_fp_denorm_src 0
		.amdhsa_exception_fp_ieee_div_zero 0
		.amdhsa_exception_fp_ieee_overflow 0
		.amdhsa_exception_fp_ieee_underflow 0
		.amdhsa_exception_fp_ieee_inexact 0
		.amdhsa_exception_int_div_zero 0
	.end_amdhsa_kernel
	.section	.text._ZN7rocprim17ROCPRIM_400000_NS6detail17trampoline_kernelINS0_14default_configENS1_25partition_config_selectorILNS1_17partition_subalgoE8EtNS0_10empty_typeEbEEZZNS1_14partition_implILS5_8ELb0ES3_jPKtPS6_PKS6_NS0_5tupleIJPtS6_EEENSE_IJSB_SB_EEENS0_18inequality_wrapperIN6hipcub16HIPCUB_304000_NS8EqualityEEEPlJS6_EEE10hipError_tPvRmT3_T4_T5_T6_T7_T9_mT8_P12ihipStream_tbDpT10_ENKUlT_T0_E_clISt17integral_constantIbLb1EES16_IbLb0EEEEDaS12_S13_EUlS12_E_NS1_11comp_targetILNS1_3genE2ELNS1_11target_archE906ELNS1_3gpuE6ELNS1_3repE0EEENS1_30default_config_static_selectorELNS0_4arch9wavefront6targetE1EEEvT1_,"axG",@progbits,_ZN7rocprim17ROCPRIM_400000_NS6detail17trampoline_kernelINS0_14default_configENS1_25partition_config_selectorILNS1_17partition_subalgoE8EtNS0_10empty_typeEbEEZZNS1_14partition_implILS5_8ELb0ES3_jPKtPS6_PKS6_NS0_5tupleIJPtS6_EEENSE_IJSB_SB_EEENS0_18inequality_wrapperIN6hipcub16HIPCUB_304000_NS8EqualityEEEPlJS6_EEE10hipError_tPvRmT3_T4_T5_T6_T7_T9_mT8_P12ihipStream_tbDpT10_ENKUlT_T0_E_clISt17integral_constantIbLb1EES16_IbLb0EEEEDaS12_S13_EUlS12_E_NS1_11comp_targetILNS1_3genE2ELNS1_11target_archE906ELNS1_3gpuE6ELNS1_3repE0EEENS1_30default_config_static_selectorELNS0_4arch9wavefront6targetE1EEEvT1_,comdat
.Lfunc_end775:
	.size	_ZN7rocprim17ROCPRIM_400000_NS6detail17trampoline_kernelINS0_14default_configENS1_25partition_config_selectorILNS1_17partition_subalgoE8EtNS0_10empty_typeEbEEZZNS1_14partition_implILS5_8ELb0ES3_jPKtPS6_PKS6_NS0_5tupleIJPtS6_EEENSE_IJSB_SB_EEENS0_18inequality_wrapperIN6hipcub16HIPCUB_304000_NS8EqualityEEEPlJS6_EEE10hipError_tPvRmT3_T4_T5_T6_T7_T9_mT8_P12ihipStream_tbDpT10_ENKUlT_T0_E_clISt17integral_constantIbLb1EES16_IbLb0EEEEDaS12_S13_EUlS12_E_NS1_11comp_targetILNS1_3genE2ELNS1_11target_archE906ELNS1_3gpuE6ELNS1_3repE0EEENS1_30default_config_static_selectorELNS0_4arch9wavefront6targetE1EEEvT1_, .Lfunc_end775-_ZN7rocprim17ROCPRIM_400000_NS6detail17trampoline_kernelINS0_14default_configENS1_25partition_config_selectorILNS1_17partition_subalgoE8EtNS0_10empty_typeEbEEZZNS1_14partition_implILS5_8ELb0ES3_jPKtPS6_PKS6_NS0_5tupleIJPtS6_EEENSE_IJSB_SB_EEENS0_18inequality_wrapperIN6hipcub16HIPCUB_304000_NS8EqualityEEEPlJS6_EEE10hipError_tPvRmT3_T4_T5_T6_T7_T9_mT8_P12ihipStream_tbDpT10_ENKUlT_T0_E_clISt17integral_constantIbLb1EES16_IbLb0EEEEDaS12_S13_EUlS12_E_NS1_11comp_targetILNS1_3genE2ELNS1_11target_archE906ELNS1_3gpuE6ELNS1_3repE0EEENS1_30default_config_static_selectorELNS0_4arch9wavefront6targetE1EEEvT1_
                                        ; -- End function
	.section	.AMDGPU.csdata,"",@progbits
; Kernel info:
; codeLenInByte = 0
; NumSgprs: 4
; NumVgprs: 0
; NumAgprs: 0
; TotalNumVgprs: 0
; ScratchSize: 0
; MemoryBound: 0
; FloatMode: 240
; IeeeMode: 1
; LDSByteSize: 0 bytes/workgroup (compile time only)
; SGPRBlocks: 0
; VGPRBlocks: 0
; NumSGPRsForWavesPerEU: 4
; NumVGPRsForWavesPerEU: 1
; AccumOffset: 4
; Occupancy: 8
; WaveLimiterHint : 0
; COMPUTE_PGM_RSRC2:SCRATCH_EN: 0
; COMPUTE_PGM_RSRC2:USER_SGPR: 6
; COMPUTE_PGM_RSRC2:TRAP_HANDLER: 0
; COMPUTE_PGM_RSRC2:TGID_X_EN: 1
; COMPUTE_PGM_RSRC2:TGID_Y_EN: 0
; COMPUTE_PGM_RSRC2:TGID_Z_EN: 0
; COMPUTE_PGM_RSRC2:TIDIG_COMP_CNT: 0
; COMPUTE_PGM_RSRC3_GFX90A:ACCUM_OFFSET: 0
; COMPUTE_PGM_RSRC3_GFX90A:TG_SPLIT: 0
	.section	.text._ZN7rocprim17ROCPRIM_400000_NS6detail17trampoline_kernelINS0_14default_configENS1_25partition_config_selectorILNS1_17partition_subalgoE8EtNS0_10empty_typeEbEEZZNS1_14partition_implILS5_8ELb0ES3_jPKtPS6_PKS6_NS0_5tupleIJPtS6_EEENSE_IJSB_SB_EEENS0_18inequality_wrapperIN6hipcub16HIPCUB_304000_NS8EqualityEEEPlJS6_EEE10hipError_tPvRmT3_T4_T5_T6_T7_T9_mT8_P12ihipStream_tbDpT10_ENKUlT_T0_E_clISt17integral_constantIbLb1EES16_IbLb0EEEEDaS12_S13_EUlS12_E_NS1_11comp_targetILNS1_3genE10ELNS1_11target_archE1200ELNS1_3gpuE4ELNS1_3repE0EEENS1_30default_config_static_selectorELNS0_4arch9wavefront6targetE1EEEvT1_,"axG",@progbits,_ZN7rocprim17ROCPRIM_400000_NS6detail17trampoline_kernelINS0_14default_configENS1_25partition_config_selectorILNS1_17partition_subalgoE8EtNS0_10empty_typeEbEEZZNS1_14partition_implILS5_8ELb0ES3_jPKtPS6_PKS6_NS0_5tupleIJPtS6_EEENSE_IJSB_SB_EEENS0_18inequality_wrapperIN6hipcub16HIPCUB_304000_NS8EqualityEEEPlJS6_EEE10hipError_tPvRmT3_T4_T5_T6_T7_T9_mT8_P12ihipStream_tbDpT10_ENKUlT_T0_E_clISt17integral_constantIbLb1EES16_IbLb0EEEEDaS12_S13_EUlS12_E_NS1_11comp_targetILNS1_3genE10ELNS1_11target_archE1200ELNS1_3gpuE4ELNS1_3repE0EEENS1_30default_config_static_selectorELNS0_4arch9wavefront6targetE1EEEvT1_,comdat
	.protected	_ZN7rocprim17ROCPRIM_400000_NS6detail17trampoline_kernelINS0_14default_configENS1_25partition_config_selectorILNS1_17partition_subalgoE8EtNS0_10empty_typeEbEEZZNS1_14partition_implILS5_8ELb0ES3_jPKtPS6_PKS6_NS0_5tupleIJPtS6_EEENSE_IJSB_SB_EEENS0_18inequality_wrapperIN6hipcub16HIPCUB_304000_NS8EqualityEEEPlJS6_EEE10hipError_tPvRmT3_T4_T5_T6_T7_T9_mT8_P12ihipStream_tbDpT10_ENKUlT_T0_E_clISt17integral_constantIbLb1EES16_IbLb0EEEEDaS12_S13_EUlS12_E_NS1_11comp_targetILNS1_3genE10ELNS1_11target_archE1200ELNS1_3gpuE4ELNS1_3repE0EEENS1_30default_config_static_selectorELNS0_4arch9wavefront6targetE1EEEvT1_ ; -- Begin function _ZN7rocprim17ROCPRIM_400000_NS6detail17trampoline_kernelINS0_14default_configENS1_25partition_config_selectorILNS1_17partition_subalgoE8EtNS0_10empty_typeEbEEZZNS1_14partition_implILS5_8ELb0ES3_jPKtPS6_PKS6_NS0_5tupleIJPtS6_EEENSE_IJSB_SB_EEENS0_18inequality_wrapperIN6hipcub16HIPCUB_304000_NS8EqualityEEEPlJS6_EEE10hipError_tPvRmT3_T4_T5_T6_T7_T9_mT8_P12ihipStream_tbDpT10_ENKUlT_T0_E_clISt17integral_constantIbLb1EES16_IbLb0EEEEDaS12_S13_EUlS12_E_NS1_11comp_targetILNS1_3genE10ELNS1_11target_archE1200ELNS1_3gpuE4ELNS1_3repE0EEENS1_30default_config_static_selectorELNS0_4arch9wavefront6targetE1EEEvT1_
	.globl	_ZN7rocprim17ROCPRIM_400000_NS6detail17trampoline_kernelINS0_14default_configENS1_25partition_config_selectorILNS1_17partition_subalgoE8EtNS0_10empty_typeEbEEZZNS1_14partition_implILS5_8ELb0ES3_jPKtPS6_PKS6_NS0_5tupleIJPtS6_EEENSE_IJSB_SB_EEENS0_18inequality_wrapperIN6hipcub16HIPCUB_304000_NS8EqualityEEEPlJS6_EEE10hipError_tPvRmT3_T4_T5_T6_T7_T9_mT8_P12ihipStream_tbDpT10_ENKUlT_T0_E_clISt17integral_constantIbLb1EES16_IbLb0EEEEDaS12_S13_EUlS12_E_NS1_11comp_targetILNS1_3genE10ELNS1_11target_archE1200ELNS1_3gpuE4ELNS1_3repE0EEENS1_30default_config_static_selectorELNS0_4arch9wavefront6targetE1EEEvT1_
	.p2align	8
	.type	_ZN7rocprim17ROCPRIM_400000_NS6detail17trampoline_kernelINS0_14default_configENS1_25partition_config_selectorILNS1_17partition_subalgoE8EtNS0_10empty_typeEbEEZZNS1_14partition_implILS5_8ELb0ES3_jPKtPS6_PKS6_NS0_5tupleIJPtS6_EEENSE_IJSB_SB_EEENS0_18inequality_wrapperIN6hipcub16HIPCUB_304000_NS8EqualityEEEPlJS6_EEE10hipError_tPvRmT3_T4_T5_T6_T7_T9_mT8_P12ihipStream_tbDpT10_ENKUlT_T0_E_clISt17integral_constantIbLb1EES16_IbLb0EEEEDaS12_S13_EUlS12_E_NS1_11comp_targetILNS1_3genE10ELNS1_11target_archE1200ELNS1_3gpuE4ELNS1_3repE0EEENS1_30default_config_static_selectorELNS0_4arch9wavefront6targetE1EEEvT1_,@function
_ZN7rocprim17ROCPRIM_400000_NS6detail17trampoline_kernelINS0_14default_configENS1_25partition_config_selectorILNS1_17partition_subalgoE8EtNS0_10empty_typeEbEEZZNS1_14partition_implILS5_8ELb0ES3_jPKtPS6_PKS6_NS0_5tupleIJPtS6_EEENSE_IJSB_SB_EEENS0_18inequality_wrapperIN6hipcub16HIPCUB_304000_NS8EqualityEEEPlJS6_EEE10hipError_tPvRmT3_T4_T5_T6_T7_T9_mT8_P12ihipStream_tbDpT10_ENKUlT_T0_E_clISt17integral_constantIbLb1EES16_IbLb0EEEEDaS12_S13_EUlS12_E_NS1_11comp_targetILNS1_3genE10ELNS1_11target_archE1200ELNS1_3gpuE4ELNS1_3repE0EEENS1_30default_config_static_selectorELNS0_4arch9wavefront6targetE1EEEvT1_: ; @_ZN7rocprim17ROCPRIM_400000_NS6detail17trampoline_kernelINS0_14default_configENS1_25partition_config_selectorILNS1_17partition_subalgoE8EtNS0_10empty_typeEbEEZZNS1_14partition_implILS5_8ELb0ES3_jPKtPS6_PKS6_NS0_5tupleIJPtS6_EEENSE_IJSB_SB_EEENS0_18inequality_wrapperIN6hipcub16HIPCUB_304000_NS8EqualityEEEPlJS6_EEE10hipError_tPvRmT3_T4_T5_T6_T7_T9_mT8_P12ihipStream_tbDpT10_ENKUlT_T0_E_clISt17integral_constantIbLb1EES16_IbLb0EEEEDaS12_S13_EUlS12_E_NS1_11comp_targetILNS1_3genE10ELNS1_11target_archE1200ELNS1_3gpuE4ELNS1_3repE0EEENS1_30default_config_static_selectorELNS0_4arch9wavefront6targetE1EEEvT1_
; %bb.0:
	.section	.rodata,"a",@progbits
	.p2align	6, 0x0
	.amdhsa_kernel _ZN7rocprim17ROCPRIM_400000_NS6detail17trampoline_kernelINS0_14default_configENS1_25partition_config_selectorILNS1_17partition_subalgoE8EtNS0_10empty_typeEbEEZZNS1_14partition_implILS5_8ELb0ES3_jPKtPS6_PKS6_NS0_5tupleIJPtS6_EEENSE_IJSB_SB_EEENS0_18inequality_wrapperIN6hipcub16HIPCUB_304000_NS8EqualityEEEPlJS6_EEE10hipError_tPvRmT3_T4_T5_T6_T7_T9_mT8_P12ihipStream_tbDpT10_ENKUlT_T0_E_clISt17integral_constantIbLb1EES16_IbLb0EEEEDaS12_S13_EUlS12_E_NS1_11comp_targetILNS1_3genE10ELNS1_11target_archE1200ELNS1_3gpuE4ELNS1_3repE0EEENS1_30default_config_static_selectorELNS0_4arch9wavefront6targetE1EEEvT1_
		.amdhsa_group_segment_fixed_size 0
		.amdhsa_private_segment_fixed_size 0
		.amdhsa_kernarg_size 112
		.amdhsa_user_sgpr_count 6
		.amdhsa_user_sgpr_private_segment_buffer 1
		.amdhsa_user_sgpr_dispatch_ptr 0
		.amdhsa_user_sgpr_queue_ptr 0
		.amdhsa_user_sgpr_kernarg_segment_ptr 1
		.amdhsa_user_sgpr_dispatch_id 0
		.amdhsa_user_sgpr_flat_scratch_init 0
		.amdhsa_user_sgpr_kernarg_preload_length 0
		.amdhsa_user_sgpr_kernarg_preload_offset 0
		.amdhsa_user_sgpr_private_segment_size 0
		.amdhsa_uses_dynamic_stack 0
		.amdhsa_system_sgpr_private_segment_wavefront_offset 0
		.amdhsa_system_sgpr_workgroup_id_x 1
		.amdhsa_system_sgpr_workgroup_id_y 0
		.amdhsa_system_sgpr_workgroup_id_z 0
		.amdhsa_system_sgpr_workgroup_info 0
		.amdhsa_system_vgpr_workitem_id 0
		.amdhsa_next_free_vgpr 1
		.amdhsa_next_free_sgpr 0
		.amdhsa_accum_offset 4
		.amdhsa_reserve_vcc 0
		.amdhsa_reserve_flat_scratch 0
		.amdhsa_float_round_mode_32 0
		.amdhsa_float_round_mode_16_64 0
		.amdhsa_float_denorm_mode_32 3
		.amdhsa_float_denorm_mode_16_64 3
		.amdhsa_dx10_clamp 1
		.amdhsa_ieee_mode 1
		.amdhsa_fp16_overflow 0
		.amdhsa_tg_split 0
		.amdhsa_exception_fp_ieee_invalid_op 0
		.amdhsa_exception_fp_denorm_src 0
		.amdhsa_exception_fp_ieee_div_zero 0
		.amdhsa_exception_fp_ieee_overflow 0
		.amdhsa_exception_fp_ieee_underflow 0
		.amdhsa_exception_fp_ieee_inexact 0
		.amdhsa_exception_int_div_zero 0
	.end_amdhsa_kernel
	.section	.text._ZN7rocprim17ROCPRIM_400000_NS6detail17trampoline_kernelINS0_14default_configENS1_25partition_config_selectorILNS1_17partition_subalgoE8EtNS0_10empty_typeEbEEZZNS1_14partition_implILS5_8ELb0ES3_jPKtPS6_PKS6_NS0_5tupleIJPtS6_EEENSE_IJSB_SB_EEENS0_18inequality_wrapperIN6hipcub16HIPCUB_304000_NS8EqualityEEEPlJS6_EEE10hipError_tPvRmT3_T4_T5_T6_T7_T9_mT8_P12ihipStream_tbDpT10_ENKUlT_T0_E_clISt17integral_constantIbLb1EES16_IbLb0EEEEDaS12_S13_EUlS12_E_NS1_11comp_targetILNS1_3genE10ELNS1_11target_archE1200ELNS1_3gpuE4ELNS1_3repE0EEENS1_30default_config_static_selectorELNS0_4arch9wavefront6targetE1EEEvT1_,"axG",@progbits,_ZN7rocprim17ROCPRIM_400000_NS6detail17trampoline_kernelINS0_14default_configENS1_25partition_config_selectorILNS1_17partition_subalgoE8EtNS0_10empty_typeEbEEZZNS1_14partition_implILS5_8ELb0ES3_jPKtPS6_PKS6_NS0_5tupleIJPtS6_EEENSE_IJSB_SB_EEENS0_18inequality_wrapperIN6hipcub16HIPCUB_304000_NS8EqualityEEEPlJS6_EEE10hipError_tPvRmT3_T4_T5_T6_T7_T9_mT8_P12ihipStream_tbDpT10_ENKUlT_T0_E_clISt17integral_constantIbLb1EES16_IbLb0EEEEDaS12_S13_EUlS12_E_NS1_11comp_targetILNS1_3genE10ELNS1_11target_archE1200ELNS1_3gpuE4ELNS1_3repE0EEENS1_30default_config_static_selectorELNS0_4arch9wavefront6targetE1EEEvT1_,comdat
.Lfunc_end776:
	.size	_ZN7rocprim17ROCPRIM_400000_NS6detail17trampoline_kernelINS0_14default_configENS1_25partition_config_selectorILNS1_17partition_subalgoE8EtNS0_10empty_typeEbEEZZNS1_14partition_implILS5_8ELb0ES3_jPKtPS6_PKS6_NS0_5tupleIJPtS6_EEENSE_IJSB_SB_EEENS0_18inequality_wrapperIN6hipcub16HIPCUB_304000_NS8EqualityEEEPlJS6_EEE10hipError_tPvRmT3_T4_T5_T6_T7_T9_mT8_P12ihipStream_tbDpT10_ENKUlT_T0_E_clISt17integral_constantIbLb1EES16_IbLb0EEEEDaS12_S13_EUlS12_E_NS1_11comp_targetILNS1_3genE10ELNS1_11target_archE1200ELNS1_3gpuE4ELNS1_3repE0EEENS1_30default_config_static_selectorELNS0_4arch9wavefront6targetE1EEEvT1_, .Lfunc_end776-_ZN7rocprim17ROCPRIM_400000_NS6detail17trampoline_kernelINS0_14default_configENS1_25partition_config_selectorILNS1_17partition_subalgoE8EtNS0_10empty_typeEbEEZZNS1_14partition_implILS5_8ELb0ES3_jPKtPS6_PKS6_NS0_5tupleIJPtS6_EEENSE_IJSB_SB_EEENS0_18inequality_wrapperIN6hipcub16HIPCUB_304000_NS8EqualityEEEPlJS6_EEE10hipError_tPvRmT3_T4_T5_T6_T7_T9_mT8_P12ihipStream_tbDpT10_ENKUlT_T0_E_clISt17integral_constantIbLb1EES16_IbLb0EEEEDaS12_S13_EUlS12_E_NS1_11comp_targetILNS1_3genE10ELNS1_11target_archE1200ELNS1_3gpuE4ELNS1_3repE0EEENS1_30default_config_static_selectorELNS0_4arch9wavefront6targetE1EEEvT1_
                                        ; -- End function
	.section	.AMDGPU.csdata,"",@progbits
; Kernel info:
; codeLenInByte = 0
; NumSgprs: 4
; NumVgprs: 0
; NumAgprs: 0
; TotalNumVgprs: 0
; ScratchSize: 0
; MemoryBound: 0
; FloatMode: 240
; IeeeMode: 1
; LDSByteSize: 0 bytes/workgroup (compile time only)
; SGPRBlocks: 0
; VGPRBlocks: 0
; NumSGPRsForWavesPerEU: 4
; NumVGPRsForWavesPerEU: 1
; AccumOffset: 4
; Occupancy: 8
; WaveLimiterHint : 0
; COMPUTE_PGM_RSRC2:SCRATCH_EN: 0
; COMPUTE_PGM_RSRC2:USER_SGPR: 6
; COMPUTE_PGM_RSRC2:TRAP_HANDLER: 0
; COMPUTE_PGM_RSRC2:TGID_X_EN: 1
; COMPUTE_PGM_RSRC2:TGID_Y_EN: 0
; COMPUTE_PGM_RSRC2:TGID_Z_EN: 0
; COMPUTE_PGM_RSRC2:TIDIG_COMP_CNT: 0
; COMPUTE_PGM_RSRC3_GFX90A:ACCUM_OFFSET: 0
; COMPUTE_PGM_RSRC3_GFX90A:TG_SPLIT: 0
	.section	.text._ZN7rocprim17ROCPRIM_400000_NS6detail17trampoline_kernelINS0_14default_configENS1_25partition_config_selectorILNS1_17partition_subalgoE8EtNS0_10empty_typeEbEEZZNS1_14partition_implILS5_8ELb0ES3_jPKtPS6_PKS6_NS0_5tupleIJPtS6_EEENSE_IJSB_SB_EEENS0_18inequality_wrapperIN6hipcub16HIPCUB_304000_NS8EqualityEEEPlJS6_EEE10hipError_tPvRmT3_T4_T5_T6_T7_T9_mT8_P12ihipStream_tbDpT10_ENKUlT_T0_E_clISt17integral_constantIbLb1EES16_IbLb0EEEEDaS12_S13_EUlS12_E_NS1_11comp_targetILNS1_3genE9ELNS1_11target_archE1100ELNS1_3gpuE3ELNS1_3repE0EEENS1_30default_config_static_selectorELNS0_4arch9wavefront6targetE1EEEvT1_,"axG",@progbits,_ZN7rocprim17ROCPRIM_400000_NS6detail17trampoline_kernelINS0_14default_configENS1_25partition_config_selectorILNS1_17partition_subalgoE8EtNS0_10empty_typeEbEEZZNS1_14partition_implILS5_8ELb0ES3_jPKtPS6_PKS6_NS0_5tupleIJPtS6_EEENSE_IJSB_SB_EEENS0_18inequality_wrapperIN6hipcub16HIPCUB_304000_NS8EqualityEEEPlJS6_EEE10hipError_tPvRmT3_T4_T5_T6_T7_T9_mT8_P12ihipStream_tbDpT10_ENKUlT_T0_E_clISt17integral_constantIbLb1EES16_IbLb0EEEEDaS12_S13_EUlS12_E_NS1_11comp_targetILNS1_3genE9ELNS1_11target_archE1100ELNS1_3gpuE3ELNS1_3repE0EEENS1_30default_config_static_selectorELNS0_4arch9wavefront6targetE1EEEvT1_,comdat
	.protected	_ZN7rocprim17ROCPRIM_400000_NS6detail17trampoline_kernelINS0_14default_configENS1_25partition_config_selectorILNS1_17partition_subalgoE8EtNS0_10empty_typeEbEEZZNS1_14partition_implILS5_8ELb0ES3_jPKtPS6_PKS6_NS0_5tupleIJPtS6_EEENSE_IJSB_SB_EEENS0_18inequality_wrapperIN6hipcub16HIPCUB_304000_NS8EqualityEEEPlJS6_EEE10hipError_tPvRmT3_T4_T5_T6_T7_T9_mT8_P12ihipStream_tbDpT10_ENKUlT_T0_E_clISt17integral_constantIbLb1EES16_IbLb0EEEEDaS12_S13_EUlS12_E_NS1_11comp_targetILNS1_3genE9ELNS1_11target_archE1100ELNS1_3gpuE3ELNS1_3repE0EEENS1_30default_config_static_selectorELNS0_4arch9wavefront6targetE1EEEvT1_ ; -- Begin function _ZN7rocprim17ROCPRIM_400000_NS6detail17trampoline_kernelINS0_14default_configENS1_25partition_config_selectorILNS1_17partition_subalgoE8EtNS0_10empty_typeEbEEZZNS1_14partition_implILS5_8ELb0ES3_jPKtPS6_PKS6_NS0_5tupleIJPtS6_EEENSE_IJSB_SB_EEENS0_18inequality_wrapperIN6hipcub16HIPCUB_304000_NS8EqualityEEEPlJS6_EEE10hipError_tPvRmT3_T4_T5_T6_T7_T9_mT8_P12ihipStream_tbDpT10_ENKUlT_T0_E_clISt17integral_constantIbLb1EES16_IbLb0EEEEDaS12_S13_EUlS12_E_NS1_11comp_targetILNS1_3genE9ELNS1_11target_archE1100ELNS1_3gpuE3ELNS1_3repE0EEENS1_30default_config_static_selectorELNS0_4arch9wavefront6targetE1EEEvT1_
	.globl	_ZN7rocprim17ROCPRIM_400000_NS6detail17trampoline_kernelINS0_14default_configENS1_25partition_config_selectorILNS1_17partition_subalgoE8EtNS0_10empty_typeEbEEZZNS1_14partition_implILS5_8ELb0ES3_jPKtPS6_PKS6_NS0_5tupleIJPtS6_EEENSE_IJSB_SB_EEENS0_18inequality_wrapperIN6hipcub16HIPCUB_304000_NS8EqualityEEEPlJS6_EEE10hipError_tPvRmT3_T4_T5_T6_T7_T9_mT8_P12ihipStream_tbDpT10_ENKUlT_T0_E_clISt17integral_constantIbLb1EES16_IbLb0EEEEDaS12_S13_EUlS12_E_NS1_11comp_targetILNS1_3genE9ELNS1_11target_archE1100ELNS1_3gpuE3ELNS1_3repE0EEENS1_30default_config_static_selectorELNS0_4arch9wavefront6targetE1EEEvT1_
	.p2align	8
	.type	_ZN7rocprim17ROCPRIM_400000_NS6detail17trampoline_kernelINS0_14default_configENS1_25partition_config_selectorILNS1_17partition_subalgoE8EtNS0_10empty_typeEbEEZZNS1_14partition_implILS5_8ELb0ES3_jPKtPS6_PKS6_NS0_5tupleIJPtS6_EEENSE_IJSB_SB_EEENS0_18inequality_wrapperIN6hipcub16HIPCUB_304000_NS8EqualityEEEPlJS6_EEE10hipError_tPvRmT3_T4_T5_T6_T7_T9_mT8_P12ihipStream_tbDpT10_ENKUlT_T0_E_clISt17integral_constantIbLb1EES16_IbLb0EEEEDaS12_S13_EUlS12_E_NS1_11comp_targetILNS1_3genE9ELNS1_11target_archE1100ELNS1_3gpuE3ELNS1_3repE0EEENS1_30default_config_static_selectorELNS0_4arch9wavefront6targetE1EEEvT1_,@function
_ZN7rocprim17ROCPRIM_400000_NS6detail17trampoline_kernelINS0_14default_configENS1_25partition_config_selectorILNS1_17partition_subalgoE8EtNS0_10empty_typeEbEEZZNS1_14partition_implILS5_8ELb0ES3_jPKtPS6_PKS6_NS0_5tupleIJPtS6_EEENSE_IJSB_SB_EEENS0_18inequality_wrapperIN6hipcub16HIPCUB_304000_NS8EqualityEEEPlJS6_EEE10hipError_tPvRmT3_T4_T5_T6_T7_T9_mT8_P12ihipStream_tbDpT10_ENKUlT_T0_E_clISt17integral_constantIbLb1EES16_IbLb0EEEEDaS12_S13_EUlS12_E_NS1_11comp_targetILNS1_3genE9ELNS1_11target_archE1100ELNS1_3gpuE3ELNS1_3repE0EEENS1_30default_config_static_selectorELNS0_4arch9wavefront6targetE1EEEvT1_: ; @_ZN7rocprim17ROCPRIM_400000_NS6detail17trampoline_kernelINS0_14default_configENS1_25partition_config_selectorILNS1_17partition_subalgoE8EtNS0_10empty_typeEbEEZZNS1_14partition_implILS5_8ELb0ES3_jPKtPS6_PKS6_NS0_5tupleIJPtS6_EEENSE_IJSB_SB_EEENS0_18inequality_wrapperIN6hipcub16HIPCUB_304000_NS8EqualityEEEPlJS6_EEE10hipError_tPvRmT3_T4_T5_T6_T7_T9_mT8_P12ihipStream_tbDpT10_ENKUlT_T0_E_clISt17integral_constantIbLb1EES16_IbLb0EEEEDaS12_S13_EUlS12_E_NS1_11comp_targetILNS1_3genE9ELNS1_11target_archE1100ELNS1_3gpuE3ELNS1_3repE0EEENS1_30default_config_static_selectorELNS0_4arch9wavefront6targetE1EEEvT1_
; %bb.0:
	.section	.rodata,"a",@progbits
	.p2align	6, 0x0
	.amdhsa_kernel _ZN7rocprim17ROCPRIM_400000_NS6detail17trampoline_kernelINS0_14default_configENS1_25partition_config_selectorILNS1_17partition_subalgoE8EtNS0_10empty_typeEbEEZZNS1_14partition_implILS5_8ELb0ES3_jPKtPS6_PKS6_NS0_5tupleIJPtS6_EEENSE_IJSB_SB_EEENS0_18inequality_wrapperIN6hipcub16HIPCUB_304000_NS8EqualityEEEPlJS6_EEE10hipError_tPvRmT3_T4_T5_T6_T7_T9_mT8_P12ihipStream_tbDpT10_ENKUlT_T0_E_clISt17integral_constantIbLb1EES16_IbLb0EEEEDaS12_S13_EUlS12_E_NS1_11comp_targetILNS1_3genE9ELNS1_11target_archE1100ELNS1_3gpuE3ELNS1_3repE0EEENS1_30default_config_static_selectorELNS0_4arch9wavefront6targetE1EEEvT1_
		.amdhsa_group_segment_fixed_size 0
		.amdhsa_private_segment_fixed_size 0
		.amdhsa_kernarg_size 112
		.amdhsa_user_sgpr_count 6
		.amdhsa_user_sgpr_private_segment_buffer 1
		.amdhsa_user_sgpr_dispatch_ptr 0
		.amdhsa_user_sgpr_queue_ptr 0
		.amdhsa_user_sgpr_kernarg_segment_ptr 1
		.amdhsa_user_sgpr_dispatch_id 0
		.amdhsa_user_sgpr_flat_scratch_init 0
		.amdhsa_user_sgpr_kernarg_preload_length 0
		.amdhsa_user_sgpr_kernarg_preload_offset 0
		.amdhsa_user_sgpr_private_segment_size 0
		.amdhsa_uses_dynamic_stack 0
		.amdhsa_system_sgpr_private_segment_wavefront_offset 0
		.amdhsa_system_sgpr_workgroup_id_x 1
		.amdhsa_system_sgpr_workgroup_id_y 0
		.amdhsa_system_sgpr_workgroup_id_z 0
		.amdhsa_system_sgpr_workgroup_info 0
		.amdhsa_system_vgpr_workitem_id 0
		.amdhsa_next_free_vgpr 1
		.amdhsa_next_free_sgpr 0
		.amdhsa_accum_offset 4
		.amdhsa_reserve_vcc 0
		.amdhsa_reserve_flat_scratch 0
		.amdhsa_float_round_mode_32 0
		.amdhsa_float_round_mode_16_64 0
		.amdhsa_float_denorm_mode_32 3
		.amdhsa_float_denorm_mode_16_64 3
		.amdhsa_dx10_clamp 1
		.amdhsa_ieee_mode 1
		.amdhsa_fp16_overflow 0
		.amdhsa_tg_split 0
		.amdhsa_exception_fp_ieee_invalid_op 0
		.amdhsa_exception_fp_denorm_src 0
		.amdhsa_exception_fp_ieee_div_zero 0
		.amdhsa_exception_fp_ieee_overflow 0
		.amdhsa_exception_fp_ieee_underflow 0
		.amdhsa_exception_fp_ieee_inexact 0
		.amdhsa_exception_int_div_zero 0
	.end_amdhsa_kernel
	.section	.text._ZN7rocprim17ROCPRIM_400000_NS6detail17trampoline_kernelINS0_14default_configENS1_25partition_config_selectorILNS1_17partition_subalgoE8EtNS0_10empty_typeEbEEZZNS1_14partition_implILS5_8ELb0ES3_jPKtPS6_PKS6_NS0_5tupleIJPtS6_EEENSE_IJSB_SB_EEENS0_18inequality_wrapperIN6hipcub16HIPCUB_304000_NS8EqualityEEEPlJS6_EEE10hipError_tPvRmT3_T4_T5_T6_T7_T9_mT8_P12ihipStream_tbDpT10_ENKUlT_T0_E_clISt17integral_constantIbLb1EES16_IbLb0EEEEDaS12_S13_EUlS12_E_NS1_11comp_targetILNS1_3genE9ELNS1_11target_archE1100ELNS1_3gpuE3ELNS1_3repE0EEENS1_30default_config_static_selectorELNS0_4arch9wavefront6targetE1EEEvT1_,"axG",@progbits,_ZN7rocprim17ROCPRIM_400000_NS6detail17trampoline_kernelINS0_14default_configENS1_25partition_config_selectorILNS1_17partition_subalgoE8EtNS0_10empty_typeEbEEZZNS1_14partition_implILS5_8ELb0ES3_jPKtPS6_PKS6_NS0_5tupleIJPtS6_EEENSE_IJSB_SB_EEENS0_18inequality_wrapperIN6hipcub16HIPCUB_304000_NS8EqualityEEEPlJS6_EEE10hipError_tPvRmT3_T4_T5_T6_T7_T9_mT8_P12ihipStream_tbDpT10_ENKUlT_T0_E_clISt17integral_constantIbLb1EES16_IbLb0EEEEDaS12_S13_EUlS12_E_NS1_11comp_targetILNS1_3genE9ELNS1_11target_archE1100ELNS1_3gpuE3ELNS1_3repE0EEENS1_30default_config_static_selectorELNS0_4arch9wavefront6targetE1EEEvT1_,comdat
.Lfunc_end777:
	.size	_ZN7rocprim17ROCPRIM_400000_NS6detail17trampoline_kernelINS0_14default_configENS1_25partition_config_selectorILNS1_17partition_subalgoE8EtNS0_10empty_typeEbEEZZNS1_14partition_implILS5_8ELb0ES3_jPKtPS6_PKS6_NS0_5tupleIJPtS6_EEENSE_IJSB_SB_EEENS0_18inequality_wrapperIN6hipcub16HIPCUB_304000_NS8EqualityEEEPlJS6_EEE10hipError_tPvRmT3_T4_T5_T6_T7_T9_mT8_P12ihipStream_tbDpT10_ENKUlT_T0_E_clISt17integral_constantIbLb1EES16_IbLb0EEEEDaS12_S13_EUlS12_E_NS1_11comp_targetILNS1_3genE9ELNS1_11target_archE1100ELNS1_3gpuE3ELNS1_3repE0EEENS1_30default_config_static_selectorELNS0_4arch9wavefront6targetE1EEEvT1_, .Lfunc_end777-_ZN7rocprim17ROCPRIM_400000_NS6detail17trampoline_kernelINS0_14default_configENS1_25partition_config_selectorILNS1_17partition_subalgoE8EtNS0_10empty_typeEbEEZZNS1_14partition_implILS5_8ELb0ES3_jPKtPS6_PKS6_NS0_5tupleIJPtS6_EEENSE_IJSB_SB_EEENS0_18inequality_wrapperIN6hipcub16HIPCUB_304000_NS8EqualityEEEPlJS6_EEE10hipError_tPvRmT3_T4_T5_T6_T7_T9_mT8_P12ihipStream_tbDpT10_ENKUlT_T0_E_clISt17integral_constantIbLb1EES16_IbLb0EEEEDaS12_S13_EUlS12_E_NS1_11comp_targetILNS1_3genE9ELNS1_11target_archE1100ELNS1_3gpuE3ELNS1_3repE0EEENS1_30default_config_static_selectorELNS0_4arch9wavefront6targetE1EEEvT1_
                                        ; -- End function
	.section	.AMDGPU.csdata,"",@progbits
; Kernel info:
; codeLenInByte = 0
; NumSgprs: 4
; NumVgprs: 0
; NumAgprs: 0
; TotalNumVgprs: 0
; ScratchSize: 0
; MemoryBound: 0
; FloatMode: 240
; IeeeMode: 1
; LDSByteSize: 0 bytes/workgroup (compile time only)
; SGPRBlocks: 0
; VGPRBlocks: 0
; NumSGPRsForWavesPerEU: 4
; NumVGPRsForWavesPerEU: 1
; AccumOffset: 4
; Occupancy: 8
; WaveLimiterHint : 0
; COMPUTE_PGM_RSRC2:SCRATCH_EN: 0
; COMPUTE_PGM_RSRC2:USER_SGPR: 6
; COMPUTE_PGM_RSRC2:TRAP_HANDLER: 0
; COMPUTE_PGM_RSRC2:TGID_X_EN: 1
; COMPUTE_PGM_RSRC2:TGID_Y_EN: 0
; COMPUTE_PGM_RSRC2:TGID_Z_EN: 0
; COMPUTE_PGM_RSRC2:TIDIG_COMP_CNT: 0
; COMPUTE_PGM_RSRC3_GFX90A:ACCUM_OFFSET: 0
; COMPUTE_PGM_RSRC3_GFX90A:TG_SPLIT: 0
	.section	.text._ZN7rocprim17ROCPRIM_400000_NS6detail17trampoline_kernelINS0_14default_configENS1_25partition_config_selectorILNS1_17partition_subalgoE8EtNS0_10empty_typeEbEEZZNS1_14partition_implILS5_8ELb0ES3_jPKtPS6_PKS6_NS0_5tupleIJPtS6_EEENSE_IJSB_SB_EEENS0_18inequality_wrapperIN6hipcub16HIPCUB_304000_NS8EqualityEEEPlJS6_EEE10hipError_tPvRmT3_T4_T5_T6_T7_T9_mT8_P12ihipStream_tbDpT10_ENKUlT_T0_E_clISt17integral_constantIbLb1EES16_IbLb0EEEEDaS12_S13_EUlS12_E_NS1_11comp_targetILNS1_3genE8ELNS1_11target_archE1030ELNS1_3gpuE2ELNS1_3repE0EEENS1_30default_config_static_selectorELNS0_4arch9wavefront6targetE1EEEvT1_,"axG",@progbits,_ZN7rocprim17ROCPRIM_400000_NS6detail17trampoline_kernelINS0_14default_configENS1_25partition_config_selectorILNS1_17partition_subalgoE8EtNS0_10empty_typeEbEEZZNS1_14partition_implILS5_8ELb0ES3_jPKtPS6_PKS6_NS0_5tupleIJPtS6_EEENSE_IJSB_SB_EEENS0_18inequality_wrapperIN6hipcub16HIPCUB_304000_NS8EqualityEEEPlJS6_EEE10hipError_tPvRmT3_T4_T5_T6_T7_T9_mT8_P12ihipStream_tbDpT10_ENKUlT_T0_E_clISt17integral_constantIbLb1EES16_IbLb0EEEEDaS12_S13_EUlS12_E_NS1_11comp_targetILNS1_3genE8ELNS1_11target_archE1030ELNS1_3gpuE2ELNS1_3repE0EEENS1_30default_config_static_selectorELNS0_4arch9wavefront6targetE1EEEvT1_,comdat
	.protected	_ZN7rocprim17ROCPRIM_400000_NS6detail17trampoline_kernelINS0_14default_configENS1_25partition_config_selectorILNS1_17partition_subalgoE8EtNS0_10empty_typeEbEEZZNS1_14partition_implILS5_8ELb0ES3_jPKtPS6_PKS6_NS0_5tupleIJPtS6_EEENSE_IJSB_SB_EEENS0_18inequality_wrapperIN6hipcub16HIPCUB_304000_NS8EqualityEEEPlJS6_EEE10hipError_tPvRmT3_T4_T5_T6_T7_T9_mT8_P12ihipStream_tbDpT10_ENKUlT_T0_E_clISt17integral_constantIbLb1EES16_IbLb0EEEEDaS12_S13_EUlS12_E_NS1_11comp_targetILNS1_3genE8ELNS1_11target_archE1030ELNS1_3gpuE2ELNS1_3repE0EEENS1_30default_config_static_selectorELNS0_4arch9wavefront6targetE1EEEvT1_ ; -- Begin function _ZN7rocprim17ROCPRIM_400000_NS6detail17trampoline_kernelINS0_14default_configENS1_25partition_config_selectorILNS1_17partition_subalgoE8EtNS0_10empty_typeEbEEZZNS1_14partition_implILS5_8ELb0ES3_jPKtPS6_PKS6_NS0_5tupleIJPtS6_EEENSE_IJSB_SB_EEENS0_18inequality_wrapperIN6hipcub16HIPCUB_304000_NS8EqualityEEEPlJS6_EEE10hipError_tPvRmT3_T4_T5_T6_T7_T9_mT8_P12ihipStream_tbDpT10_ENKUlT_T0_E_clISt17integral_constantIbLb1EES16_IbLb0EEEEDaS12_S13_EUlS12_E_NS1_11comp_targetILNS1_3genE8ELNS1_11target_archE1030ELNS1_3gpuE2ELNS1_3repE0EEENS1_30default_config_static_selectorELNS0_4arch9wavefront6targetE1EEEvT1_
	.globl	_ZN7rocprim17ROCPRIM_400000_NS6detail17trampoline_kernelINS0_14default_configENS1_25partition_config_selectorILNS1_17partition_subalgoE8EtNS0_10empty_typeEbEEZZNS1_14partition_implILS5_8ELb0ES3_jPKtPS6_PKS6_NS0_5tupleIJPtS6_EEENSE_IJSB_SB_EEENS0_18inequality_wrapperIN6hipcub16HIPCUB_304000_NS8EqualityEEEPlJS6_EEE10hipError_tPvRmT3_T4_T5_T6_T7_T9_mT8_P12ihipStream_tbDpT10_ENKUlT_T0_E_clISt17integral_constantIbLb1EES16_IbLb0EEEEDaS12_S13_EUlS12_E_NS1_11comp_targetILNS1_3genE8ELNS1_11target_archE1030ELNS1_3gpuE2ELNS1_3repE0EEENS1_30default_config_static_selectorELNS0_4arch9wavefront6targetE1EEEvT1_
	.p2align	8
	.type	_ZN7rocprim17ROCPRIM_400000_NS6detail17trampoline_kernelINS0_14default_configENS1_25partition_config_selectorILNS1_17partition_subalgoE8EtNS0_10empty_typeEbEEZZNS1_14partition_implILS5_8ELb0ES3_jPKtPS6_PKS6_NS0_5tupleIJPtS6_EEENSE_IJSB_SB_EEENS0_18inequality_wrapperIN6hipcub16HIPCUB_304000_NS8EqualityEEEPlJS6_EEE10hipError_tPvRmT3_T4_T5_T6_T7_T9_mT8_P12ihipStream_tbDpT10_ENKUlT_T0_E_clISt17integral_constantIbLb1EES16_IbLb0EEEEDaS12_S13_EUlS12_E_NS1_11comp_targetILNS1_3genE8ELNS1_11target_archE1030ELNS1_3gpuE2ELNS1_3repE0EEENS1_30default_config_static_selectorELNS0_4arch9wavefront6targetE1EEEvT1_,@function
_ZN7rocprim17ROCPRIM_400000_NS6detail17trampoline_kernelINS0_14default_configENS1_25partition_config_selectorILNS1_17partition_subalgoE8EtNS0_10empty_typeEbEEZZNS1_14partition_implILS5_8ELb0ES3_jPKtPS6_PKS6_NS0_5tupleIJPtS6_EEENSE_IJSB_SB_EEENS0_18inequality_wrapperIN6hipcub16HIPCUB_304000_NS8EqualityEEEPlJS6_EEE10hipError_tPvRmT3_T4_T5_T6_T7_T9_mT8_P12ihipStream_tbDpT10_ENKUlT_T0_E_clISt17integral_constantIbLb1EES16_IbLb0EEEEDaS12_S13_EUlS12_E_NS1_11comp_targetILNS1_3genE8ELNS1_11target_archE1030ELNS1_3gpuE2ELNS1_3repE0EEENS1_30default_config_static_selectorELNS0_4arch9wavefront6targetE1EEEvT1_: ; @_ZN7rocprim17ROCPRIM_400000_NS6detail17trampoline_kernelINS0_14default_configENS1_25partition_config_selectorILNS1_17partition_subalgoE8EtNS0_10empty_typeEbEEZZNS1_14partition_implILS5_8ELb0ES3_jPKtPS6_PKS6_NS0_5tupleIJPtS6_EEENSE_IJSB_SB_EEENS0_18inequality_wrapperIN6hipcub16HIPCUB_304000_NS8EqualityEEEPlJS6_EEE10hipError_tPvRmT3_T4_T5_T6_T7_T9_mT8_P12ihipStream_tbDpT10_ENKUlT_T0_E_clISt17integral_constantIbLb1EES16_IbLb0EEEEDaS12_S13_EUlS12_E_NS1_11comp_targetILNS1_3genE8ELNS1_11target_archE1030ELNS1_3gpuE2ELNS1_3repE0EEENS1_30default_config_static_selectorELNS0_4arch9wavefront6targetE1EEEvT1_
; %bb.0:
	.section	.rodata,"a",@progbits
	.p2align	6, 0x0
	.amdhsa_kernel _ZN7rocprim17ROCPRIM_400000_NS6detail17trampoline_kernelINS0_14default_configENS1_25partition_config_selectorILNS1_17partition_subalgoE8EtNS0_10empty_typeEbEEZZNS1_14partition_implILS5_8ELb0ES3_jPKtPS6_PKS6_NS0_5tupleIJPtS6_EEENSE_IJSB_SB_EEENS0_18inequality_wrapperIN6hipcub16HIPCUB_304000_NS8EqualityEEEPlJS6_EEE10hipError_tPvRmT3_T4_T5_T6_T7_T9_mT8_P12ihipStream_tbDpT10_ENKUlT_T0_E_clISt17integral_constantIbLb1EES16_IbLb0EEEEDaS12_S13_EUlS12_E_NS1_11comp_targetILNS1_3genE8ELNS1_11target_archE1030ELNS1_3gpuE2ELNS1_3repE0EEENS1_30default_config_static_selectorELNS0_4arch9wavefront6targetE1EEEvT1_
		.amdhsa_group_segment_fixed_size 0
		.amdhsa_private_segment_fixed_size 0
		.amdhsa_kernarg_size 112
		.amdhsa_user_sgpr_count 6
		.amdhsa_user_sgpr_private_segment_buffer 1
		.amdhsa_user_sgpr_dispatch_ptr 0
		.amdhsa_user_sgpr_queue_ptr 0
		.amdhsa_user_sgpr_kernarg_segment_ptr 1
		.amdhsa_user_sgpr_dispatch_id 0
		.amdhsa_user_sgpr_flat_scratch_init 0
		.amdhsa_user_sgpr_kernarg_preload_length 0
		.amdhsa_user_sgpr_kernarg_preload_offset 0
		.amdhsa_user_sgpr_private_segment_size 0
		.amdhsa_uses_dynamic_stack 0
		.amdhsa_system_sgpr_private_segment_wavefront_offset 0
		.amdhsa_system_sgpr_workgroup_id_x 1
		.amdhsa_system_sgpr_workgroup_id_y 0
		.amdhsa_system_sgpr_workgroup_id_z 0
		.amdhsa_system_sgpr_workgroup_info 0
		.amdhsa_system_vgpr_workitem_id 0
		.amdhsa_next_free_vgpr 1
		.amdhsa_next_free_sgpr 0
		.amdhsa_accum_offset 4
		.amdhsa_reserve_vcc 0
		.amdhsa_reserve_flat_scratch 0
		.amdhsa_float_round_mode_32 0
		.amdhsa_float_round_mode_16_64 0
		.amdhsa_float_denorm_mode_32 3
		.amdhsa_float_denorm_mode_16_64 3
		.amdhsa_dx10_clamp 1
		.amdhsa_ieee_mode 1
		.amdhsa_fp16_overflow 0
		.amdhsa_tg_split 0
		.amdhsa_exception_fp_ieee_invalid_op 0
		.amdhsa_exception_fp_denorm_src 0
		.amdhsa_exception_fp_ieee_div_zero 0
		.amdhsa_exception_fp_ieee_overflow 0
		.amdhsa_exception_fp_ieee_underflow 0
		.amdhsa_exception_fp_ieee_inexact 0
		.amdhsa_exception_int_div_zero 0
	.end_amdhsa_kernel
	.section	.text._ZN7rocprim17ROCPRIM_400000_NS6detail17trampoline_kernelINS0_14default_configENS1_25partition_config_selectorILNS1_17partition_subalgoE8EtNS0_10empty_typeEbEEZZNS1_14partition_implILS5_8ELb0ES3_jPKtPS6_PKS6_NS0_5tupleIJPtS6_EEENSE_IJSB_SB_EEENS0_18inequality_wrapperIN6hipcub16HIPCUB_304000_NS8EqualityEEEPlJS6_EEE10hipError_tPvRmT3_T4_T5_T6_T7_T9_mT8_P12ihipStream_tbDpT10_ENKUlT_T0_E_clISt17integral_constantIbLb1EES16_IbLb0EEEEDaS12_S13_EUlS12_E_NS1_11comp_targetILNS1_3genE8ELNS1_11target_archE1030ELNS1_3gpuE2ELNS1_3repE0EEENS1_30default_config_static_selectorELNS0_4arch9wavefront6targetE1EEEvT1_,"axG",@progbits,_ZN7rocprim17ROCPRIM_400000_NS6detail17trampoline_kernelINS0_14default_configENS1_25partition_config_selectorILNS1_17partition_subalgoE8EtNS0_10empty_typeEbEEZZNS1_14partition_implILS5_8ELb0ES3_jPKtPS6_PKS6_NS0_5tupleIJPtS6_EEENSE_IJSB_SB_EEENS0_18inequality_wrapperIN6hipcub16HIPCUB_304000_NS8EqualityEEEPlJS6_EEE10hipError_tPvRmT3_T4_T5_T6_T7_T9_mT8_P12ihipStream_tbDpT10_ENKUlT_T0_E_clISt17integral_constantIbLb1EES16_IbLb0EEEEDaS12_S13_EUlS12_E_NS1_11comp_targetILNS1_3genE8ELNS1_11target_archE1030ELNS1_3gpuE2ELNS1_3repE0EEENS1_30default_config_static_selectorELNS0_4arch9wavefront6targetE1EEEvT1_,comdat
.Lfunc_end778:
	.size	_ZN7rocprim17ROCPRIM_400000_NS6detail17trampoline_kernelINS0_14default_configENS1_25partition_config_selectorILNS1_17partition_subalgoE8EtNS0_10empty_typeEbEEZZNS1_14partition_implILS5_8ELb0ES3_jPKtPS6_PKS6_NS0_5tupleIJPtS6_EEENSE_IJSB_SB_EEENS0_18inequality_wrapperIN6hipcub16HIPCUB_304000_NS8EqualityEEEPlJS6_EEE10hipError_tPvRmT3_T4_T5_T6_T7_T9_mT8_P12ihipStream_tbDpT10_ENKUlT_T0_E_clISt17integral_constantIbLb1EES16_IbLb0EEEEDaS12_S13_EUlS12_E_NS1_11comp_targetILNS1_3genE8ELNS1_11target_archE1030ELNS1_3gpuE2ELNS1_3repE0EEENS1_30default_config_static_selectorELNS0_4arch9wavefront6targetE1EEEvT1_, .Lfunc_end778-_ZN7rocprim17ROCPRIM_400000_NS6detail17trampoline_kernelINS0_14default_configENS1_25partition_config_selectorILNS1_17partition_subalgoE8EtNS0_10empty_typeEbEEZZNS1_14partition_implILS5_8ELb0ES3_jPKtPS6_PKS6_NS0_5tupleIJPtS6_EEENSE_IJSB_SB_EEENS0_18inequality_wrapperIN6hipcub16HIPCUB_304000_NS8EqualityEEEPlJS6_EEE10hipError_tPvRmT3_T4_T5_T6_T7_T9_mT8_P12ihipStream_tbDpT10_ENKUlT_T0_E_clISt17integral_constantIbLb1EES16_IbLb0EEEEDaS12_S13_EUlS12_E_NS1_11comp_targetILNS1_3genE8ELNS1_11target_archE1030ELNS1_3gpuE2ELNS1_3repE0EEENS1_30default_config_static_selectorELNS0_4arch9wavefront6targetE1EEEvT1_
                                        ; -- End function
	.section	.AMDGPU.csdata,"",@progbits
; Kernel info:
; codeLenInByte = 0
; NumSgprs: 4
; NumVgprs: 0
; NumAgprs: 0
; TotalNumVgprs: 0
; ScratchSize: 0
; MemoryBound: 0
; FloatMode: 240
; IeeeMode: 1
; LDSByteSize: 0 bytes/workgroup (compile time only)
; SGPRBlocks: 0
; VGPRBlocks: 0
; NumSGPRsForWavesPerEU: 4
; NumVGPRsForWavesPerEU: 1
; AccumOffset: 4
; Occupancy: 8
; WaveLimiterHint : 0
; COMPUTE_PGM_RSRC2:SCRATCH_EN: 0
; COMPUTE_PGM_RSRC2:USER_SGPR: 6
; COMPUTE_PGM_RSRC2:TRAP_HANDLER: 0
; COMPUTE_PGM_RSRC2:TGID_X_EN: 1
; COMPUTE_PGM_RSRC2:TGID_Y_EN: 0
; COMPUTE_PGM_RSRC2:TGID_Z_EN: 0
; COMPUTE_PGM_RSRC2:TIDIG_COMP_CNT: 0
; COMPUTE_PGM_RSRC3_GFX90A:ACCUM_OFFSET: 0
; COMPUTE_PGM_RSRC3_GFX90A:TG_SPLIT: 0
	.section	.text._ZN7rocprim17ROCPRIM_400000_NS6detail17trampoline_kernelINS0_14default_configENS1_25partition_config_selectorILNS1_17partition_subalgoE8EtNS0_10empty_typeEbEEZZNS1_14partition_implILS5_8ELb0ES3_jPKtPS6_PKS6_NS0_5tupleIJPtS6_EEENSE_IJSB_SB_EEENS0_18inequality_wrapperIN6hipcub16HIPCUB_304000_NS8EqualityEEEPlJS6_EEE10hipError_tPvRmT3_T4_T5_T6_T7_T9_mT8_P12ihipStream_tbDpT10_ENKUlT_T0_E_clISt17integral_constantIbLb0EES16_IbLb1EEEEDaS12_S13_EUlS12_E_NS1_11comp_targetILNS1_3genE0ELNS1_11target_archE4294967295ELNS1_3gpuE0ELNS1_3repE0EEENS1_30default_config_static_selectorELNS0_4arch9wavefront6targetE1EEEvT1_,"axG",@progbits,_ZN7rocprim17ROCPRIM_400000_NS6detail17trampoline_kernelINS0_14default_configENS1_25partition_config_selectorILNS1_17partition_subalgoE8EtNS0_10empty_typeEbEEZZNS1_14partition_implILS5_8ELb0ES3_jPKtPS6_PKS6_NS0_5tupleIJPtS6_EEENSE_IJSB_SB_EEENS0_18inequality_wrapperIN6hipcub16HIPCUB_304000_NS8EqualityEEEPlJS6_EEE10hipError_tPvRmT3_T4_T5_T6_T7_T9_mT8_P12ihipStream_tbDpT10_ENKUlT_T0_E_clISt17integral_constantIbLb0EES16_IbLb1EEEEDaS12_S13_EUlS12_E_NS1_11comp_targetILNS1_3genE0ELNS1_11target_archE4294967295ELNS1_3gpuE0ELNS1_3repE0EEENS1_30default_config_static_selectorELNS0_4arch9wavefront6targetE1EEEvT1_,comdat
	.protected	_ZN7rocprim17ROCPRIM_400000_NS6detail17trampoline_kernelINS0_14default_configENS1_25partition_config_selectorILNS1_17partition_subalgoE8EtNS0_10empty_typeEbEEZZNS1_14partition_implILS5_8ELb0ES3_jPKtPS6_PKS6_NS0_5tupleIJPtS6_EEENSE_IJSB_SB_EEENS0_18inequality_wrapperIN6hipcub16HIPCUB_304000_NS8EqualityEEEPlJS6_EEE10hipError_tPvRmT3_T4_T5_T6_T7_T9_mT8_P12ihipStream_tbDpT10_ENKUlT_T0_E_clISt17integral_constantIbLb0EES16_IbLb1EEEEDaS12_S13_EUlS12_E_NS1_11comp_targetILNS1_3genE0ELNS1_11target_archE4294967295ELNS1_3gpuE0ELNS1_3repE0EEENS1_30default_config_static_selectorELNS0_4arch9wavefront6targetE1EEEvT1_ ; -- Begin function _ZN7rocprim17ROCPRIM_400000_NS6detail17trampoline_kernelINS0_14default_configENS1_25partition_config_selectorILNS1_17partition_subalgoE8EtNS0_10empty_typeEbEEZZNS1_14partition_implILS5_8ELb0ES3_jPKtPS6_PKS6_NS0_5tupleIJPtS6_EEENSE_IJSB_SB_EEENS0_18inequality_wrapperIN6hipcub16HIPCUB_304000_NS8EqualityEEEPlJS6_EEE10hipError_tPvRmT3_T4_T5_T6_T7_T9_mT8_P12ihipStream_tbDpT10_ENKUlT_T0_E_clISt17integral_constantIbLb0EES16_IbLb1EEEEDaS12_S13_EUlS12_E_NS1_11comp_targetILNS1_3genE0ELNS1_11target_archE4294967295ELNS1_3gpuE0ELNS1_3repE0EEENS1_30default_config_static_selectorELNS0_4arch9wavefront6targetE1EEEvT1_
	.globl	_ZN7rocprim17ROCPRIM_400000_NS6detail17trampoline_kernelINS0_14default_configENS1_25partition_config_selectorILNS1_17partition_subalgoE8EtNS0_10empty_typeEbEEZZNS1_14partition_implILS5_8ELb0ES3_jPKtPS6_PKS6_NS0_5tupleIJPtS6_EEENSE_IJSB_SB_EEENS0_18inequality_wrapperIN6hipcub16HIPCUB_304000_NS8EqualityEEEPlJS6_EEE10hipError_tPvRmT3_T4_T5_T6_T7_T9_mT8_P12ihipStream_tbDpT10_ENKUlT_T0_E_clISt17integral_constantIbLb0EES16_IbLb1EEEEDaS12_S13_EUlS12_E_NS1_11comp_targetILNS1_3genE0ELNS1_11target_archE4294967295ELNS1_3gpuE0ELNS1_3repE0EEENS1_30default_config_static_selectorELNS0_4arch9wavefront6targetE1EEEvT1_
	.p2align	8
	.type	_ZN7rocprim17ROCPRIM_400000_NS6detail17trampoline_kernelINS0_14default_configENS1_25partition_config_selectorILNS1_17partition_subalgoE8EtNS0_10empty_typeEbEEZZNS1_14partition_implILS5_8ELb0ES3_jPKtPS6_PKS6_NS0_5tupleIJPtS6_EEENSE_IJSB_SB_EEENS0_18inequality_wrapperIN6hipcub16HIPCUB_304000_NS8EqualityEEEPlJS6_EEE10hipError_tPvRmT3_T4_T5_T6_T7_T9_mT8_P12ihipStream_tbDpT10_ENKUlT_T0_E_clISt17integral_constantIbLb0EES16_IbLb1EEEEDaS12_S13_EUlS12_E_NS1_11comp_targetILNS1_3genE0ELNS1_11target_archE4294967295ELNS1_3gpuE0ELNS1_3repE0EEENS1_30default_config_static_selectorELNS0_4arch9wavefront6targetE1EEEvT1_,@function
_ZN7rocprim17ROCPRIM_400000_NS6detail17trampoline_kernelINS0_14default_configENS1_25partition_config_selectorILNS1_17partition_subalgoE8EtNS0_10empty_typeEbEEZZNS1_14partition_implILS5_8ELb0ES3_jPKtPS6_PKS6_NS0_5tupleIJPtS6_EEENSE_IJSB_SB_EEENS0_18inequality_wrapperIN6hipcub16HIPCUB_304000_NS8EqualityEEEPlJS6_EEE10hipError_tPvRmT3_T4_T5_T6_T7_T9_mT8_P12ihipStream_tbDpT10_ENKUlT_T0_E_clISt17integral_constantIbLb0EES16_IbLb1EEEEDaS12_S13_EUlS12_E_NS1_11comp_targetILNS1_3genE0ELNS1_11target_archE4294967295ELNS1_3gpuE0ELNS1_3repE0EEENS1_30default_config_static_selectorELNS0_4arch9wavefront6targetE1EEEvT1_: ; @_ZN7rocprim17ROCPRIM_400000_NS6detail17trampoline_kernelINS0_14default_configENS1_25partition_config_selectorILNS1_17partition_subalgoE8EtNS0_10empty_typeEbEEZZNS1_14partition_implILS5_8ELb0ES3_jPKtPS6_PKS6_NS0_5tupleIJPtS6_EEENSE_IJSB_SB_EEENS0_18inequality_wrapperIN6hipcub16HIPCUB_304000_NS8EqualityEEEPlJS6_EEE10hipError_tPvRmT3_T4_T5_T6_T7_T9_mT8_P12ihipStream_tbDpT10_ENKUlT_T0_E_clISt17integral_constantIbLb0EES16_IbLb1EEEEDaS12_S13_EUlS12_E_NS1_11comp_targetILNS1_3genE0ELNS1_11target_archE4294967295ELNS1_3gpuE0ELNS1_3repE0EEENS1_30default_config_static_selectorELNS0_4arch9wavefront6targetE1EEEvT1_
; %bb.0:
	.section	.rodata,"a",@progbits
	.p2align	6, 0x0
	.amdhsa_kernel _ZN7rocprim17ROCPRIM_400000_NS6detail17trampoline_kernelINS0_14default_configENS1_25partition_config_selectorILNS1_17partition_subalgoE8EtNS0_10empty_typeEbEEZZNS1_14partition_implILS5_8ELb0ES3_jPKtPS6_PKS6_NS0_5tupleIJPtS6_EEENSE_IJSB_SB_EEENS0_18inequality_wrapperIN6hipcub16HIPCUB_304000_NS8EqualityEEEPlJS6_EEE10hipError_tPvRmT3_T4_T5_T6_T7_T9_mT8_P12ihipStream_tbDpT10_ENKUlT_T0_E_clISt17integral_constantIbLb0EES16_IbLb1EEEEDaS12_S13_EUlS12_E_NS1_11comp_targetILNS1_3genE0ELNS1_11target_archE4294967295ELNS1_3gpuE0ELNS1_3repE0EEENS1_30default_config_static_selectorELNS0_4arch9wavefront6targetE1EEEvT1_
		.amdhsa_group_segment_fixed_size 0
		.amdhsa_private_segment_fixed_size 0
		.amdhsa_kernarg_size 128
		.amdhsa_user_sgpr_count 6
		.amdhsa_user_sgpr_private_segment_buffer 1
		.amdhsa_user_sgpr_dispatch_ptr 0
		.amdhsa_user_sgpr_queue_ptr 0
		.amdhsa_user_sgpr_kernarg_segment_ptr 1
		.amdhsa_user_sgpr_dispatch_id 0
		.amdhsa_user_sgpr_flat_scratch_init 0
		.amdhsa_user_sgpr_kernarg_preload_length 0
		.amdhsa_user_sgpr_kernarg_preload_offset 0
		.amdhsa_user_sgpr_private_segment_size 0
		.amdhsa_uses_dynamic_stack 0
		.amdhsa_system_sgpr_private_segment_wavefront_offset 0
		.amdhsa_system_sgpr_workgroup_id_x 1
		.amdhsa_system_sgpr_workgroup_id_y 0
		.amdhsa_system_sgpr_workgroup_id_z 0
		.amdhsa_system_sgpr_workgroup_info 0
		.amdhsa_system_vgpr_workitem_id 0
		.amdhsa_next_free_vgpr 1
		.amdhsa_next_free_sgpr 0
		.amdhsa_accum_offset 4
		.amdhsa_reserve_vcc 0
		.amdhsa_reserve_flat_scratch 0
		.amdhsa_float_round_mode_32 0
		.amdhsa_float_round_mode_16_64 0
		.amdhsa_float_denorm_mode_32 3
		.amdhsa_float_denorm_mode_16_64 3
		.amdhsa_dx10_clamp 1
		.amdhsa_ieee_mode 1
		.amdhsa_fp16_overflow 0
		.amdhsa_tg_split 0
		.amdhsa_exception_fp_ieee_invalid_op 0
		.amdhsa_exception_fp_denorm_src 0
		.amdhsa_exception_fp_ieee_div_zero 0
		.amdhsa_exception_fp_ieee_overflow 0
		.amdhsa_exception_fp_ieee_underflow 0
		.amdhsa_exception_fp_ieee_inexact 0
		.amdhsa_exception_int_div_zero 0
	.end_amdhsa_kernel
	.section	.text._ZN7rocprim17ROCPRIM_400000_NS6detail17trampoline_kernelINS0_14default_configENS1_25partition_config_selectorILNS1_17partition_subalgoE8EtNS0_10empty_typeEbEEZZNS1_14partition_implILS5_8ELb0ES3_jPKtPS6_PKS6_NS0_5tupleIJPtS6_EEENSE_IJSB_SB_EEENS0_18inequality_wrapperIN6hipcub16HIPCUB_304000_NS8EqualityEEEPlJS6_EEE10hipError_tPvRmT3_T4_T5_T6_T7_T9_mT8_P12ihipStream_tbDpT10_ENKUlT_T0_E_clISt17integral_constantIbLb0EES16_IbLb1EEEEDaS12_S13_EUlS12_E_NS1_11comp_targetILNS1_3genE0ELNS1_11target_archE4294967295ELNS1_3gpuE0ELNS1_3repE0EEENS1_30default_config_static_selectorELNS0_4arch9wavefront6targetE1EEEvT1_,"axG",@progbits,_ZN7rocprim17ROCPRIM_400000_NS6detail17trampoline_kernelINS0_14default_configENS1_25partition_config_selectorILNS1_17partition_subalgoE8EtNS0_10empty_typeEbEEZZNS1_14partition_implILS5_8ELb0ES3_jPKtPS6_PKS6_NS0_5tupleIJPtS6_EEENSE_IJSB_SB_EEENS0_18inequality_wrapperIN6hipcub16HIPCUB_304000_NS8EqualityEEEPlJS6_EEE10hipError_tPvRmT3_T4_T5_T6_T7_T9_mT8_P12ihipStream_tbDpT10_ENKUlT_T0_E_clISt17integral_constantIbLb0EES16_IbLb1EEEEDaS12_S13_EUlS12_E_NS1_11comp_targetILNS1_3genE0ELNS1_11target_archE4294967295ELNS1_3gpuE0ELNS1_3repE0EEENS1_30default_config_static_selectorELNS0_4arch9wavefront6targetE1EEEvT1_,comdat
.Lfunc_end779:
	.size	_ZN7rocprim17ROCPRIM_400000_NS6detail17trampoline_kernelINS0_14default_configENS1_25partition_config_selectorILNS1_17partition_subalgoE8EtNS0_10empty_typeEbEEZZNS1_14partition_implILS5_8ELb0ES3_jPKtPS6_PKS6_NS0_5tupleIJPtS6_EEENSE_IJSB_SB_EEENS0_18inequality_wrapperIN6hipcub16HIPCUB_304000_NS8EqualityEEEPlJS6_EEE10hipError_tPvRmT3_T4_T5_T6_T7_T9_mT8_P12ihipStream_tbDpT10_ENKUlT_T0_E_clISt17integral_constantIbLb0EES16_IbLb1EEEEDaS12_S13_EUlS12_E_NS1_11comp_targetILNS1_3genE0ELNS1_11target_archE4294967295ELNS1_3gpuE0ELNS1_3repE0EEENS1_30default_config_static_selectorELNS0_4arch9wavefront6targetE1EEEvT1_, .Lfunc_end779-_ZN7rocprim17ROCPRIM_400000_NS6detail17trampoline_kernelINS0_14default_configENS1_25partition_config_selectorILNS1_17partition_subalgoE8EtNS0_10empty_typeEbEEZZNS1_14partition_implILS5_8ELb0ES3_jPKtPS6_PKS6_NS0_5tupleIJPtS6_EEENSE_IJSB_SB_EEENS0_18inequality_wrapperIN6hipcub16HIPCUB_304000_NS8EqualityEEEPlJS6_EEE10hipError_tPvRmT3_T4_T5_T6_T7_T9_mT8_P12ihipStream_tbDpT10_ENKUlT_T0_E_clISt17integral_constantIbLb0EES16_IbLb1EEEEDaS12_S13_EUlS12_E_NS1_11comp_targetILNS1_3genE0ELNS1_11target_archE4294967295ELNS1_3gpuE0ELNS1_3repE0EEENS1_30default_config_static_selectorELNS0_4arch9wavefront6targetE1EEEvT1_
                                        ; -- End function
	.section	.AMDGPU.csdata,"",@progbits
; Kernel info:
; codeLenInByte = 0
; NumSgprs: 4
; NumVgprs: 0
; NumAgprs: 0
; TotalNumVgprs: 0
; ScratchSize: 0
; MemoryBound: 0
; FloatMode: 240
; IeeeMode: 1
; LDSByteSize: 0 bytes/workgroup (compile time only)
; SGPRBlocks: 0
; VGPRBlocks: 0
; NumSGPRsForWavesPerEU: 4
; NumVGPRsForWavesPerEU: 1
; AccumOffset: 4
; Occupancy: 8
; WaveLimiterHint : 0
; COMPUTE_PGM_RSRC2:SCRATCH_EN: 0
; COMPUTE_PGM_RSRC2:USER_SGPR: 6
; COMPUTE_PGM_RSRC2:TRAP_HANDLER: 0
; COMPUTE_PGM_RSRC2:TGID_X_EN: 1
; COMPUTE_PGM_RSRC2:TGID_Y_EN: 0
; COMPUTE_PGM_RSRC2:TGID_Z_EN: 0
; COMPUTE_PGM_RSRC2:TIDIG_COMP_CNT: 0
; COMPUTE_PGM_RSRC3_GFX90A:ACCUM_OFFSET: 0
; COMPUTE_PGM_RSRC3_GFX90A:TG_SPLIT: 0
	.section	.text._ZN7rocprim17ROCPRIM_400000_NS6detail17trampoline_kernelINS0_14default_configENS1_25partition_config_selectorILNS1_17partition_subalgoE8EtNS0_10empty_typeEbEEZZNS1_14partition_implILS5_8ELb0ES3_jPKtPS6_PKS6_NS0_5tupleIJPtS6_EEENSE_IJSB_SB_EEENS0_18inequality_wrapperIN6hipcub16HIPCUB_304000_NS8EqualityEEEPlJS6_EEE10hipError_tPvRmT3_T4_T5_T6_T7_T9_mT8_P12ihipStream_tbDpT10_ENKUlT_T0_E_clISt17integral_constantIbLb0EES16_IbLb1EEEEDaS12_S13_EUlS12_E_NS1_11comp_targetILNS1_3genE5ELNS1_11target_archE942ELNS1_3gpuE9ELNS1_3repE0EEENS1_30default_config_static_selectorELNS0_4arch9wavefront6targetE1EEEvT1_,"axG",@progbits,_ZN7rocprim17ROCPRIM_400000_NS6detail17trampoline_kernelINS0_14default_configENS1_25partition_config_selectorILNS1_17partition_subalgoE8EtNS0_10empty_typeEbEEZZNS1_14partition_implILS5_8ELb0ES3_jPKtPS6_PKS6_NS0_5tupleIJPtS6_EEENSE_IJSB_SB_EEENS0_18inequality_wrapperIN6hipcub16HIPCUB_304000_NS8EqualityEEEPlJS6_EEE10hipError_tPvRmT3_T4_T5_T6_T7_T9_mT8_P12ihipStream_tbDpT10_ENKUlT_T0_E_clISt17integral_constantIbLb0EES16_IbLb1EEEEDaS12_S13_EUlS12_E_NS1_11comp_targetILNS1_3genE5ELNS1_11target_archE942ELNS1_3gpuE9ELNS1_3repE0EEENS1_30default_config_static_selectorELNS0_4arch9wavefront6targetE1EEEvT1_,comdat
	.protected	_ZN7rocprim17ROCPRIM_400000_NS6detail17trampoline_kernelINS0_14default_configENS1_25partition_config_selectorILNS1_17partition_subalgoE8EtNS0_10empty_typeEbEEZZNS1_14partition_implILS5_8ELb0ES3_jPKtPS6_PKS6_NS0_5tupleIJPtS6_EEENSE_IJSB_SB_EEENS0_18inequality_wrapperIN6hipcub16HIPCUB_304000_NS8EqualityEEEPlJS6_EEE10hipError_tPvRmT3_T4_T5_T6_T7_T9_mT8_P12ihipStream_tbDpT10_ENKUlT_T0_E_clISt17integral_constantIbLb0EES16_IbLb1EEEEDaS12_S13_EUlS12_E_NS1_11comp_targetILNS1_3genE5ELNS1_11target_archE942ELNS1_3gpuE9ELNS1_3repE0EEENS1_30default_config_static_selectorELNS0_4arch9wavefront6targetE1EEEvT1_ ; -- Begin function _ZN7rocprim17ROCPRIM_400000_NS6detail17trampoline_kernelINS0_14default_configENS1_25partition_config_selectorILNS1_17partition_subalgoE8EtNS0_10empty_typeEbEEZZNS1_14partition_implILS5_8ELb0ES3_jPKtPS6_PKS6_NS0_5tupleIJPtS6_EEENSE_IJSB_SB_EEENS0_18inequality_wrapperIN6hipcub16HIPCUB_304000_NS8EqualityEEEPlJS6_EEE10hipError_tPvRmT3_T4_T5_T6_T7_T9_mT8_P12ihipStream_tbDpT10_ENKUlT_T0_E_clISt17integral_constantIbLb0EES16_IbLb1EEEEDaS12_S13_EUlS12_E_NS1_11comp_targetILNS1_3genE5ELNS1_11target_archE942ELNS1_3gpuE9ELNS1_3repE0EEENS1_30default_config_static_selectorELNS0_4arch9wavefront6targetE1EEEvT1_
	.globl	_ZN7rocprim17ROCPRIM_400000_NS6detail17trampoline_kernelINS0_14default_configENS1_25partition_config_selectorILNS1_17partition_subalgoE8EtNS0_10empty_typeEbEEZZNS1_14partition_implILS5_8ELb0ES3_jPKtPS6_PKS6_NS0_5tupleIJPtS6_EEENSE_IJSB_SB_EEENS0_18inequality_wrapperIN6hipcub16HIPCUB_304000_NS8EqualityEEEPlJS6_EEE10hipError_tPvRmT3_T4_T5_T6_T7_T9_mT8_P12ihipStream_tbDpT10_ENKUlT_T0_E_clISt17integral_constantIbLb0EES16_IbLb1EEEEDaS12_S13_EUlS12_E_NS1_11comp_targetILNS1_3genE5ELNS1_11target_archE942ELNS1_3gpuE9ELNS1_3repE0EEENS1_30default_config_static_selectorELNS0_4arch9wavefront6targetE1EEEvT1_
	.p2align	8
	.type	_ZN7rocprim17ROCPRIM_400000_NS6detail17trampoline_kernelINS0_14default_configENS1_25partition_config_selectorILNS1_17partition_subalgoE8EtNS0_10empty_typeEbEEZZNS1_14partition_implILS5_8ELb0ES3_jPKtPS6_PKS6_NS0_5tupleIJPtS6_EEENSE_IJSB_SB_EEENS0_18inequality_wrapperIN6hipcub16HIPCUB_304000_NS8EqualityEEEPlJS6_EEE10hipError_tPvRmT3_T4_T5_T6_T7_T9_mT8_P12ihipStream_tbDpT10_ENKUlT_T0_E_clISt17integral_constantIbLb0EES16_IbLb1EEEEDaS12_S13_EUlS12_E_NS1_11comp_targetILNS1_3genE5ELNS1_11target_archE942ELNS1_3gpuE9ELNS1_3repE0EEENS1_30default_config_static_selectorELNS0_4arch9wavefront6targetE1EEEvT1_,@function
_ZN7rocprim17ROCPRIM_400000_NS6detail17trampoline_kernelINS0_14default_configENS1_25partition_config_selectorILNS1_17partition_subalgoE8EtNS0_10empty_typeEbEEZZNS1_14partition_implILS5_8ELb0ES3_jPKtPS6_PKS6_NS0_5tupleIJPtS6_EEENSE_IJSB_SB_EEENS0_18inequality_wrapperIN6hipcub16HIPCUB_304000_NS8EqualityEEEPlJS6_EEE10hipError_tPvRmT3_T4_T5_T6_T7_T9_mT8_P12ihipStream_tbDpT10_ENKUlT_T0_E_clISt17integral_constantIbLb0EES16_IbLb1EEEEDaS12_S13_EUlS12_E_NS1_11comp_targetILNS1_3genE5ELNS1_11target_archE942ELNS1_3gpuE9ELNS1_3repE0EEENS1_30default_config_static_selectorELNS0_4arch9wavefront6targetE1EEEvT1_: ; @_ZN7rocprim17ROCPRIM_400000_NS6detail17trampoline_kernelINS0_14default_configENS1_25partition_config_selectorILNS1_17partition_subalgoE8EtNS0_10empty_typeEbEEZZNS1_14partition_implILS5_8ELb0ES3_jPKtPS6_PKS6_NS0_5tupleIJPtS6_EEENSE_IJSB_SB_EEENS0_18inequality_wrapperIN6hipcub16HIPCUB_304000_NS8EqualityEEEPlJS6_EEE10hipError_tPvRmT3_T4_T5_T6_T7_T9_mT8_P12ihipStream_tbDpT10_ENKUlT_T0_E_clISt17integral_constantIbLb0EES16_IbLb1EEEEDaS12_S13_EUlS12_E_NS1_11comp_targetILNS1_3genE5ELNS1_11target_archE942ELNS1_3gpuE9ELNS1_3repE0EEENS1_30default_config_static_selectorELNS0_4arch9wavefront6targetE1EEEvT1_
; %bb.0:
	.section	.rodata,"a",@progbits
	.p2align	6, 0x0
	.amdhsa_kernel _ZN7rocprim17ROCPRIM_400000_NS6detail17trampoline_kernelINS0_14default_configENS1_25partition_config_selectorILNS1_17partition_subalgoE8EtNS0_10empty_typeEbEEZZNS1_14partition_implILS5_8ELb0ES3_jPKtPS6_PKS6_NS0_5tupleIJPtS6_EEENSE_IJSB_SB_EEENS0_18inequality_wrapperIN6hipcub16HIPCUB_304000_NS8EqualityEEEPlJS6_EEE10hipError_tPvRmT3_T4_T5_T6_T7_T9_mT8_P12ihipStream_tbDpT10_ENKUlT_T0_E_clISt17integral_constantIbLb0EES16_IbLb1EEEEDaS12_S13_EUlS12_E_NS1_11comp_targetILNS1_3genE5ELNS1_11target_archE942ELNS1_3gpuE9ELNS1_3repE0EEENS1_30default_config_static_selectorELNS0_4arch9wavefront6targetE1EEEvT1_
		.amdhsa_group_segment_fixed_size 0
		.amdhsa_private_segment_fixed_size 0
		.amdhsa_kernarg_size 128
		.amdhsa_user_sgpr_count 6
		.amdhsa_user_sgpr_private_segment_buffer 1
		.amdhsa_user_sgpr_dispatch_ptr 0
		.amdhsa_user_sgpr_queue_ptr 0
		.amdhsa_user_sgpr_kernarg_segment_ptr 1
		.amdhsa_user_sgpr_dispatch_id 0
		.amdhsa_user_sgpr_flat_scratch_init 0
		.amdhsa_user_sgpr_kernarg_preload_length 0
		.amdhsa_user_sgpr_kernarg_preload_offset 0
		.amdhsa_user_sgpr_private_segment_size 0
		.amdhsa_uses_dynamic_stack 0
		.amdhsa_system_sgpr_private_segment_wavefront_offset 0
		.amdhsa_system_sgpr_workgroup_id_x 1
		.amdhsa_system_sgpr_workgroup_id_y 0
		.amdhsa_system_sgpr_workgroup_id_z 0
		.amdhsa_system_sgpr_workgroup_info 0
		.amdhsa_system_vgpr_workitem_id 0
		.amdhsa_next_free_vgpr 1
		.amdhsa_next_free_sgpr 0
		.amdhsa_accum_offset 4
		.amdhsa_reserve_vcc 0
		.amdhsa_reserve_flat_scratch 0
		.amdhsa_float_round_mode_32 0
		.amdhsa_float_round_mode_16_64 0
		.amdhsa_float_denorm_mode_32 3
		.amdhsa_float_denorm_mode_16_64 3
		.amdhsa_dx10_clamp 1
		.amdhsa_ieee_mode 1
		.amdhsa_fp16_overflow 0
		.amdhsa_tg_split 0
		.amdhsa_exception_fp_ieee_invalid_op 0
		.amdhsa_exception_fp_denorm_src 0
		.amdhsa_exception_fp_ieee_div_zero 0
		.amdhsa_exception_fp_ieee_overflow 0
		.amdhsa_exception_fp_ieee_underflow 0
		.amdhsa_exception_fp_ieee_inexact 0
		.amdhsa_exception_int_div_zero 0
	.end_amdhsa_kernel
	.section	.text._ZN7rocprim17ROCPRIM_400000_NS6detail17trampoline_kernelINS0_14default_configENS1_25partition_config_selectorILNS1_17partition_subalgoE8EtNS0_10empty_typeEbEEZZNS1_14partition_implILS5_8ELb0ES3_jPKtPS6_PKS6_NS0_5tupleIJPtS6_EEENSE_IJSB_SB_EEENS0_18inequality_wrapperIN6hipcub16HIPCUB_304000_NS8EqualityEEEPlJS6_EEE10hipError_tPvRmT3_T4_T5_T6_T7_T9_mT8_P12ihipStream_tbDpT10_ENKUlT_T0_E_clISt17integral_constantIbLb0EES16_IbLb1EEEEDaS12_S13_EUlS12_E_NS1_11comp_targetILNS1_3genE5ELNS1_11target_archE942ELNS1_3gpuE9ELNS1_3repE0EEENS1_30default_config_static_selectorELNS0_4arch9wavefront6targetE1EEEvT1_,"axG",@progbits,_ZN7rocprim17ROCPRIM_400000_NS6detail17trampoline_kernelINS0_14default_configENS1_25partition_config_selectorILNS1_17partition_subalgoE8EtNS0_10empty_typeEbEEZZNS1_14partition_implILS5_8ELb0ES3_jPKtPS6_PKS6_NS0_5tupleIJPtS6_EEENSE_IJSB_SB_EEENS0_18inequality_wrapperIN6hipcub16HIPCUB_304000_NS8EqualityEEEPlJS6_EEE10hipError_tPvRmT3_T4_T5_T6_T7_T9_mT8_P12ihipStream_tbDpT10_ENKUlT_T0_E_clISt17integral_constantIbLb0EES16_IbLb1EEEEDaS12_S13_EUlS12_E_NS1_11comp_targetILNS1_3genE5ELNS1_11target_archE942ELNS1_3gpuE9ELNS1_3repE0EEENS1_30default_config_static_selectorELNS0_4arch9wavefront6targetE1EEEvT1_,comdat
.Lfunc_end780:
	.size	_ZN7rocprim17ROCPRIM_400000_NS6detail17trampoline_kernelINS0_14default_configENS1_25partition_config_selectorILNS1_17partition_subalgoE8EtNS0_10empty_typeEbEEZZNS1_14partition_implILS5_8ELb0ES3_jPKtPS6_PKS6_NS0_5tupleIJPtS6_EEENSE_IJSB_SB_EEENS0_18inequality_wrapperIN6hipcub16HIPCUB_304000_NS8EqualityEEEPlJS6_EEE10hipError_tPvRmT3_T4_T5_T6_T7_T9_mT8_P12ihipStream_tbDpT10_ENKUlT_T0_E_clISt17integral_constantIbLb0EES16_IbLb1EEEEDaS12_S13_EUlS12_E_NS1_11comp_targetILNS1_3genE5ELNS1_11target_archE942ELNS1_3gpuE9ELNS1_3repE0EEENS1_30default_config_static_selectorELNS0_4arch9wavefront6targetE1EEEvT1_, .Lfunc_end780-_ZN7rocprim17ROCPRIM_400000_NS6detail17trampoline_kernelINS0_14default_configENS1_25partition_config_selectorILNS1_17partition_subalgoE8EtNS0_10empty_typeEbEEZZNS1_14partition_implILS5_8ELb0ES3_jPKtPS6_PKS6_NS0_5tupleIJPtS6_EEENSE_IJSB_SB_EEENS0_18inequality_wrapperIN6hipcub16HIPCUB_304000_NS8EqualityEEEPlJS6_EEE10hipError_tPvRmT3_T4_T5_T6_T7_T9_mT8_P12ihipStream_tbDpT10_ENKUlT_T0_E_clISt17integral_constantIbLb0EES16_IbLb1EEEEDaS12_S13_EUlS12_E_NS1_11comp_targetILNS1_3genE5ELNS1_11target_archE942ELNS1_3gpuE9ELNS1_3repE0EEENS1_30default_config_static_selectorELNS0_4arch9wavefront6targetE1EEEvT1_
                                        ; -- End function
	.section	.AMDGPU.csdata,"",@progbits
; Kernel info:
; codeLenInByte = 0
; NumSgprs: 4
; NumVgprs: 0
; NumAgprs: 0
; TotalNumVgprs: 0
; ScratchSize: 0
; MemoryBound: 0
; FloatMode: 240
; IeeeMode: 1
; LDSByteSize: 0 bytes/workgroup (compile time only)
; SGPRBlocks: 0
; VGPRBlocks: 0
; NumSGPRsForWavesPerEU: 4
; NumVGPRsForWavesPerEU: 1
; AccumOffset: 4
; Occupancy: 8
; WaveLimiterHint : 0
; COMPUTE_PGM_RSRC2:SCRATCH_EN: 0
; COMPUTE_PGM_RSRC2:USER_SGPR: 6
; COMPUTE_PGM_RSRC2:TRAP_HANDLER: 0
; COMPUTE_PGM_RSRC2:TGID_X_EN: 1
; COMPUTE_PGM_RSRC2:TGID_Y_EN: 0
; COMPUTE_PGM_RSRC2:TGID_Z_EN: 0
; COMPUTE_PGM_RSRC2:TIDIG_COMP_CNT: 0
; COMPUTE_PGM_RSRC3_GFX90A:ACCUM_OFFSET: 0
; COMPUTE_PGM_RSRC3_GFX90A:TG_SPLIT: 0
	.section	.text._ZN7rocprim17ROCPRIM_400000_NS6detail17trampoline_kernelINS0_14default_configENS1_25partition_config_selectorILNS1_17partition_subalgoE8EtNS0_10empty_typeEbEEZZNS1_14partition_implILS5_8ELb0ES3_jPKtPS6_PKS6_NS0_5tupleIJPtS6_EEENSE_IJSB_SB_EEENS0_18inequality_wrapperIN6hipcub16HIPCUB_304000_NS8EqualityEEEPlJS6_EEE10hipError_tPvRmT3_T4_T5_T6_T7_T9_mT8_P12ihipStream_tbDpT10_ENKUlT_T0_E_clISt17integral_constantIbLb0EES16_IbLb1EEEEDaS12_S13_EUlS12_E_NS1_11comp_targetILNS1_3genE4ELNS1_11target_archE910ELNS1_3gpuE8ELNS1_3repE0EEENS1_30default_config_static_selectorELNS0_4arch9wavefront6targetE1EEEvT1_,"axG",@progbits,_ZN7rocprim17ROCPRIM_400000_NS6detail17trampoline_kernelINS0_14default_configENS1_25partition_config_selectorILNS1_17partition_subalgoE8EtNS0_10empty_typeEbEEZZNS1_14partition_implILS5_8ELb0ES3_jPKtPS6_PKS6_NS0_5tupleIJPtS6_EEENSE_IJSB_SB_EEENS0_18inequality_wrapperIN6hipcub16HIPCUB_304000_NS8EqualityEEEPlJS6_EEE10hipError_tPvRmT3_T4_T5_T6_T7_T9_mT8_P12ihipStream_tbDpT10_ENKUlT_T0_E_clISt17integral_constantIbLb0EES16_IbLb1EEEEDaS12_S13_EUlS12_E_NS1_11comp_targetILNS1_3genE4ELNS1_11target_archE910ELNS1_3gpuE8ELNS1_3repE0EEENS1_30default_config_static_selectorELNS0_4arch9wavefront6targetE1EEEvT1_,comdat
	.protected	_ZN7rocprim17ROCPRIM_400000_NS6detail17trampoline_kernelINS0_14default_configENS1_25partition_config_selectorILNS1_17partition_subalgoE8EtNS0_10empty_typeEbEEZZNS1_14partition_implILS5_8ELb0ES3_jPKtPS6_PKS6_NS0_5tupleIJPtS6_EEENSE_IJSB_SB_EEENS0_18inequality_wrapperIN6hipcub16HIPCUB_304000_NS8EqualityEEEPlJS6_EEE10hipError_tPvRmT3_T4_T5_T6_T7_T9_mT8_P12ihipStream_tbDpT10_ENKUlT_T0_E_clISt17integral_constantIbLb0EES16_IbLb1EEEEDaS12_S13_EUlS12_E_NS1_11comp_targetILNS1_3genE4ELNS1_11target_archE910ELNS1_3gpuE8ELNS1_3repE0EEENS1_30default_config_static_selectorELNS0_4arch9wavefront6targetE1EEEvT1_ ; -- Begin function _ZN7rocprim17ROCPRIM_400000_NS6detail17trampoline_kernelINS0_14default_configENS1_25partition_config_selectorILNS1_17partition_subalgoE8EtNS0_10empty_typeEbEEZZNS1_14partition_implILS5_8ELb0ES3_jPKtPS6_PKS6_NS0_5tupleIJPtS6_EEENSE_IJSB_SB_EEENS0_18inequality_wrapperIN6hipcub16HIPCUB_304000_NS8EqualityEEEPlJS6_EEE10hipError_tPvRmT3_T4_T5_T6_T7_T9_mT8_P12ihipStream_tbDpT10_ENKUlT_T0_E_clISt17integral_constantIbLb0EES16_IbLb1EEEEDaS12_S13_EUlS12_E_NS1_11comp_targetILNS1_3genE4ELNS1_11target_archE910ELNS1_3gpuE8ELNS1_3repE0EEENS1_30default_config_static_selectorELNS0_4arch9wavefront6targetE1EEEvT1_
	.globl	_ZN7rocprim17ROCPRIM_400000_NS6detail17trampoline_kernelINS0_14default_configENS1_25partition_config_selectorILNS1_17partition_subalgoE8EtNS0_10empty_typeEbEEZZNS1_14partition_implILS5_8ELb0ES3_jPKtPS6_PKS6_NS0_5tupleIJPtS6_EEENSE_IJSB_SB_EEENS0_18inequality_wrapperIN6hipcub16HIPCUB_304000_NS8EqualityEEEPlJS6_EEE10hipError_tPvRmT3_T4_T5_T6_T7_T9_mT8_P12ihipStream_tbDpT10_ENKUlT_T0_E_clISt17integral_constantIbLb0EES16_IbLb1EEEEDaS12_S13_EUlS12_E_NS1_11comp_targetILNS1_3genE4ELNS1_11target_archE910ELNS1_3gpuE8ELNS1_3repE0EEENS1_30default_config_static_selectorELNS0_4arch9wavefront6targetE1EEEvT1_
	.p2align	8
	.type	_ZN7rocprim17ROCPRIM_400000_NS6detail17trampoline_kernelINS0_14default_configENS1_25partition_config_selectorILNS1_17partition_subalgoE8EtNS0_10empty_typeEbEEZZNS1_14partition_implILS5_8ELb0ES3_jPKtPS6_PKS6_NS0_5tupleIJPtS6_EEENSE_IJSB_SB_EEENS0_18inequality_wrapperIN6hipcub16HIPCUB_304000_NS8EqualityEEEPlJS6_EEE10hipError_tPvRmT3_T4_T5_T6_T7_T9_mT8_P12ihipStream_tbDpT10_ENKUlT_T0_E_clISt17integral_constantIbLb0EES16_IbLb1EEEEDaS12_S13_EUlS12_E_NS1_11comp_targetILNS1_3genE4ELNS1_11target_archE910ELNS1_3gpuE8ELNS1_3repE0EEENS1_30default_config_static_selectorELNS0_4arch9wavefront6targetE1EEEvT1_,@function
_ZN7rocprim17ROCPRIM_400000_NS6detail17trampoline_kernelINS0_14default_configENS1_25partition_config_selectorILNS1_17partition_subalgoE8EtNS0_10empty_typeEbEEZZNS1_14partition_implILS5_8ELb0ES3_jPKtPS6_PKS6_NS0_5tupleIJPtS6_EEENSE_IJSB_SB_EEENS0_18inequality_wrapperIN6hipcub16HIPCUB_304000_NS8EqualityEEEPlJS6_EEE10hipError_tPvRmT3_T4_T5_T6_T7_T9_mT8_P12ihipStream_tbDpT10_ENKUlT_T0_E_clISt17integral_constantIbLb0EES16_IbLb1EEEEDaS12_S13_EUlS12_E_NS1_11comp_targetILNS1_3genE4ELNS1_11target_archE910ELNS1_3gpuE8ELNS1_3repE0EEENS1_30default_config_static_selectorELNS0_4arch9wavefront6targetE1EEEvT1_: ; @_ZN7rocprim17ROCPRIM_400000_NS6detail17trampoline_kernelINS0_14default_configENS1_25partition_config_selectorILNS1_17partition_subalgoE8EtNS0_10empty_typeEbEEZZNS1_14partition_implILS5_8ELb0ES3_jPKtPS6_PKS6_NS0_5tupleIJPtS6_EEENSE_IJSB_SB_EEENS0_18inequality_wrapperIN6hipcub16HIPCUB_304000_NS8EqualityEEEPlJS6_EEE10hipError_tPvRmT3_T4_T5_T6_T7_T9_mT8_P12ihipStream_tbDpT10_ENKUlT_T0_E_clISt17integral_constantIbLb0EES16_IbLb1EEEEDaS12_S13_EUlS12_E_NS1_11comp_targetILNS1_3genE4ELNS1_11target_archE910ELNS1_3gpuE8ELNS1_3repE0EEENS1_30default_config_static_selectorELNS0_4arch9wavefront6targetE1EEEvT1_
; %bb.0:
	s_load_dwordx2 s[52:53], s[4:5], 0x28
	s_load_dwordx4 s[48:51], s[4:5], 0x40
	s_load_dwordx2 s[6:7], s[4:5], 0x50
	s_load_dwordx2 s[56:57], s[4:5], 0x60
	v_cmp_ne_u32_e64 s[2:3], 0, v0
	v_cmp_eq_u32_e64 s[0:1], 0, v0
	s_and_saveexec_b64 s[8:9], s[0:1]
	s_cbranch_execz .LBB781_4
; %bb.1:
	s_mov_b64 s[12:13], exec
	v_mbcnt_lo_u32_b32 v1, s12, 0
	v_mbcnt_hi_u32_b32 v1, s13, v1
	v_cmp_eq_u32_e32 vcc, 0, v1
                                        ; implicit-def: $vgpr2
	s_and_saveexec_b64 s[10:11], vcc
	s_cbranch_execz .LBB781_3
; %bb.2:
	s_load_dwordx2 s[14:15], s[4:5], 0x70
	s_bcnt1_i32_b64 s12, s[12:13]
	v_mov_b32_e32 v2, 0
	v_mov_b32_e32 v3, s12
	s_waitcnt lgkmcnt(0)
	global_atomic_add v2, v2, v3, s[14:15] glc
.LBB781_3:
	s_or_b64 exec, exec, s[10:11]
	s_waitcnt vmcnt(0)
	v_readfirstlane_b32 s10, v2
	v_add_u32_e32 v1, s10, v1
	v_mov_b32_e32 v2, 0
	ds_write_b32 v2, v1
.LBB781_4:
	s_or_b64 exec, exec, s[8:9]
	v_mov_b32_e32 v3, 0
	s_load_dwordx4 s[8:11], s[4:5], 0x8
	s_load_dword s12, s[4:5], 0x68
	s_waitcnt lgkmcnt(0)
	s_barrier
	ds_read_b32 v1, v3
	s_waitcnt lgkmcnt(0)
	s_barrier
	global_load_dwordx2 v[8:9], v3, s[50:51]
	s_lshl_b64 s[4:5], s[10:11], 1
	v_mov_b32_e32 v5, s7
	s_add_u32 s7, s8, s4
	s_movk_i32 s4, 0x1600
	v_mul_lo_u32 v2, v1, s4
	s_mul_i32 s4, s12, 0x1600
	s_addc_u32 s8, s9, s5
	s_add_i32 s5, s4, s10
	s_add_i32 s9, s12, -1
	s_sub_i32 s64, s6, s5
	s_add_u32 s4, s10, s4
	v_readfirstlane_b32 s33, v1
	s_addc_u32 s5, s11, 0
	v_mov_b32_e32 v4, s6
	s_cmp_eq_u32 s33, s9
	v_cmp_ge_u64_e32 vcc, s[4:5], v[4:5]
	s_cselect_b64 s[50:51], -1, 0
	v_lshlrev_b64 v[2:3], 1, v[2:3]
	s_and_b64 s[58:59], vcc, s[50:51]
	v_mov_b32_e32 v1, s8
	v_add_co_u32_e32 v14, vcc, s7, v2
	s_xor_b64 s[54:55], s[58:59], -1
	v_addc_co_u32_e32 v15, vcc, v1, v3, vcc
	s_mov_b64 s[4:5], -1
	s_and_b64 vcc, exec, s[54:55]
	s_cbranch_vccz .LBB781_6
; %bb.5:
	v_lshlrev_b32_e32 v1, 1, v0
	v_add_co_u32_e32 v4, vcc, v14, v1
	v_addc_co_u32_e32 v5, vcc, 0, v15, vcc
	v_add_co_u32_e32 v2, vcc, 0x1000, v4
	v_readfirstlane_b32 s4, v14
	v_readfirstlane_b32 s5, v15
	v_addc_co_u32_e32 v3, vcc, 0, v5, vcc
	s_nop 3
	global_load_ushort v6, v1, s[4:5]
	global_load_ushort v7, v1, s[4:5] offset:512
	global_load_ushort v10, v1, s[4:5] offset:1024
	;; [unrolled: 1-line block ×7, first 2 shown]
	global_load_ushort v18, v[2:3], off
	global_load_ushort v19, v[2:3], off offset:512
	global_load_ushort v20, v[2:3], off offset:1024
	global_load_ushort v21, v[2:3], off offset:1536
	global_load_ushort v22, v[2:3], off offset:2048
	global_load_ushort v23, v[2:3], off offset:2560
	global_load_ushort v24, v[2:3], off offset:3072
	global_load_ushort v25, v[2:3], off offset:3584
	v_add_co_u32_e32 v2, vcc, 0x2000, v4
	v_addc_co_u32_e32 v3, vcc, 0, v5, vcc
	global_load_ushort v4, v[2:3], off
	global_load_ushort v5, v[2:3], off offset:512
	global_load_ushort v26, v[2:3], off offset:1024
	;; [unrolled: 1-line block ×5, first 2 shown]
	s_mov_b64 s[4:5], 0
	s_waitcnt vmcnt(21)
	ds_write_b16 v1, v6
	s_waitcnt vmcnt(20)
	ds_write_b16 v1, v7 offset:512
	s_waitcnt vmcnt(19)
	ds_write_b16 v1, v10 offset:1024
	;; [unrolled: 2-line block ×21, first 2 shown]
	s_waitcnt lgkmcnt(0)
	s_barrier
.LBB781_6:
	s_andn2_b64 vcc, exec, s[4:5]
	s_addk_i32 s64, 0x1600
	s_cbranch_vccnz .LBB781_52
; %bb.7:
	v_cmp_gt_u32_e32 vcc, s64, v0
                                        ; implicit-def: $vgpr1
	s_and_saveexec_b64 s[4:5], vcc
	s_cbranch_execz .LBB781_9
; %bb.8:
	v_lshlrev_b32_e32 v1, 1, v0
	v_readfirstlane_b32 s6, v14
	v_readfirstlane_b32 s7, v15
	s_nop 4
	global_load_ushort v1, v1, s[6:7]
.LBB781_9:
	s_or_b64 exec, exec, s[4:5]
	v_or_b32_e32 v2, 0x100, v0
	v_cmp_gt_u32_e32 vcc, s64, v2
                                        ; implicit-def: $vgpr2
	s_and_saveexec_b64 s[4:5], vcc
	s_cbranch_execz .LBB781_11
; %bb.10:
	v_lshlrev_b32_e32 v2, 1, v0
	v_readfirstlane_b32 s6, v14
	v_readfirstlane_b32 s7, v15
	s_nop 4
	global_load_ushort v2, v2, s[6:7] offset:512
.LBB781_11:
	s_or_b64 exec, exec, s[4:5]
	v_or_b32_e32 v3, 0x200, v0
	v_cmp_gt_u32_e32 vcc, s64, v3
                                        ; implicit-def: $vgpr3
	s_and_saveexec_b64 s[4:5], vcc
	s_cbranch_execz .LBB781_13
; %bb.12:
	v_lshlrev_b32_e32 v3, 1, v0
	v_readfirstlane_b32 s6, v14
	v_readfirstlane_b32 s7, v15
	s_nop 4
	global_load_ushort v3, v3, s[6:7] offset:1024
.LBB781_13:
	s_or_b64 exec, exec, s[4:5]
	v_or_b32_e32 v4, 0x300, v0
	v_cmp_gt_u32_e32 vcc, s64, v4
                                        ; implicit-def: $vgpr4
	s_and_saveexec_b64 s[4:5], vcc
	s_cbranch_execz .LBB781_15
; %bb.14:
	v_lshlrev_b32_e32 v4, 1, v0
	v_readfirstlane_b32 s6, v14
	v_readfirstlane_b32 s7, v15
	s_nop 4
	global_load_ushort v4, v4, s[6:7] offset:1536
.LBB781_15:
	s_or_b64 exec, exec, s[4:5]
	v_or_b32_e32 v5, 0x400, v0
	v_cmp_gt_u32_e32 vcc, s64, v5
                                        ; implicit-def: $vgpr5
	s_and_saveexec_b64 s[4:5], vcc
	s_cbranch_execz .LBB781_17
; %bb.16:
	v_lshlrev_b32_e32 v5, 1, v0
	v_readfirstlane_b32 s6, v14
	v_readfirstlane_b32 s7, v15
	s_nop 4
	global_load_ushort v5, v5, s[6:7] offset:2048
.LBB781_17:
	s_or_b64 exec, exec, s[4:5]
	v_or_b32_e32 v6, 0x500, v0
	v_cmp_gt_u32_e32 vcc, s64, v6
                                        ; implicit-def: $vgpr6
	s_and_saveexec_b64 s[4:5], vcc
	s_cbranch_execz .LBB781_19
; %bb.18:
	v_lshlrev_b32_e32 v6, 1, v0
	v_readfirstlane_b32 s6, v14
	v_readfirstlane_b32 s7, v15
	s_nop 4
	global_load_ushort v6, v6, s[6:7] offset:2560
.LBB781_19:
	s_or_b64 exec, exec, s[4:5]
	v_or_b32_e32 v7, 0x600, v0
	v_cmp_gt_u32_e32 vcc, s64, v7
                                        ; implicit-def: $vgpr7
	s_and_saveexec_b64 s[4:5], vcc
	s_cbranch_execz .LBB781_21
; %bb.20:
	v_lshlrev_b32_e32 v7, 1, v0
	v_readfirstlane_b32 s6, v14
	v_readfirstlane_b32 s7, v15
	s_nop 4
	global_load_ushort v7, v7, s[6:7] offset:3072
.LBB781_21:
	s_or_b64 exec, exec, s[4:5]
	v_or_b32_e32 v10, 0x700, v0
	v_cmp_gt_u32_e32 vcc, s64, v10
                                        ; implicit-def: $vgpr10
	s_and_saveexec_b64 s[4:5], vcc
	s_cbranch_execz .LBB781_23
; %bb.22:
	v_lshlrev_b32_e32 v10, 1, v0
	v_readfirstlane_b32 s6, v14
	v_readfirstlane_b32 s7, v15
	s_nop 4
	global_load_ushort v10, v10, s[6:7] offset:3584
.LBB781_23:
	s_or_b64 exec, exec, s[4:5]
	v_or_b32_e32 v12, 0x800, v0
	v_cmp_gt_u32_e32 vcc, s64, v12
                                        ; implicit-def: $vgpr11
	s_and_saveexec_b64 s[4:5], vcc
	s_cbranch_execz .LBB781_25
; %bb.24:
	v_lshlrev_b32_e32 v11, 1, v12
	v_readfirstlane_b32 s6, v14
	v_readfirstlane_b32 s7, v15
	s_nop 4
	global_load_ushort v11, v11, s[6:7]
.LBB781_25:
	s_or_b64 exec, exec, s[4:5]
	v_or_b32_e32 v13, 0x900, v0
	v_cmp_gt_u32_e32 vcc, s64, v13
                                        ; implicit-def: $vgpr12
	s_and_saveexec_b64 s[4:5], vcc
	s_cbranch_execz .LBB781_27
; %bb.26:
	v_lshlrev_b32_e32 v12, 1, v13
	v_readfirstlane_b32 s6, v14
	v_readfirstlane_b32 s7, v15
	s_nop 4
	global_load_ushort v12, v12, s[6:7]
.LBB781_27:
	s_or_b64 exec, exec, s[4:5]
	v_or_b32_e32 v16, 0xa00, v0
	v_cmp_gt_u32_e32 vcc, s64, v16
                                        ; implicit-def: $vgpr13
	s_and_saveexec_b64 s[4:5], vcc
	s_cbranch_execz .LBB781_29
; %bb.28:
	v_lshlrev_b32_e32 v13, 1, v16
	v_readfirstlane_b32 s6, v14
	v_readfirstlane_b32 s7, v15
	s_nop 4
	global_load_ushort v13, v13, s[6:7]
.LBB781_29:
	s_or_b64 exec, exec, s[4:5]
	v_or_b32_e32 v17, 0xb00, v0
	v_cmp_gt_u32_e32 vcc, s64, v17
                                        ; implicit-def: $vgpr16
	s_and_saveexec_b64 s[4:5], vcc
	s_cbranch_execz .LBB781_31
; %bb.30:
	v_lshlrev_b32_e32 v16, 1, v17
	v_readfirstlane_b32 s6, v14
	v_readfirstlane_b32 s7, v15
	s_nop 4
	global_load_ushort v16, v16, s[6:7]
.LBB781_31:
	s_or_b64 exec, exec, s[4:5]
	v_or_b32_e32 v18, 0xc00, v0
	v_cmp_gt_u32_e32 vcc, s64, v18
                                        ; implicit-def: $vgpr17
	s_and_saveexec_b64 s[4:5], vcc
	s_cbranch_execz .LBB781_33
; %bb.32:
	v_lshlrev_b32_e32 v17, 1, v18
	v_readfirstlane_b32 s6, v14
	v_readfirstlane_b32 s7, v15
	s_nop 4
	global_load_ushort v17, v17, s[6:7]
.LBB781_33:
	s_or_b64 exec, exec, s[4:5]
	v_or_b32_e32 v19, 0xd00, v0
	v_cmp_gt_u32_e32 vcc, s64, v19
                                        ; implicit-def: $vgpr18
	s_and_saveexec_b64 s[4:5], vcc
	s_cbranch_execz .LBB781_35
; %bb.34:
	v_lshlrev_b32_e32 v18, 1, v19
	v_readfirstlane_b32 s6, v14
	v_readfirstlane_b32 s7, v15
	s_nop 4
	global_load_ushort v18, v18, s[6:7]
.LBB781_35:
	s_or_b64 exec, exec, s[4:5]
	v_or_b32_e32 v20, 0xe00, v0
	v_cmp_gt_u32_e32 vcc, s64, v20
                                        ; implicit-def: $vgpr19
	s_and_saveexec_b64 s[4:5], vcc
	s_cbranch_execz .LBB781_37
; %bb.36:
	v_lshlrev_b32_e32 v19, 1, v20
	v_readfirstlane_b32 s6, v14
	v_readfirstlane_b32 s7, v15
	s_nop 4
	global_load_ushort v19, v19, s[6:7]
.LBB781_37:
	s_or_b64 exec, exec, s[4:5]
	v_or_b32_e32 v21, 0xf00, v0
	v_cmp_gt_u32_e32 vcc, s64, v21
                                        ; implicit-def: $vgpr20
	s_and_saveexec_b64 s[4:5], vcc
	s_cbranch_execz .LBB781_39
; %bb.38:
	v_lshlrev_b32_e32 v20, 1, v21
	v_readfirstlane_b32 s6, v14
	v_readfirstlane_b32 s7, v15
	s_nop 4
	global_load_ushort v20, v20, s[6:7]
.LBB781_39:
	s_or_b64 exec, exec, s[4:5]
	v_or_b32_e32 v22, 0x1000, v0
	v_cmp_gt_u32_e32 vcc, s64, v22
                                        ; implicit-def: $vgpr21
	s_and_saveexec_b64 s[4:5], vcc
	s_cbranch_execz .LBB781_41
; %bb.40:
	v_lshlrev_b32_e32 v21, 1, v22
	v_readfirstlane_b32 s6, v14
	v_readfirstlane_b32 s7, v15
	s_nop 4
	global_load_ushort v21, v21, s[6:7]
.LBB781_41:
	s_or_b64 exec, exec, s[4:5]
	v_or_b32_e32 v23, 0x1100, v0
	v_cmp_gt_u32_e32 vcc, s64, v23
                                        ; implicit-def: $vgpr22
	s_and_saveexec_b64 s[4:5], vcc
	s_cbranch_execz .LBB781_43
; %bb.42:
	v_lshlrev_b32_e32 v22, 1, v23
	v_readfirstlane_b32 s6, v14
	v_readfirstlane_b32 s7, v15
	s_nop 4
	global_load_ushort v22, v22, s[6:7]
.LBB781_43:
	s_or_b64 exec, exec, s[4:5]
	v_or_b32_e32 v24, 0x1200, v0
	v_cmp_gt_u32_e32 vcc, s64, v24
                                        ; implicit-def: $vgpr23
	s_and_saveexec_b64 s[4:5], vcc
	s_cbranch_execz .LBB781_45
; %bb.44:
	v_lshlrev_b32_e32 v23, 1, v24
	v_readfirstlane_b32 s6, v14
	v_readfirstlane_b32 s7, v15
	s_nop 4
	global_load_ushort v23, v23, s[6:7]
.LBB781_45:
	s_or_b64 exec, exec, s[4:5]
	v_or_b32_e32 v25, 0x1300, v0
	v_cmp_gt_u32_e32 vcc, s64, v25
                                        ; implicit-def: $vgpr24
	s_and_saveexec_b64 s[4:5], vcc
	s_cbranch_execz .LBB781_47
; %bb.46:
	v_lshlrev_b32_e32 v24, 1, v25
	v_readfirstlane_b32 s6, v14
	v_readfirstlane_b32 s7, v15
	s_nop 4
	global_load_ushort v24, v24, s[6:7]
.LBB781_47:
	s_or_b64 exec, exec, s[4:5]
	v_or_b32_e32 v26, 0x1400, v0
	v_cmp_gt_u32_e32 vcc, s64, v26
                                        ; implicit-def: $vgpr25
	s_and_saveexec_b64 s[4:5], vcc
	s_cbranch_execz .LBB781_49
; %bb.48:
	v_lshlrev_b32_e32 v25, 1, v26
	v_readfirstlane_b32 s6, v14
	v_readfirstlane_b32 s7, v15
	s_nop 4
	global_load_ushort v25, v25, s[6:7]
.LBB781_49:
	s_or_b64 exec, exec, s[4:5]
	v_or_b32_e32 v27, 0x1500, v0
	v_cmp_gt_u32_e32 vcc, s64, v27
                                        ; implicit-def: $vgpr26
	s_and_saveexec_b64 s[4:5], vcc
	s_cbranch_execz .LBB781_51
; %bb.50:
	v_lshlrev_b32_e32 v26, 1, v27
	v_readfirstlane_b32 s6, v14
	v_readfirstlane_b32 s7, v15
	s_nop 4
	global_load_ushort v26, v26, s[6:7]
.LBB781_51:
	s_or_b64 exec, exec, s[4:5]
	v_lshlrev_b32_e32 v27, 1, v0
	s_waitcnt vmcnt(0)
	ds_write_b16 v27, v1
	ds_write_b16 v27, v2 offset:512
	ds_write_b16 v27, v3 offset:1024
	;; [unrolled: 1-line block ×21, first 2 shown]
	s_waitcnt lgkmcnt(0)
	s_barrier
.LBB781_52:
	v_mul_u32_u24_e32 v23, 22, v0
	v_lshlrev_b32_e32 v38, 1, v23
	ds_read_b32 v62, v38 offset:40
	ds_read2_b32 v[2:3], v38 offset0:8 offset1:9
	ds_read2_b32 v[4:5], v38 offset0:6 offset1:7
	ds_read2_b32 v[12:13], v38 offset1:1
	ds_read2_b32 v[10:11], v38 offset0:2 offset1:3
	ds_read2_b32 v[6:7], v38 offset0:4 offset1:5
	s_cmp_lg_u32 s33, 0
	s_cselect_b64 s[60:61], -1, 0
	s_cmp_lg_u64 s[10:11], 0
	s_cselect_b64 s[4:5], -1, 0
	s_or_b64 s[4:5], s[4:5], s[60:61]
	v_mad_u32_u24 v16, v0, 22, 21
	v_mad_u32_u24 v17, v0, 22, 20
	s_waitcnt lgkmcnt(5)
	v_lshrrev_b32_e32 v1, 16, v62
	v_mad_u32_u24 v18, v0, 22, 19
	s_waitcnt lgkmcnt(4)
	v_lshrrev_b32_e32 v64, 16, v2
	v_lshrrev_b32_e32 v63, 16, v3
	v_mad_u32_u24 v19, v0, 22, 18
	v_mad_u32_u24 v20, v0, 22, 17
	;; [unrolled: 1-line block ×4, first 2 shown]
	s_waitcnt lgkmcnt(3)
	v_lshrrev_b32_e32 v66, 16, v4
	v_lshrrev_b32_e32 v65, 16, v5
	v_mad_u32_u24 v24, v0, 22, 14
	s_waitcnt lgkmcnt(2)
	v_lshrrev_b32_e32 v76, 16, v12
	v_lshrrev_b32_e32 v74, 16, v13
	v_or_b32_e32 v37, 1, v23
	v_mad_u32_u24 v36, v0, 22, 2
	v_mad_u32_u24 v34, v0, 22, 3
	;; [unrolled: 1-line block ×3, first 2 shown]
	s_waitcnt lgkmcnt(1)
	v_lshrrev_b32_e32 v72, 16, v10
	v_lshrrev_b32_e32 v69, 16, v11
	v_mad_u32_u24 v35, v0, 22, 5
	v_mad_u32_u24 v33, v0, 22, 6
	;; [unrolled: 1-line block ×4, first 2 shown]
	s_waitcnt lgkmcnt(0)
	v_lshrrev_b32_e32 v68, 16, v6
	v_lshrrev_b32_e32 v67, 16, v7
	v_mad_u32_u24 v31, v0, 22, 9
	v_mad_u32_u24 v29, v0, 22, 10
	;; [unrolled: 1-line block ×5, first 2 shown]
	s_mov_b64 s[62:63], 0
	s_and_b64 vcc, exec, s[4:5]
	s_barrier
	s_cbranch_vccz .LBB781_57
; %bb.53:
	global_load_ushort v14, v[14:15], off offset:-2
	v_lshlrev_b32_e32 v15, 1, v0
	s_and_b64 vcc, exec, s[54:55]
	ds_write_b16 v15, v1
	s_cbranch_vccz .LBB781_59
; %bb.54:
	s_waitcnt vmcnt(0)
	v_mov_b32_e32 v39, v14
	s_waitcnt lgkmcnt(0)
	s_barrier
	s_and_saveexec_b64 s[4:5], s[2:3]
	s_cbranch_execz .LBB781_56
; %bb.55:
	v_add_u32_e32 v39, -2, v15
	ds_read_u16 v39, v39
.LBB781_56:
	s_or_b64 exec, exec, s[4:5]
	v_cmp_ne_u16_e32 vcc, v62, v1
	v_cndmask_b32_e64 v70, 0, 1, vcc
	v_cmp_ne_u16_e32 vcc, v63, v62
	v_cndmask_b32_e64 v71, 0, 1, vcc
	;; [unrolled: 2-line block ×21, first 2 shown]
	s_waitcnt lgkmcnt(0)
	v_cmp_ne_u16_e64 s[4:5], v39, v12
	s_branch .LBB781_63
.LBB781_57:
                                        ; implicit-def: $sgpr4_sgpr5
                                        ; implicit-def: $vgpr93
                                        ; implicit-def: $vgpr92
                                        ; implicit-def: $vgpr91
                                        ; implicit-def: $vgpr90
                                        ; implicit-def: $vgpr89
                                        ; implicit-def: $vgpr88
                                        ; implicit-def: $vgpr87
                                        ; implicit-def: $vgpr86
                                        ; implicit-def: $vgpr85
                                        ; implicit-def: $vgpr84
                                        ; implicit-def: $vgpr83
                                        ; implicit-def: $vgpr82
                                        ; implicit-def: $vgpr81
                                        ; implicit-def: $vgpr80
                                        ; implicit-def: $vgpr79
                                        ; implicit-def: $vgpr78
                                        ; implicit-def: $vgpr77
                                        ; implicit-def: $vgpr75
                                        ; implicit-def: $vgpr73
                                        ; implicit-def: $vgpr71
                                        ; implicit-def: $vgpr70
	s_branch .LBB781_64
.LBB781_58:
                                        ; implicit-def: $sgpr8
	s_branch .LBB781_72
.LBB781_59:
                                        ; implicit-def: $sgpr4_sgpr5
                                        ; implicit-def: $vgpr93
                                        ; implicit-def: $vgpr92
                                        ; implicit-def: $vgpr91
                                        ; implicit-def: $vgpr90
                                        ; implicit-def: $vgpr89
                                        ; implicit-def: $vgpr88
                                        ; implicit-def: $vgpr87
                                        ; implicit-def: $vgpr86
                                        ; implicit-def: $vgpr85
                                        ; implicit-def: $vgpr84
                                        ; implicit-def: $vgpr83
                                        ; implicit-def: $vgpr82
                                        ; implicit-def: $vgpr81
                                        ; implicit-def: $vgpr80
                                        ; implicit-def: $vgpr79
                                        ; implicit-def: $vgpr78
                                        ; implicit-def: $vgpr77
                                        ; implicit-def: $vgpr75
                                        ; implicit-def: $vgpr73
                                        ; implicit-def: $vgpr71
                                        ; implicit-def: $vgpr70
	s_cbranch_execz .LBB781_63
; %bb.60:
	s_waitcnt lgkmcnt(0)
	s_barrier
	s_and_saveexec_b64 s[4:5], s[2:3]
	s_cbranch_execz .LBB781_62
; %bb.61:
	s_waitcnt vmcnt(0)
	v_add_u32_e32 v14, -2, v15
	ds_read_u16 v14, v14
.LBB781_62:
	s_or_b64 exec, exec, s[4:5]
	v_cmp_gt_u32_e32 vcc, s64, v16
	v_cmp_ne_u16_e64 s[4:5], v62, v1
	s_and_b64 s[4:5], vcc, s[4:5]
	v_cndmask_b32_e64 v70, 0, 1, s[4:5]
	v_cmp_gt_u32_e32 vcc, s64, v17
	v_cmp_ne_u16_e64 s[4:5], v63, v62
	s_and_b64 s[4:5], vcc, s[4:5]
	v_cndmask_b32_e64 v71, 0, 1, s[4:5]
	v_cmp_gt_u32_e32 vcc, s64, v18
	v_cmp_ne_u16_e64 s[4:5], v3, v63
	s_and_b64 s[4:5], vcc, s[4:5]
	v_cndmask_b32_e64 v73, 0, 1, s[4:5]
	v_cmp_gt_u32_e32 vcc, s64, v19
	v_cmp_ne_u16_e64 s[4:5], v64, v3
	s_and_b64 s[4:5], vcc, s[4:5]
	v_cndmask_b32_e64 v75, 0, 1, s[4:5]
	v_cmp_gt_u32_e32 vcc, s64, v20
	v_cmp_ne_u16_e64 s[4:5], v2, v64
	s_and_b64 s[4:5], vcc, s[4:5]
	v_cndmask_b32_e64 v77, 0, 1, s[4:5]
	v_cmp_gt_u32_e32 vcc, s64, v21
	v_cmp_ne_u16_e64 s[4:5], v65, v2
	s_and_b64 s[4:5], vcc, s[4:5]
	v_cndmask_b32_e64 v78, 0, 1, s[4:5]
	v_cmp_gt_u32_e32 vcc, s64, v22
	v_cmp_ne_u16_e64 s[4:5], v5, v65
	s_and_b64 s[4:5], vcc, s[4:5]
	v_cndmask_b32_e64 v79, 0, 1, s[4:5]
	v_cmp_gt_u32_e32 vcc, s64, v24
	v_cmp_ne_u16_e64 s[4:5], v66, v5
	s_and_b64 s[4:5], vcc, s[4:5]
	v_cndmask_b32_e64 v80, 0, 1, s[4:5]
	v_cmp_gt_u32_e32 vcc, s64, v25
	v_cmp_ne_u16_e64 s[4:5], v4, v66
	s_and_b64 s[4:5], vcc, s[4:5]
	v_cndmask_b32_e64 v81, 0, 1, s[4:5]
	v_cmp_gt_u32_e32 vcc, s64, v26
	v_cmp_ne_u16_e64 s[4:5], v67, v4
	s_and_b64 s[4:5], vcc, s[4:5]
	v_cndmask_b32_e64 v82, 0, 1, s[4:5]
	v_cmp_gt_u32_e32 vcc, s64, v27
	v_cmp_ne_u16_e64 s[4:5], v7, v67
	s_and_b64 s[4:5], vcc, s[4:5]
	v_cndmask_b32_e64 v83, 0, 1, s[4:5]
	v_cmp_gt_u32_e32 vcc, s64, v29
	v_cmp_ne_u16_e64 s[4:5], v68, v7
	s_and_b64 s[4:5], vcc, s[4:5]
	v_cndmask_b32_e64 v84, 0, 1, s[4:5]
	v_cmp_gt_u32_e32 vcc, s64, v31
	v_cmp_ne_u16_e64 s[4:5], v6, v68
	s_and_b64 s[4:5], vcc, s[4:5]
	v_cndmask_b32_e64 v85, 0, 1, s[4:5]
	v_cmp_gt_u32_e32 vcc, s64, v28
	v_cmp_ne_u16_e64 s[4:5], v69, v6
	s_and_b64 s[4:5], vcc, s[4:5]
	v_cndmask_b32_e64 v86, 0, 1, s[4:5]
	v_cmp_gt_u32_e32 vcc, s64, v30
	v_cmp_ne_u16_e64 s[4:5], v11, v69
	s_and_b64 s[4:5], vcc, s[4:5]
	v_cndmask_b32_e64 v87, 0, 1, s[4:5]
	v_cmp_gt_u32_e32 vcc, s64, v33
	v_cmp_ne_u16_e64 s[4:5], v72, v11
	s_and_b64 s[4:5], vcc, s[4:5]
	v_cndmask_b32_e64 v88, 0, 1, s[4:5]
	v_cmp_gt_u32_e32 vcc, s64, v35
	v_cmp_ne_u16_e64 s[4:5], v10, v72
	s_and_b64 s[4:5], vcc, s[4:5]
	v_cndmask_b32_e64 v89, 0, 1, s[4:5]
	v_cmp_gt_u32_e32 vcc, s64, v32
	v_cmp_ne_u16_e64 s[4:5], v74, v10
	s_and_b64 s[4:5], vcc, s[4:5]
	v_cndmask_b32_e64 v90, 0, 1, s[4:5]
	v_cmp_gt_u32_e32 vcc, s64, v34
	v_cmp_ne_u16_e64 s[4:5], v13, v74
	s_and_b64 s[4:5], vcc, s[4:5]
	v_cndmask_b32_e64 v91, 0, 1, s[4:5]
	v_cmp_gt_u32_e32 vcc, s64, v36
	v_cmp_ne_u16_e64 s[4:5], v76, v13
	s_and_b64 s[4:5], vcc, s[4:5]
	v_cndmask_b32_e64 v92, 0, 1, s[4:5]
	v_cmp_gt_u32_e32 vcc, s64, v37
	v_cmp_ne_u16_e64 s[4:5], v12, v76
	s_and_b64 s[4:5], vcc, s[4:5]
	v_cndmask_b32_e64 v93, 0, 1, s[4:5]
	v_cmp_gt_u32_e32 vcc, s64, v23
	s_waitcnt vmcnt(0) lgkmcnt(0)
	v_cmp_ne_u16_e64 s[4:5], v14, v12
	s_and_b64 s[4:5], vcc, s[4:5]
.LBB781_63:
	s_mov_b64 s[62:63], -1
	s_cbranch_execnz .LBB781_58
.LBB781_64:
	s_movk_i32 s4, 0xffd6
	s_waitcnt vmcnt(0)
	v_mad_i32_i24 v14, v0, s4, v38
	s_and_b64 vcc, exec, s[54:55]
	v_cmp_ne_u16_e64 s[4:5], v62, v1
	v_cmp_ne_u16_e64 s[6:7], v63, v62
	;; [unrolled: 1-line block ×21, first 2 shown]
	ds_write_b16 v14, v1
	s_cbranch_vccz .LBB781_68
; %bb.65:
	v_cndmask_b32_e64 v70, 0, 1, s[4:5]
	v_cndmask_b32_e64 v71, 0, 1, s[6:7]
	v_cndmask_b32_e64 v73, 0, 1, s[8:9]
	v_cndmask_b32_e64 v75, 0, 1, s[10:11]
	v_cndmask_b32_e64 v77, 0, 1, s[12:13]
	v_cndmask_b32_e64 v78, 0, 1, s[14:15]
	v_cndmask_b32_e64 v79, 0, 1, s[16:17]
	v_cndmask_b32_e64 v80, 0, 1, s[18:19]
	v_cndmask_b32_e64 v81, 0, 1, s[20:21]
	v_cndmask_b32_e64 v82, 0, 1, s[22:23]
	v_cndmask_b32_e64 v83, 0, 1, s[24:25]
	v_cndmask_b32_e64 v84, 0, 1, s[26:27]
	v_cndmask_b32_e64 v85, 0, 1, s[28:29]
	v_cndmask_b32_e64 v86, 0, 1, s[30:31]
	v_cndmask_b32_e64 v87, 0, 1, s[34:35]
	v_cndmask_b32_e64 v88, 0, 1, s[36:37]
	v_cndmask_b32_e64 v89, 0, 1, s[38:39]
	v_cndmask_b32_e64 v90, 0, 1, s[40:41]
	v_cndmask_b32_e64 v91, 0, 1, s[42:43]
	v_cndmask_b32_e64 v92, 0, 1, s[44:45]
	v_cndmask_b32_e64 v93, 0, 1, s[46:47]
	s_waitcnt lgkmcnt(0)
	s_barrier
	s_waitcnt lgkmcnt(0)
                                        ; implicit-def: $sgpr4_sgpr5
	s_and_saveexec_b64 s[6:7], s[2:3]
	s_xor_b64 s[6:7], exec, s[6:7]
	s_cbranch_execz .LBB781_67
; %bb.66:
	v_add_u32_e32 v15, -2, v14
	ds_read_u16 v15, v15
	s_or_b64 s[62:63], s[62:63], exec
	s_waitcnt lgkmcnt(0)
	v_cmp_ne_u16_e32 vcc, v15, v12
	s_and_b64 s[4:5], vcc, exec
.LBB781_67:
	s_or_b64 exec, exec, s[6:7]
	s_mov_b32 s8, 1
	s_branch .LBB781_72
.LBB781_68:
                                        ; implicit-def: $sgpr4_sgpr5
                                        ; implicit-def: $vgpr93
                                        ; implicit-def: $vgpr92
                                        ; implicit-def: $vgpr91
                                        ; implicit-def: $vgpr90
                                        ; implicit-def: $vgpr89
                                        ; implicit-def: $vgpr88
                                        ; implicit-def: $vgpr87
                                        ; implicit-def: $vgpr86
                                        ; implicit-def: $vgpr85
                                        ; implicit-def: $vgpr84
                                        ; implicit-def: $vgpr83
                                        ; implicit-def: $vgpr82
                                        ; implicit-def: $vgpr81
                                        ; implicit-def: $vgpr80
                                        ; implicit-def: $vgpr79
                                        ; implicit-def: $vgpr78
                                        ; implicit-def: $vgpr77
                                        ; implicit-def: $vgpr75
                                        ; implicit-def: $vgpr73
                                        ; implicit-def: $vgpr71
                                        ; implicit-def: $vgpr70
                                        ; implicit-def: $sgpr8
	s_cbranch_execz .LBB781_72
; %bb.69:
	v_cmp_gt_u32_e32 vcc, s64, v16
	v_cmp_ne_u16_e64 s[4:5], v62, v1
	s_and_b64 s[4:5], vcc, s[4:5]
	v_cndmask_b32_e64 v70, 0, 1, s[4:5]
	v_cmp_gt_u32_e32 vcc, s64, v17
	v_cmp_ne_u16_e64 s[4:5], v63, v62
	s_and_b64 s[4:5], vcc, s[4:5]
	v_cndmask_b32_e64 v71, 0, 1, s[4:5]
	;; [unrolled: 4-line block ×21, first 2 shown]
	s_waitcnt lgkmcnt(0)
	s_barrier
	s_waitcnt lgkmcnt(0)
                                        ; implicit-def: $sgpr4_sgpr5
	s_and_saveexec_b64 s[6:7], s[2:3]
	s_cbranch_execz .LBB781_71
; %bb.70:
	v_add_u32_e32 v14, -2, v14
	ds_read_u16 v14, v14
	v_cmp_gt_u32_e32 vcc, s64, v23
	s_or_b64 s[62:63], s[62:63], exec
	s_waitcnt lgkmcnt(0)
	v_cmp_ne_u16_e64 s[2:3], v14, v12
	s_and_b64 s[2:3], vcc, s[2:3]
	s_and_b64 s[4:5], s[2:3], exec
.LBB781_71:
	s_or_b64 exec, exec, s[6:7]
	s_mov_b32 s8, 1
.LBB781_72:
	v_mov_b32_e32 v94, s8
	s_and_saveexec_b64 s[2:3], s[62:63]
; %bb.73:
	v_cndmask_b32_e64 v94, 0, 1, s[4:5]
; %bb.74:
	s_or_b64 exec, exec, s[2:3]
	s_andn2_b64 vcc, exec, s[58:59]
	s_cbranch_vccnz .LBB781_76
; %bb.75:
	v_cmp_gt_u32_e32 vcc, s64, v23
	v_cndmask_b32_e32 v94, 0, v94, vcc
	v_cmp_gt_u32_e32 vcc, s64, v37
	v_cndmask_b32_e32 v93, 0, v93, vcc
	v_cmp_gt_u32_e32 vcc, s64, v36
	v_cndmask_b32_e32 v92, 0, v92, vcc
	v_cmp_gt_u32_e32 vcc, s64, v34
	v_cndmask_b32_e32 v91, 0, v91, vcc
	v_cmp_gt_u32_e32 vcc, s64, v32
	v_cndmask_b32_e32 v90, 0, v90, vcc
	v_cmp_gt_u32_e32 vcc, s64, v35
	v_cndmask_b32_e32 v89, 0, v89, vcc
	v_cmp_gt_u32_e32 vcc, s64, v33
	v_cndmask_b32_e32 v88, 0, v88, vcc
	v_cmp_gt_u32_e32 vcc, s64, v30
	v_cndmask_b32_e32 v87, 0, v87, vcc
	v_cmp_gt_u32_e32 vcc, s64, v28
	v_cndmask_b32_e32 v86, 0, v86, vcc
	v_cmp_gt_u32_e32 vcc, s64, v31
	v_cndmask_b32_e32 v85, 0, v85, vcc
	v_cmp_gt_u32_e32 vcc, s64, v29
	v_cndmask_b32_e32 v84, 0, v84, vcc
	v_cmp_gt_u32_e32 vcc, s64, v27
	v_cndmask_b32_e32 v83, 0, v83, vcc
	v_cmp_gt_u32_e32 vcc, s64, v26
	v_cndmask_b32_e32 v82, 0, v82, vcc
	v_cmp_gt_u32_e32 vcc, s64, v25
	v_cndmask_b32_e32 v81, 0, v81, vcc
	v_cmp_gt_u32_e32 vcc, s64, v24
	v_cndmask_b32_e32 v80, 0, v80, vcc
	v_cmp_gt_u32_e32 vcc, s64, v22
	v_cndmask_b32_e32 v79, 0, v79, vcc
	v_cmp_gt_u32_e32 vcc, s64, v21
	v_cndmask_b32_e32 v78, 0, v78, vcc
	v_cmp_gt_u32_e32 vcc, s64, v20
	v_cndmask_b32_e32 v77, 0, v77, vcc
	v_cmp_gt_u32_e32 vcc, s64, v19
	v_cndmask_b32_e32 v75, 0, v75, vcc
	v_cmp_gt_u32_e32 vcc, s64, v18
	v_cndmask_b32_e32 v73, 0, v73, vcc
	v_cmp_gt_u32_e32 vcc, s64, v17
	v_cndmask_b32_e32 v71, 0, v71, vcc
	v_cmp_gt_u32_e32 vcc, s64, v16
	v_cndmask_b32_e32 v70, 0, v70, vcc
.LBB781_76:
	v_and_b32_e32 v49, 0xff, v75
	v_and_b32_e32 v51, 0xff, v73
	s_waitcnt vmcnt(0)
	v_add_u32_sdwa v14, v71, v70 dst_sel:DWORD dst_unused:UNUSED_PAD src0_sel:BYTE_0 src1_sel:BYTE_0
	v_and_b32_e32 v45, 0xff, v78
	v_and_b32_e32 v47, 0xff, v77
	v_add3_u32 v14, v14, v51, v49
	v_and_b32_e32 v41, 0xff, v80
	v_and_b32_e32 v43, 0xff, v79
	v_add3_u32 v14, v14, v47, v45
	v_and_b32_e32 v37, 0xff, v82
	v_and_b32_e32 v39, 0xff, v81
	v_add3_u32 v14, v14, v43, v41
	v_and_b32_e32 v34, 0xff, v84
	v_and_b32_e32 v35, 0xff, v83
	v_add3_u32 v14, v14, v39, v37
	v_and_b32_e32 v32, 0xff, v86
	v_and_b32_e32 v33, 0xff, v85
	v_add3_u32 v14, v14, v35, v34
	v_and_b32_e32 v30, 0xff, v88
	v_and_b32_e32 v31, 0xff, v87
	v_add3_u32 v14, v14, v33, v32
	v_and_b32_e32 v28, 0xff, v90
	v_and_b32_e32 v29, 0xff, v89
	v_add3_u32 v14, v14, v31, v30
	v_and_b32_e32 v26, 0xff, v92
	v_and_b32_e32 v27, 0xff, v91
	v_add3_u32 v14, v14, v29, v28
	v_and_b32_e32 v24, 0xff, v94
	v_and_b32_e32 v25, 0xff, v93
	v_add3_u32 v14, v14, v27, v26
	v_add3_u32 v40, v14, v25, v24
	v_mbcnt_lo_u32_b32 v14, -1, 0
	v_mbcnt_hi_u32_b32 v36, -1, v14
	v_and_b32_e32 v14, 15, v36
	v_cmp_eq_u32_e64 s[14:15], 0, v14
	v_cmp_lt_u32_e64 s[12:13], 1, v14
	v_cmp_lt_u32_e64 s[10:11], 3, v14
	;; [unrolled: 1-line block ×3, first 2 shown]
	v_and_b32_e32 v14, 16, v36
	v_cmp_eq_u32_e64 s[6:7], 0, v14
	v_or_b32_e32 v14, 63, v0
	v_cmp_lt_u32_e64 s[2:3], 31, v36
	v_lshrrev_b32_e32 v38, 6, v0
	v_cmp_eq_u32_e64 s[4:5], v14, v0
	s_and_b64 vcc, exec, s[60:61]
	s_waitcnt lgkmcnt(0)
	s_barrier
	s_cbranch_vccz .LBB781_103
; %bb.77:
	v_mov_b32_dpp v14, v40 row_shr:1 row_mask:0xf bank_mask:0xf
	v_cndmask_b32_e64 v14, v14, 0, s[14:15]
	v_add_u32_e32 v14, v14, v40
	s_nop 1
	v_mov_b32_dpp v15, v14 row_shr:2 row_mask:0xf bank_mask:0xf
	v_cndmask_b32_e64 v15, 0, v15, s[12:13]
	v_add_u32_e32 v14, v14, v15
	s_nop 1
	;; [unrolled: 4-line block ×4, first 2 shown]
	v_mov_b32_dpp v15, v14 row_bcast:15 row_mask:0xf bank_mask:0xf
	v_cndmask_b32_e64 v15, v15, 0, s[6:7]
	v_add_u32_e32 v14, v14, v15
	s_nop 1
	v_mov_b32_dpp v15, v14 row_bcast:31 row_mask:0xf bank_mask:0xf
	v_cndmask_b32_e64 v15, 0, v15, s[2:3]
	v_add_u32_e32 v14, v14, v15
	s_and_saveexec_b64 s[16:17], s[4:5]
	s_cbranch_execz .LBB781_79
; %bb.78:
	v_lshlrev_b32_e32 v15, 2, v38
	ds_write_b32 v15, v14
.LBB781_79:
	s_or_b64 exec, exec, s[16:17]
	v_cmp_gt_u32_e32 vcc, 4, v0
	s_waitcnt lgkmcnt(0)
	s_barrier
	s_and_saveexec_b64 s[16:17], vcc
	s_cbranch_execz .LBB781_81
; %bb.80:
	v_lshlrev_b32_e32 v15, 2, v0
	ds_read_b32 v16, v15
	v_and_b32_e32 v17, 3, v36
	v_cmp_ne_u32_e32 vcc, 0, v17
	s_waitcnt lgkmcnt(0)
	v_mov_b32_dpp v18, v16 row_shr:1 row_mask:0xf bank_mask:0xf
	v_cndmask_b32_e32 v18, 0, v18, vcc
	v_add_u32_e32 v16, v18, v16
	v_cmp_lt_u32_e32 vcc, 1, v17
	s_nop 0
	v_mov_b32_dpp v18, v16 row_shr:2 row_mask:0xf bank_mask:0xf
	v_cndmask_b32_e32 v17, 0, v18, vcc
	v_add_u32_e32 v16, v16, v17
	ds_write_b32 v15, v16
.LBB781_81:
	s_or_b64 exec, exec, s[16:17]
	v_cmp_gt_u32_e32 vcc, 64, v0
	v_cmp_lt_u32_e64 s[16:17], 63, v0
	s_waitcnt lgkmcnt(0)
	s_barrier
	s_waitcnt lgkmcnt(0)
                                        ; implicit-def: $vgpr42
	s_and_saveexec_b64 s[18:19], s[16:17]
	s_cbranch_execz .LBB781_83
; %bb.82:
	v_lshl_add_u32 v15, v38, 2, -4
	ds_read_b32 v42, v15
	s_waitcnt lgkmcnt(0)
	v_add_u32_e32 v14, v42, v14
.LBB781_83:
	s_or_b64 exec, exec, s[18:19]
	v_add_u32_e32 v15, -1, v36
	v_and_b32_e32 v16, 64, v36
	v_cmp_lt_i32_e64 s[16:17], v15, v16
	v_cndmask_b32_e64 v15, v15, v36, s[16:17]
	v_lshlrev_b32_e32 v15, 2, v15
	ds_bpermute_b32 v44, v15, v14
	v_cmp_eq_u32_e64 s[16:17], 0, v36
	s_and_saveexec_b64 s[18:19], vcc
	s_cbranch_execz .LBB781_102
; %bb.84:
	v_mov_b32_e32 v21, 0
	ds_read_b32 v14, v21 offset:12
	s_and_saveexec_b64 s[20:21], s[16:17]
	s_cbranch_execz .LBB781_86
; %bb.85:
	s_add_i32 s22, s33, 64
	s_mov_b32 s23, 0
	s_lshl_b64 s[22:23], s[22:23], 3
	s_add_u32 s22, s56, s22
	v_mov_b32_e32 v15, 1
	s_addc_u32 s23, s57, s23
	s_waitcnt lgkmcnt(0)
	global_store_dwordx2 v21, v[14:15], s[22:23]
.LBB781_86:
	s_or_b64 exec, exec, s[20:21]
	v_xad_u32 v16, v36, -1, s33
	v_add_u32_e32 v20, 64, v16
	v_lshlrev_b64 v[18:19], 3, v[20:21]
	v_mov_b32_e32 v15, s57
	v_add_co_u32_e32 v22, vcc, s56, v18
	v_addc_co_u32_e32 v23, vcc, v15, v19, vcc
	global_load_dwordx2 v[18:19], v[22:23], off glc
	s_waitcnt vmcnt(0)
	v_cmp_eq_u16_sdwa s[22:23], v19, v21 src0_sel:BYTE_0 src1_sel:DWORD
	s_and_saveexec_b64 s[20:21], s[22:23]
	s_cbranch_execz .LBB781_90
; %bb.87:
	s_mov_b64 s[22:23], 0
	v_mov_b32_e32 v15, 0
.LBB781_88:                             ; =>This Inner Loop Header: Depth=1
	global_load_dwordx2 v[18:19], v[22:23], off glc
	s_waitcnt vmcnt(0)
	v_cmp_ne_u16_sdwa s[24:25], v19, v15 src0_sel:BYTE_0 src1_sel:DWORD
	s_or_b64 s[22:23], s[24:25], s[22:23]
	s_andn2_b64 exec, exec, s[22:23]
	s_cbranch_execnz .LBB781_88
; %bb.89:
	s_or_b64 exec, exec, s[22:23]
.LBB781_90:
	s_or_b64 exec, exec, s[20:21]
	v_and_b32_e32 v48, 63, v36
	v_mov_b32_e32 v46, 2
	v_cmp_ne_u32_e32 vcc, 63, v48
	v_cmp_eq_u16_sdwa s[20:21], v19, v46 src0_sel:BYTE_0 src1_sel:DWORD
	v_lshlrev_b64 v[20:21], v36, -1
	v_addc_co_u32_e32 v22, vcc, 0, v36, vcc
	v_and_b32_e32 v15, s21, v21
	v_lshlrev_b32_e32 v50, 2, v22
	v_or_b32_e32 v15, 0x80000000, v15
	ds_bpermute_b32 v22, v50, v18
	v_and_b32_e32 v17, s20, v20
	v_ffbl_b32_e32 v15, v15
	v_add_u32_e32 v15, 32, v15
	v_ffbl_b32_e32 v17, v17
	v_min_u32_e32 v15, v17, v15
	v_cmp_lt_u32_e32 vcc, v48, v15
	s_waitcnt lgkmcnt(0)
	v_cndmask_b32_e32 v17, 0, v22, vcc
	v_cmp_gt_u32_e32 vcc, 62, v48
	v_add_u32_e32 v17, v17, v18
	v_cndmask_b32_e64 v18, 0, 1, vcc
	v_lshlrev_b32_e32 v18, 1, v18
	v_add_lshl_u32 v52, v18, v36, 2
	ds_bpermute_b32 v18, v52, v17
	v_add_u32_e32 v53, 2, v48
	v_cmp_le_u32_e32 vcc, v53, v15
	v_add_u32_e32 v55, 4, v48
	v_add_u32_e32 v57, 8, v48
	s_waitcnt lgkmcnt(0)
	v_cndmask_b32_e32 v18, 0, v18, vcc
	v_cmp_gt_u32_e32 vcc, 60, v48
	v_add_u32_e32 v17, v17, v18
	v_cndmask_b32_e64 v18, 0, 1, vcc
	v_lshlrev_b32_e32 v18, 2, v18
	v_add_lshl_u32 v54, v18, v36, 2
	ds_bpermute_b32 v18, v54, v17
	v_cmp_le_u32_e32 vcc, v55, v15
	v_add_u32_e32 v59, 16, v48
	v_add_u32_e32 v61, 32, v48
	s_waitcnt lgkmcnt(0)
	v_cndmask_b32_e32 v18, 0, v18, vcc
	v_cmp_gt_u32_e32 vcc, 56, v48
	v_add_u32_e32 v17, v17, v18
	v_cndmask_b32_e64 v18, 0, 1, vcc
	v_lshlrev_b32_e32 v18, 3, v18
	v_add_lshl_u32 v56, v18, v36, 2
	ds_bpermute_b32 v18, v56, v17
	v_cmp_le_u32_e32 vcc, v57, v15
	s_waitcnt lgkmcnt(0)
	v_cndmask_b32_e32 v18, 0, v18, vcc
	v_cmp_gt_u32_e32 vcc, 48, v48
	v_add_u32_e32 v17, v17, v18
	v_cndmask_b32_e64 v18, 0, 1, vcc
	v_lshlrev_b32_e32 v18, 4, v18
	v_add_lshl_u32 v58, v18, v36, 2
	ds_bpermute_b32 v18, v58, v17
	v_cmp_le_u32_e32 vcc, v59, v15
	;; [unrolled: 9-line block ×3, first 2 shown]
	s_waitcnt lgkmcnt(0)
	v_cndmask_b32_e32 v15, 0, v18, vcc
	v_add_u32_e32 v18, v17, v15
	v_mov_b32_e32 v17, 0
	s_branch .LBB781_92
.LBB781_91:                             ;   in Loop: Header=BB781_92 Depth=1
	s_or_b64 exec, exec, s[20:21]
	v_cmp_eq_u16_sdwa s[20:21], v19, v46 src0_sel:BYTE_0 src1_sel:DWORD
	v_and_b32_e32 v22, s21, v21
	v_or_b32_e32 v22, 0x80000000, v22
	ds_bpermute_b32 v95, v50, v18
	v_and_b32_e32 v23, s20, v20
	v_ffbl_b32_e32 v22, v22
	v_add_u32_e32 v22, 32, v22
	v_ffbl_b32_e32 v23, v23
	v_min_u32_e32 v22, v23, v22
	v_cmp_lt_u32_e32 vcc, v48, v22
	s_waitcnt lgkmcnt(0)
	v_cndmask_b32_e32 v23, 0, v95, vcc
	v_add_u32_e32 v18, v23, v18
	ds_bpermute_b32 v23, v52, v18
	v_cmp_le_u32_e32 vcc, v53, v22
	v_subrev_u32_e32 v16, 64, v16
	s_waitcnt lgkmcnt(0)
	v_cndmask_b32_e32 v23, 0, v23, vcc
	v_add_u32_e32 v18, v18, v23
	ds_bpermute_b32 v23, v54, v18
	v_cmp_le_u32_e32 vcc, v55, v22
	s_waitcnt lgkmcnt(0)
	v_cndmask_b32_e32 v23, 0, v23, vcc
	v_add_u32_e32 v18, v18, v23
	ds_bpermute_b32 v23, v56, v18
	v_cmp_le_u32_e32 vcc, v57, v22
	;; [unrolled: 5-line block ×4, first 2 shown]
	s_waitcnt lgkmcnt(0)
	v_cndmask_b32_e32 v22, 0, v23, vcc
	v_add3_u32 v18, v22, v15, v18
.LBB781_92:                             ; =>This Loop Header: Depth=1
                                        ;     Child Loop BB781_95 Depth 2
	v_cmp_ne_u16_sdwa s[20:21], v19, v46 src0_sel:BYTE_0 src1_sel:DWORD
	v_cndmask_b32_e64 v15, 0, 1, s[20:21]
	;;#ASMSTART
	;;#ASMEND
	v_cmp_ne_u32_e32 vcc, 0, v15
	s_cmp_lg_u64 vcc, exec
	v_mov_b32_e32 v15, v18
	s_cbranch_scc1 .LBB781_97
; %bb.93:                               ;   in Loop: Header=BB781_92 Depth=1
	v_lshlrev_b64 v[18:19], 3, v[16:17]
	v_mov_b32_e32 v23, s57
	v_add_co_u32_e32 v22, vcc, s56, v18
	v_addc_co_u32_e32 v23, vcc, v23, v19, vcc
	global_load_dwordx2 v[18:19], v[22:23], off glc
	s_waitcnt vmcnt(0)
	v_cmp_eq_u16_sdwa s[22:23], v19, v17 src0_sel:BYTE_0 src1_sel:DWORD
	s_and_saveexec_b64 s[20:21], s[22:23]
	s_cbranch_execz .LBB781_91
; %bb.94:                               ;   in Loop: Header=BB781_92 Depth=1
	s_mov_b64 s[22:23], 0
.LBB781_95:                             ;   Parent Loop BB781_92 Depth=1
                                        ; =>  This Inner Loop Header: Depth=2
	global_load_dwordx2 v[18:19], v[22:23], off glc
	s_waitcnt vmcnt(0)
	v_cmp_ne_u16_sdwa s[24:25], v19, v17 src0_sel:BYTE_0 src1_sel:DWORD
	s_or_b64 s[22:23], s[24:25], s[22:23]
	s_andn2_b64 exec, exec, s[22:23]
	s_cbranch_execnz .LBB781_95
; %bb.96:                               ;   in Loop: Header=BB781_92 Depth=1
	s_or_b64 exec, exec, s[22:23]
	s_branch .LBB781_91
.LBB781_97:                             ;   in Loop: Header=BB781_92 Depth=1
                                        ; implicit-def: $vgpr18
                                        ; implicit-def: $vgpr19
	s_cbranch_execz .LBB781_92
; %bb.98:
	s_and_saveexec_b64 s[20:21], s[16:17]
	s_cbranch_execz .LBB781_100
; %bb.99:
	s_add_i32 s22, s33, 64
	s_mov_b32 s23, 0
	s_lshl_b64 s[22:23], s[22:23], 3
	s_add_u32 s22, s56, s22
	v_add_u32_e32 v16, v15, v14
	v_mov_b32_e32 v17, 2
	s_addc_u32 s23, s57, s23
	v_mov_b32_e32 v18, 0
	global_store_dwordx2 v18, v[16:17], s[22:23]
	ds_write_b64 v18, v[14:15] offset:11264
.LBB781_100:
	s_or_b64 exec, exec, s[20:21]
	s_and_b64 exec, exec, s[0:1]
	s_cbranch_execz .LBB781_102
; %bb.101:
	v_mov_b32_e32 v14, 0
	ds_write_b32 v14, v15 offset:12
.LBB781_102:
	s_or_b64 exec, exec, s[18:19]
	v_mov_b32_e32 v14, 0
	s_waitcnt lgkmcnt(0)
	s_barrier
	ds_read_b32 v16, v14 offset:12
	s_waitcnt lgkmcnt(0)
	s_barrier
	ds_read_b64 v[14:15], v14 offset:11264
	v_cndmask_b32_e64 v17, v44, v42, s[16:17]
	v_cndmask_b32_e64 v17, v17, 0, s[0:1]
	v_add_u32_e32 v56, v16, v17
	s_waitcnt lgkmcnt(0)
	v_mov_b32_e32 v16, v15
	s_branch .LBB781_113
.LBB781_103:
                                        ; implicit-def: $vgpr16
                                        ; implicit-def: $vgpr14
                                        ; implicit-def: $vgpr56
	s_cbranch_execz .LBB781_113
; %bb.104:
	s_nop 0
	v_mov_b32_dpp v14, v40 row_shr:1 row_mask:0xf bank_mask:0xf
	v_cndmask_b32_e64 v14, v14, 0, s[14:15]
	v_add_u32_e32 v14, v14, v40
	s_nop 1
	v_mov_b32_dpp v15, v14 row_shr:2 row_mask:0xf bank_mask:0xf
	v_cndmask_b32_e64 v15, 0, v15, s[12:13]
	v_add_u32_e32 v14, v14, v15
	;; [unrolled: 4-line block ×4, first 2 shown]
	s_nop 1
	v_mov_b32_dpp v15, v14 row_bcast:15 row_mask:0xf bank_mask:0xf
	v_cndmask_b32_e64 v15, v15, 0, s[6:7]
	v_add_u32_e32 v14, v14, v15
	s_nop 1
	v_mov_b32_dpp v15, v14 row_bcast:31 row_mask:0xf bank_mask:0xf
	v_cndmask_b32_e64 v15, 0, v15, s[2:3]
	v_add_u32_e32 v14, v14, v15
	s_and_saveexec_b64 s[2:3], s[4:5]
	s_cbranch_execz .LBB781_106
; %bb.105:
	v_lshlrev_b32_e32 v15, 2, v38
	ds_write_b32 v15, v14
.LBB781_106:
	s_or_b64 exec, exec, s[2:3]
	v_cmp_gt_u32_e32 vcc, 4, v0
	s_waitcnt lgkmcnt(0)
	s_barrier
	s_and_saveexec_b64 s[2:3], vcc
	s_cbranch_execz .LBB781_108
; %bb.107:
	v_lshlrev_b32_e32 v15, 2, v0
	ds_read_b32 v16, v15
	v_and_b32_e32 v17, 3, v36
	v_cmp_ne_u32_e32 vcc, 0, v17
	s_waitcnt lgkmcnt(0)
	v_mov_b32_dpp v18, v16 row_shr:1 row_mask:0xf bank_mask:0xf
	v_cndmask_b32_e32 v18, 0, v18, vcc
	v_add_u32_e32 v16, v18, v16
	v_cmp_lt_u32_e32 vcc, 1, v17
	s_nop 0
	v_mov_b32_dpp v18, v16 row_shr:2 row_mask:0xf bank_mask:0xf
	v_cndmask_b32_e32 v17, 0, v18, vcc
	v_add_u32_e32 v16, v16, v17
	ds_write_b32 v15, v16
.LBB781_108:
	s_or_b64 exec, exec, s[2:3]
	v_cmp_lt_u32_e32 vcc, 63, v0
	v_mov_b32_e32 v15, 0
	v_mov_b32_e32 v16, 0
	s_waitcnt lgkmcnt(0)
	s_barrier
	s_and_saveexec_b64 s[2:3], vcc
	s_cbranch_execz .LBB781_110
; %bb.109:
	v_lshl_add_u32 v16, v38, 2, -4
	ds_read_b32 v16, v16
.LBB781_110:
	s_or_b64 exec, exec, s[2:3]
	v_add_u32_e32 v17, -1, v36
	v_and_b32_e32 v18, 64, v36
	v_cmp_lt_i32_e32 vcc, v17, v18
	v_cndmask_b32_e32 v17, v17, v36, vcc
	s_waitcnt lgkmcnt(0)
	v_add_u32_e32 v14, v16, v14
	v_lshlrev_b32_e32 v17, 2, v17
	ds_bpermute_b32 v17, v17, v14
	ds_read_b32 v14, v15 offset:12
	s_and_saveexec_b64 s[2:3], s[0:1]
	s_cbranch_execz .LBB781_112
; %bb.111:
	v_mov_b32_e32 v18, 0
	v_mov_b32_e32 v15, 2
	s_waitcnt lgkmcnt(0)
	global_store_dwordx2 v18, v[14:15], s[56:57] offset:512
.LBB781_112:
	s_or_b64 exec, exec, s[2:3]
	v_cmp_eq_u32_e32 vcc, 0, v36
	s_waitcnt lgkmcnt(1)
	v_cndmask_b32_e32 v15, v17, v16, vcc
	v_mov_b32_e32 v16, 0
	v_cndmask_b32_e64 v56, v15, 0, s[0:1]
	s_waitcnt lgkmcnt(0)
	s_barrier
.LBB781_113:
	v_add_u32_e32 v60, v56, v24
	v_add_u32_e32 v58, v60, v25
	;; [unrolled: 1-line block ×19, first 2 shown]
	s_movk_i32 s2, 0x101
	v_add_u32_e32 v20, v22, v51
	v_cmp_gt_u32_e32 vcc, s2, v14
	v_add_u32_sdwa v18, v20, v71 dst_sel:DWORD dst_unused:UNUSED_PAD src0_sel:DWORD src1_sel:BYTE_0
	s_mov_b64 s[2:3], -1
	s_cbranch_vccnz .LBB781_117
; %bb.114:
	s_and_b64 vcc, exec, s[2:3]
	s_cbranch_vccnz .LBB781_184
.LBB781_115:
	s_and_b64 s[0:1], s[0:1], s[50:51]
	s_and_saveexec_b64 s[2:3], s[0:1]
	s_cbranch_execnz .LBB781_244
.LBB781_116:
	s_endpgm
.LBB781_117:
	v_lshlrev_b64 v[96:97], 1, v[8:9]
	v_mov_b32_e32 v17, s53
	v_add_co_u32_e32 v15, vcc, s52, v96
	v_add_u32_e32 v19, v16, v14
	v_addc_co_u32_e32 v17, vcc, v17, v97, vcc
	v_cmp_lt_u32_e32 vcc, v56, v19
	s_or_b64 s[4:5], s[54:55], vcc
	s_and_saveexec_b64 s[2:3], s[4:5]
	s_cbranch_execz .LBB781_120
; %bb.118:
	v_and_b32_e32 v21, 1, v94
	v_cmp_eq_u32_e32 vcc, 1, v21
	s_and_b64 exec, exec, vcc
	s_cbranch_execz .LBB781_120
; %bb.119:
	v_mov_b32_e32 v57, 0
	v_lshlrev_b64 v[96:97], 1, v[56:57]
	v_add_co_u32_e32 v96, vcc, v15, v96
	v_addc_co_u32_e32 v97, vcc, v17, v97, vcc
	global_store_short v[96:97], v12, off
.LBB781_120:
	s_or_b64 exec, exec, s[2:3]
	v_cmp_lt_u32_e32 vcc, v60, v19
	s_or_b64 s[4:5], s[54:55], vcc
	s_and_saveexec_b64 s[2:3], s[4:5]
	s_cbranch_execz .LBB781_123
; %bb.121:
	v_and_b32_e32 v21, 1, v93
	v_cmp_eq_u32_e32 vcc, 1, v21
	s_and_b64 exec, exec, vcc
	s_cbranch_execz .LBB781_123
; %bb.122:
	v_mov_b32_e32 v61, 0
	v_lshlrev_b64 v[96:97], 1, v[60:61]
	v_add_co_u32_e32 v96, vcc, v15, v96
	v_addc_co_u32_e32 v97, vcc, v17, v97, vcc
	global_store_short v[96:97], v76, off
.LBB781_123:
	s_or_b64 exec, exec, s[2:3]
	;; [unrolled: 17-line block ×22, first 2 shown]
	s_branch .LBB781_115
.LBB781_184:
	v_and_b32_e32 v15, 1, v94
	v_cmp_eq_u32_e32 vcc, 1, v15
	s_and_saveexec_b64 s[2:3], vcc
	s_cbranch_execz .LBB781_186
; %bb.185:
	v_sub_u32_e32 v15, v56, v16
	v_lshlrev_b32_e32 v15, 1, v15
	ds_write_b16 v15, v12
.LBB781_186:
	s_or_b64 exec, exec, s[2:3]
	v_and_b32_e32 v12, 1, v93
	v_cmp_eq_u32_e32 vcc, 1, v12
	s_and_saveexec_b64 s[2:3], vcc
	s_cbranch_execz .LBB781_188
; %bb.187:
	v_sub_u32_e32 v12, v60, v16
	v_lshlrev_b32_e32 v12, 1, v12
	ds_write_b16 v12, v76
.LBB781_188:
	s_or_b64 exec, exec, s[2:3]
	;; [unrolled: 10-line block ×22, first 2 shown]
	v_cmp_lt_u32_e32 vcc, v0, v14
	s_waitcnt lgkmcnt(0)
	s_barrier
	s_and_saveexec_b64 s[6:7], vcc
	s_cbranch_execz .LBB781_243
; %bb.229:
	v_lshlrev_b64 v[2:3], 1, v[8:9]
	v_mov_b32_e32 v17, 0
	v_mov_b32_e32 v1, s53
	v_add_co_u32_e32 v4, vcc, s52, v2
	v_addc_co_u32_e32 v1, vcc, v1, v3, vcc
	v_lshlrev_b64 v[2:3], 1, v[16:17]
	v_add_co_u32_e32 v12, vcc, v4, v2
	v_addc_co_u32_e32 v13, vcc, v1, v3, vcc
	v_xad_u32 v1, v0, -1, v14
	s_movk_i32 s2, 0x1700
	v_cmp_gt_u32_e32 vcc, s2, v1
	s_movk_i32 s2, 0x16ff
	v_cmp_lt_u32_e64 s[2:3], s2, v1
	s_and_saveexec_b64 s[8:9], s[2:3]
	s_cbranch_execz .LBB781_240
; %bb.230:
	v_sub_u32_e32 v2, v0, v14
	v_or_b32_e32 v2, 0xff, v2
	v_cmp_ge_u32_e64 s[2:3], v2, v0
	s_mov_b64 s[4:5], -1
	s_and_saveexec_b64 s[10:11], s[2:3]
	s_cbranch_execz .LBB781_239
; %bb.231:
	v_lshrrev_b32_e32 v15, 8, v1
	v_add_u32_e32 v4, -3, v15
	v_or_b32_e32 v3, 0x300, v0
	v_or_b32_e32 v2, 0x200, v0
	v_lshrrev_b32_e32 v5, 2, v4
	v_or_b32_e32 v1, 0x100, v0
	v_add_u32_e32 v18, 1, v5
	v_cmp_lt_u32_e64 s[2:3], 11, v4
	v_pk_mov_b32 v[6:7], v[2:3], v[2:3] op_sel:[0,1]
	v_mov_b32_e32 v21, 0
	v_lshlrev_b32_e32 v17, 1, v0
	v_pk_mov_b32 v[4:5], v[0:1], v[0:1] op_sel:[0,1]
	s_and_saveexec_b64 s[12:13], s[2:3]
	s_cbranch_execz .LBB781_235
; %bb.232:
	v_pk_mov_b32 v[6:7], v[2:3], v[2:3] op_sel:[0,1]
	v_and_b32_e32 v19, 0x7ffffffc, v18
	s_mov_b32 s16, 0
	s_mov_b64 s[14:15], 0
	v_mov_b32_e32 v11, 0
	v_mov_b32_e32 v20, v17
	v_pk_mov_b32 v[4:5], v[0:1], v[0:1] op_sel:[0,1]
.LBB781_233:                            ; =>This Inner Loop Header: Depth=1
	v_mov_b32_e32 v10, v4
	v_lshlrev_b64 v[38:39], 1, v[10:11]
	v_add_u32_e32 v24, 0x400, v5
	v_mov_b32_e32 v25, v11
	v_add_co_u32_e64 v38, s[4:5], v12, v38
	v_lshlrev_b64 v[24:25], 1, v[24:25]
	v_addc_co_u32_e64 v39, s[4:5], v13, v39, s[4:5]
	v_add_u32_e32 v22, 0x400, v6
	v_mov_b32_e32 v23, v11
	v_add_co_u32_e64 v24, s[4:5], v12, v24
	v_lshlrev_b64 v[22:23], 1, v[22:23]
	v_addc_co_u32_e64 v25, s[4:5], v13, v25, s[4:5]
	v_add_u32_e32 v2, 0x400, v7
	v_mov_b32_e32 v3, v11
	v_add_co_u32_e64 v22, s[4:5], v12, v22
	v_add_u32_e32 v19, -4, v19
	v_mov_b32_e32 v10, v5
	v_lshlrev_b64 v[2:3], 1, v[2:3]
	v_addc_co_u32_e64 v23, s[4:5], v13, v23, s[4:5]
	v_add_u32_e32 v30, 0x800, v5
	v_mov_b32_e32 v31, v11
	s_add_i32 s16, s16, 16
	v_cmp_eq_u32_e64 s[2:3], 0, v19
	v_lshlrev_b64 v[40:41], 1, v[10:11]
	v_add_co_u32_e64 v2, s[4:5], v12, v2
	v_lshlrev_b64 v[30:31], 1, v[30:31]
	v_mov_b32_e32 v10, v6
	v_addc_co_u32_e64 v3, s[4:5], v13, v3, s[4:5]
	s_or_b64 s[14:15], s[2:3], s[14:15]
	v_add_co_u32_e64 v40, s[2:3], v12, v40
	v_add_u32_e32 v28, 0x800, v6
	v_mov_b32_e32 v29, v11
	v_add_co_u32_e64 v30, s[4:5], v12, v30
	v_addc_co_u32_e64 v41, s[2:3], v13, v41, s[2:3]
	v_lshlrev_b64 v[42:43], 1, v[10:11]
	v_lshlrev_b64 v[28:29], 1, v[28:29]
	v_addc_co_u32_e64 v31, s[4:5], v13, v31, s[4:5]
	v_mov_b32_e32 v10, v7
	v_add_co_u32_e64 v42, s[2:3], v12, v42
	ds_read_u16 v1, v20
	ds_read_u16 v46, v20 offset:512
	ds_read_u16 v47, v20 offset:1024
	;; [unrolled: 1-line block ×7, first 2 shown]
	v_add_u32_e32 v26, 0x800, v7
	v_mov_b32_e32 v27, v11
	v_add_co_u32_e64 v28, s[4:5], v12, v28
	v_addc_co_u32_e64 v43, s[2:3], v13, v43, s[2:3]
	v_lshlrev_b64 v[44:45], 1, v[10:11]
	v_lshlrev_b64 v[26:27], 1, v[26:27]
	v_addc_co_u32_e64 v29, s[4:5], v13, v29, s[4:5]
	v_add_u32_e32 v10, 0x400, v4
	v_add_co_u32_e64 v44, s[2:3], v12, v44
	v_add_u32_e32 v36, 0xc00, v5
	ds_read_u16 v53, v20 offset:4096
	ds_read_u16 v54, v20 offset:4608
	ds_read_u16 v55, v20 offset:5120
	ds_read_u16 v56, v20 offset:5632
	ds_read_u16 v57, v20 offset:6144
	ds_read_u16 v58, v20 offset:6656
	ds_read_u16 v59, v20 offset:7168
	ds_read_u16 v60, v20 offset:7680
	v_mov_b32_e32 v37, v11
	v_add_co_u32_e64 v26, s[4:5], v12, v26
	v_addc_co_u32_e64 v45, s[2:3], v13, v45, s[2:3]
	s_waitcnt lgkmcnt(14)
	global_store_short v[38:39], v1, off
	global_store_short v[40:41], v46, off
	s_waitcnt lgkmcnt(13)
	global_store_short v[42:43], v47, off
	v_lshlrev_b64 v[38:39], 1, v[10:11]
	v_lshlrev_b64 v[36:37], 1, v[36:37]
	v_addc_co_u32_e64 v27, s[4:5], v13, v27, s[4:5]
	v_add_u32_e32 v10, 0x800, v4
	v_add_co_u32_e64 v38, s[2:3], v12, v38
	v_add_u32_e32 v34, 0xc00, v6
	v_mov_b32_e32 v35, v11
	v_add_co_u32_e64 v36, s[4:5], v12, v36
	v_addc_co_u32_e64 v39, s[2:3], v13, v39, s[2:3]
	v_lshlrev_b64 v[40:41], 1, v[10:11]
	v_lshlrev_b64 v[34:35], 1, v[34:35]
	v_addc_co_u32_e64 v37, s[4:5], v13, v37, s[4:5]
	s_waitcnt lgkmcnt(12)
	global_store_short v[44:45], v48, off
	v_add_u32_e32 v10, 0xc00, v4
	s_waitcnt lgkmcnt(11)
	global_store_short v[38:39], v49, off
	s_waitcnt lgkmcnt(10)
	global_store_short v[24:25], v50, off
	;; [unrolled: 2-line block ×4, first 2 shown]
	v_add_co_u32_e64 v2, s[2:3], v12, v40
	v_add_u32_e32 v32, 0xc00, v7
	v_mov_b32_e32 v33, v11
	v_add_co_u32_e64 v34, s[4:5], v12, v34
	v_addc_co_u32_e64 v3, s[2:3], v13, v41, s[2:3]
	v_lshlrev_b64 v[22:23], 1, v[10:11]
	v_lshlrev_b64 v[32:33], 1, v[32:33]
	v_addc_co_u32_e64 v35, s[4:5], v13, v35, s[4:5]
	s_waitcnt lgkmcnt(7)
	global_store_short v[2:3], v53, off
	s_waitcnt lgkmcnt(6)
	global_store_short v[30:31], v54, off
	;; [unrolled: 2-line block ×4, first 2 shown]
	v_add_co_u32_e64 v2, s[2:3], v12, v22
	v_add_u32_e32 v20, 0x2000, v20
	v_add_u32_e32 v5, 0x1000, v5
	v_mov_b32_e32 v21, s16
	v_add_co_u32_e64 v32, s[4:5], v12, v32
	v_add_u32_e32 v6, 0x1000, v6
	v_add_u32_e32 v7, 0x1000, v7
	;; [unrolled: 1-line block ×3, first 2 shown]
	v_addc_co_u32_e64 v3, s[2:3], v13, v23, s[2:3]
	v_addc_co_u32_e64 v33, s[4:5], v13, v33, s[4:5]
	s_waitcnt lgkmcnt(3)
	global_store_short v[2:3], v57, off
	s_waitcnt lgkmcnt(2)
	global_store_short v[36:37], v58, off
	;; [unrolled: 2-line block ×4, first 2 shown]
	s_andn2_b64 exec, exec, s[14:15]
	s_cbranch_execnz .LBB781_233
; %bb.234:
	s_or_b64 exec, exec, s[14:15]
.LBB781_235:
	s_or_b64 exec, exec, s[12:13]
	v_and_b32_e32 v1, 3, v18
	v_cmp_ne_u32_e64 s[2:3], 0, v1
	s_and_saveexec_b64 s[12:13], s[2:3]
	s_cbranch_execz .LBB781_238
; %bb.236:
	v_lshl_or_b32 v10, v21, 9, v17
	s_mov_b64 s[14:15], 0
	v_mov_b32_e32 v3, 0
.LBB781_237:                            ; =>This Inner Loop Header: Depth=1
	v_mov_b32_e32 v2, v4
	v_add_u32_e32 v1, -1, v1
	v_lshlrev_b64 v[18:19], 1, v[2:3]
	v_mov_b32_e32 v2, v5
	v_cmp_eq_u32_e64 s[2:3], 0, v1
	v_lshlrev_b64 v[20:21], 1, v[2:3]
	ds_read_u16 v11, v10
	ds_read_u16 v17, v10 offset:512
	ds_read_u16 v26, v10 offset:1024
	;; [unrolled: 1-line block ×3, first 2 shown]
	v_mov_b32_e32 v2, v6
	s_or_b64 s[14:15], s[2:3], s[14:15]
	v_add_co_u32_e64 v20, s[2:3], v12, v20
	v_addc_co_u32_e64 v21, s[2:3], v13, v21, s[2:3]
	v_lshlrev_b64 v[22:23], 1, v[2:3]
	v_mov_b32_e32 v2, v7
	v_add_co_u32_e64 v22, s[2:3], v12, v22
	v_add_co_u32_e64 v18, s[4:5], v12, v18
	v_addc_co_u32_e64 v23, s[2:3], v13, v23, s[2:3]
	v_lshlrev_b64 v[24:25], 1, v[2:3]
	v_add_u32_e32 v4, 0x400, v4
	v_add_u32_e32 v10, 0x800, v10
	;; [unrolled: 1-line block ×3, first 2 shown]
	v_addc_co_u32_e64 v19, s[4:5], v13, v19, s[4:5]
	v_add_u32_e32 v6, 0x400, v6
	v_add_u32_e32 v7, 0x400, v7
	v_add_co_u32_e64 v24, s[2:3], v12, v24
	v_addc_co_u32_e64 v25, s[2:3], v13, v25, s[2:3]
	s_waitcnt lgkmcnt(3)
	global_store_short v[18:19], v11, off
	s_waitcnt lgkmcnt(2)
	global_store_short v[20:21], v17, off
	;; [unrolled: 2-line block ×4, first 2 shown]
	s_andn2_b64 exec, exec, s[14:15]
	s_cbranch_execnz .LBB781_237
.LBB781_238:
	s_or_b64 exec, exec, s[12:13]
	v_add_u32_e32 v1, 1, v15
	v_and_b32_e32 v2, 0x1fffffc, v1
	v_cmp_ne_u32_e64 s[2:3], v1, v2
	v_lshl_or_b32 v0, v2, 8, v0
	s_orn2_b64 s[4:5], s[2:3], exec
.LBB781_239:
	s_or_b64 exec, exec, s[10:11]
	s_andn2_b64 s[2:3], vcc, exec
	s_and_b64 s[4:5], s[4:5], exec
	s_or_b64 vcc, s[2:3], s[4:5]
.LBB781_240:
	s_or_b64 exec, exec, s[8:9]
	s_and_b64 exec, exec, vcc
	s_cbranch_execz .LBB781_243
; %bb.241:
	v_lshlrev_b32_e32 v2, 1, v0
	s_mov_b64 s[2:3], 0
	v_mov_b32_e32 v1, 0
.LBB781_242:                            ; =>This Inner Loop Header: Depth=1
	ds_read_u16 v3, v2
	v_lshlrev_b64 v[4:5], 1, v[0:1]
	v_add_co_u32_e32 v4, vcc, v12, v4
	v_add_u32_e32 v0, 0x100, v0
	v_addc_co_u32_e32 v5, vcc, v13, v5, vcc
	v_cmp_ge_u32_e32 vcc, v0, v14
	v_add_u32_e32 v2, 0x200, v2
	s_or_b64 s[2:3], vcc, s[2:3]
	s_waitcnt lgkmcnt(0)
	global_store_short v[4:5], v3, off
	s_andn2_b64 exec, exec, s[2:3]
	s_cbranch_execnz .LBB781_242
.LBB781_243:
	s_or_b64 exec, exec, s[6:7]
	s_and_b64 s[0:1], s[0:1], s[50:51]
	s_and_saveexec_b64 s[2:3], s[0:1]
	s_cbranch_execz .LBB781_116
.LBB781_244:
	v_add_co_u32_e32 v0, vcc, v8, v14
	v_addc_co_u32_e32 v1, vcc, 0, v9, vcc
	v_add_co_u32_e32 v0, vcc, v0, v16
	v_mov_b32_e32 v2, 0
	v_addc_co_u32_e32 v1, vcc, 0, v1, vcc
	global_store_dwordx2 v2, v[0:1], s[48:49]
	s_endpgm
	.section	.rodata,"a",@progbits
	.p2align	6, 0x0
	.amdhsa_kernel _ZN7rocprim17ROCPRIM_400000_NS6detail17trampoline_kernelINS0_14default_configENS1_25partition_config_selectorILNS1_17partition_subalgoE8EtNS0_10empty_typeEbEEZZNS1_14partition_implILS5_8ELb0ES3_jPKtPS6_PKS6_NS0_5tupleIJPtS6_EEENSE_IJSB_SB_EEENS0_18inequality_wrapperIN6hipcub16HIPCUB_304000_NS8EqualityEEEPlJS6_EEE10hipError_tPvRmT3_T4_T5_T6_T7_T9_mT8_P12ihipStream_tbDpT10_ENKUlT_T0_E_clISt17integral_constantIbLb0EES16_IbLb1EEEEDaS12_S13_EUlS12_E_NS1_11comp_targetILNS1_3genE4ELNS1_11target_archE910ELNS1_3gpuE8ELNS1_3repE0EEENS1_30default_config_static_selectorELNS0_4arch9wavefront6targetE1EEEvT1_
		.amdhsa_group_segment_fixed_size 11272
		.amdhsa_private_segment_fixed_size 0
		.amdhsa_kernarg_size 128
		.amdhsa_user_sgpr_count 6
		.amdhsa_user_sgpr_private_segment_buffer 1
		.amdhsa_user_sgpr_dispatch_ptr 0
		.amdhsa_user_sgpr_queue_ptr 0
		.amdhsa_user_sgpr_kernarg_segment_ptr 1
		.amdhsa_user_sgpr_dispatch_id 0
		.amdhsa_user_sgpr_flat_scratch_init 0
		.amdhsa_user_sgpr_kernarg_preload_length 0
		.amdhsa_user_sgpr_kernarg_preload_offset 0
		.amdhsa_user_sgpr_private_segment_size 0
		.amdhsa_uses_dynamic_stack 0
		.amdhsa_system_sgpr_private_segment_wavefront_offset 0
		.amdhsa_system_sgpr_workgroup_id_x 1
		.amdhsa_system_sgpr_workgroup_id_y 0
		.amdhsa_system_sgpr_workgroup_id_z 0
		.amdhsa_system_sgpr_workgroup_info 0
		.amdhsa_system_vgpr_workitem_id 0
		.amdhsa_next_free_vgpr 98
		.amdhsa_next_free_sgpr 65
		.amdhsa_accum_offset 100
		.amdhsa_reserve_vcc 1
		.amdhsa_reserve_flat_scratch 0
		.amdhsa_float_round_mode_32 0
		.amdhsa_float_round_mode_16_64 0
		.amdhsa_float_denorm_mode_32 3
		.amdhsa_float_denorm_mode_16_64 3
		.amdhsa_dx10_clamp 1
		.amdhsa_ieee_mode 1
		.amdhsa_fp16_overflow 0
		.amdhsa_tg_split 0
		.amdhsa_exception_fp_ieee_invalid_op 0
		.amdhsa_exception_fp_denorm_src 0
		.amdhsa_exception_fp_ieee_div_zero 0
		.amdhsa_exception_fp_ieee_overflow 0
		.amdhsa_exception_fp_ieee_underflow 0
		.amdhsa_exception_fp_ieee_inexact 0
		.amdhsa_exception_int_div_zero 0
	.end_amdhsa_kernel
	.section	.text._ZN7rocprim17ROCPRIM_400000_NS6detail17trampoline_kernelINS0_14default_configENS1_25partition_config_selectorILNS1_17partition_subalgoE8EtNS0_10empty_typeEbEEZZNS1_14partition_implILS5_8ELb0ES3_jPKtPS6_PKS6_NS0_5tupleIJPtS6_EEENSE_IJSB_SB_EEENS0_18inequality_wrapperIN6hipcub16HIPCUB_304000_NS8EqualityEEEPlJS6_EEE10hipError_tPvRmT3_T4_T5_T6_T7_T9_mT8_P12ihipStream_tbDpT10_ENKUlT_T0_E_clISt17integral_constantIbLb0EES16_IbLb1EEEEDaS12_S13_EUlS12_E_NS1_11comp_targetILNS1_3genE4ELNS1_11target_archE910ELNS1_3gpuE8ELNS1_3repE0EEENS1_30default_config_static_selectorELNS0_4arch9wavefront6targetE1EEEvT1_,"axG",@progbits,_ZN7rocprim17ROCPRIM_400000_NS6detail17trampoline_kernelINS0_14default_configENS1_25partition_config_selectorILNS1_17partition_subalgoE8EtNS0_10empty_typeEbEEZZNS1_14partition_implILS5_8ELb0ES3_jPKtPS6_PKS6_NS0_5tupleIJPtS6_EEENSE_IJSB_SB_EEENS0_18inequality_wrapperIN6hipcub16HIPCUB_304000_NS8EqualityEEEPlJS6_EEE10hipError_tPvRmT3_T4_T5_T6_T7_T9_mT8_P12ihipStream_tbDpT10_ENKUlT_T0_E_clISt17integral_constantIbLb0EES16_IbLb1EEEEDaS12_S13_EUlS12_E_NS1_11comp_targetILNS1_3genE4ELNS1_11target_archE910ELNS1_3gpuE8ELNS1_3repE0EEENS1_30default_config_static_selectorELNS0_4arch9wavefront6targetE1EEEvT1_,comdat
.Lfunc_end781:
	.size	_ZN7rocprim17ROCPRIM_400000_NS6detail17trampoline_kernelINS0_14default_configENS1_25partition_config_selectorILNS1_17partition_subalgoE8EtNS0_10empty_typeEbEEZZNS1_14partition_implILS5_8ELb0ES3_jPKtPS6_PKS6_NS0_5tupleIJPtS6_EEENSE_IJSB_SB_EEENS0_18inequality_wrapperIN6hipcub16HIPCUB_304000_NS8EqualityEEEPlJS6_EEE10hipError_tPvRmT3_T4_T5_T6_T7_T9_mT8_P12ihipStream_tbDpT10_ENKUlT_T0_E_clISt17integral_constantIbLb0EES16_IbLb1EEEEDaS12_S13_EUlS12_E_NS1_11comp_targetILNS1_3genE4ELNS1_11target_archE910ELNS1_3gpuE8ELNS1_3repE0EEENS1_30default_config_static_selectorELNS0_4arch9wavefront6targetE1EEEvT1_, .Lfunc_end781-_ZN7rocprim17ROCPRIM_400000_NS6detail17trampoline_kernelINS0_14default_configENS1_25partition_config_selectorILNS1_17partition_subalgoE8EtNS0_10empty_typeEbEEZZNS1_14partition_implILS5_8ELb0ES3_jPKtPS6_PKS6_NS0_5tupleIJPtS6_EEENSE_IJSB_SB_EEENS0_18inequality_wrapperIN6hipcub16HIPCUB_304000_NS8EqualityEEEPlJS6_EEE10hipError_tPvRmT3_T4_T5_T6_T7_T9_mT8_P12ihipStream_tbDpT10_ENKUlT_T0_E_clISt17integral_constantIbLb0EES16_IbLb1EEEEDaS12_S13_EUlS12_E_NS1_11comp_targetILNS1_3genE4ELNS1_11target_archE910ELNS1_3gpuE8ELNS1_3repE0EEENS1_30default_config_static_selectorELNS0_4arch9wavefront6targetE1EEEvT1_
                                        ; -- End function
	.section	.AMDGPU.csdata,"",@progbits
; Kernel info:
; codeLenInByte = 10696
; NumSgprs: 69
; NumVgprs: 98
; NumAgprs: 0
; TotalNumVgprs: 98
; ScratchSize: 0
; MemoryBound: 0
; FloatMode: 240
; IeeeMode: 1
; LDSByteSize: 11272 bytes/workgroup (compile time only)
; SGPRBlocks: 8
; VGPRBlocks: 12
; NumSGPRsForWavesPerEU: 69
; NumVGPRsForWavesPerEU: 98
; AccumOffset: 100
; Occupancy: 4
; WaveLimiterHint : 1
; COMPUTE_PGM_RSRC2:SCRATCH_EN: 0
; COMPUTE_PGM_RSRC2:USER_SGPR: 6
; COMPUTE_PGM_RSRC2:TRAP_HANDLER: 0
; COMPUTE_PGM_RSRC2:TGID_X_EN: 1
; COMPUTE_PGM_RSRC2:TGID_Y_EN: 0
; COMPUTE_PGM_RSRC2:TGID_Z_EN: 0
; COMPUTE_PGM_RSRC2:TIDIG_COMP_CNT: 0
; COMPUTE_PGM_RSRC3_GFX90A:ACCUM_OFFSET: 24
; COMPUTE_PGM_RSRC3_GFX90A:TG_SPLIT: 0
	.section	.text._ZN7rocprim17ROCPRIM_400000_NS6detail17trampoline_kernelINS0_14default_configENS1_25partition_config_selectorILNS1_17partition_subalgoE8EtNS0_10empty_typeEbEEZZNS1_14partition_implILS5_8ELb0ES3_jPKtPS6_PKS6_NS0_5tupleIJPtS6_EEENSE_IJSB_SB_EEENS0_18inequality_wrapperIN6hipcub16HIPCUB_304000_NS8EqualityEEEPlJS6_EEE10hipError_tPvRmT3_T4_T5_T6_T7_T9_mT8_P12ihipStream_tbDpT10_ENKUlT_T0_E_clISt17integral_constantIbLb0EES16_IbLb1EEEEDaS12_S13_EUlS12_E_NS1_11comp_targetILNS1_3genE3ELNS1_11target_archE908ELNS1_3gpuE7ELNS1_3repE0EEENS1_30default_config_static_selectorELNS0_4arch9wavefront6targetE1EEEvT1_,"axG",@progbits,_ZN7rocprim17ROCPRIM_400000_NS6detail17trampoline_kernelINS0_14default_configENS1_25partition_config_selectorILNS1_17partition_subalgoE8EtNS0_10empty_typeEbEEZZNS1_14partition_implILS5_8ELb0ES3_jPKtPS6_PKS6_NS0_5tupleIJPtS6_EEENSE_IJSB_SB_EEENS0_18inequality_wrapperIN6hipcub16HIPCUB_304000_NS8EqualityEEEPlJS6_EEE10hipError_tPvRmT3_T4_T5_T6_T7_T9_mT8_P12ihipStream_tbDpT10_ENKUlT_T0_E_clISt17integral_constantIbLb0EES16_IbLb1EEEEDaS12_S13_EUlS12_E_NS1_11comp_targetILNS1_3genE3ELNS1_11target_archE908ELNS1_3gpuE7ELNS1_3repE0EEENS1_30default_config_static_selectorELNS0_4arch9wavefront6targetE1EEEvT1_,comdat
	.protected	_ZN7rocprim17ROCPRIM_400000_NS6detail17trampoline_kernelINS0_14default_configENS1_25partition_config_selectorILNS1_17partition_subalgoE8EtNS0_10empty_typeEbEEZZNS1_14partition_implILS5_8ELb0ES3_jPKtPS6_PKS6_NS0_5tupleIJPtS6_EEENSE_IJSB_SB_EEENS0_18inequality_wrapperIN6hipcub16HIPCUB_304000_NS8EqualityEEEPlJS6_EEE10hipError_tPvRmT3_T4_T5_T6_T7_T9_mT8_P12ihipStream_tbDpT10_ENKUlT_T0_E_clISt17integral_constantIbLb0EES16_IbLb1EEEEDaS12_S13_EUlS12_E_NS1_11comp_targetILNS1_3genE3ELNS1_11target_archE908ELNS1_3gpuE7ELNS1_3repE0EEENS1_30default_config_static_selectorELNS0_4arch9wavefront6targetE1EEEvT1_ ; -- Begin function _ZN7rocprim17ROCPRIM_400000_NS6detail17trampoline_kernelINS0_14default_configENS1_25partition_config_selectorILNS1_17partition_subalgoE8EtNS0_10empty_typeEbEEZZNS1_14partition_implILS5_8ELb0ES3_jPKtPS6_PKS6_NS0_5tupleIJPtS6_EEENSE_IJSB_SB_EEENS0_18inequality_wrapperIN6hipcub16HIPCUB_304000_NS8EqualityEEEPlJS6_EEE10hipError_tPvRmT3_T4_T5_T6_T7_T9_mT8_P12ihipStream_tbDpT10_ENKUlT_T0_E_clISt17integral_constantIbLb0EES16_IbLb1EEEEDaS12_S13_EUlS12_E_NS1_11comp_targetILNS1_3genE3ELNS1_11target_archE908ELNS1_3gpuE7ELNS1_3repE0EEENS1_30default_config_static_selectorELNS0_4arch9wavefront6targetE1EEEvT1_
	.globl	_ZN7rocprim17ROCPRIM_400000_NS6detail17trampoline_kernelINS0_14default_configENS1_25partition_config_selectorILNS1_17partition_subalgoE8EtNS0_10empty_typeEbEEZZNS1_14partition_implILS5_8ELb0ES3_jPKtPS6_PKS6_NS0_5tupleIJPtS6_EEENSE_IJSB_SB_EEENS0_18inequality_wrapperIN6hipcub16HIPCUB_304000_NS8EqualityEEEPlJS6_EEE10hipError_tPvRmT3_T4_T5_T6_T7_T9_mT8_P12ihipStream_tbDpT10_ENKUlT_T0_E_clISt17integral_constantIbLb0EES16_IbLb1EEEEDaS12_S13_EUlS12_E_NS1_11comp_targetILNS1_3genE3ELNS1_11target_archE908ELNS1_3gpuE7ELNS1_3repE0EEENS1_30default_config_static_selectorELNS0_4arch9wavefront6targetE1EEEvT1_
	.p2align	8
	.type	_ZN7rocprim17ROCPRIM_400000_NS6detail17trampoline_kernelINS0_14default_configENS1_25partition_config_selectorILNS1_17partition_subalgoE8EtNS0_10empty_typeEbEEZZNS1_14partition_implILS5_8ELb0ES3_jPKtPS6_PKS6_NS0_5tupleIJPtS6_EEENSE_IJSB_SB_EEENS0_18inequality_wrapperIN6hipcub16HIPCUB_304000_NS8EqualityEEEPlJS6_EEE10hipError_tPvRmT3_T4_T5_T6_T7_T9_mT8_P12ihipStream_tbDpT10_ENKUlT_T0_E_clISt17integral_constantIbLb0EES16_IbLb1EEEEDaS12_S13_EUlS12_E_NS1_11comp_targetILNS1_3genE3ELNS1_11target_archE908ELNS1_3gpuE7ELNS1_3repE0EEENS1_30default_config_static_selectorELNS0_4arch9wavefront6targetE1EEEvT1_,@function
_ZN7rocprim17ROCPRIM_400000_NS6detail17trampoline_kernelINS0_14default_configENS1_25partition_config_selectorILNS1_17partition_subalgoE8EtNS0_10empty_typeEbEEZZNS1_14partition_implILS5_8ELb0ES3_jPKtPS6_PKS6_NS0_5tupleIJPtS6_EEENSE_IJSB_SB_EEENS0_18inequality_wrapperIN6hipcub16HIPCUB_304000_NS8EqualityEEEPlJS6_EEE10hipError_tPvRmT3_T4_T5_T6_T7_T9_mT8_P12ihipStream_tbDpT10_ENKUlT_T0_E_clISt17integral_constantIbLb0EES16_IbLb1EEEEDaS12_S13_EUlS12_E_NS1_11comp_targetILNS1_3genE3ELNS1_11target_archE908ELNS1_3gpuE7ELNS1_3repE0EEENS1_30default_config_static_selectorELNS0_4arch9wavefront6targetE1EEEvT1_: ; @_ZN7rocprim17ROCPRIM_400000_NS6detail17trampoline_kernelINS0_14default_configENS1_25partition_config_selectorILNS1_17partition_subalgoE8EtNS0_10empty_typeEbEEZZNS1_14partition_implILS5_8ELb0ES3_jPKtPS6_PKS6_NS0_5tupleIJPtS6_EEENSE_IJSB_SB_EEENS0_18inequality_wrapperIN6hipcub16HIPCUB_304000_NS8EqualityEEEPlJS6_EEE10hipError_tPvRmT3_T4_T5_T6_T7_T9_mT8_P12ihipStream_tbDpT10_ENKUlT_T0_E_clISt17integral_constantIbLb0EES16_IbLb1EEEEDaS12_S13_EUlS12_E_NS1_11comp_targetILNS1_3genE3ELNS1_11target_archE908ELNS1_3gpuE7ELNS1_3repE0EEENS1_30default_config_static_selectorELNS0_4arch9wavefront6targetE1EEEvT1_
; %bb.0:
	.section	.rodata,"a",@progbits
	.p2align	6, 0x0
	.amdhsa_kernel _ZN7rocprim17ROCPRIM_400000_NS6detail17trampoline_kernelINS0_14default_configENS1_25partition_config_selectorILNS1_17partition_subalgoE8EtNS0_10empty_typeEbEEZZNS1_14partition_implILS5_8ELb0ES3_jPKtPS6_PKS6_NS0_5tupleIJPtS6_EEENSE_IJSB_SB_EEENS0_18inequality_wrapperIN6hipcub16HIPCUB_304000_NS8EqualityEEEPlJS6_EEE10hipError_tPvRmT3_T4_T5_T6_T7_T9_mT8_P12ihipStream_tbDpT10_ENKUlT_T0_E_clISt17integral_constantIbLb0EES16_IbLb1EEEEDaS12_S13_EUlS12_E_NS1_11comp_targetILNS1_3genE3ELNS1_11target_archE908ELNS1_3gpuE7ELNS1_3repE0EEENS1_30default_config_static_selectorELNS0_4arch9wavefront6targetE1EEEvT1_
		.amdhsa_group_segment_fixed_size 0
		.amdhsa_private_segment_fixed_size 0
		.amdhsa_kernarg_size 128
		.amdhsa_user_sgpr_count 6
		.amdhsa_user_sgpr_private_segment_buffer 1
		.amdhsa_user_sgpr_dispatch_ptr 0
		.amdhsa_user_sgpr_queue_ptr 0
		.amdhsa_user_sgpr_kernarg_segment_ptr 1
		.amdhsa_user_sgpr_dispatch_id 0
		.amdhsa_user_sgpr_flat_scratch_init 0
		.amdhsa_user_sgpr_kernarg_preload_length 0
		.amdhsa_user_sgpr_kernarg_preload_offset 0
		.amdhsa_user_sgpr_private_segment_size 0
		.amdhsa_uses_dynamic_stack 0
		.amdhsa_system_sgpr_private_segment_wavefront_offset 0
		.amdhsa_system_sgpr_workgroup_id_x 1
		.amdhsa_system_sgpr_workgroup_id_y 0
		.amdhsa_system_sgpr_workgroup_id_z 0
		.amdhsa_system_sgpr_workgroup_info 0
		.amdhsa_system_vgpr_workitem_id 0
		.amdhsa_next_free_vgpr 1
		.amdhsa_next_free_sgpr 0
		.amdhsa_accum_offset 4
		.amdhsa_reserve_vcc 0
		.amdhsa_reserve_flat_scratch 0
		.amdhsa_float_round_mode_32 0
		.amdhsa_float_round_mode_16_64 0
		.amdhsa_float_denorm_mode_32 3
		.amdhsa_float_denorm_mode_16_64 3
		.amdhsa_dx10_clamp 1
		.amdhsa_ieee_mode 1
		.amdhsa_fp16_overflow 0
		.amdhsa_tg_split 0
		.amdhsa_exception_fp_ieee_invalid_op 0
		.amdhsa_exception_fp_denorm_src 0
		.amdhsa_exception_fp_ieee_div_zero 0
		.amdhsa_exception_fp_ieee_overflow 0
		.amdhsa_exception_fp_ieee_underflow 0
		.amdhsa_exception_fp_ieee_inexact 0
		.amdhsa_exception_int_div_zero 0
	.end_amdhsa_kernel
	.section	.text._ZN7rocprim17ROCPRIM_400000_NS6detail17trampoline_kernelINS0_14default_configENS1_25partition_config_selectorILNS1_17partition_subalgoE8EtNS0_10empty_typeEbEEZZNS1_14partition_implILS5_8ELb0ES3_jPKtPS6_PKS6_NS0_5tupleIJPtS6_EEENSE_IJSB_SB_EEENS0_18inequality_wrapperIN6hipcub16HIPCUB_304000_NS8EqualityEEEPlJS6_EEE10hipError_tPvRmT3_T4_T5_T6_T7_T9_mT8_P12ihipStream_tbDpT10_ENKUlT_T0_E_clISt17integral_constantIbLb0EES16_IbLb1EEEEDaS12_S13_EUlS12_E_NS1_11comp_targetILNS1_3genE3ELNS1_11target_archE908ELNS1_3gpuE7ELNS1_3repE0EEENS1_30default_config_static_selectorELNS0_4arch9wavefront6targetE1EEEvT1_,"axG",@progbits,_ZN7rocprim17ROCPRIM_400000_NS6detail17trampoline_kernelINS0_14default_configENS1_25partition_config_selectorILNS1_17partition_subalgoE8EtNS0_10empty_typeEbEEZZNS1_14partition_implILS5_8ELb0ES3_jPKtPS6_PKS6_NS0_5tupleIJPtS6_EEENSE_IJSB_SB_EEENS0_18inequality_wrapperIN6hipcub16HIPCUB_304000_NS8EqualityEEEPlJS6_EEE10hipError_tPvRmT3_T4_T5_T6_T7_T9_mT8_P12ihipStream_tbDpT10_ENKUlT_T0_E_clISt17integral_constantIbLb0EES16_IbLb1EEEEDaS12_S13_EUlS12_E_NS1_11comp_targetILNS1_3genE3ELNS1_11target_archE908ELNS1_3gpuE7ELNS1_3repE0EEENS1_30default_config_static_selectorELNS0_4arch9wavefront6targetE1EEEvT1_,comdat
.Lfunc_end782:
	.size	_ZN7rocprim17ROCPRIM_400000_NS6detail17trampoline_kernelINS0_14default_configENS1_25partition_config_selectorILNS1_17partition_subalgoE8EtNS0_10empty_typeEbEEZZNS1_14partition_implILS5_8ELb0ES3_jPKtPS6_PKS6_NS0_5tupleIJPtS6_EEENSE_IJSB_SB_EEENS0_18inequality_wrapperIN6hipcub16HIPCUB_304000_NS8EqualityEEEPlJS6_EEE10hipError_tPvRmT3_T4_T5_T6_T7_T9_mT8_P12ihipStream_tbDpT10_ENKUlT_T0_E_clISt17integral_constantIbLb0EES16_IbLb1EEEEDaS12_S13_EUlS12_E_NS1_11comp_targetILNS1_3genE3ELNS1_11target_archE908ELNS1_3gpuE7ELNS1_3repE0EEENS1_30default_config_static_selectorELNS0_4arch9wavefront6targetE1EEEvT1_, .Lfunc_end782-_ZN7rocprim17ROCPRIM_400000_NS6detail17trampoline_kernelINS0_14default_configENS1_25partition_config_selectorILNS1_17partition_subalgoE8EtNS0_10empty_typeEbEEZZNS1_14partition_implILS5_8ELb0ES3_jPKtPS6_PKS6_NS0_5tupleIJPtS6_EEENSE_IJSB_SB_EEENS0_18inequality_wrapperIN6hipcub16HIPCUB_304000_NS8EqualityEEEPlJS6_EEE10hipError_tPvRmT3_T4_T5_T6_T7_T9_mT8_P12ihipStream_tbDpT10_ENKUlT_T0_E_clISt17integral_constantIbLb0EES16_IbLb1EEEEDaS12_S13_EUlS12_E_NS1_11comp_targetILNS1_3genE3ELNS1_11target_archE908ELNS1_3gpuE7ELNS1_3repE0EEENS1_30default_config_static_selectorELNS0_4arch9wavefront6targetE1EEEvT1_
                                        ; -- End function
	.section	.AMDGPU.csdata,"",@progbits
; Kernel info:
; codeLenInByte = 0
; NumSgprs: 4
; NumVgprs: 0
; NumAgprs: 0
; TotalNumVgprs: 0
; ScratchSize: 0
; MemoryBound: 0
; FloatMode: 240
; IeeeMode: 1
; LDSByteSize: 0 bytes/workgroup (compile time only)
; SGPRBlocks: 0
; VGPRBlocks: 0
; NumSGPRsForWavesPerEU: 4
; NumVGPRsForWavesPerEU: 1
; AccumOffset: 4
; Occupancy: 8
; WaveLimiterHint : 0
; COMPUTE_PGM_RSRC2:SCRATCH_EN: 0
; COMPUTE_PGM_RSRC2:USER_SGPR: 6
; COMPUTE_PGM_RSRC2:TRAP_HANDLER: 0
; COMPUTE_PGM_RSRC2:TGID_X_EN: 1
; COMPUTE_PGM_RSRC2:TGID_Y_EN: 0
; COMPUTE_PGM_RSRC2:TGID_Z_EN: 0
; COMPUTE_PGM_RSRC2:TIDIG_COMP_CNT: 0
; COMPUTE_PGM_RSRC3_GFX90A:ACCUM_OFFSET: 0
; COMPUTE_PGM_RSRC3_GFX90A:TG_SPLIT: 0
	.section	.text._ZN7rocprim17ROCPRIM_400000_NS6detail17trampoline_kernelINS0_14default_configENS1_25partition_config_selectorILNS1_17partition_subalgoE8EtNS0_10empty_typeEbEEZZNS1_14partition_implILS5_8ELb0ES3_jPKtPS6_PKS6_NS0_5tupleIJPtS6_EEENSE_IJSB_SB_EEENS0_18inequality_wrapperIN6hipcub16HIPCUB_304000_NS8EqualityEEEPlJS6_EEE10hipError_tPvRmT3_T4_T5_T6_T7_T9_mT8_P12ihipStream_tbDpT10_ENKUlT_T0_E_clISt17integral_constantIbLb0EES16_IbLb1EEEEDaS12_S13_EUlS12_E_NS1_11comp_targetILNS1_3genE2ELNS1_11target_archE906ELNS1_3gpuE6ELNS1_3repE0EEENS1_30default_config_static_selectorELNS0_4arch9wavefront6targetE1EEEvT1_,"axG",@progbits,_ZN7rocprim17ROCPRIM_400000_NS6detail17trampoline_kernelINS0_14default_configENS1_25partition_config_selectorILNS1_17partition_subalgoE8EtNS0_10empty_typeEbEEZZNS1_14partition_implILS5_8ELb0ES3_jPKtPS6_PKS6_NS0_5tupleIJPtS6_EEENSE_IJSB_SB_EEENS0_18inequality_wrapperIN6hipcub16HIPCUB_304000_NS8EqualityEEEPlJS6_EEE10hipError_tPvRmT3_T4_T5_T6_T7_T9_mT8_P12ihipStream_tbDpT10_ENKUlT_T0_E_clISt17integral_constantIbLb0EES16_IbLb1EEEEDaS12_S13_EUlS12_E_NS1_11comp_targetILNS1_3genE2ELNS1_11target_archE906ELNS1_3gpuE6ELNS1_3repE0EEENS1_30default_config_static_selectorELNS0_4arch9wavefront6targetE1EEEvT1_,comdat
	.protected	_ZN7rocprim17ROCPRIM_400000_NS6detail17trampoline_kernelINS0_14default_configENS1_25partition_config_selectorILNS1_17partition_subalgoE8EtNS0_10empty_typeEbEEZZNS1_14partition_implILS5_8ELb0ES3_jPKtPS6_PKS6_NS0_5tupleIJPtS6_EEENSE_IJSB_SB_EEENS0_18inequality_wrapperIN6hipcub16HIPCUB_304000_NS8EqualityEEEPlJS6_EEE10hipError_tPvRmT3_T4_T5_T6_T7_T9_mT8_P12ihipStream_tbDpT10_ENKUlT_T0_E_clISt17integral_constantIbLb0EES16_IbLb1EEEEDaS12_S13_EUlS12_E_NS1_11comp_targetILNS1_3genE2ELNS1_11target_archE906ELNS1_3gpuE6ELNS1_3repE0EEENS1_30default_config_static_selectorELNS0_4arch9wavefront6targetE1EEEvT1_ ; -- Begin function _ZN7rocprim17ROCPRIM_400000_NS6detail17trampoline_kernelINS0_14default_configENS1_25partition_config_selectorILNS1_17partition_subalgoE8EtNS0_10empty_typeEbEEZZNS1_14partition_implILS5_8ELb0ES3_jPKtPS6_PKS6_NS0_5tupleIJPtS6_EEENSE_IJSB_SB_EEENS0_18inequality_wrapperIN6hipcub16HIPCUB_304000_NS8EqualityEEEPlJS6_EEE10hipError_tPvRmT3_T4_T5_T6_T7_T9_mT8_P12ihipStream_tbDpT10_ENKUlT_T0_E_clISt17integral_constantIbLb0EES16_IbLb1EEEEDaS12_S13_EUlS12_E_NS1_11comp_targetILNS1_3genE2ELNS1_11target_archE906ELNS1_3gpuE6ELNS1_3repE0EEENS1_30default_config_static_selectorELNS0_4arch9wavefront6targetE1EEEvT1_
	.globl	_ZN7rocprim17ROCPRIM_400000_NS6detail17trampoline_kernelINS0_14default_configENS1_25partition_config_selectorILNS1_17partition_subalgoE8EtNS0_10empty_typeEbEEZZNS1_14partition_implILS5_8ELb0ES3_jPKtPS6_PKS6_NS0_5tupleIJPtS6_EEENSE_IJSB_SB_EEENS0_18inequality_wrapperIN6hipcub16HIPCUB_304000_NS8EqualityEEEPlJS6_EEE10hipError_tPvRmT3_T4_T5_T6_T7_T9_mT8_P12ihipStream_tbDpT10_ENKUlT_T0_E_clISt17integral_constantIbLb0EES16_IbLb1EEEEDaS12_S13_EUlS12_E_NS1_11comp_targetILNS1_3genE2ELNS1_11target_archE906ELNS1_3gpuE6ELNS1_3repE0EEENS1_30default_config_static_selectorELNS0_4arch9wavefront6targetE1EEEvT1_
	.p2align	8
	.type	_ZN7rocprim17ROCPRIM_400000_NS6detail17trampoline_kernelINS0_14default_configENS1_25partition_config_selectorILNS1_17partition_subalgoE8EtNS0_10empty_typeEbEEZZNS1_14partition_implILS5_8ELb0ES3_jPKtPS6_PKS6_NS0_5tupleIJPtS6_EEENSE_IJSB_SB_EEENS0_18inequality_wrapperIN6hipcub16HIPCUB_304000_NS8EqualityEEEPlJS6_EEE10hipError_tPvRmT3_T4_T5_T6_T7_T9_mT8_P12ihipStream_tbDpT10_ENKUlT_T0_E_clISt17integral_constantIbLb0EES16_IbLb1EEEEDaS12_S13_EUlS12_E_NS1_11comp_targetILNS1_3genE2ELNS1_11target_archE906ELNS1_3gpuE6ELNS1_3repE0EEENS1_30default_config_static_selectorELNS0_4arch9wavefront6targetE1EEEvT1_,@function
_ZN7rocprim17ROCPRIM_400000_NS6detail17trampoline_kernelINS0_14default_configENS1_25partition_config_selectorILNS1_17partition_subalgoE8EtNS0_10empty_typeEbEEZZNS1_14partition_implILS5_8ELb0ES3_jPKtPS6_PKS6_NS0_5tupleIJPtS6_EEENSE_IJSB_SB_EEENS0_18inequality_wrapperIN6hipcub16HIPCUB_304000_NS8EqualityEEEPlJS6_EEE10hipError_tPvRmT3_T4_T5_T6_T7_T9_mT8_P12ihipStream_tbDpT10_ENKUlT_T0_E_clISt17integral_constantIbLb0EES16_IbLb1EEEEDaS12_S13_EUlS12_E_NS1_11comp_targetILNS1_3genE2ELNS1_11target_archE906ELNS1_3gpuE6ELNS1_3repE0EEENS1_30default_config_static_selectorELNS0_4arch9wavefront6targetE1EEEvT1_: ; @_ZN7rocprim17ROCPRIM_400000_NS6detail17trampoline_kernelINS0_14default_configENS1_25partition_config_selectorILNS1_17partition_subalgoE8EtNS0_10empty_typeEbEEZZNS1_14partition_implILS5_8ELb0ES3_jPKtPS6_PKS6_NS0_5tupleIJPtS6_EEENSE_IJSB_SB_EEENS0_18inequality_wrapperIN6hipcub16HIPCUB_304000_NS8EqualityEEEPlJS6_EEE10hipError_tPvRmT3_T4_T5_T6_T7_T9_mT8_P12ihipStream_tbDpT10_ENKUlT_T0_E_clISt17integral_constantIbLb0EES16_IbLb1EEEEDaS12_S13_EUlS12_E_NS1_11comp_targetILNS1_3genE2ELNS1_11target_archE906ELNS1_3gpuE6ELNS1_3repE0EEENS1_30default_config_static_selectorELNS0_4arch9wavefront6targetE1EEEvT1_
; %bb.0:
	.section	.rodata,"a",@progbits
	.p2align	6, 0x0
	.amdhsa_kernel _ZN7rocprim17ROCPRIM_400000_NS6detail17trampoline_kernelINS0_14default_configENS1_25partition_config_selectorILNS1_17partition_subalgoE8EtNS0_10empty_typeEbEEZZNS1_14partition_implILS5_8ELb0ES3_jPKtPS6_PKS6_NS0_5tupleIJPtS6_EEENSE_IJSB_SB_EEENS0_18inequality_wrapperIN6hipcub16HIPCUB_304000_NS8EqualityEEEPlJS6_EEE10hipError_tPvRmT3_T4_T5_T6_T7_T9_mT8_P12ihipStream_tbDpT10_ENKUlT_T0_E_clISt17integral_constantIbLb0EES16_IbLb1EEEEDaS12_S13_EUlS12_E_NS1_11comp_targetILNS1_3genE2ELNS1_11target_archE906ELNS1_3gpuE6ELNS1_3repE0EEENS1_30default_config_static_selectorELNS0_4arch9wavefront6targetE1EEEvT1_
		.amdhsa_group_segment_fixed_size 0
		.amdhsa_private_segment_fixed_size 0
		.amdhsa_kernarg_size 128
		.amdhsa_user_sgpr_count 6
		.amdhsa_user_sgpr_private_segment_buffer 1
		.amdhsa_user_sgpr_dispatch_ptr 0
		.amdhsa_user_sgpr_queue_ptr 0
		.amdhsa_user_sgpr_kernarg_segment_ptr 1
		.amdhsa_user_sgpr_dispatch_id 0
		.amdhsa_user_sgpr_flat_scratch_init 0
		.amdhsa_user_sgpr_kernarg_preload_length 0
		.amdhsa_user_sgpr_kernarg_preload_offset 0
		.amdhsa_user_sgpr_private_segment_size 0
		.amdhsa_uses_dynamic_stack 0
		.amdhsa_system_sgpr_private_segment_wavefront_offset 0
		.amdhsa_system_sgpr_workgroup_id_x 1
		.amdhsa_system_sgpr_workgroup_id_y 0
		.amdhsa_system_sgpr_workgroup_id_z 0
		.amdhsa_system_sgpr_workgroup_info 0
		.amdhsa_system_vgpr_workitem_id 0
		.amdhsa_next_free_vgpr 1
		.amdhsa_next_free_sgpr 0
		.amdhsa_accum_offset 4
		.amdhsa_reserve_vcc 0
		.amdhsa_reserve_flat_scratch 0
		.amdhsa_float_round_mode_32 0
		.amdhsa_float_round_mode_16_64 0
		.amdhsa_float_denorm_mode_32 3
		.amdhsa_float_denorm_mode_16_64 3
		.amdhsa_dx10_clamp 1
		.amdhsa_ieee_mode 1
		.amdhsa_fp16_overflow 0
		.amdhsa_tg_split 0
		.amdhsa_exception_fp_ieee_invalid_op 0
		.amdhsa_exception_fp_denorm_src 0
		.amdhsa_exception_fp_ieee_div_zero 0
		.amdhsa_exception_fp_ieee_overflow 0
		.amdhsa_exception_fp_ieee_underflow 0
		.amdhsa_exception_fp_ieee_inexact 0
		.amdhsa_exception_int_div_zero 0
	.end_amdhsa_kernel
	.section	.text._ZN7rocprim17ROCPRIM_400000_NS6detail17trampoline_kernelINS0_14default_configENS1_25partition_config_selectorILNS1_17partition_subalgoE8EtNS0_10empty_typeEbEEZZNS1_14partition_implILS5_8ELb0ES3_jPKtPS6_PKS6_NS0_5tupleIJPtS6_EEENSE_IJSB_SB_EEENS0_18inequality_wrapperIN6hipcub16HIPCUB_304000_NS8EqualityEEEPlJS6_EEE10hipError_tPvRmT3_T4_T5_T6_T7_T9_mT8_P12ihipStream_tbDpT10_ENKUlT_T0_E_clISt17integral_constantIbLb0EES16_IbLb1EEEEDaS12_S13_EUlS12_E_NS1_11comp_targetILNS1_3genE2ELNS1_11target_archE906ELNS1_3gpuE6ELNS1_3repE0EEENS1_30default_config_static_selectorELNS0_4arch9wavefront6targetE1EEEvT1_,"axG",@progbits,_ZN7rocprim17ROCPRIM_400000_NS6detail17trampoline_kernelINS0_14default_configENS1_25partition_config_selectorILNS1_17partition_subalgoE8EtNS0_10empty_typeEbEEZZNS1_14partition_implILS5_8ELb0ES3_jPKtPS6_PKS6_NS0_5tupleIJPtS6_EEENSE_IJSB_SB_EEENS0_18inequality_wrapperIN6hipcub16HIPCUB_304000_NS8EqualityEEEPlJS6_EEE10hipError_tPvRmT3_T4_T5_T6_T7_T9_mT8_P12ihipStream_tbDpT10_ENKUlT_T0_E_clISt17integral_constantIbLb0EES16_IbLb1EEEEDaS12_S13_EUlS12_E_NS1_11comp_targetILNS1_3genE2ELNS1_11target_archE906ELNS1_3gpuE6ELNS1_3repE0EEENS1_30default_config_static_selectorELNS0_4arch9wavefront6targetE1EEEvT1_,comdat
.Lfunc_end783:
	.size	_ZN7rocprim17ROCPRIM_400000_NS6detail17trampoline_kernelINS0_14default_configENS1_25partition_config_selectorILNS1_17partition_subalgoE8EtNS0_10empty_typeEbEEZZNS1_14partition_implILS5_8ELb0ES3_jPKtPS6_PKS6_NS0_5tupleIJPtS6_EEENSE_IJSB_SB_EEENS0_18inequality_wrapperIN6hipcub16HIPCUB_304000_NS8EqualityEEEPlJS6_EEE10hipError_tPvRmT3_T4_T5_T6_T7_T9_mT8_P12ihipStream_tbDpT10_ENKUlT_T0_E_clISt17integral_constantIbLb0EES16_IbLb1EEEEDaS12_S13_EUlS12_E_NS1_11comp_targetILNS1_3genE2ELNS1_11target_archE906ELNS1_3gpuE6ELNS1_3repE0EEENS1_30default_config_static_selectorELNS0_4arch9wavefront6targetE1EEEvT1_, .Lfunc_end783-_ZN7rocprim17ROCPRIM_400000_NS6detail17trampoline_kernelINS0_14default_configENS1_25partition_config_selectorILNS1_17partition_subalgoE8EtNS0_10empty_typeEbEEZZNS1_14partition_implILS5_8ELb0ES3_jPKtPS6_PKS6_NS0_5tupleIJPtS6_EEENSE_IJSB_SB_EEENS0_18inequality_wrapperIN6hipcub16HIPCUB_304000_NS8EqualityEEEPlJS6_EEE10hipError_tPvRmT3_T4_T5_T6_T7_T9_mT8_P12ihipStream_tbDpT10_ENKUlT_T0_E_clISt17integral_constantIbLb0EES16_IbLb1EEEEDaS12_S13_EUlS12_E_NS1_11comp_targetILNS1_3genE2ELNS1_11target_archE906ELNS1_3gpuE6ELNS1_3repE0EEENS1_30default_config_static_selectorELNS0_4arch9wavefront6targetE1EEEvT1_
                                        ; -- End function
	.section	.AMDGPU.csdata,"",@progbits
; Kernel info:
; codeLenInByte = 0
; NumSgprs: 4
; NumVgprs: 0
; NumAgprs: 0
; TotalNumVgprs: 0
; ScratchSize: 0
; MemoryBound: 0
; FloatMode: 240
; IeeeMode: 1
; LDSByteSize: 0 bytes/workgroup (compile time only)
; SGPRBlocks: 0
; VGPRBlocks: 0
; NumSGPRsForWavesPerEU: 4
; NumVGPRsForWavesPerEU: 1
; AccumOffset: 4
; Occupancy: 8
; WaveLimiterHint : 0
; COMPUTE_PGM_RSRC2:SCRATCH_EN: 0
; COMPUTE_PGM_RSRC2:USER_SGPR: 6
; COMPUTE_PGM_RSRC2:TRAP_HANDLER: 0
; COMPUTE_PGM_RSRC2:TGID_X_EN: 1
; COMPUTE_PGM_RSRC2:TGID_Y_EN: 0
; COMPUTE_PGM_RSRC2:TGID_Z_EN: 0
; COMPUTE_PGM_RSRC2:TIDIG_COMP_CNT: 0
; COMPUTE_PGM_RSRC3_GFX90A:ACCUM_OFFSET: 0
; COMPUTE_PGM_RSRC3_GFX90A:TG_SPLIT: 0
	.section	.text._ZN7rocprim17ROCPRIM_400000_NS6detail17trampoline_kernelINS0_14default_configENS1_25partition_config_selectorILNS1_17partition_subalgoE8EtNS0_10empty_typeEbEEZZNS1_14partition_implILS5_8ELb0ES3_jPKtPS6_PKS6_NS0_5tupleIJPtS6_EEENSE_IJSB_SB_EEENS0_18inequality_wrapperIN6hipcub16HIPCUB_304000_NS8EqualityEEEPlJS6_EEE10hipError_tPvRmT3_T4_T5_T6_T7_T9_mT8_P12ihipStream_tbDpT10_ENKUlT_T0_E_clISt17integral_constantIbLb0EES16_IbLb1EEEEDaS12_S13_EUlS12_E_NS1_11comp_targetILNS1_3genE10ELNS1_11target_archE1200ELNS1_3gpuE4ELNS1_3repE0EEENS1_30default_config_static_selectorELNS0_4arch9wavefront6targetE1EEEvT1_,"axG",@progbits,_ZN7rocprim17ROCPRIM_400000_NS6detail17trampoline_kernelINS0_14default_configENS1_25partition_config_selectorILNS1_17partition_subalgoE8EtNS0_10empty_typeEbEEZZNS1_14partition_implILS5_8ELb0ES3_jPKtPS6_PKS6_NS0_5tupleIJPtS6_EEENSE_IJSB_SB_EEENS0_18inequality_wrapperIN6hipcub16HIPCUB_304000_NS8EqualityEEEPlJS6_EEE10hipError_tPvRmT3_T4_T5_T6_T7_T9_mT8_P12ihipStream_tbDpT10_ENKUlT_T0_E_clISt17integral_constantIbLb0EES16_IbLb1EEEEDaS12_S13_EUlS12_E_NS1_11comp_targetILNS1_3genE10ELNS1_11target_archE1200ELNS1_3gpuE4ELNS1_3repE0EEENS1_30default_config_static_selectorELNS0_4arch9wavefront6targetE1EEEvT1_,comdat
	.protected	_ZN7rocprim17ROCPRIM_400000_NS6detail17trampoline_kernelINS0_14default_configENS1_25partition_config_selectorILNS1_17partition_subalgoE8EtNS0_10empty_typeEbEEZZNS1_14partition_implILS5_8ELb0ES3_jPKtPS6_PKS6_NS0_5tupleIJPtS6_EEENSE_IJSB_SB_EEENS0_18inequality_wrapperIN6hipcub16HIPCUB_304000_NS8EqualityEEEPlJS6_EEE10hipError_tPvRmT3_T4_T5_T6_T7_T9_mT8_P12ihipStream_tbDpT10_ENKUlT_T0_E_clISt17integral_constantIbLb0EES16_IbLb1EEEEDaS12_S13_EUlS12_E_NS1_11comp_targetILNS1_3genE10ELNS1_11target_archE1200ELNS1_3gpuE4ELNS1_3repE0EEENS1_30default_config_static_selectorELNS0_4arch9wavefront6targetE1EEEvT1_ ; -- Begin function _ZN7rocprim17ROCPRIM_400000_NS6detail17trampoline_kernelINS0_14default_configENS1_25partition_config_selectorILNS1_17partition_subalgoE8EtNS0_10empty_typeEbEEZZNS1_14partition_implILS5_8ELb0ES3_jPKtPS6_PKS6_NS0_5tupleIJPtS6_EEENSE_IJSB_SB_EEENS0_18inequality_wrapperIN6hipcub16HIPCUB_304000_NS8EqualityEEEPlJS6_EEE10hipError_tPvRmT3_T4_T5_T6_T7_T9_mT8_P12ihipStream_tbDpT10_ENKUlT_T0_E_clISt17integral_constantIbLb0EES16_IbLb1EEEEDaS12_S13_EUlS12_E_NS1_11comp_targetILNS1_3genE10ELNS1_11target_archE1200ELNS1_3gpuE4ELNS1_3repE0EEENS1_30default_config_static_selectorELNS0_4arch9wavefront6targetE1EEEvT1_
	.globl	_ZN7rocprim17ROCPRIM_400000_NS6detail17trampoline_kernelINS0_14default_configENS1_25partition_config_selectorILNS1_17partition_subalgoE8EtNS0_10empty_typeEbEEZZNS1_14partition_implILS5_8ELb0ES3_jPKtPS6_PKS6_NS0_5tupleIJPtS6_EEENSE_IJSB_SB_EEENS0_18inequality_wrapperIN6hipcub16HIPCUB_304000_NS8EqualityEEEPlJS6_EEE10hipError_tPvRmT3_T4_T5_T6_T7_T9_mT8_P12ihipStream_tbDpT10_ENKUlT_T0_E_clISt17integral_constantIbLb0EES16_IbLb1EEEEDaS12_S13_EUlS12_E_NS1_11comp_targetILNS1_3genE10ELNS1_11target_archE1200ELNS1_3gpuE4ELNS1_3repE0EEENS1_30default_config_static_selectorELNS0_4arch9wavefront6targetE1EEEvT1_
	.p2align	8
	.type	_ZN7rocprim17ROCPRIM_400000_NS6detail17trampoline_kernelINS0_14default_configENS1_25partition_config_selectorILNS1_17partition_subalgoE8EtNS0_10empty_typeEbEEZZNS1_14partition_implILS5_8ELb0ES3_jPKtPS6_PKS6_NS0_5tupleIJPtS6_EEENSE_IJSB_SB_EEENS0_18inequality_wrapperIN6hipcub16HIPCUB_304000_NS8EqualityEEEPlJS6_EEE10hipError_tPvRmT3_T4_T5_T6_T7_T9_mT8_P12ihipStream_tbDpT10_ENKUlT_T0_E_clISt17integral_constantIbLb0EES16_IbLb1EEEEDaS12_S13_EUlS12_E_NS1_11comp_targetILNS1_3genE10ELNS1_11target_archE1200ELNS1_3gpuE4ELNS1_3repE0EEENS1_30default_config_static_selectorELNS0_4arch9wavefront6targetE1EEEvT1_,@function
_ZN7rocprim17ROCPRIM_400000_NS6detail17trampoline_kernelINS0_14default_configENS1_25partition_config_selectorILNS1_17partition_subalgoE8EtNS0_10empty_typeEbEEZZNS1_14partition_implILS5_8ELb0ES3_jPKtPS6_PKS6_NS0_5tupleIJPtS6_EEENSE_IJSB_SB_EEENS0_18inequality_wrapperIN6hipcub16HIPCUB_304000_NS8EqualityEEEPlJS6_EEE10hipError_tPvRmT3_T4_T5_T6_T7_T9_mT8_P12ihipStream_tbDpT10_ENKUlT_T0_E_clISt17integral_constantIbLb0EES16_IbLb1EEEEDaS12_S13_EUlS12_E_NS1_11comp_targetILNS1_3genE10ELNS1_11target_archE1200ELNS1_3gpuE4ELNS1_3repE0EEENS1_30default_config_static_selectorELNS0_4arch9wavefront6targetE1EEEvT1_: ; @_ZN7rocprim17ROCPRIM_400000_NS6detail17trampoline_kernelINS0_14default_configENS1_25partition_config_selectorILNS1_17partition_subalgoE8EtNS0_10empty_typeEbEEZZNS1_14partition_implILS5_8ELb0ES3_jPKtPS6_PKS6_NS0_5tupleIJPtS6_EEENSE_IJSB_SB_EEENS0_18inequality_wrapperIN6hipcub16HIPCUB_304000_NS8EqualityEEEPlJS6_EEE10hipError_tPvRmT3_T4_T5_T6_T7_T9_mT8_P12ihipStream_tbDpT10_ENKUlT_T0_E_clISt17integral_constantIbLb0EES16_IbLb1EEEEDaS12_S13_EUlS12_E_NS1_11comp_targetILNS1_3genE10ELNS1_11target_archE1200ELNS1_3gpuE4ELNS1_3repE0EEENS1_30default_config_static_selectorELNS0_4arch9wavefront6targetE1EEEvT1_
; %bb.0:
	.section	.rodata,"a",@progbits
	.p2align	6, 0x0
	.amdhsa_kernel _ZN7rocprim17ROCPRIM_400000_NS6detail17trampoline_kernelINS0_14default_configENS1_25partition_config_selectorILNS1_17partition_subalgoE8EtNS0_10empty_typeEbEEZZNS1_14partition_implILS5_8ELb0ES3_jPKtPS6_PKS6_NS0_5tupleIJPtS6_EEENSE_IJSB_SB_EEENS0_18inequality_wrapperIN6hipcub16HIPCUB_304000_NS8EqualityEEEPlJS6_EEE10hipError_tPvRmT3_T4_T5_T6_T7_T9_mT8_P12ihipStream_tbDpT10_ENKUlT_T0_E_clISt17integral_constantIbLb0EES16_IbLb1EEEEDaS12_S13_EUlS12_E_NS1_11comp_targetILNS1_3genE10ELNS1_11target_archE1200ELNS1_3gpuE4ELNS1_3repE0EEENS1_30default_config_static_selectorELNS0_4arch9wavefront6targetE1EEEvT1_
		.amdhsa_group_segment_fixed_size 0
		.amdhsa_private_segment_fixed_size 0
		.amdhsa_kernarg_size 128
		.amdhsa_user_sgpr_count 6
		.amdhsa_user_sgpr_private_segment_buffer 1
		.amdhsa_user_sgpr_dispatch_ptr 0
		.amdhsa_user_sgpr_queue_ptr 0
		.amdhsa_user_sgpr_kernarg_segment_ptr 1
		.amdhsa_user_sgpr_dispatch_id 0
		.amdhsa_user_sgpr_flat_scratch_init 0
		.amdhsa_user_sgpr_kernarg_preload_length 0
		.amdhsa_user_sgpr_kernarg_preload_offset 0
		.amdhsa_user_sgpr_private_segment_size 0
		.amdhsa_uses_dynamic_stack 0
		.amdhsa_system_sgpr_private_segment_wavefront_offset 0
		.amdhsa_system_sgpr_workgroup_id_x 1
		.amdhsa_system_sgpr_workgroup_id_y 0
		.amdhsa_system_sgpr_workgroup_id_z 0
		.amdhsa_system_sgpr_workgroup_info 0
		.amdhsa_system_vgpr_workitem_id 0
		.amdhsa_next_free_vgpr 1
		.amdhsa_next_free_sgpr 0
		.amdhsa_accum_offset 4
		.amdhsa_reserve_vcc 0
		.amdhsa_reserve_flat_scratch 0
		.amdhsa_float_round_mode_32 0
		.amdhsa_float_round_mode_16_64 0
		.amdhsa_float_denorm_mode_32 3
		.amdhsa_float_denorm_mode_16_64 3
		.amdhsa_dx10_clamp 1
		.amdhsa_ieee_mode 1
		.amdhsa_fp16_overflow 0
		.amdhsa_tg_split 0
		.amdhsa_exception_fp_ieee_invalid_op 0
		.amdhsa_exception_fp_denorm_src 0
		.amdhsa_exception_fp_ieee_div_zero 0
		.amdhsa_exception_fp_ieee_overflow 0
		.amdhsa_exception_fp_ieee_underflow 0
		.amdhsa_exception_fp_ieee_inexact 0
		.amdhsa_exception_int_div_zero 0
	.end_amdhsa_kernel
	.section	.text._ZN7rocprim17ROCPRIM_400000_NS6detail17trampoline_kernelINS0_14default_configENS1_25partition_config_selectorILNS1_17partition_subalgoE8EtNS0_10empty_typeEbEEZZNS1_14partition_implILS5_8ELb0ES3_jPKtPS6_PKS6_NS0_5tupleIJPtS6_EEENSE_IJSB_SB_EEENS0_18inequality_wrapperIN6hipcub16HIPCUB_304000_NS8EqualityEEEPlJS6_EEE10hipError_tPvRmT3_T4_T5_T6_T7_T9_mT8_P12ihipStream_tbDpT10_ENKUlT_T0_E_clISt17integral_constantIbLb0EES16_IbLb1EEEEDaS12_S13_EUlS12_E_NS1_11comp_targetILNS1_3genE10ELNS1_11target_archE1200ELNS1_3gpuE4ELNS1_3repE0EEENS1_30default_config_static_selectorELNS0_4arch9wavefront6targetE1EEEvT1_,"axG",@progbits,_ZN7rocprim17ROCPRIM_400000_NS6detail17trampoline_kernelINS0_14default_configENS1_25partition_config_selectorILNS1_17partition_subalgoE8EtNS0_10empty_typeEbEEZZNS1_14partition_implILS5_8ELb0ES3_jPKtPS6_PKS6_NS0_5tupleIJPtS6_EEENSE_IJSB_SB_EEENS0_18inequality_wrapperIN6hipcub16HIPCUB_304000_NS8EqualityEEEPlJS6_EEE10hipError_tPvRmT3_T4_T5_T6_T7_T9_mT8_P12ihipStream_tbDpT10_ENKUlT_T0_E_clISt17integral_constantIbLb0EES16_IbLb1EEEEDaS12_S13_EUlS12_E_NS1_11comp_targetILNS1_3genE10ELNS1_11target_archE1200ELNS1_3gpuE4ELNS1_3repE0EEENS1_30default_config_static_selectorELNS0_4arch9wavefront6targetE1EEEvT1_,comdat
.Lfunc_end784:
	.size	_ZN7rocprim17ROCPRIM_400000_NS6detail17trampoline_kernelINS0_14default_configENS1_25partition_config_selectorILNS1_17partition_subalgoE8EtNS0_10empty_typeEbEEZZNS1_14partition_implILS5_8ELb0ES3_jPKtPS6_PKS6_NS0_5tupleIJPtS6_EEENSE_IJSB_SB_EEENS0_18inequality_wrapperIN6hipcub16HIPCUB_304000_NS8EqualityEEEPlJS6_EEE10hipError_tPvRmT3_T4_T5_T6_T7_T9_mT8_P12ihipStream_tbDpT10_ENKUlT_T0_E_clISt17integral_constantIbLb0EES16_IbLb1EEEEDaS12_S13_EUlS12_E_NS1_11comp_targetILNS1_3genE10ELNS1_11target_archE1200ELNS1_3gpuE4ELNS1_3repE0EEENS1_30default_config_static_selectorELNS0_4arch9wavefront6targetE1EEEvT1_, .Lfunc_end784-_ZN7rocprim17ROCPRIM_400000_NS6detail17trampoline_kernelINS0_14default_configENS1_25partition_config_selectorILNS1_17partition_subalgoE8EtNS0_10empty_typeEbEEZZNS1_14partition_implILS5_8ELb0ES3_jPKtPS6_PKS6_NS0_5tupleIJPtS6_EEENSE_IJSB_SB_EEENS0_18inequality_wrapperIN6hipcub16HIPCUB_304000_NS8EqualityEEEPlJS6_EEE10hipError_tPvRmT3_T4_T5_T6_T7_T9_mT8_P12ihipStream_tbDpT10_ENKUlT_T0_E_clISt17integral_constantIbLb0EES16_IbLb1EEEEDaS12_S13_EUlS12_E_NS1_11comp_targetILNS1_3genE10ELNS1_11target_archE1200ELNS1_3gpuE4ELNS1_3repE0EEENS1_30default_config_static_selectorELNS0_4arch9wavefront6targetE1EEEvT1_
                                        ; -- End function
	.section	.AMDGPU.csdata,"",@progbits
; Kernel info:
; codeLenInByte = 0
; NumSgprs: 4
; NumVgprs: 0
; NumAgprs: 0
; TotalNumVgprs: 0
; ScratchSize: 0
; MemoryBound: 0
; FloatMode: 240
; IeeeMode: 1
; LDSByteSize: 0 bytes/workgroup (compile time only)
; SGPRBlocks: 0
; VGPRBlocks: 0
; NumSGPRsForWavesPerEU: 4
; NumVGPRsForWavesPerEU: 1
; AccumOffset: 4
; Occupancy: 8
; WaveLimiterHint : 0
; COMPUTE_PGM_RSRC2:SCRATCH_EN: 0
; COMPUTE_PGM_RSRC2:USER_SGPR: 6
; COMPUTE_PGM_RSRC2:TRAP_HANDLER: 0
; COMPUTE_PGM_RSRC2:TGID_X_EN: 1
; COMPUTE_PGM_RSRC2:TGID_Y_EN: 0
; COMPUTE_PGM_RSRC2:TGID_Z_EN: 0
; COMPUTE_PGM_RSRC2:TIDIG_COMP_CNT: 0
; COMPUTE_PGM_RSRC3_GFX90A:ACCUM_OFFSET: 0
; COMPUTE_PGM_RSRC3_GFX90A:TG_SPLIT: 0
	.section	.text._ZN7rocprim17ROCPRIM_400000_NS6detail17trampoline_kernelINS0_14default_configENS1_25partition_config_selectorILNS1_17partition_subalgoE8EtNS0_10empty_typeEbEEZZNS1_14partition_implILS5_8ELb0ES3_jPKtPS6_PKS6_NS0_5tupleIJPtS6_EEENSE_IJSB_SB_EEENS0_18inequality_wrapperIN6hipcub16HIPCUB_304000_NS8EqualityEEEPlJS6_EEE10hipError_tPvRmT3_T4_T5_T6_T7_T9_mT8_P12ihipStream_tbDpT10_ENKUlT_T0_E_clISt17integral_constantIbLb0EES16_IbLb1EEEEDaS12_S13_EUlS12_E_NS1_11comp_targetILNS1_3genE9ELNS1_11target_archE1100ELNS1_3gpuE3ELNS1_3repE0EEENS1_30default_config_static_selectorELNS0_4arch9wavefront6targetE1EEEvT1_,"axG",@progbits,_ZN7rocprim17ROCPRIM_400000_NS6detail17trampoline_kernelINS0_14default_configENS1_25partition_config_selectorILNS1_17partition_subalgoE8EtNS0_10empty_typeEbEEZZNS1_14partition_implILS5_8ELb0ES3_jPKtPS6_PKS6_NS0_5tupleIJPtS6_EEENSE_IJSB_SB_EEENS0_18inequality_wrapperIN6hipcub16HIPCUB_304000_NS8EqualityEEEPlJS6_EEE10hipError_tPvRmT3_T4_T5_T6_T7_T9_mT8_P12ihipStream_tbDpT10_ENKUlT_T0_E_clISt17integral_constantIbLb0EES16_IbLb1EEEEDaS12_S13_EUlS12_E_NS1_11comp_targetILNS1_3genE9ELNS1_11target_archE1100ELNS1_3gpuE3ELNS1_3repE0EEENS1_30default_config_static_selectorELNS0_4arch9wavefront6targetE1EEEvT1_,comdat
	.protected	_ZN7rocprim17ROCPRIM_400000_NS6detail17trampoline_kernelINS0_14default_configENS1_25partition_config_selectorILNS1_17partition_subalgoE8EtNS0_10empty_typeEbEEZZNS1_14partition_implILS5_8ELb0ES3_jPKtPS6_PKS6_NS0_5tupleIJPtS6_EEENSE_IJSB_SB_EEENS0_18inequality_wrapperIN6hipcub16HIPCUB_304000_NS8EqualityEEEPlJS6_EEE10hipError_tPvRmT3_T4_T5_T6_T7_T9_mT8_P12ihipStream_tbDpT10_ENKUlT_T0_E_clISt17integral_constantIbLb0EES16_IbLb1EEEEDaS12_S13_EUlS12_E_NS1_11comp_targetILNS1_3genE9ELNS1_11target_archE1100ELNS1_3gpuE3ELNS1_3repE0EEENS1_30default_config_static_selectorELNS0_4arch9wavefront6targetE1EEEvT1_ ; -- Begin function _ZN7rocprim17ROCPRIM_400000_NS6detail17trampoline_kernelINS0_14default_configENS1_25partition_config_selectorILNS1_17partition_subalgoE8EtNS0_10empty_typeEbEEZZNS1_14partition_implILS5_8ELb0ES3_jPKtPS6_PKS6_NS0_5tupleIJPtS6_EEENSE_IJSB_SB_EEENS0_18inequality_wrapperIN6hipcub16HIPCUB_304000_NS8EqualityEEEPlJS6_EEE10hipError_tPvRmT3_T4_T5_T6_T7_T9_mT8_P12ihipStream_tbDpT10_ENKUlT_T0_E_clISt17integral_constantIbLb0EES16_IbLb1EEEEDaS12_S13_EUlS12_E_NS1_11comp_targetILNS1_3genE9ELNS1_11target_archE1100ELNS1_3gpuE3ELNS1_3repE0EEENS1_30default_config_static_selectorELNS0_4arch9wavefront6targetE1EEEvT1_
	.globl	_ZN7rocprim17ROCPRIM_400000_NS6detail17trampoline_kernelINS0_14default_configENS1_25partition_config_selectorILNS1_17partition_subalgoE8EtNS0_10empty_typeEbEEZZNS1_14partition_implILS5_8ELb0ES3_jPKtPS6_PKS6_NS0_5tupleIJPtS6_EEENSE_IJSB_SB_EEENS0_18inequality_wrapperIN6hipcub16HIPCUB_304000_NS8EqualityEEEPlJS6_EEE10hipError_tPvRmT3_T4_T5_T6_T7_T9_mT8_P12ihipStream_tbDpT10_ENKUlT_T0_E_clISt17integral_constantIbLb0EES16_IbLb1EEEEDaS12_S13_EUlS12_E_NS1_11comp_targetILNS1_3genE9ELNS1_11target_archE1100ELNS1_3gpuE3ELNS1_3repE0EEENS1_30default_config_static_selectorELNS0_4arch9wavefront6targetE1EEEvT1_
	.p2align	8
	.type	_ZN7rocprim17ROCPRIM_400000_NS6detail17trampoline_kernelINS0_14default_configENS1_25partition_config_selectorILNS1_17partition_subalgoE8EtNS0_10empty_typeEbEEZZNS1_14partition_implILS5_8ELb0ES3_jPKtPS6_PKS6_NS0_5tupleIJPtS6_EEENSE_IJSB_SB_EEENS0_18inequality_wrapperIN6hipcub16HIPCUB_304000_NS8EqualityEEEPlJS6_EEE10hipError_tPvRmT3_T4_T5_T6_T7_T9_mT8_P12ihipStream_tbDpT10_ENKUlT_T0_E_clISt17integral_constantIbLb0EES16_IbLb1EEEEDaS12_S13_EUlS12_E_NS1_11comp_targetILNS1_3genE9ELNS1_11target_archE1100ELNS1_3gpuE3ELNS1_3repE0EEENS1_30default_config_static_selectorELNS0_4arch9wavefront6targetE1EEEvT1_,@function
_ZN7rocprim17ROCPRIM_400000_NS6detail17trampoline_kernelINS0_14default_configENS1_25partition_config_selectorILNS1_17partition_subalgoE8EtNS0_10empty_typeEbEEZZNS1_14partition_implILS5_8ELb0ES3_jPKtPS6_PKS6_NS0_5tupleIJPtS6_EEENSE_IJSB_SB_EEENS0_18inequality_wrapperIN6hipcub16HIPCUB_304000_NS8EqualityEEEPlJS6_EEE10hipError_tPvRmT3_T4_T5_T6_T7_T9_mT8_P12ihipStream_tbDpT10_ENKUlT_T0_E_clISt17integral_constantIbLb0EES16_IbLb1EEEEDaS12_S13_EUlS12_E_NS1_11comp_targetILNS1_3genE9ELNS1_11target_archE1100ELNS1_3gpuE3ELNS1_3repE0EEENS1_30default_config_static_selectorELNS0_4arch9wavefront6targetE1EEEvT1_: ; @_ZN7rocprim17ROCPRIM_400000_NS6detail17trampoline_kernelINS0_14default_configENS1_25partition_config_selectorILNS1_17partition_subalgoE8EtNS0_10empty_typeEbEEZZNS1_14partition_implILS5_8ELb0ES3_jPKtPS6_PKS6_NS0_5tupleIJPtS6_EEENSE_IJSB_SB_EEENS0_18inequality_wrapperIN6hipcub16HIPCUB_304000_NS8EqualityEEEPlJS6_EEE10hipError_tPvRmT3_T4_T5_T6_T7_T9_mT8_P12ihipStream_tbDpT10_ENKUlT_T0_E_clISt17integral_constantIbLb0EES16_IbLb1EEEEDaS12_S13_EUlS12_E_NS1_11comp_targetILNS1_3genE9ELNS1_11target_archE1100ELNS1_3gpuE3ELNS1_3repE0EEENS1_30default_config_static_selectorELNS0_4arch9wavefront6targetE1EEEvT1_
; %bb.0:
	.section	.rodata,"a",@progbits
	.p2align	6, 0x0
	.amdhsa_kernel _ZN7rocprim17ROCPRIM_400000_NS6detail17trampoline_kernelINS0_14default_configENS1_25partition_config_selectorILNS1_17partition_subalgoE8EtNS0_10empty_typeEbEEZZNS1_14partition_implILS5_8ELb0ES3_jPKtPS6_PKS6_NS0_5tupleIJPtS6_EEENSE_IJSB_SB_EEENS0_18inequality_wrapperIN6hipcub16HIPCUB_304000_NS8EqualityEEEPlJS6_EEE10hipError_tPvRmT3_T4_T5_T6_T7_T9_mT8_P12ihipStream_tbDpT10_ENKUlT_T0_E_clISt17integral_constantIbLb0EES16_IbLb1EEEEDaS12_S13_EUlS12_E_NS1_11comp_targetILNS1_3genE9ELNS1_11target_archE1100ELNS1_3gpuE3ELNS1_3repE0EEENS1_30default_config_static_selectorELNS0_4arch9wavefront6targetE1EEEvT1_
		.amdhsa_group_segment_fixed_size 0
		.amdhsa_private_segment_fixed_size 0
		.amdhsa_kernarg_size 128
		.amdhsa_user_sgpr_count 6
		.amdhsa_user_sgpr_private_segment_buffer 1
		.amdhsa_user_sgpr_dispatch_ptr 0
		.amdhsa_user_sgpr_queue_ptr 0
		.amdhsa_user_sgpr_kernarg_segment_ptr 1
		.amdhsa_user_sgpr_dispatch_id 0
		.amdhsa_user_sgpr_flat_scratch_init 0
		.amdhsa_user_sgpr_kernarg_preload_length 0
		.amdhsa_user_sgpr_kernarg_preload_offset 0
		.amdhsa_user_sgpr_private_segment_size 0
		.amdhsa_uses_dynamic_stack 0
		.amdhsa_system_sgpr_private_segment_wavefront_offset 0
		.amdhsa_system_sgpr_workgroup_id_x 1
		.amdhsa_system_sgpr_workgroup_id_y 0
		.amdhsa_system_sgpr_workgroup_id_z 0
		.amdhsa_system_sgpr_workgroup_info 0
		.amdhsa_system_vgpr_workitem_id 0
		.amdhsa_next_free_vgpr 1
		.amdhsa_next_free_sgpr 0
		.amdhsa_accum_offset 4
		.amdhsa_reserve_vcc 0
		.amdhsa_reserve_flat_scratch 0
		.amdhsa_float_round_mode_32 0
		.amdhsa_float_round_mode_16_64 0
		.amdhsa_float_denorm_mode_32 3
		.amdhsa_float_denorm_mode_16_64 3
		.amdhsa_dx10_clamp 1
		.amdhsa_ieee_mode 1
		.amdhsa_fp16_overflow 0
		.amdhsa_tg_split 0
		.amdhsa_exception_fp_ieee_invalid_op 0
		.amdhsa_exception_fp_denorm_src 0
		.amdhsa_exception_fp_ieee_div_zero 0
		.amdhsa_exception_fp_ieee_overflow 0
		.amdhsa_exception_fp_ieee_underflow 0
		.amdhsa_exception_fp_ieee_inexact 0
		.amdhsa_exception_int_div_zero 0
	.end_amdhsa_kernel
	.section	.text._ZN7rocprim17ROCPRIM_400000_NS6detail17trampoline_kernelINS0_14default_configENS1_25partition_config_selectorILNS1_17partition_subalgoE8EtNS0_10empty_typeEbEEZZNS1_14partition_implILS5_8ELb0ES3_jPKtPS6_PKS6_NS0_5tupleIJPtS6_EEENSE_IJSB_SB_EEENS0_18inequality_wrapperIN6hipcub16HIPCUB_304000_NS8EqualityEEEPlJS6_EEE10hipError_tPvRmT3_T4_T5_T6_T7_T9_mT8_P12ihipStream_tbDpT10_ENKUlT_T0_E_clISt17integral_constantIbLb0EES16_IbLb1EEEEDaS12_S13_EUlS12_E_NS1_11comp_targetILNS1_3genE9ELNS1_11target_archE1100ELNS1_3gpuE3ELNS1_3repE0EEENS1_30default_config_static_selectorELNS0_4arch9wavefront6targetE1EEEvT1_,"axG",@progbits,_ZN7rocprim17ROCPRIM_400000_NS6detail17trampoline_kernelINS0_14default_configENS1_25partition_config_selectorILNS1_17partition_subalgoE8EtNS0_10empty_typeEbEEZZNS1_14partition_implILS5_8ELb0ES3_jPKtPS6_PKS6_NS0_5tupleIJPtS6_EEENSE_IJSB_SB_EEENS0_18inequality_wrapperIN6hipcub16HIPCUB_304000_NS8EqualityEEEPlJS6_EEE10hipError_tPvRmT3_T4_T5_T6_T7_T9_mT8_P12ihipStream_tbDpT10_ENKUlT_T0_E_clISt17integral_constantIbLb0EES16_IbLb1EEEEDaS12_S13_EUlS12_E_NS1_11comp_targetILNS1_3genE9ELNS1_11target_archE1100ELNS1_3gpuE3ELNS1_3repE0EEENS1_30default_config_static_selectorELNS0_4arch9wavefront6targetE1EEEvT1_,comdat
.Lfunc_end785:
	.size	_ZN7rocprim17ROCPRIM_400000_NS6detail17trampoline_kernelINS0_14default_configENS1_25partition_config_selectorILNS1_17partition_subalgoE8EtNS0_10empty_typeEbEEZZNS1_14partition_implILS5_8ELb0ES3_jPKtPS6_PKS6_NS0_5tupleIJPtS6_EEENSE_IJSB_SB_EEENS0_18inequality_wrapperIN6hipcub16HIPCUB_304000_NS8EqualityEEEPlJS6_EEE10hipError_tPvRmT3_T4_T5_T6_T7_T9_mT8_P12ihipStream_tbDpT10_ENKUlT_T0_E_clISt17integral_constantIbLb0EES16_IbLb1EEEEDaS12_S13_EUlS12_E_NS1_11comp_targetILNS1_3genE9ELNS1_11target_archE1100ELNS1_3gpuE3ELNS1_3repE0EEENS1_30default_config_static_selectorELNS0_4arch9wavefront6targetE1EEEvT1_, .Lfunc_end785-_ZN7rocprim17ROCPRIM_400000_NS6detail17trampoline_kernelINS0_14default_configENS1_25partition_config_selectorILNS1_17partition_subalgoE8EtNS0_10empty_typeEbEEZZNS1_14partition_implILS5_8ELb0ES3_jPKtPS6_PKS6_NS0_5tupleIJPtS6_EEENSE_IJSB_SB_EEENS0_18inequality_wrapperIN6hipcub16HIPCUB_304000_NS8EqualityEEEPlJS6_EEE10hipError_tPvRmT3_T4_T5_T6_T7_T9_mT8_P12ihipStream_tbDpT10_ENKUlT_T0_E_clISt17integral_constantIbLb0EES16_IbLb1EEEEDaS12_S13_EUlS12_E_NS1_11comp_targetILNS1_3genE9ELNS1_11target_archE1100ELNS1_3gpuE3ELNS1_3repE0EEENS1_30default_config_static_selectorELNS0_4arch9wavefront6targetE1EEEvT1_
                                        ; -- End function
	.section	.AMDGPU.csdata,"",@progbits
; Kernel info:
; codeLenInByte = 0
; NumSgprs: 4
; NumVgprs: 0
; NumAgprs: 0
; TotalNumVgprs: 0
; ScratchSize: 0
; MemoryBound: 0
; FloatMode: 240
; IeeeMode: 1
; LDSByteSize: 0 bytes/workgroup (compile time only)
; SGPRBlocks: 0
; VGPRBlocks: 0
; NumSGPRsForWavesPerEU: 4
; NumVGPRsForWavesPerEU: 1
; AccumOffset: 4
; Occupancy: 8
; WaveLimiterHint : 0
; COMPUTE_PGM_RSRC2:SCRATCH_EN: 0
; COMPUTE_PGM_RSRC2:USER_SGPR: 6
; COMPUTE_PGM_RSRC2:TRAP_HANDLER: 0
; COMPUTE_PGM_RSRC2:TGID_X_EN: 1
; COMPUTE_PGM_RSRC2:TGID_Y_EN: 0
; COMPUTE_PGM_RSRC2:TGID_Z_EN: 0
; COMPUTE_PGM_RSRC2:TIDIG_COMP_CNT: 0
; COMPUTE_PGM_RSRC3_GFX90A:ACCUM_OFFSET: 0
; COMPUTE_PGM_RSRC3_GFX90A:TG_SPLIT: 0
	.section	.text._ZN7rocprim17ROCPRIM_400000_NS6detail17trampoline_kernelINS0_14default_configENS1_25partition_config_selectorILNS1_17partition_subalgoE8EtNS0_10empty_typeEbEEZZNS1_14partition_implILS5_8ELb0ES3_jPKtPS6_PKS6_NS0_5tupleIJPtS6_EEENSE_IJSB_SB_EEENS0_18inequality_wrapperIN6hipcub16HIPCUB_304000_NS8EqualityEEEPlJS6_EEE10hipError_tPvRmT3_T4_T5_T6_T7_T9_mT8_P12ihipStream_tbDpT10_ENKUlT_T0_E_clISt17integral_constantIbLb0EES16_IbLb1EEEEDaS12_S13_EUlS12_E_NS1_11comp_targetILNS1_3genE8ELNS1_11target_archE1030ELNS1_3gpuE2ELNS1_3repE0EEENS1_30default_config_static_selectorELNS0_4arch9wavefront6targetE1EEEvT1_,"axG",@progbits,_ZN7rocprim17ROCPRIM_400000_NS6detail17trampoline_kernelINS0_14default_configENS1_25partition_config_selectorILNS1_17partition_subalgoE8EtNS0_10empty_typeEbEEZZNS1_14partition_implILS5_8ELb0ES3_jPKtPS6_PKS6_NS0_5tupleIJPtS6_EEENSE_IJSB_SB_EEENS0_18inequality_wrapperIN6hipcub16HIPCUB_304000_NS8EqualityEEEPlJS6_EEE10hipError_tPvRmT3_T4_T5_T6_T7_T9_mT8_P12ihipStream_tbDpT10_ENKUlT_T0_E_clISt17integral_constantIbLb0EES16_IbLb1EEEEDaS12_S13_EUlS12_E_NS1_11comp_targetILNS1_3genE8ELNS1_11target_archE1030ELNS1_3gpuE2ELNS1_3repE0EEENS1_30default_config_static_selectorELNS0_4arch9wavefront6targetE1EEEvT1_,comdat
	.protected	_ZN7rocprim17ROCPRIM_400000_NS6detail17trampoline_kernelINS0_14default_configENS1_25partition_config_selectorILNS1_17partition_subalgoE8EtNS0_10empty_typeEbEEZZNS1_14partition_implILS5_8ELb0ES3_jPKtPS6_PKS6_NS0_5tupleIJPtS6_EEENSE_IJSB_SB_EEENS0_18inequality_wrapperIN6hipcub16HIPCUB_304000_NS8EqualityEEEPlJS6_EEE10hipError_tPvRmT3_T4_T5_T6_T7_T9_mT8_P12ihipStream_tbDpT10_ENKUlT_T0_E_clISt17integral_constantIbLb0EES16_IbLb1EEEEDaS12_S13_EUlS12_E_NS1_11comp_targetILNS1_3genE8ELNS1_11target_archE1030ELNS1_3gpuE2ELNS1_3repE0EEENS1_30default_config_static_selectorELNS0_4arch9wavefront6targetE1EEEvT1_ ; -- Begin function _ZN7rocprim17ROCPRIM_400000_NS6detail17trampoline_kernelINS0_14default_configENS1_25partition_config_selectorILNS1_17partition_subalgoE8EtNS0_10empty_typeEbEEZZNS1_14partition_implILS5_8ELb0ES3_jPKtPS6_PKS6_NS0_5tupleIJPtS6_EEENSE_IJSB_SB_EEENS0_18inequality_wrapperIN6hipcub16HIPCUB_304000_NS8EqualityEEEPlJS6_EEE10hipError_tPvRmT3_T4_T5_T6_T7_T9_mT8_P12ihipStream_tbDpT10_ENKUlT_T0_E_clISt17integral_constantIbLb0EES16_IbLb1EEEEDaS12_S13_EUlS12_E_NS1_11comp_targetILNS1_3genE8ELNS1_11target_archE1030ELNS1_3gpuE2ELNS1_3repE0EEENS1_30default_config_static_selectorELNS0_4arch9wavefront6targetE1EEEvT1_
	.globl	_ZN7rocprim17ROCPRIM_400000_NS6detail17trampoline_kernelINS0_14default_configENS1_25partition_config_selectorILNS1_17partition_subalgoE8EtNS0_10empty_typeEbEEZZNS1_14partition_implILS5_8ELb0ES3_jPKtPS6_PKS6_NS0_5tupleIJPtS6_EEENSE_IJSB_SB_EEENS0_18inequality_wrapperIN6hipcub16HIPCUB_304000_NS8EqualityEEEPlJS6_EEE10hipError_tPvRmT3_T4_T5_T6_T7_T9_mT8_P12ihipStream_tbDpT10_ENKUlT_T0_E_clISt17integral_constantIbLb0EES16_IbLb1EEEEDaS12_S13_EUlS12_E_NS1_11comp_targetILNS1_3genE8ELNS1_11target_archE1030ELNS1_3gpuE2ELNS1_3repE0EEENS1_30default_config_static_selectorELNS0_4arch9wavefront6targetE1EEEvT1_
	.p2align	8
	.type	_ZN7rocprim17ROCPRIM_400000_NS6detail17trampoline_kernelINS0_14default_configENS1_25partition_config_selectorILNS1_17partition_subalgoE8EtNS0_10empty_typeEbEEZZNS1_14partition_implILS5_8ELb0ES3_jPKtPS6_PKS6_NS0_5tupleIJPtS6_EEENSE_IJSB_SB_EEENS0_18inequality_wrapperIN6hipcub16HIPCUB_304000_NS8EqualityEEEPlJS6_EEE10hipError_tPvRmT3_T4_T5_T6_T7_T9_mT8_P12ihipStream_tbDpT10_ENKUlT_T0_E_clISt17integral_constantIbLb0EES16_IbLb1EEEEDaS12_S13_EUlS12_E_NS1_11comp_targetILNS1_3genE8ELNS1_11target_archE1030ELNS1_3gpuE2ELNS1_3repE0EEENS1_30default_config_static_selectorELNS0_4arch9wavefront6targetE1EEEvT1_,@function
_ZN7rocprim17ROCPRIM_400000_NS6detail17trampoline_kernelINS0_14default_configENS1_25partition_config_selectorILNS1_17partition_subalgoE8EtNS0_10empty_typeEbEEZZNS1_14partition_implILS5_8ELb0ES3_jPKtPS6_PKS6_NS0_5tupleIJPtS6_EEENSE_IJSB_SB_EEENS0_18inequality_wrapperIN6hipcub16HIPCUB_304000_NS8EqualityEEEPlJS6_EEE10hipError_tPvRmT3_T4_T5_T6_T7_T9_mT8_P12ihipStream_tbDpT10_ENKUlT_T0_E_clISt17integral_constantIbLb0EES16_IbLb1EEEEDaS12_S13_EUlS12_E_NS1_11comp_targetILNS1_3genE8ELNS1_11target_archE1030ELNS1_3gpuE2ELNS1_3repE0EEENS1_30default_config_static_selectorELNS0_4arch9wavefront6targetE1EEEvT1_: ; @_ZN7rocprim17ROCPRIM_400000_NS6detail17trampoline_kernelINS0_14default_configENS1_25partition_config_selectorILNS1_17partition_subalgoE8EtNS0_10empty_typeEbEEZZNS1_14partition_implILS5_8ELb0ES3_jPKtPS6_PKS6_NS0_5tupleIJPtS6_EEENSE_IJSB_SB_EEENS0_18inequality_wrapperIN6hipcub16HIPCUB_304000_NS8EqualityEEEPlJS6_EEE10hipError_tPvRmT3_T4_T5_T6_T7_T9_mT8_P12ihipStream_tbDpT10_ENKUlT_T0_E_clISt17integral_constantIbLb0EES16_IbLb1EEEEDaS12_S13_EUlS12_E_NS1_11comp_targetILNS1_3genE8ELNS1_11target_archE1030ELNS1_3gpuE2ELNS1_3repE0EEENS1_30default_config_static_selectorELNS0_4arch9wavefront6targetE1EEEvT1_
; %bb.0:
	.section	.rodata,"a",@progbits
	.p2align	6, 0x0
	.amdhsa_kernel _ZN7rocprim17ROCPRIM_400000_NS6detail17trampoline_kernelINS0_14default_configENS1_25partition_config_selectorILNS1_17partition_subalgoE8EtNS0_10empty_typeEbEEZZNS1_14partition_implILS5_8ELb0ES3_jPKtPS6_PKS6_NS0_5tupleIJPtS6_EEENSE_IJSB_SB_EEENS0_18inequality_wrapperIN6hipcub16HIPCUB_304000_NS8EqualityEEEPlJS6_EEE10hipError_tPvRmT3_T4_T5_T6_T7_T9_mT8_P12ihipStream_tbDpT10_ENKUlT_T0_E_clISt17integral_constantIbLb0EES16_IbLb1EEEEDaS12_S13_EUlS12_E_NS1_11comp_targetILNS1_3genE8ELNS1_11target_archE1030ELNS1_3gpuE2ELNS1_3repE0EEENS1_30default_config_static_selectorELNS0_4arch9wavefront6targetE1EEEvT1_
		.amdhsa_group_segment_fixed_size 0
		.amdhsa_private_segment_fixed_size 0
		.amdhsa_kernarg_size 128
		.amdhsa_user_sgpr_count 6
		.amdhsa_user_sgpr_private_segment_buffer 1
		.amdhsa_user_sgpr_dispatch_ptr 0
		.amdhsa_user_sgpr_queue_ptr 0
		.amdhsa_user_sgpr_kernarg_segment_ptr 1
		.amdhsa_user_sgpr_dispatch_id 0
		.amdhsa_user_sgpr_flat_scratch_init 0
		.amdhsa_user_sgpr_kernarg_preload_length 0
		.amdhsa_user_sgpr_kernarg_preload_offset 0
		.amdhsa_user_sgpr_private_segment_size 0
		.amdhsa_uses_dynamic_stack 0
		.amdhsa_system_sgpr_private_segment_wavefront_offset 0
		.amdhsa_system_sgpr_workgroup_id_x 1
		.amdhsa_system_sgpr_workgroup_id_y 0
		.amdhsa_system_sgpr_workgroup_id_z 0
		.amdhsa_system_sgpr_workgroup_info 0
		.amdhsa_system_vgpr_workitem_id 0
		.amdhsa_next_free_vgpr 1
		.amdhsa_next_free_sgpr 0
		.amdhsa_accum_offset 4
		.amdhsa_reserve_vcc 0
		.amdhsa_reserve_flat_scratch 0
		.amdhsa_float_round_mode_32 0
		.amdhsa_float_round_mode_16_64 0
		.amdhsa_float_denorm_mode_32 3
		.amdhsa_float_denorm_mode_16_64 3
		.amdhsa_dx10_clamp 1
		.amdhsa_ieee_mode 1
		.amdhsa_fp16_overflow 0
		.amdhsa_tg_split 0
		.amdhsa_exception_fp_ieee_invalid_op 0
		.amdhsa_exception_fp_denorm_src 0
		.amdhsa_exception_fp_ieee_div_zero 0
		.amdhsa_exception_fp_ieee_overflow 0
		.amdhsa_exception_fp_ieee_underflow 0
		.amdhsa_exception_fp_ieee_inexact 0
		.amdhsa_exception_int_div_zero 0
	.end_amdhsa_kernel
	.section	.text._ZN7rocprim17ROCPRIM_400000_NS6detail17trampoline_kernelINS0_14default_configENS1_25partition_config_selectorILNS1_17partition_subalgoE8EtNS0_10empty_typeEbEEZZNS1_14partition_implILS5_8ELb0ES3_jPKtPS6_PKS6_NS0_5tupleIJPtS6_EEENSE_IJSB_SB_EEENS0_18inequality_wrapperIN6hipcub16HIPCUB_304000_NS8EqualityEEEPlJS6_EEE10hipError_tPvRmT3_T4_T5_T6_T7_T9_mT8_P12ihipStream_tbDpT10_ENKUlT_T0_E_clISt17integral_constantIbLb0EES16_IbLb1EEEEDaS12_S13_EUlS12_E_NS1_11comp_targetILNS1_3genE8ELNS1_11target_archE1030ELNS1_3gpuE2ELNS1_3repE0EEENS1_30default_config_static_selectorELNS0_4arch9wavefront6targetE1EEEvT1_,"axG",@progbits,_ZN7rocprim17ROCPRIM_400000_NS6detail17trampoline_kernelINS0_14default_configENS1_25partition_config_selectorILNS1_17partition_subalgoE8EtNS0_10empty_typeEbEEZZNS1_14partition_implILS5_8ELb0ES3_jPKtPS6_PKS6_NS0_5tupleIJPtS6_EEENSE_IJSB_SB_EEENS0_18inequality_wrapperIN6hipcub16HIPCUB_304000_NS8EqualityEEEPlJS6_EEE10hipError_tPvRmT3_T4_T5_T6_T7_T9_mT8_P12ihipStream_tbDpT10_ENKUlT_T0_E_clISt17integral_constantIbLb0EES16_IbLb1EEEEDaS12_S13_EUlS12_E_NS1_11comp_targetILNS1_3genE8ELNS1_11target_archE1030ELNS1_3gpuE2ELNS1_3repE0EEENS1_30default_config_static_selectorELNS0_4arch9wavefront6targetE1EEEvT1_,comdat
.Lfunc_end786:
	.size	_ZN7rocprim17ROCPRIM_400000_NS6detail17trampoline_kernelINS0_14default_configENS1_25partition_config_selectorILNS1_17partition_subalgoE8EtNS0_10empty_typeEbEEZZNS1_14partition_implILS5_8ELb0ES3_jPKtPS6_PKS6_NS0_5tupleIJPtS6_EEENSE_IJSB_SB_EEENS0_18inequality_wrapperIN6hipcub16HIPCUB_304000_NS8EqualityEEEPlJS6_EEE10hipError_tPvRmT3_T4_T5_T6_T7_T9_mT8_P12ihipStream_tbDpT10_ENKUlT_T0_E_clISt17integral_constantIbLb0EES16_IbLb1EEEEDaS12_S13_EUlS12_E_NS1_11comp_targetILNS1_3genE8ELNS1_11target_archE1030ELNS1_3gpuE2ELNS1_3repE0EEENS1_30default_config_static_selectorELNS0_4arch9wavefront6targetE1EEEvT1_, .Lfunc_end786-_ZN7rocprim17ROCPRIM_400000_NS6detail17trampoline_kernelINS0_14default_configENS1_25partition_config_selectorILNS1_17partition_subalgoE8EtNS0_10empty_typeEbEEZZNS1_14partition_implILS5_8ELb0ES3_jPKtPS6_PKS6_NS0_5tupleIJPtS6_EEENSE_IJSB_SB_EEENS0_18inequality_wrapperIN6hipcub16HIPCUB_304000_NS8EqualityEEEPlJS6_EEE10hipError_tPvRmT3_T4_T5_T6_T7_T9_mT8_P12ihipStream_tbDpT10_ENKUlT_T0_E_clISt17integral_constantIbLb0EES16_IbLb1EEEEDaS12_S13_EUlS12_E_NS1_11comp_targetILNS1_3genE8ELNS1_11target_archE1030ELNS1_3gpuE2ELNS1_3repE0EEENS1_30default_config_static_selectorELNS0_4arch9wavefront6targetE1EEEvT1_
                                        ; -- End function
	.section	.AMDGPU.csdata,"",@progbits
; Kernel info:
; codeLenInByte = 0
; NumSgprs: 4
; NumVgprs: 0
; NumAgprs: 0
; TotalNumVgprs: 0
; ScratchSize: 0
; MemoryBound: 0
; FloatMode: 240
; IeeeMode: 1
; LDSByteSize: 0 bytes/workgroup (compile time only)
; SGPRBlocks: 0
; VGPRBlocks: 0
; NumSGPRsForWavesPerEU: 4
; NumVGPRsForWavesPerEU: 1
; AccumOffset: 4
; Occupancy: 8
; WaveLimiterHint : 0
; COMPUTE_PGM_RSRC2:SCRATCH_EN: 0
; COMPUTE_PGM_RSRC2:USER_SGPR: 6
; COMPUTE_PGM_RSRC2:TRAP_HANDLER: 0
; COMPUTE_PGM_RSRC2:TGID_X_EN: 1
; COMPUTE_PGM_RSRC2:TGID_Y_EN: 0
; COMPUTE_PGM_RSRC2:TGID_Z_EN: 0
; COMPUTE_PGM_RSRC2:TIDIG_COMP_CNT: 0
; COMPUTE_PGM_RSRC3_GFX90A:ACCUM_OFFSET: 0
; COMPUTE_PGM_RSRC3_GFX90A:TG_SPLIT: 0
	.section	.text._ZN7rocprim17ROCPRIM_400000_NS6detail17trampoline_kernelINS0_14default_configENS1_33run_length_encode_config_selectorItjNS0_4plusIjEEEEZZNS1_33reduce_by_key_impl_wrapped_configILNS1_25lookback_scan_determinismE0ES3_S7_PKtNS0_17constant_iteratorIjlEEPtPlSF_S6_NS0_8equal_toItEEEE10hipError_tPvRmT2_T3_mT4_T5_T6_T7_T8_P12ihipStream_tbENKUlT_T0_E_clISt17integral_constantIbLb0EESZ_EEDaSU_SV_EUlSU_E_NS1_11comp_targetILNS1_3genE0ELNS1_11target_archE4294967295ELNS1_3gpuE0ELNS1_3repE0EEENS1_30default_config_static_selectorELNS0_4arch9wavefront6targetE1EEEvT1_,"axG",@progbits,_ZN7rocprim17ROCPRIM_400000_NS6detail17trampoline_kernelINS0_14default_configENS1_33run_length_encode_config_selectorItjNS0_4plusIjEEEEZZNS1_33reduce_by_key_impl_wrapped_configILNS1_25lookback_scan_determinismE0ES3_S7_PKtNS0_17constant_iteratorIjlEEPtPlSF_S6_NS0_8equal_toItEEEE10hipError_tPvRmT2_T3_mT4_T5_T6_T7_T8_P12ihipStream_tbENKUlT_T0_E_clISt17integral_constantIbLb0EESZ_EEDaSU_SV_EUlSU_E_NS1_11comp_targetILNS1_3genE0ELNS1_11target_archE4294967295ELNS1_3gpuE0ELNS1_3repE0EEENS1_30default_config_static_selectorELNS0_4arch9wavefront6targetE1EEEvT1_,comdat
	.protected	_ZN7rocprim17ROCPRIM_400000_NS6detail17trampoline_kernelINS0_14default_configENS1_33run_length_encode_config_selectorItjNS0_4plusIjEEEEZZNS1_33reduce_by_key_impl_wrapped_configILNS1_25lookback_scan_determinismE0ES3_S7_PKtNS0_17constant_iteratorIjlEEPtPlSF_S6_NS0_8equal_toItEEEE10hipError_tPvRmT2_T3_mT4_T5_T6_T7_T8_P12ihipStream_tbENKUlT_T0_E_clISt17integral_constantIbLb0EESZ_EEDaSU_SV_EUlSU_E_NS1_11comp_targetILNS1_3genE0ELNS1_11target_archE4294967295ELNS1_3gpuE0ELNS1_3repE0EEENS1_30default_config_static_selectorELNS0_4arch9wavefront6targetE1EEEvT1_ ; -- Begin function _ZN7rocprim17ROCPRIM_400000_NS6detail17trampoline_kernelINS0_14default_configENS1_33run_length_encode_config_selectorItjNS0_4plusIjEEEEZZNS1_33reduce_by_key_impl_wrapped_configILNS1_25lookback_scan_determinismE0ES3_S7_PKtNS0_17constant_iteratorIjlEEPtPlSF_S6_NS0_8equal_toItEEEE10hipError_tPvRmT2_T3_mT4_T5_T6_T7_T8_P12ihipStream_tbENKUlT_T0_E_clISt17integral_constantIbLb0EESZ_EEDaSU_SV_EUlSU_E_NS1_11comp_targetILNS1_3genE0ELNS1_11target_archE4294967295ELNS1_3gpuE0ELNS1_3repE0EEENS1_30default_config_static_selectorELNS0_4arch9wavefront6targetE1EEEvT1_
	.globl	_ZN7rocprim17ROCPRIM_400000_NS6detail17trampoline_kernelINS0_14default_configENS1_33run_length_encode_config_selectorItjNS0_4plusIjEEEEZZNS1_33reduce_by_key_impl_wrapped_configILNS1_25lookback_scan_determinismE0ES3_S7_PKtNS0_17constant_iteratorIjlEEPtPlSF_S6_NS0_8equal_toItEEEE10hipError_tPvRmT2_T3_mT4_T5_T6_T7_T8_P12ihipStream_tbENKUlT_T0_E_clISt17integral_constantIbLb0EESZ_EEDaSU_SV_EUlSU_E_NS1_11comp_targetILNS1_3genE0ELNS1_11target_archE4294967295ELNS1_3gpuE0ELNS1_3repE0EEENS1_30default_config_static_selectorELNS0_4arch9wavefront6targetE1EEEvT1_
	.p2align	8
	.type	_ZN7rocprim17ROCPRIM_400000_NS6detail17trampoline_kernelINS0_14default_configENS1_33run_length_encode_config_selectorItjNS0_4plusIjEEEEZZNS1_33reduce_by_key_impl_wrapped_configILNS1_25lookback_scan_determinismE0ES3_S7_PKtNS0_17constant_iteratorIjlEEPtPlSF_S6_NS0_8equal_toItEEEE10hipError_tPvRmT2_T3_mT4_T5_T6_T7_T8_P12ihipStream_tbENKUlT_T0_E_clISt17integral_constantIbLb0EESZ_EEDaSU_SV_EUlSU_E_NS1_11comp_targetILNS1_3genE0ELNS1_11target_archE4294967295ELNS1_3gpuE0ELNS1_3repE0EEENS1_30default_config_static_selectorELNS0_4arch9wavefront6targetE1EEEvT1_,@function
_ZN7rocprim17ROCPRIM_400000_NS6detail17trampoline_kernelINS0_14default_configENS1_33run_length_encode_config_selectorItjNS0_4plusIjEEEEZZNS1_33reduce_by_key_impl_wrapped_configILNS1_25lookback_scan_determinismE0ES3_S7_PKtNS0_17constant_iteratorIjlEEPtPlSF_S6_NS0_8equal_toItEEEE10hipError_tPvRmT2_T3_mT4_T5_T6_T7_T8_P12ihipStream_tbENKUlT_T0_E_clISt17integral_constantIbLb0EESZ_EEDaSU_SV_EUlSU_E_NS1_11comp_targetILNS1_3genE0ELNS1_11target_archE4294967295ELNS1_3gpuE0ELNS1_3repE0EEENS1_30default_config_static_selectorELNS0_4arch9wavefront6targetE1EEEvT1_: ; @_ZN7rocprim17ROCPRIM_400000_NS6detail17trampoline_kernelINS0_14default_configENS1_33run_length_encode_config_selectorItjNS0_4plusIjEEEEZZNS1_33reduce_by_key_impl_wrapped_configILNS1_25lookback_scan_determinismE0ES3_S7_PKtNS0_17constant_iteratorIjlEEPtPlSF_S6_NS0_8equal_toItEEEE10hipError_tPvRmT2_T3_mT4_T5_T6_T7_T8_P12ihipStream_tbENKUlT_T0_E_clISt17integral_constantIbLb0EESZ_EEDaSU_SV_EUlSU_E_NS1_11comp_targetILNS1_3genE0ELNS1_11target_archE4294967295ELNS1_3gpuE0ELNS1_3repE0EEENS1_30default_config_static_selectorELNS0_4arch9wavefront6targetE1EEEvT1_
; %bb.0:
	.section	.rodata,"a",@progbits
	.p2align	6, 0x0
	.amdhsa_kernel _ZN7rocprim17ROCPRIM_400000_NS6detail17trampoline_kernelINS0_14default_configENS1_33run_length_encode_config_selectorItjNS0_4plusIjEEEEZZNS1_33reduce_by_key_impl_wrapped_configILNS1_25lookback_scan_determinismE0ES3_S7_PKtNS0_17constant_iteratorIjlEEPtPlSF_S6_NS0_8equal_toItEEEE10hipError_tPvRmT2_T3_mT4_T5_T6_T7_T8_P12ihipStream_tbENKUlT_T0_E_clISt17integral_constantIbLb0EESZ_EEDaSU_SV_EUlSU_E_NS1_11comp_targetILNS1_3genE0ELNS1_11target_archE4294967295ELNS1_3gpuE0ELNS1_3repE0EEENS1_30default_config_static_selectorELNS0_4arch9wavefront6targetE1EEEvT1_
		.amdhsa_group_segment_fixed_size 0
		.amdhsa_private_segment_fixed_size 0
		.amdhsa_kernarg_size 128
		.amdhsa_user_sgpr_count 6
		.amdhsa_user_sgpr_private_segment_buffer 1
		.amdhsa_user_sgpr_dispatch_ptr 0
		.amdhsa_user_sgpr_queue_ptr 0
		.amdhsa_user_sgpr_kernarg_segment_ptr 1
		.amdhsa_user_sgpr_dispatch_id 0
		.amdhsa_user_sgpr_flat_scratch_init 0
		.amdhsa_user_sgpr_kernarg_preload_length 0
		.amdhsa_user_sgpr_kernarg_preload_offset 0
		.amdhsa_user_sgpr_private_segment_size 0
		.amdhsa_uses_dynamic_stack 0
		.amdhsa_system_sgpr_private_segment_wavefront_offset 0
		.amdhsa_system_sgpr_workgroup_id_x 1
		.amdhsa_system_sgpr_workgroup_id_y 0
		.amdhsa_system_sgpr_workgroup_id_z 0
		.amdhsa_system_sgpr_workgroup_info 0
		.amdhsa_system_vgpr_workitem_id 0
		.amdhsa_next_free_vgpr 1
		.amdhsa_next_free_sgpr 0
		.amdhsa_accum_offset 4
		.amdhsa_reserve_vcc 0
		.amdhsa_reserve_flat_scratch 0
		.amdhsa_float_round_mode_32 0
		.amdhsa_float_round_mode_16_64 0
		.amdhsa_float_denorm_mode_32 3
		.amdhsa_float_denorm_mode_16_64 3
		.amdhsa_dx10_clamp 1
		.amdhsa_ieee_mode 1
		.amdhsa_fp16_overflow 0
		.amdhsa_tg_split 0
		.amdhsa_exception_fp_ieee_invalid_op 0
		.amdhsa_exception_fp_denorm_src 0
		.amdhsa_exception_fp_ieee_div_zero 0
		.amdhsa_exception_fp_ieee_overflow 0
		.amdhsa_exception_fp_ieee_underflow 0
		.amdhsa_exception_fp_ieee_inexact 0
		.amdhsa_exception_int_div_zero 0
	.end_amdhsa_kernel
	.section	.text._ZN7rocprim17ROCPRIM_400000_NS6detail17trampoline_kernelINS0_14default_configENS1_33run_length_encode_config_selectorItjNS0_4plusIjEEEEZZNS1_33reduce_by_key_impl_wrapped_configILNS1_25lookback_scan_determinismE0ES3_S7_PKtNS0_17constant_iteratorIjlEEPtPlSF_S6_NS0_8equal_toItEEEE10hipError_tPvRmT2_T3_mT4_T5_T6_T7_T8_P12ihipStream_tbENKUlT_T0_E_clISt17integral_constantIbLb0EESZ_EEDaSU_SV_EUlSU_E_NS1_11comp_targetILNS1_3genE0ELNS1_11target_archE4294967295ELNS1_3gpuE0ELNS1_3repE0EEENS1_30default_config_static_selectorELNS0_4arch9wavefront6targetE1EEEvT1_,"axG",@progbits,_ZN7rocprim17ROCPRIM_400000_NS6detail17trampoline_kernelINS0_14default_configENS1_33run_length_encode_config_selectorItjNS0_4plusIjEEEEZZNS1_33reduce_by_key_impl_wrapped_configILNS1_25lookback_scan_determinismE0ES3_S7_PKtNS0_17constant_iteratorIjlEEPtPlSF_S6_NS0_8equal_toItEEEE10hipError_tPvRmT2_T3_mT4_T5_T6_T7_T8_P12ihipStream_tbENKUlT_T0_E_clISt17integral_constantIbLb0EESZ_EEDaSU_SV_EUlSU_E_NS1_11comp_targetILNS1_3genE0ELNS1_11target_archE4294967295ELNS1_3gpuE0ELNS1_3repE0EEENS1_30default_config_static_selectorELNS0_4arch9wavefront6targetE1EEEvT1_,comdat
.Lfunc_end787:
	.size	_ZN7rocprim17ROCPRIM_400000_NS6detail17trampoline_kernelINS0_14default_configENS1_33run_length_encode_config_selectorItjNS0_4plusIjEEEEZZNS1_33reduce_by_key_impl_wrapped_configILNS1_25lookback_scan_determinismE0ES3_S7_PKtNS0_17constant_iteratorIjlEEPtPlSF_S6_NS0_8equal_toItEEEE10hipError_tPvRmT2_T3_mT4_T5_T6_T7_T8_P12ihipStream_tbENKUlT_T0_E_clISt17integral_constantIbLb0EESZ_EEDaSU_SV_EUlSU_E_NS1_11comp_targetILNS1_3genE0ELNS1_11target_archE4294967295ELNS1_3gpuE0ELNS1_3repE0EEENS1_30default_config_static_selectorELNS0_4arch9wavefront6targetE1EEEvT1_, .Lfunc_end787-_ZN7rocprim17ROCPRIM_400000_NS6detail17trampoline_kernelINS0_14default_configENS1_33run_length_encode_config_selectorItjNS0_4plusIjEEEEZZNS1_33reduce_by_key_impl_wrapped_configILNS1_25lookback_scan_determinismE0ES3_S7_PKtNS0_17constant_iteratorIjlEEPtPlSF_S6_NS0_8equal_toItEEEE10hipError_tPvRmT2_T3_mT4_T5_T6_T7_T8_P12ihipStream_tbENKUlT_T0_E_clISt17integral_constantIbLb0EESZ_EEDaSU_SV_EUlSU_E_NS1_11comp_targetILNS1_3genE0ELNS1_11target_archE4294967295ELNS1_3gpuE0ELNS1_3repE0EEENS1_30default_config_static_selectorELNS0_4arch9wavefront6targetE1EEEvT1_
                                        ; -- End function
	.section	.AMDGPU.csdata,"",@progbits
; Kernel info:
; codeLenInByte = 0
; NumSgprs: 4
; NumVgprs: 0
; NumAgprs: 0
; TotalNumVgprs: 0
; ScratchSize: 0
; MemoryBound: 0
; FloatMode: 240
; IeeeMode: 1
; LDSByteSize: 0 bytes/workgroup (compile time only)
; SGPRBlocks: 0
; VGPRBlocks: 0
; NumSGPRsForWavesPerEU: 4
; NumVGPRsForWavesPerEU: 1
; AccumOffset: 4
; Occupancy: 8
; WaveLimiterHint : 0
; COMPUTE_PGM_RSRC2:SCRATCH_EN: 0
; COMPUTE_PGM_RSRC2:USER_SGPR: 6
; COMPUTE_PGM_RSRC2:TRAP_HANDLER: 0
; COMPUTE_PGM_RSRC2:TGID_X_EN: 1
; COMPUTE_PGM_RSRC2:TGID_Y_EN: 0
; COMPUTE_PGM_RSRC2:TGID_Z_EN: 0
; COMPUTE_PGM_RSRC2:TIDIG_COMP_CNT: 0
; COMPUTE_PGM_RSRC3_GFX90A:ACCUM_OFFSET: 0
; COMPUTE_PGM_RSRC3_GFX90A:TG_SPLIT: 0
	.section	.text._ZN7rocprim17ROCPRIM_400000_NS6detail17trampoline_kernelINS0_14default_configENS1_33run_length_encode_config_selectorItjNS0_4plusIjEEEEZZNS1_33reduce_by_key_impl_wrapped_configILNS1_25lookback_scan_determinismE0ES3_S7_PKtNS0_17constant_iteratorIjlEEPtPlSF_S6_NS0_8equal_toItEEEE10hipError_tPvRmT2_T3_mT4_T5_T6_T7_T8_P12ihipStream_tbENKUlT_T0_E_clISt17integral_constantIbLb0EESZ_EEDaSU_SV_EUlSU_E_NS1_11comp_targetILNS1_3genE5ELNS1_11target_archE942ELNS1_3gpuE9ELNS1_3repE0EEENS1_30default_config_static_selectorELNS0_4arch9wavefront6targetE1EEEvT1_,"axG",@progbits,_ZN7rocprim17ROCPRIM_400000_NS6detail17trampoline_kernelINS0_14default_configENS1_33run_length_encode_config_selectorItjNS0_4plusIjEEEEZZNS1_33reduce_by_key_impl_wrapped_configILNS1_25lookback_scan_determinismE0ES3_S7_PKtNS0_17constant_iteratorIjlEEPtPlSF_S6_NS0_8equal_toItEEEE10hipError_tPvRmT2_T3_mT4_T5_T6_T7_T8_P12ihipStream_tbENKUlT_T0_E_clISt17integral_constantIbLb0EESZ_EEDaSU_SV_EUlSU_E_NS1_11comp_targetILNS1_3genE5ELNS1_11target_archE942ELNS1_3gpuE9ELNS1_3repE0EEENS1_30default_config_static_selectorELNS0_4arch9wavefront6targetE1EEEvT1_,comdat
	.protected	_ZN7rocprim17ROCPRIM_400000_NS6detail17trampoline_kernelINS0_14default_configENS1_33run_length_encode_config_selectorItjNS0_4plusIjEEEEZZNS1_33reduce_by_key_impl_wrapped_configILNS1_25lookback_scan_determinismE0ES3_S7_PKtNS0_17constant_iteratorIjlEEPtPlSF_S6_NS0_8equal_toItEEEE10hipError_tPvRmT2_T3_mT4_T5_T6_T7_T8_P12ihipStream_tbENKUlT_T0_E_clISt17integral_constantIbLb0EESZ_EEDaSU_SV_EUlSU_E_NS1_11comp_targetILNS1_3genE5ELNS1_11target_archE942ELNS1_3gpuE9ELNS1_3repE0EEENS1_30default_config_static_selectorELNS0_4arch9wavefront6targetE1EEEvT1_ ; -- Begin function _ZN7rocprim17ROCPRIM_400000_NS6detail17trampoline_kernelINS0_14default_configENS1_33run_length_encode_config_selectorItjNS0_4plusIjEEEEZZNS1_33reduce_by_key_impl_wrapped_configILNS1_25lookback_scan_determinismE0ES3_S7_PKtNS0_17constant_iteratorIjlEEPtPlSF_S6_NS0_8equal_toItEEEE10hipError_tPvRmT2_T3_mT4_T5_T6_T7_T8_P12ihipStream_tbENKUlT_T0_E_clISt17integral_constantIbLb0EESZ_EEDaSU_SV_EUlSU_E_NS1_11comp_targetILNS1_3genE5ELNS1_11target_archE942ELNS1_3gpuE9ELNS1_3repE0EEENS1_30default_config_static_selectorELNS0_4arch9wavefront6targetE1EEEvT1_
	.globl	_ZN7rocprim17ROCPRIM_400000_NS6detail17trampoline_kernelINS0_14default_configENS1_33run_length_encode_config_selectorItjNS0_4plusIjEEEEZZNS1_33reduce_by_key_impl_wrapped_configILNS1_25lookback_scan_determinismE0ES3_S7_PKtNS0_17constant_iteratorIjlEEPtPlSF_S6_NS0_8equal_toItEEEE10hipError_tPvRmT2_T3_mT4_T5_T6_T7_T8_P12ihipStream_tbENKUlT_T0_E_clISt17integral_constantIbLb0EESZ_EEDaSU_SV_EUlSU_E_NS1_11comp_targetILNS1_3genE5ELNS1_11target_archE942ELNS1_3gpuE9ELNS1_3repE0EEENS1_30default_config_static_selectorELNS0_4arch9wavefront6targetE1EEEvT1_
	.p2align	8
	.type	_ZN7rocprim17ROCPRIM_400000_NS6detail17trampoline_kernelINS0_14default_configENS1_33run_length_encode_config_selectorItjNS0_4plusIjEEEEZZNS1_33reduce_by_key_impl_wrapped_configILNS1_25lookback_scan_determinismE0ES3_S7_PKtNS0_17constant_iteratorIjlEEPtPlSF_S6_NS0_8equal_toItEEEE10hipError_tPvRmT2_T3_mT4_T5_T6_T7_T8_P12ihipStream_tbENKUlT_T0_E_clISt17integral_constantIbLb0EESZ_EEDaSU_SV_EUlSU_E_NS1_11comp_targetILNS1_3genE5ELNS1_11target_archE942ELNS1_3gpuE9ELNS1_3repE0EEENS1_30default_config_static_selectorELNS0_4arch9wavefront6targetE1EEEvT1_,@function
_ZN7rocprim17ROCPRIM_400000_NS6detail17trampoline_kernelINS0_14default_configENS1_33run_length_encode_config_selectorItjNS0_4plusIjEEEEZZNS1_33reduce_by_key_impl_wrapped_configILNS1_25lookback_scan_determinismE0ES3_S7_PKtNS0_17constant_iteratorIjlEEPtPlSF_S6_NS0_8equal_toItEEEE10hipError_tPvRmT2_T3_mT4_T5_T6_T7_T8_P12ihipStream_tbENKUlT_T0_E_clISt17integral_constantIbLb0EESZ_EEDaSU_SV_EUlSU_E_NS1_11comp_targetILNS1_3genE5ELNS1_11target_archE942ELNS1_3gpuE9ELNS1_3repE0EEENS1_30default_config_static_selectorELNS0_4arch9wavefront6targetE1EEEvT1_: ; @_ZN7rocprim17ROCPRIM_400000_NS6detail17trampoline_kernelINS0_14default_configENS1_33run_length_encode_config_selectorItjNS0_4plusIjEEEEZZNS1_33reduce_by_key_impl_wrapped_configILNS1_25lookback_scan_determinismE0ES3_S7_PKtNS0_17constant_iteratorIjlEEPtPlSF_S6_NS0_8equal_toItEEEE10hipError_tPvRmT2_T3_mT4_T5_T6_T7_T8_P12ihipStream_tbENKUlT_T0_E_clISt17integral_constantIbLb0EESZ_EEDaSU_SV_EUlSU_E_NS1_11comp_targetILNS1_3genE5ELNS1_11target_archE942ELNS1_3gpuE9ELNS1_3repE0EEENS1_30default_config_static_selectorELNS0_4arch9wavefront6targetE1EEEvT1_
; %bb.0:
	.section	.rodata,"a",@progbits
	.p2align	6, 0x0
	.amdhsa_kernel _ZN7rocprim17ROCPRIM_400000_NS6detail17trampoline_kernelINS0_14default_configENS1_33run_length_encode_config_selectorItjNS0_4plusIjEEEEZZNS1_33reduce_by_key_impl_wrapped_configILNS1_25lookback_scan_determinismE0ES3_S7_PKtNS0_17constant_iteratorIjlEEPtPlSF_S6_NS0_8equal_toItEEEE10hipError_tPvRmT2_T3_mT4_T5_T6_T7_T8_P12ihipStream_tbENKUlT_T0_E_clISt17integral_constantIbLb0EESZ_EEDaSU_SV_EUlSU_E_NS1_11comp_targetILNS1_3genE5ELNS1_11target_archE942ELNS1_3gpuE9ELNS1_3repE0EEENS1_30default_config_static_selectorELNS0_4arch9wavefront6targetE1EEEvT1_
		.amdhsa_group_segment_fixed_size 0
		.amdhsa_private_segment_fixed_size 0
		.amdhsa_kernarg_size 128
		.amdhsa_user_sgpr_count 6
		.amdhsa_user_sgpr_private_segment_buffer 1
		.amdhsa_user_sgpr_dispatch_ptr 0
		.amdhsa_user_sgpr_queue_ptr 0
		.amdhsa_user_sgpr_kernarg_segment_ptr 1
		.amdhsa_user_sgpr_dispatch_id 0
		.amdhsa_user_sgpr_flat_scratch_init 0
		.amdhsa_user_sgpr_kernarg_preload_length 0
		.amdhsa_user_sgpr_kernarg_preload_offset 0
		.amdhsa_user_sgpr_private_segment_size 0
		.amdhsa_uses_dynamic_stack 0
		.amdhsa_system_sgpr_private_segment_wavefront_offset 0
		.amdhsa_system_sgpr_workgroup_id_x 1
		.amdhsa_system_sgpr_workgroup_id_y 0
		.amdhsa_system_sgpr_workgroup_id_z 0
		.amdhsa_system_sgpr_workgroup_info 0
		.amdhsa_system_vgpr_workitem_id 0
		.amdhsa_next_free_vgpr 1
		.amdhsa_next_free_sgpr 0
		.amdhsa_accum_offset 4
		.amdhsa_reserve_vcc 0
		.amdhsa_reserve_flat_scratch 0
		.amdhsa_float_round_mode_32 0
		.amdhsa_float_round_mode_16_64 0
		.amdhsa_float_denorm_mode_32 3
		.amdhsa_float_denorm_mode_16_64 3
		.amdhsa_dx10_clamp 1
		.amdhsa_ieee_mode 1
		.amdhsa_fp16_overflow 0
		.amdhsa_tg_split 0
		.amdhsa_exception_fp_ieee_invalid_op 0
		.amdhsa_exception_fp_denorm_src 0
		.amdhsa_exception_fp_ieee_div_zero 0
		.amdhsa_exception_fp_ieee_overflow 0
		.amdhsa_exception_fp_ieee_underflow 0
		.amdhsa_exception_fp_ieee_inexact 0
		.amdhsa_exception_int_div_zero 0
	.end_amdhsa_kernel
	.section	.text._ZN7rocprim17ROCPRIM_400000_NS6detail17trampoline_kernelINS0_14default_configENS1_33run_length_encode_config_selectorItjNS0_4plusIjEEEEZZNS1_33reduce_by_key_impl_wrapped_configILNS1_25lookback_scan_determinismE0ES3_S7_PKtNS0_17constant_iteratorIjlEEPtPlSF_S6_NS0_8equal_toItEEEE10hipError_tPvRmT2_T3_mT4_T5_T6_T7_T8_P12ihipStream_tbENKUlT_T0_E_clISt17integral_constantIbLb0EESZ_EEDaSU_SV_EUlSU_E_NS1_11comp_targetILNS1_3genE5ELNS1_11target_archE942ELNS1_3gpuE9ELNS1_3repE0EEENS1_30default_config_static_selectorELNS0_4arch9wavefront6targetE1EEEvT1_,"axG",@progbits,_ZN7rocprim17ROCPRIM_400000_NS6detail17trampoline_kernelINS0_14default_configENS1_33run_length_encode_config_selectorItjNS0_4plusIjEEEEZZNS1_33reduce_by_key_impl_wrapped_configILNS1_25lookback_scan_determinismE0ES3_S7_PKtNS0_17constant_iteratorIjlEEPtPlSF_S6_NS0_8equal_toItEEEE10hipError_tPvRmT2_T3_mT4_T5_T6_T7_T8_P12ihipStream_tbENKUlT_T0_E_clISt17integral_constantIbLb0EESZ_EEDaSU_SV_EUlSU_E_NS1_11comp_targetILNS1_3genE5ELNS1_11target_archE942ELNS1_3gpuE9ELNS1_3repE0EEENS1_30default_config_static_selectorELNS0_4arch9wavefront6targetE1EEEvT1_,comdat
.Lfunc_end788:
	.size	_ZN7rocprim17ROCPRIM_400000_NS6detail17trampoline_kernelINS0_14default_configENS1_33run_length_encode_config_selectorItjNS0_4plusIjEEEEZZNS1_33reduce_by_key_impl_wrapped_configILNS1_25lookback_scan_determinismE0ES3_S7_PKtNS0_17constant_iteratorIjlEEPtPlSF_S6_NS0_8equal_toItEEEE10hipError_tPvRmT2_T3_mT4_T5_T6_T7_T8_P12ihipStream_tbENKUlT_T0_E_clISt17integral_constantIbLb0EESZ_EEDaSU_SV_EUlSU_E_NS1_11comp_targetILNS1_3genE5ELNS1_11target_archE942ELNS1_3gpuE9ELNS1_3repE0EEENS1_30default_config_static_selectorELNS0_4arch9wavefront6targetE1EEEvT1_, .Lfunc_end788-_ZN7rocprim17ROCPRIM_400000_NS6detail17trampoline_kernelINS0_14default_configENS1_33run_length_encode_config_selectorItjNS0_4plusIjEEEEZZNS1_33reduce_by_key_impl_wrapped_configILNS1_25lookback_scan_determinismE0ES3_S7_PKtNS0_17constant_iteratorIjlEEPtPlSF_S6_NS0_8equal_toItEEEE10hipError_tPvRmT2_T3_mT4_T5_T6_T7_T8_P12ihipStream_tbENKUlT_T0_E_clISt17integral_constantIbLb0EESZ_EEDaSU_SV_EUlSU_E_NS1_11comp_targetILNS1_3genE5ELNS1_11target_archE942ELNS1_3gpuE9ELNS1_3repE0EEENS1_30default_config_static_selectorELNS0_4arch9wavefront6targetE1EEEvT1_
                                        ; -- End function
	.section	.AMDGPU.csdata,"",@progbits
; Kernel info:
; codeLenInByte = 0
; NumSgprs: 4
; NumVgprs: 0
; NumAgprs: 0
; TotalNumVgprs: 0
; ScratchSize: 0
; MemoryBound: 0
; FloatMode: 240
; IeeeMode: 1
; LDSByteSize: 0 bytes/workgroup (compile time only)
; SGPRBlocks: 0
; VGPRBlocks: 0
; NumSGPRsForWavesPerEU: 4
; NumVGPRsForWavesPerEU: 1
; AccumOffset: 4
; Occupancy: 8
; WaveLimiterHint : 0
; COMPUTE_PGM_RSRC2:SCRATCH_EN: 0
; COMPUTE_PGM_RSRC2:USER_SGPR: 6
; COMPUTE_PGM_RSRC2:TRAP_HANDLER: 0
; COMPUTE_PGM_RSRC2:TGID_X_EN: 1
; COMPUTE_PGM_RSRC2:TGID_Y_EN: 0
; COMPUTE_PGM_RSRC2:TGID_Z_EN: 0
; COMPUTE_PGM_RSRC2:TIDIG_COMP_CNT: 0
; COMPUTE_PGM_RSRC3_GFX90A:ACCUM_OFFSET: 0
; COMPUTE_PGM_RSRC3_GFX90A:TG_SPLIT: 0
	.section	.text._ZN7rocprim17ROCPRIM_400000_NS6detail17trampoline_kernelINS0_14default_configENS1_33run_length_encode_config_selectorItjNS0_4plusIjEEEEZZNS1_33reduce_by_key_impl_wrapped_configILNS1_25lookback_scan_determinismE0ES3_S7_PKtNS0_17constant_iteratorIjlEEPtPlSF_S6_NS0_8equal_toItEEEE10hipError_tPvRmT2_T3_mT4_T5_T6_T7_T8_P12ihipStream_tbENKUlT_T0_E_clISt17integral_constantIbLb0EESZ_EEDaSU_SV_EUlSU_E_NS1_11comp_targetILNS1_3genE4ELNS1_11target_archE910ELNS1_3gpuE8ELNS1_3repE0EEENS1_30default_config_static_selectorELNS0_4arch9wavefront6targetE1EEEvT1_,"axG",@progbits,_ZN7rocprim17ROCPRIM_400000_NS6detail17trampoline_kernelINS0_14default_configENS1_33run_length_encode_config_selectorItjNS0_4plusIjEEEEZZNS1_33reduce_by_key_impl_wrapped_configILNS1_25lookback_scan_determinismE0ES3_S7_PKtNS0_17constant_iteratorIjlEEPtPlSF_S6_NS0_8equal_toItEEEE10hipError_tPvRmT2_T3_mT4_T5_T6_T7_T8_P12ihipStream_tbENKUlT_T0_E_clISt17integral_constantIbLb0EESZ_EEDaSU_SV_EUlSU_E_NS1_11comp_targetILNS1_3genE4ELNS1_11target_archE910ELNS1_3gpuE8ELNS1_3repE0EEENS1_30default_config_static_selectorELNS0_4arch9wavefront6targetE1EEEvT1_,comdat
	.protected	_ZN7rocprim17ROCPRIM_400000_NS6detail17trampoline_kernelINS0_14default_configENS1_33run_length_encode_config_selectorItjNS0_4plusIjEEEEZZNS1_33reduce_by_key_impl_wrapped_configILNS1_25lookback_scan_determinismE0ES3_S7_PKtNS0_17constant_iteratorIjlEEPtPlSF_S6_NS0_8equal_toItEEEE10hipError_tPvRmT2_T3_mT4_T5_T6_T7_T8_P12ihipStream_tbENKUlT_T0_E_clISt17integral_constantIbLb0EESZ_EEDaSU_SV_EUlSU_E_NS1_11comp_targetILNS1_3genE4ELNS1_11target_archE910ELNS1_3gpuE8ELNS1_3repE0EEENS1_30default_config_static_selectorELNS0_4arch9wavefront6targetE1EEEvT1_ ; -- Begin function _ZN7rocprim17ROCPRIM_400000_NS6detail17trampoline_kernelINS0_14default_configENS1_33run_length_encode_config_selectorItjNS0_4plusIjEEEEZZNS1_33reduce_by_key_impl_wrapped_configILNS1_25lookback_scan_determinismE0ES3_S7_PKtNS0_17constant_iteratorIjlEEPtPlSF_S6_NS0_8equal_toItEEEE10hipError_tPvRmT2_T3_mT4_T5_T6_T7_T8_P12ihipStream_tbENKUlT_T0_E_clISt17integral_constantIbLb0EESZ_EEDaSU_SV_EUlSU_E_NS1_11comp_targetILNS1_3genE4ELNS1_11target_archE910ELNS1_3gpuE8ELNS1_3repE0EEENS1_30default_config_static_selectorELNS0_4arch9wavefront6targetE1EEEvT1_
	.globl	_ZN7rocprim17ROCPRIM_400000_NS6detail17trampoline_kernelINS0_14default_configENS1_33run_length_encode_config_selectorItjNS0_4plusIjEEEEZZNS1_33reduce_by_key_impl_wrapped_configILNS1_25lookback_scan_determinismE0ES3_S7_PKtNS0_17constant_iteratorIjlEEPtPlSF_S6_NS0_8equal_toItEEEE10hipError_tPvRmT2_T3_mT4_T5_T6_T7_T8_P12ihipStream_tbENKUlT_T0_E_clISt17integral_constantIbLb0EESZ_EEDaSU_SV_EUlSU_E_NS1_11comp_targetILNS1_3genE4ELNS1_11target_archE910ELNS1_3gpuE8ELNS1_3repE0EEENS1_30default_config_static_selectorELNS0_4arch9wavefront6targetE1EEEvT1_
	.p2align	8
	.type	_ZN7rocprim17ROCPRIM_400000_NS6detail17trampoline_kernelINS0_14default_configENS1_33run_length_encode_config_selectorItjNS0_4plusIjEEEEZZNS1_33reduce_by_key_impl_wrapped_configILNS1_25lookback_scan_determinismE0ES3_S7_PKtNS0_17constant_iteratorIjlEEPtPlSF_S6_NS0_8equal_toItEEEE10hipError_tPvRmT2_T3_mT4_T5_T6_T7_T8_P12ihipStream_tbENKUlT_T0_E_clISt17integral_constantIbLb0EESZ_EEDaSU_SV_EUlSU_E_NS1_11comp_targetILNS1_3genE4ELNS1_11target_archE910ELNS1_3gpuE8ELNS1_3repE0EEENS1_30default_config_static_selectorELNS0_4arch9wavefront6targetE1EEEvT1_,@function
_ZN7rocprim17ROCPRIM_400000_NS6detail17trampoline_kernelINS0_14default_configENS1_33run_length_encode_config_selectorItjNS0_4plusIjEEEEZZNS1_33reduce_by_key_impl_wrapped_configILNS1_25lookback_scan_determinismE0ES3_S7_PKtNS0_17constant_iteratorIjlEEPtPlSF_S6_NS0_8equal_toItEEEE10hipError_tPvRmT2_T3_mT4_T5_T6_T7_T8_P12ihipStream_tbENKUlT_T0_E_clISt17integral_constantIbLb0EESZ_EEDaSU_SV_EUlSU_E_NS1_11comp_targetILNS1_3genE4ELNS1_11target_archE910ELNS1_3gpuE8ELNS1_3repE0EEENS1_30default_config_static_selectorELNS0_4arch9wavefront6targetE1EEEvT1_: ; @_ZN7rocprim17ROCPRIM_400000_NS6detail17trampoline_kernelINS0_14default_configENS1_33run_length_encode_config_selectorItjNS0_4plusIjEEEEZZNS1_33reduce_by_key_impl_wrapped_configILNS1_25lookback_scan_determinismE0ES3_S7_PKtNS0_17constant_iteratorIjlEEPtPlSF_S6_NS0_8equal_toItEEEE10hipError_tPvRmT2_T3_mT4_T5_T6_T7_T8_P12ihipStream_tbENKUlT_T0_E_clISt17integral_constantIbLb0EESZ_EEDaSU_SV_EUlSU_E_NS1_11comp_targetILNS1_3genE4ELNS1_11target_archE910ELNS1_3gpuE8ELNS1_3repE0EEENS1_30default_config_static_selectorELNS0_4arch9wavefront6targetE1EEEvT1_
; %bb.0:
	s_load_dwordx8 s[36:43], s[4:5], 0x40
	s_load_dwordx4 s[0:3], s[4:5], 0x0
	s_load_dword s7, s[4:5], 0x10
	s_load_dwordx4 s[28:31], s[4:5], 0x60
	s_mov_b64 s[12:13], -1
	s_waitcnt lgkmcnt(0)
	s_mul_i32 s8, s40, s39
	s_mul_hi_u32 s9, s40, s38
	s_add_i32 s8, s9, s8
	s_mul_i32 s9, s41, s38
	s_add_i32 s9, s8, s9
	s_lshl_b64 s[2:3], s[2:3], 1
	s_add_u32 s2, s0, s2
	s_addc_u32 s3, s1, s3
	s_mul_i32 s0, s6, 0xa80
	s_mov_b32 s1, 0
	s_lshl_b64 s[0:1], s[0:1], 1
	s_add_u32 s2, s2, s0
	s_mul_i32 s8, s40, s38
	s_addc_u32 s3, s3, s1
	s_add_u32 s8, s8, s6
	s_addc_u32 s9, s9, 0
	s_add_u32 s10, s42, -1
	s_addc_u32 s11, s43, -1
	s_cmp_eq_u64 s[8:9], s[10:11]
	s_cselect_b64 s[34:35], -1, 0
	s_cmp_lg_u64 s[8:9], s[10:11]
	s_cselect_b64 s[0:1], -1, 0
	s_mul_i32 s33, s10, 0xfffff580
	s_and_b64 vcc, exec, s[34:35]
	s_cbranch_vccnz .LBB789_2
; %bb.1:
	v_lshlrev_b32_e32 v1, 1, v0
	v_mov_b32_e32 v2, s3
	v_add_co_u32_e32 v3, vcc, s2, v1
	v_addc_co_u32_e32 v4, vcc, 0, v2, vcc
	v_add_co_u32_e32 v2, vcc, 0x1000, v3
	global_load_ushort v5, v1, s[2:3]
	global_load_ushort v6, v1, s[2:3] offset:384
	global_load_ushort v7, v1, s[2:3] offset:768
	;; [unrolled: 1-line block ×7, first 2 shown]
	v_addc_co_u32_e32 v3, vcc, 0, v4, vcc
	global_load_ushort v4, v1, s[2:3] offset:3072
	global_load_ushort v13, v1, s[2:3] offset:3456
	;; [unrolled: 1-line block ×3, first 2 shown]
	global_load_ushort v15, v[2:3], off offset:128
	global_load_ushort v16, v[2:3], off offset:512
	;; [unrolled: 1-line block ×3, first 2 shown]
	v_mad_u32_u24 v2, v0, 26, v1
	s_mov_b64 s[10:11], -1
	s_waitcnt vmcnt(13)
	ds_write_b16 v1, v5
	s_waitcnt vmcnt(12)
	ds_write_b16 v1, v6 offset:384
	s_waitcnt vmcnt(11)
	ds_write_b16 v1, v7 offset:768
	;; [unrolled: 2-line block ×13, first 2 shown]
	s_waitcnt lgkmcnt(0)
	s_barrier
	ds_read2_b32 v[12:13], v2 offset1:1
	ds_read2_b32 v[10:11], v2 offset0:2 offset1:3
	ds_read2_b32 v[8:9], v2 offset0:4 offset1:5
	ds_read_b32 v1, v2 offset:24
	s_add_i32 s33, s33, s28
	s_cbranch_execz .LBB789_3
	s_branch .LBB789_32
.LBB789_2:
	s_mov_b64 s[10:11], 0
                                        ; implicit-def: $vgpr12
                                        ; implicit-def: $vgpr10
                                        ; implicit-def: $vgpr8
                                        ; implicit-def: $vgpr1
	s_add_i32 s33, s33, s28
	s_andn2_b64 vcc, exec, s[12:13]
	s_cbranch_vccnz .LBB789_32
.LBB789_3:
	v_cmp_gt_u32_e32 vcc, s33, v0
                                        ; implicit-def: $vgpr1
	s_and_saveexec_b64 s[10:11], vcc
	s_cbranch_execz .LBB789_5
; %bb.4:
	s_waitcnt lgkmcnt(0)
	v_lshlrev_b32_e32 v1, 1, v0
	global_load_ushort v1, v1, s[2:3]
.LBB789_5:
	s_or_b64 exec, exec, s[10:11]
	v_add_u32_e32 v2, 0xc0, v0
	v_cmp_gt_u32_e32 vcc, s33, v2
                                        ; implicit-def: $vgpr2
	s_and_saveexec_b64 s[10:11], vcc
	s_cbranch_execz .LBB789_7
; %bb.6:
	v_lshlrev_b32_e32 v2, 1, v0
	global_load_ushort v2, v2, s[2:3] offset:384
.LBB789_7:
	s_or_b64 exec, exec, s[10:11]
	v_add_u32_e32 v3, 0x180, v0
	v_cmp_gt_u32_e32 vcc, s33, v3
                                        ; implicit-def: $vgpr3
	s_and_saveexec_b64 s[10:11], vcc
	s_cbranch_execz .LBB789_9
; %bb.8:
	v_lshlrev_b32_e32 v3, 1, v0
	global_load_ushort v3, v3, s[2:3] offset:768
.LBB789_9:
	s_or_b64 exec, exec, s[10:11]
	v_add_u32_e32 v4, 0x240, v0
	v_cmp_gt_u32_e32 vcc, s33, v4
                                        ; implicit-def: $vgpr4
	s_and_saveexec_b64 s[10:11], vcc
	s_cbranch_execz .LBB789_11
; %bb.10:
	v_lshlrev_b32_e32 v4, 1, v0
	global_load_ushort v4, v4, s[2:3] offset:1152
.LBB789_11:
	s_or_b64 exec, exec, s[10:11]
	v_or_b32_e32 v5, 0x300, v0
	v_cmp_gt_u32_e32 vcc, s33, v5
                                        ; implicit-def: $vgpr5
	s_and_saveexec_b64 s[10:11], vcc
	s_cbranch_execz .LBB789_13
; %bb.12:
	v_lshlrev_b32_e32 v5, 1, v0
	global_load_ushort v5, v5, s[2:3] offset:1536
.LBB789_13:
	s_or_b64 exec, exec, s[10:11]
	v_add_u32_e32 v6, 0x3c0, v0
	v_cmp_gt_u32_e32 vcc, s33, v6
                                        ; implicit-def: $vgpr6
	s_and_saveexec_b64 s[10:11], vcc
	s_cbranch_execz .LBB789_15
; %bb.14:
	v_lshlrev_b32_e32 v6, 1, v0
	global_load_ushort v6, v6, s[2:3] offset:1920
.LBB789_15:
	s_or_b64 exec, exec, s[10:11]
	v_add_u32_e32 v7, 0x480, v0
	v_cmp_gt_u32_e32 vcc, s33, v7
                                        ; implicit-def: $vgpr7
	s_and_saveexec_b64 s[10:11], vcc
	s_cbranch_execz .LBB789_17
; %bb.16:
	v_lshlrev_b32_e32 v7, 1, v0
	global_load_ushort v7, v7, s[2:3] offset:2304
.LBB789_17:
	s_or_b64 exec, exec, s[10:11]
	s_waitcnt lgkmcnt(1)
	v_add_u32_e32 v8, 0x540, v0
	v_cmp_gt_u32_e32 vcc, s33, v8
                                        ; implicit-def: $vgpr8
	s_and_saveexec_b64 s[10:11], vcc
	s_cbranch_execz .LBB789_19
; %bb.18:
	v_lshlrev_b32_e32 v8, 1, v0
	global_load_ushort v8, v8, s[2:3] offset:2688
.LBB789_19:
	s_or_b64 exec, exec, s[10:11]
	v_or_b32_e32 v9, 0x600, v0
	v_cmp_gt_u32_e32 vcc, s33, v9
                                        ; implicit-def: $vgpr9
	s_and_saveexec_b64 s[10:11], vcc
	s_cbranch_execz .LBB789_21
; %bb.20:
	v_lshlrev_b32_e32 v9, 1, v0
	global_load_ushort v9, v9, s[2:3] offset:3072
.LBB789_21:
	s_or_b64 exec, exec, s[10:11]
	v_add_u32_e32 v10, 0x6c0, v0
	v_cmp_gt_u32_e32 vcc, s33, v10
                                        ; implicit-def: $vgpr10
	s_and_saveexec_b64 s[10:11], vcc
	s_cbranch_execz .LBB789_23
; %bb.22:
	v_lshlrev_b32_e32 v10, 1, v0
	global_load_ushort v10, v10, s[2:3] offset:3456
.LBB789_23:
	s_or_b64 exec, exec, s[10:11]
	v_add_u32_e32 v11, 0x780, v0
	v_cmp_gt_u32_e32 vcc, s33, v11
                                        ; implicit-def: $vgpr11
	s_and_saveexec_b64 s[10:11], vcc
	s_cbranch_execz .LBB789_25
; %bb.24:
	v_lshlrev_b32_e32 v11, 1, v0
	global_load_ushort v11, v11, s[2:3] offset:3840
.LBB789_25:
	s_or_b64 exec, exec, s[10:11]
	v_add_u32_e32 v13, 0x840, v0
	v_cmp_gt_u32_e32 vcc, s33, v13
                                        ; implicit-def: $vgpr12
	s_and_saveexec_b64 s[10:11], vcc
	s_cbranch_execz .LBB789_27
; %bb.26:
	v_lshlrev_b32_e32 v12, 1, v13
	global_load_ushort v12, v12, s[2:3]
.LBB789_27:
	s_or_b64 exec, exec, s[10:11]
	v_or_b32_e32 v14, 0x900, v0
	v_cmp_gt_u32_e32 vcc, s33, v14
                                        ; implicit-def: $vgpr13
	s_and_saveexec_b64 s[10:11], vcc
	s_cbranch_execz .LBB789_29
; %bb.28:
	v_lshlrev_b32_e32 v13, 1, v14
	global_load_ushort v13, v13, s[2:3]
.LBB789_29:
	s_or_b64 exec, exec, s[10:11]
	v_add_u32_e32 v15, 0x9c0, v0
	v_cmp_gt_u32_e32 vcc, s33, v15
                                        ; implicit-def: $vgpr14
	s_and_saveexec_b64 s[10:11], vcc
	s_cbranch_execz .LBB789_31
; %bb.30:
	v_lshlrev_b32_e32 v14, 1, v15
	global_load_ushort v14, v14, s[2:3]
.LBB789_31:
	s_or_b64 exec, exec, s[10:11]
	v_lshlrev_b32_e32 v15, 1, v0
	s_waitcnt vmcnt(0) lgkmcnt(0)
	ds_write_b16 v15, v1
	ds_write_b16 v15, v2 offset:384
	ds_write_b16 v15, v3 offset:768
	;; [unrolled: 1-line block ×13, first 2 shown]
	v_mad_u32_u24 v1, v0, 26, v15
	s_waitcnt lgkmcnt(0)
	s_barrier
	ds_read2_b32 v[12:13], v1 offset1:1
	ds_read2_b32 v[10:11], v1 offset0:2 offset1:3
	ds_read2_b32 v[8:9], v1 offset0:4 offset1:5
	ds_read_b32 v1, v1 offset:24
	v_mad_u32_u24 v2, v0, 14, 13
	v_cmp_gt_u32_e64 s[10:11], s33, v2
.LBB789_32:
	v_mov_b32_e32 v42, s7
                                        ; implicit-def: $vgpr43
	s_and_saveexec_b64 s[12:13], s[10:11]
; %bb.33:
	v_mov_b32_e32 v43, s7
; %bb.34:
	s_or_b64 exec, exec, s[12:13]
	s_load_dwordx2 s[48:49], s[4:5], 0x70
	s_cmp_eq_u64 s[8:9], 0
	s_cselect_b64 s[44:45], -1, 0
	s_cmp_lg_u64 s[8:9], 0
	s_mov_b64 s[10:11], 0
	s_cselect_b64 s[12:13], -1, 0
	s_and_b64 vcc, exec, s[0:1]
	s_waitcnt lgkmcnt(0)
	s_barrier
	s_cbranch_vccz .LBB789_40
; %bb.35:
	s_and_b64 vcc, exec, s[12:13]
	s_cbranch_vccz .LBB789_41
; %bb.36:
	v_mov_b32_e32 v2, 0
	global_load_ushort v2, v2, s[2:3] offset:-2
	v_lshrrev_b32_e32 v4, 16, v1
	v_lshlrev_b32_e32 v3, 1, v0
	v_cmp_ne_u16_e32 vcc, v1, v4
	v_cmp_ne_u16_sdwa s[10:11], v9, v1 src0_sel:WORD_1 src1_sel:DWORD
	v_cmp_ne_u16_sdwa s[14:15], v9, v9 src0_sel:DWORD src1_sel:WORD_1
	v_cmp_ne_u16_sdwa s[16:17], v8, v9 src0_sel:WORD_1 src1_sel:DWORD
	v_cmp_ne_u16_sdwa s[18:19], v8, v8 src0_sel:DWORD src1_sel:WORD_1
	;; [unrolled: 2-line block ×6, first 2 shown]
	v_cmp_ne_u32_e64 s[0:1], 0, v0
	ds_write_b16 v3, v4
	s_waitcnt lgkmcnt(0)
	s_barrier
	s_and_saveexec_b64 s[52:53], s[0:1]
	s_cbranch_execz .LBB789_38
; %bb.37:
	s_waitcnt vmcnt(0)
	v_add_u32_e32 v2, -2, v3
	ds_read_u16 v2, v2
.LBB789_38:
	s_or_b64 exec, exec, s[52:53]
	v_cndmask_b32_e64 v44, 0, 1, vcc
	v_cndmask_b32_e64 v45, 0, 1, s[10:11]
	v_cndmask_b32_e64 v46, 0, 1, s[14:15]
	;; [unrolled: 1-line block ×12, first 2 shown]
	s_waitcnt vmcnt(0) lgkmcnt(0)
	v_cmp_ne_u16_e64 s[0:1], v2, v12
	s_mov_b64 s[10:11], -1
.LBB789_39:
                                        ; implicit-def: $sgpr7
	s_branch .LBB789_53
.LBB789_40:
                                        ; implicit-def: $sgpr0_sgpr1
                                        ; implicit-def: $vgpr44
                                        ; implicit-def: $vgpr45
                                        ; implicit-def: $vgpr46
                                        ; implicit-def: $vgpr47
                                        ; implicit-def: $vgpr48
                                        ; implicit-def: $vgpr49
                                        ; implicit-def: $vgpr50
                                        ; implicit-def: $vgpr51
                                        ; implicit-def: $vgpr52
                                        ; implicit-def: $vgpr53
                                        ; implicit-def: $vgpr54
                                        ; implicit-def: $vgpr55
                                        ; implicit-def: $vgpr56
                                        ; implicit-def: $sgpr7
	s_cbranch_execnz .LBB789_45
	s_branch .LBB789_53
.LBB789_41:
                                        ; implicit-def: $sgpr0_sgpr1
                                        ; implicit-def: $vgpr44
                                        ; implicit-def: $vgpr45
                                        ; implicit-def: $vgpr46
                                        ; implicit-def: $vgpr47
                                        ; implicit-def: $vgpr48
                                        ; implicit-def: $vgpr49
                                        ; implicit-def: $vgpr50
                                        ; implicit-def: $vgpr51
                                        ; implicit-def: $vgpr52
                                        ; implicit-def: $vgpr53
                                        ; implicit-def: $vgpr54
                                        ; implicit-def: $vgpr55
                                        ; implicit-def: $vgpr56
	s_cbranch_execz .LBB789_39
; %bb.42:
	v_cmp_ne_u16_sdwa s[0:1], v9, v1 src0_sel:WORD_1 src1_sel:DWORD
	v_cndmask_b32_e64 v45, 0, 1, s[0:1]
	v_cmp_ne_u16_sdwa s[0:1], v9, v9 src0_sel:DWORD src1_sel:WORD_1
	v_cndmask_b32_e64 v46, 0, 1, s[0:1]
	v_cmp_ne_u16_sdwa s[0:1], v8, v9 src0_sel:WORD_1 src1_sel:DWORD
	v_cndmask_b32_e64 v47, 0, 1, s[0:1]
	v_cmp_ne_u16_sdwa s[0:1], v8, v8 src0_sel:DWORD src1_sel:WORD_1
	v_cndmask_b32_e64 v48, 0, 1, s[0:1]
	;; [unrolled: 4-line block ×4, first 2 shown]
	v_cmp_ne_u16_sdwa s[0:1], v13, v10 src0_sel:WORD_1 src1_sel:DWORD
	v_cndmask_b32_e64 v53, 0, 1, s[0:1]
	v_cmp_ne_u16_sdwa s[0:1], v13, v13 src0_sel:DWORD src1_sel:WORD_1
	v_lshrrev_b32_e32 v3, 16, v1
	v_cndmask_b32_e64 v54, 0, 1, s[0:1]
	v_cmp_ne_u16_sdwa s[0:1], v12, v13 src0_sel:WORD_1 src1_sel:DWORD
	v_cmp_ne_u16_e32 vcc, v1, v3
	v_cndmask_b32_e64 v55, 0, 1, s[0:1]
	v_cmp_ne_u16_sdwa s[0:1], v12, v12 src0_sel:DWORD src1_sel:WORD_1
	s_mov_b32 s7, 1
	v_lshlrev_b32_e32 v2, 1, v0
	v_cndmask_b32_e64 v44, 0, 1, vcc
	v_cndmask_b32_e64 v56, 0, 1, s[0:1]
	v_cmp_ne_u32_e32 vcc, 0, v0
	ds_write_b16 v2, v3
	s_waitcnt lgkmcnt(0)
	s_barrier
	s_waitcnt lgkmcnt(0)
                                        ; implicit-def: $sgpr0_sgpr1
	s_and_saveexec_b64 s[14:15], vcc
	s_xor_b64 s[14:15], exec, s[14:15]
	s_cbranch_execz .LBB789_44
; %bb.43:
	v_add_u32_e32 v2, -2, v2
	ds_read_u16 v2, v2
	s_or_b64 s[10:11], s[10:11], exec
	s_waitcnt lgkmcnt(0)
	v_cmp_ne_u16_e32 vcc, v2, v12
	s_and_b64 s[0:1], vcc, exec
.LBB789_44:
	s_or_b64 exec, exec, s[14:15]
	s_branch .LBB789_53
.LBB789_45:
	s_mul_hi_u32 s1, s8, 0xfffff580
	s_mul_i32 s0, s9, 0xfffff580
	s_sub_i32 s1, s1, s8
	s_add_i32 s1, s1, s0
	s_mul_i32 s0, s8, 0xfffff580
	s_add_u32 s8, s0, s28
	s_addc_u32 s9, s1, s29
	s_and_b64 vcc, exec, s[12:13]
	v_lshrrev_b32_e32 v34, 16, v1
	v_mul_u32_u24_e32 v2, 14, v0
	v_mad_u32_u24 v4, v0, 14, 13
	v_mad_u32_u24 v32, v0, 14, 12
	v_cmp_ne_u16_sdwa s[46:47], v9, v1 src0_sel:WORD_1 src1_sel:DWORD
	v_mad_u32_u24 v30, v0, 14, 11
	v_cmp_ne_u16_sdwa s[14:15], v9, v9 src0_sel:DWORD src1_sel:WORD_1
	v_mad_u32_u24 v28, v0, 14, 10
	v_cmp_ne_u16_sdwa s[16:17], v8, v9 src0_sel:WORD_1 src1_sel:DWORD
	v_mad_u32_u24 v26, v0, 14, 9
	v_cmp_ne_u16_sdwa s[22:23], v8, v8 src0_sel:DWORD src1_sel:WORD_1
	;; [unrolled: 4-line block ×5, first 2 shown]
	v_mad_u32_u24 v6, v0, 14, 2
	v_cmp_ne_u16_sdwa s[18:19], v12, v13 src0_sel:WORD_1 src1_sel:DWORD
	v_cmp_ne_u16_sdwa s[12:13], v12, v12 src0_sel:DWORD src1_sel:WORD_1
	v_cmp_ne_u32_e64 s[0:1], 0, v0
	s_cbranch_vccz .LBB789_50
; %bb.46:
	v_mov_b32_e32 v5, 0
	global_load_ushort v35, v5, s[2:3] offset:-2
	v_cmp_gt_u64_e32 vcc, s[8:9], v[4:5]
	v_cmp_ne_u16_e64 s[2:3], v1, v34
	v_mov_b32_e32 v33, v5
	s_and_b64 s[2:3], vcc, s[2:3]
	v_cmp_gt_u64_e32 vcc, s[8:9], v[32:33]
	v_mov_b32_e32 v31, v5
	s_and_b64 s[10:11], vcc, s[46:47]
	v_cmp_gt_u64_e32 vcc, s[8:9], v[30:31]
	;; [unrolled: 3-line block ×11, first 2 shown]
	v_or_b32_e32 v36, 1, v2
	v_mov_b32_e32 v37, v5
	s_and_b64 s[18:19], vcc, s[18:19]
	v_cmp_gt_u64_e32 vcc, s[8:9], v[36:37]
	v_lshlrev_b32_e32 v3, 1, v0
	s_and_b64 s[12:13], vcc, s[12:13]
	ds_write_b16 v3, v34
	s_waitcnt lgkmcnt(0)
	s_barrier
	s_and_saveexec_b64 s[46:47], s[0:1]
	s_cbranch_execz .LBB789_48
; %bb.47:
	v_add_u32_e32 v3, -2, v3
	s_waitcnt vmcnt(0)
	ds_read_u16 v35, v3
.LBB789_48:
	s_or_b64 exec, exec, s[46:47]
	v_mov_b32_e32 v3, v5
	v_cmp_gt_u64_e32 vcc, s[8:9], v[2:3]
	s_waitcnt vmcnt(0) lgkmcnt(0)
	v_cmp_ne_u16_e64 s[0:1], v35, v12
	v_cndmask_b32_e64 v44, 0, 1, s[2:3]
	v_cndmask_b32_e64 v45, 0, 1, s[10:11]
	;; [unrolled: 1-line block ×13, first 2 shown]
	s_and_b64 s[0:1], vcc, s[0:1]
	s_mov_b64 s[10:11], -1
.LBB789_49:
                                        ; implicit-def: $sgpr7
	v_mov_b32_e32 v57, s7
	s_and_saveexec_b64 s[2:3], s[10:11]
	s_cbranch_execnz .LBB789_54
	s_branch .LBB789_55
.LBB789_50:
                                        ; implicit-def: $sgpr0_sgpr1
                                        ; implicit-def: $vgpr44
                                        ; implicit-def: $vgpr45
                                        ; implicit-def: $vgpr46
                                        ; implicit-def: $vgpr47
                                        ; implicit-def: $vgpr48
                                        ; implicit-def: $vgpr49
                                        ; implicit-def: $vgpr50
                                        ; implicit-def: $vgpr51
                                        ; implicit-def: $vgpr52
                                        ; implicit-def: $vgpr53
                                        ; implicit-def: $vgpr54
                                        ; implicit-def: $vgpr55
                                        ; implicit-def: $vgpr56
	s_cbranch_execz .LBB789_49
; %bb.51:
	v_mov_b32_e32 v5, 0
	v_cmp_gt_u64_e32 vcc, s[8:9], v[4:5]
	v_cmp_ne_u16_e64 s[0:1], v1, v34
	s_and_b64 s[0:1], vcc, s[0:1]
	v_mov_b32_e32 v33, v5
	v_cndmask_b32_e64 v44, 0, 1, s[0:1]
	v_cmp_gt_u64_e32 vcc, s[8:9], v[32:33]
	v_cmp_ne_u16_sdwa s[0:1], v9, v1 src0_sel:WORD_1 src1_sel:DWORD
	s_and_b64 s[0:1], vcc, s[0:1]
	v_mov_b32_e32 v31, v5
	v_cndmask_b32_e64 v45, 0, 1, s[0:1]
	v_cmp_gt_u64_e32 vcc, s[8:9], v[30:31]
	v_cmp_ne_u16_sdwa s[0:1], v9, v9 src0_sel:DWORD src1_sel:WORD_1
	s_and_b64 s[0:1], vcc, s[0:1]
	v_mov_b32_e32 v29, v5
	v_cndmask_b32_e64 v46, 0, 1, s[0:1]
	v_cmp_gt_u64_e32 vcc, s[8:9], v[28:29]
	v_cmp_ne_u16_sdwa s[0:1], v8, v9 src0_sel:WORD_1 src1_sel:DWORD
	s_and_b64 s[0:1], vcc, s[0:1]
	v_mov_b32_e32 v27, v5
	v_cndmask_b32_e64 v47, 0, 1, s[0:1]
	v_cmp_gt_u64_e32 vcc, s[8:9], v[26:27]
	v_cmp_ne_u16_sdwa s[0:1], v8, v8 src0_sel:DWORD src1_sel:WORD_1
	;; [unrolled: 10-line block ×5, first 2 shown]
	s_and_b64 s[0:1], vcc, s[0:1]
	v_mov_b32_e32 v7, v5
	v_cndmask_b32_e64 v54, 0, 1, s[0:1]
	v_cmp_gt_u64_e32 vcc, s[8:9], v[6:7]
	v_cmp_ne_u16_sdwa s[0:1], v12, v13 src0_sel:WORD_1 src1_sel:DWORD
	s_and_b64 s[0:1], vcc, s[0:1]
	v_or_b32_e32 v4, 1, v2
	v_cndmask_b32_e64 v55, 0, 1, s[0:1]
	v_cmp_gt_u64_e32 vcc, s[8:9], v[4:5]
	v_cmp_ne_u16_sdwa s[0:1], v12, v12 src0_sel:DWORD src1_sel:WORD_1
	s_and_b64 s[0:1], vcc, s[0:1]
	s_mov_b32 s7, 1
	v_lshlrev_b32_e32 v3, 1, v0
	v_cndmask_b32_e64 v56, 0, 1, s[0:1]
	v_cmp_ne_u32_e32 vcc, 0, v0
	ds_write_b16 v3, v34
	s_waitcnt lgkmcnt(0)
	s_barrier
	s_waitcnt lgkmcnt(0)
                                        ; implicit-def: $sgpr0_sgpr1
	s_and_saveexec_b64 s[2:3], vcc
	s_cbranch_execz .LBB789_134
; %bb.52:
	v_add_u32_e32 v3, -2, v3
	ds_read_u16 v4, v3
	v_mov_b32_e32 v3, v5
	v_cmp_gt_u64_e32 vcc, s[8:9], v[2:3]
	s_or_b64 s[10:11], s[10:11], exec
	s_waitcnt lgkmcnt(0)
	v_cmp_ne_u16_e64 s[0:1], v4, v12
	s_and_b64 s[0:1], vcc, s[0:1]
	s_and_b64 s[0:1], s[0:1], exec
	s_or_b64 exec, exec, s[2:3]
.LBB789_53:
	v_mov_b32_e32 v57, s7
	s_and_saveexec_b64 s[2:3], s[10:11]
.LBB789_54:
	v_cndmask_b32_e64 v57, 0, 1, s[0:1]
.LBB789_55:
	s_or_b64 exec, exec, s[2:3]
	s_load_dwordx4 s[40:43], s[4:5], 0x20
	s_load_dwordx2 s[46:47], s[4:5], 0x30
	s_cmp_eq_u64 s[38:39], 0
	v_add_u32_e32 v2, v56, v57
	s_cselect_b64 s[38:39], -1, 0
	s_cmp_lg_u32 s6, 0
	v_cmp_eq_u32_e64 s[22:23], 0, v56
	v_cmp_eq_u32_e64 s[20:21], 0, v55
	v_add3_u32 v60, v2, v55, v54
	v_cmp_eq_u32_e64 s[18:19], 0, v54
	v_cmp_eq_u32_e64 s[16:17], 0, v53
	v_cmp_eq_u32_e64 s[14:15], 0, v52
	v_cmp_eq_u32_e64 s[12:13], 0, v51
	v_cmp_eq_u32_e64 s[10:11], 0, v50
	v_cmp_eq_u32_e64 s[8:9], 0, v49
	v_cmp_eq_u32_e64 s[26:27], 0, v48
	v_cmp_eq_u32_e64 s[4:5], 0, v47
	v_cmp_eq_u32_e64 s[2:3], 0, v46
	v_cmp_eq_u32_e64 s[0:1], 0, v45
	v_cmp_eq_u32_e32 vcc, 0, v44
	v_mbcnt_lo_u32_b32 v59, -1, 0
	v_lshrrev_b32_e32 v58, 6, v0
	s_cbranch_scc0 .LBB789_82
; %bb.56:
	v_cndmask_b32_e64 v2, 0, v42, s[22:23]
	v_add_u32_e32 v2, v2, v42
	v_cndmask_b32_e64 v2, 0, v2, s[20:21]
	v_add_u32_e32 v2, v2, v42
	;; [unrolled: 2-line block ×10, first 2 shown]
	v_cndmask_b32_e64 v2, 0, v2, s[2:3]
	v_add3_u32 v3, v60, v53, v52
	v_add_u32_e32 v2, v2, v42
	v_add3_u32 v3, v3, v51, v50
	v_cndmask_b32_e64 v2, 0, v2, s[0:1]
	v_add3_u32 v3, v3, v49, v48
	v_add_u32_e32 v2, v2, v42
	v_add3_u32 v3, v3, v47, v46
	v_cndmask_b32_e32 v2, 0, v2, vcc
	v_add3_u32 v3, v3, v45, v44
	v_add_u32_e32 v2, v2, v43
	v_mbcnt_hi_u32_b32 v17, -1, v59
	v_and_b32_e32 v4, 15, v17
	v_mov_b32_dpp v6, v2 row_shr:1 row_mask:0xf bank_mask:0xf
	v_cmp_eq_u32_e32 vcc, 0, v3
	v_mov_b32_dpp v5, v3 row_shr:1 row_mask:0xf bank_mask:0xf
	v_cndmask_b32_e32 v6, 0, v6, vcc
	v_cmp_eq_u32_e32 vcc, 0, v4
	v_cndmask_b32_e64 v5, v5, 0, vcc
	v_add_u32_e32 v3, v5, v3
	v_cndmask_b32_e64 v5, v6, 0, vcc
	v_add_u32_e32 v2, v5, v2
	v_cmp_eq_u32_e32 vcc, 0, v3
	v_mov_b32_dpp v5, v3 row_shr:2 row_mask:0xf bank_mask:0xf
	v_cmp_lt_u32_e64 s[24:25], 1, v4
	v_mov_b32_dpp v6, v2 row_shr:2 row_mask:0xf bank_mask:0xf
	v_cndmask_b32_e64 v5, 0, v5, s[24:25]
	s_and_b64 vcc, s[24:25], vcc
	v_cndmask_b32_e32 v6, 0, v6, vcc
	v_add_u32_e32 v3, v3, v5
	v_add_u32_e32 v2, v6, v2
	v_cmp_eq_u32_e32 vcc, 0, v3
	v_mov_b32_dpp v5, v3 row_shr:4 row_mask:0xf bank_mask:0xf
	v_cmp_lt_u32_e64 s[24:25], 3, v4
	v_mov_b32_dpp v6, v2 row_shr:4 row_mask:0xf bank_mask:0xf
	v_cndmask_b32_e64 v5, 0, v5, s[24:25]
	s_and_b64 vcc, s[24:25], vcc
	v_cndmask_b32_e32 v6, 0, v6, vcc
	v_add_u32_e32 v3, v5, v3
	v_add_u32_e32 v2, v2, v6
	v_cmp_eq_u32_e32 vcc, 0, v3
	v_cmp_lt_u32_e64 s[24:25], 7, v4
	v_mov_b32_dpp v5, v3 row_shr:8 row_mask:0xf bank_mask:0xf
	v_mov_b32_dpp v6, v2 row_shr:8 row_mask:0xf bank_mask:0xf
	s_and_b64 vcc, s[24:25], vcc
	v_cndmask_b32_e64 v4, 0, v5, s[24:25]
	v_cndmask_b32_e32 v5, 0, v6, vcc
	v_add_u32_e32 v2, v5, v2
	v_add_u32_e32 v3, v4, v3
	v_bfe_i32 v6, v17, 4, 1
	v_mov_b32_dpp v5, v2 row_bcast:15 row_mask:0xf bank_mask:0xf
	v_mov_b32_dpp v4, v3 row_bcast:15 row_mask:0xf bank_mask:0xf
	v_cmp_eq_u32_e32 vcc, 0, v3
	v_cndmask_b32_e32 v5, 0, v5, vcc
	v_and_b32_e32 v4, v6, v4
	v_add_u32_e32 v3, v4, v3
	v_and_b32_e32 v4, v6, v5
	v_add_u32_e32 v4, v4, v2
	v_mov_b32_dpp v2, v3 row_bcast:31 row_mask:0xf bank_mask:0xf
	v_cmp_eq_u32_e32 vcc, 0, v3
	v_cmp_lt_u32_e64 s[24:25], 31, v17
	v_mov_b32_dpp v5, v4 row_bcast:31 row_mask:0xf bank_mask:0xf
	v_cndmask_b32_e64 v2, 0, v2, s[24:25]
	s_and_b64 vcc, s[24:25], vcc
	v_add_u32_e32 v2, v2, v3
	v_cndmask_b32_e32 v3, 0, v5, vcc
	v_add_u32_e32 v3, v3, v4
	v_and_b32_e32 v4, 0xc0, v0
	v_min_u32_e32 v4, 0x80, v4
	v_or_b32_e32 v4, 63, v4
	v_cmp_eq_u32_e32 vcc, v4, v0
	v_lshlrev_b32_e32 v4, 3, v58
	s_and_saveexec_b64 s[24:25], vcc
	s_cbranch_execz .LBB789_58
; %bb.57:
	ds_write_b64 v4, v[2:3] offset:784
.LBB789_58:
	s_or_b64 exec, exec, s[24:25]
	v_cmp_gt_u32_e32 vcc, 3, v0
	s_waitcnt lgkmcnt(0)
	s_barrier
	s_and_saveexec_b64 s[28:29], vcc
	s_cbranch_execz .LBB789_60
; %bb.59:
	v_lshlrev_b32_e32 v5, 3, v0
	ds_read_b64 v[6:7], v5 offset:784
	v_and_b32_e32 v14, 3, v17
	v_cmp_lt_u32_e64 s[24:25], 1, v14
	s_waitcnt lgkmcnt(0)
	v_mov_b32_dpp v16, v7 row_shr:1 row_mask:0xf bank_mask:0xf
	v_cmp_eq_u32_e32 vcc, 0, v6
	v_mov_b32_dpp v15, v6 row_shr:1 row_mask:0xf bank_mask:0xf
	v_cndmask_b32_e32 v16, 0, v16, vcc
	v_cmp_eq_u32_e32 vcc, 0, v14
	v_cndmask_b32_e64 v15, v15, 0, vcc
	v_add_u32_e32 v6, v15, v6
	v_cndmask_b32_e64 v15, v16, 0, vcc
	v_add_u32_e32 v7, v15, v7
	v_cmp_eq_u32_e32 vcc, 0, v6
	v_mov_b32_dpp v15, v6 row_shr:2 row_mask:0xf bank_mask:0xf
	v_mov_b32_dpp v16, v7 row_shr:2 row_mask:0xf bank_mask:0xf
	v_cndmask_b32_e64 v14, 0, v15, s[24:25]
	s_and_b64 vcc, s[24:25], vcc
	v_add_u32_e32 v6, v14, v6
	v_cndmask_b32_e32 v14, 0, v16, vcc
	v_add_u32_e32 v7, v14, v7
	ds_write_b64 v5, v[6:7] offset:784
.LBB789_60:
	s_or_b64 exec, exec, s[28:29]
	v_cmp_gt_u32_e32 vcc, 64, v0
	v_cmp_lt_u32_e64 s[24:25], 63, v0
	v_mov_b32_e32 v14, 0
	v_mov_b32_e32 v15, 0
	s_waitcnt lgkmcnt(0)
	s_barrier
	s_and_saveexec_b64 s[28:29], s[24:25]
	s_cbranch_execz .LBB789_62
; %bb.61:
	ds_read_b64 v[14:15], v4 offset:776
	v_cmp_eq_u32_e64 s[24:25], 0, v2
	s_waitcnt lgkmcnt(0)
	v_add_u32_e32 v4, v14, v2
	v_cndmask_b32_e64 v2, 0, v15, s[24:25]
	v_add_u32_e32 v3, v2, v3
	v_mov_b32_e32 v2, v4
.LBB789_62:
	s_or_b64 exec, exec, s[28:29]
	v_add_u32_e32 v4, -1, v17
	v_and_b32_e32 v5, 64, v17
	v_cmp_lt_i32_e64 s[24:25], v4, v5
	v_cndmask_b32_e64 v4, v4, v17, s[24:25]
	v_lshlrev_b32_e32 v4, 2, v4
	ds_bpermute_b32 v22, v4, v2
	ds_bpermute_b32 v23, v4, v3
	v_cmp_eq_u32_e64 s[24:25], 0, v17
	s_and_saveexec_b64 s[50:51], vcc
	s_cbranch_execz .LBB789_81
; %bb.63:
	v_mov_b32_e32 v7, 0
	ds_read_b64 v[2:3], v7 offset:800
	s_waitcnt lgkmcnt(0)
	v_readfirstlane_b32 s7, v2
	v_readfirstlane_b32 s54, v3
	s_and_saveexec_b64 s[28:29], s[24:25]
	s_cbranch_execz .LBB789_65
; %bb.64:
	s_add_i32 s52, s6, 64
	s_mov_b32 s53, 0
	s_lshl_b64 s[56:57], s[52:53], 4
	s_add_u32 s56, s36, s56
	s_addc_u32 s57, s37, s57
	s_and_b32 s59, s54, 0xff000000
	s_mov_b32 s58, s53
	s_and_b32 s61, s54, 0xff0000
	s_mov_b32 s60, s53
	s_or_b64 s[58:59], s[60:61], s[58:59]
	s_and_b32 s61, s54, 0xff00
	s_or_b64 s[58:59], s[58:59], s[60:61]
	s_and_b32 s61, s54, 0xff
	s_or_b64 s[52:53], s[58:59], s[60:61]
	v_mov_b32_e32 v4, s7
	v_mov_b32_e32 v5, s53
	;; [unrolled: 1-line block ×3, first 2 shown]
	v_pk_mov_b32 v[2:3], s[56:57], s[56:57] op_sel:[0,1]
	;;#ASMSTART
	global_store_dwordx4 v[2:3], v[4:7] off	
s_waitcnt vmcnt(0)
	;;#ASMEND
.LBB789_65:
	s_or_b64 exec, exec, s[28:29]
	v_xad_u32 v16, v17, -1, s6
	v_add_u32_e32 v6, 64, v16
	v_lshlrev_b64 v[2:3], 4, v[6:7]
	v_mov_b32_e32 v4, s37
	v_add_co_u32_e32 v18, vcc, s36, v2
	v_addc_co_u32_e32 v19, vcc, v4, v3, vcc
	;;#ASMSTART
	global_load_dwordx4 v[2:5], v[18:19] off glc	
s_waitcnt vmcnt(0)
	;;#ASMEND
	v_and_b32_e32 v5, 0xff, v3
	v_and_b32_e32 v6, 0xff00, v3
	v_or3_b32 v5, 0, v5, v6
	v_or3_b32 v2, v2, 0, 0
	v_and_b32_e32 v6, 0xff000000, v3
	v_and_b32_e32 v3, 0xff0000, v3
	v_or3_b32 v3, v5, v3, v6
	v_or3_b32 v2, v2, 0, 0
	v_cmp_eq_u16_sdwa s[52:53], v4, v7 src0_sel:BYTE_0 src1_sel:DWORD
	s_and_saveexec_b64 s[28:29], s[52:53]
	s_cbranch_execz .LBB789_69
; %bb.66:
	s_mov_b64 s[52:53], 0
	v_mov_b32_e32 v6, 0
.LBB789_67:                             ; =>This Inner Loop Header: Depth=1
	;;#ASMSTART
	global_load_dwordx4 v[2:5], v[18:19] off glc	
s_waitcnt vmcnt(0)
	;;#ASMEND
	v_cmp_ne_u16_sdwa s[56:57], v4, v6 src0_sel:BYTE_0 src1_sel:DWORD
	s_or_b64 s[52:53], s[56:57], s[52:53]
	s_andn2_b64 exec, exec, s[52:53]
	s_cbranch_execnz .LBB789_67
; %bb.68:
	s_or_b64 exec, exec, s[52:53]
.LBB789_69:
	s_or_b64 exec, exec, s[28:29]
	v_mov_b32_e32 v24, 2
	v_cmp_eq_u16_sdwa s[28:29], v4, v24 src0_sel:BYTE_0 src1_sel:DWORD
	v_lshlrev_b64 v[18:19], v17, -1
	v_and_b32_e32 v5, s29, v19
	v_and_b32_e32 v25, 63, v17
	v_or_b32_e32 v5, 0x80000000, v5
	v_cmp_ne_u32_e32 vcc, 63, v25
	v_and_b32_e32 v6, s28, v18
	v_ffbl_b32_e32 v5, v5
	v_addc_co_u32_e32 v7, vcc, 0, v17, vcc
	v_add_u32_e32 v5, 32, v5
	v_ffbl_b32_e32 v6, v6
	v_lshlrev_b32_e32 v26, 2, v7
	v_min_u32_e32 v5, v6, v5
	ds_bpermute_b32 v6, v26, v3
	v_cmp_eq_u32_e32 vcc, 0, v2
	v_cmp_lt_u32_e64 s[28:29], v25, v5
	ds_bpermute_b32 v7, v26, v2
	s_and_b64 vcc, s[28:29], vcc
	s_waitcnt lgkmcnt(1)
	v_cndmask_b32_e32 v6, 0, v6, vcc
	v_cmp_gt_u32_e32 vcc, 62, v25
	v_add_u32_e32 v3, v6, v3
	v_cndmask_b32_e64 v6, 0, 1, vcc
	v_lshlrev_b32_e32 v6, 1, v6
	v_add_lshl_u32 v27, v6, v17, 2
	s_waitcnt lgkmcnt(0)
	v_cndmask_b32_e64 v7, 0, v7, s[28:29]
	ds_bpermute_b32 v6, v27, v3
	v_add_u32_e32 v2, v7, v2
	ds_bpermute_b32 v7, v27, v2
	v_add_u32_e32 v28, 2, v25
	v_cmp_eq_u32_e32 vcc, 0, v2
	s_waitcnt lgkmcnt(1)
	v_cndmask_b32_e32 v6, 0, v6, vcc
	v_cmp_gt_u32_e32 vcc, v28, v5
	v_cndmask_b32_e64 v6, v6, 0, vcc
	v_add_u32_e32 v3, v6, v3
	s_waitcnt lgkmcnt(0)
	v_cndmask_b32_e64 v6, v7, 0, vcc
	v_cmp_gt_u32_e32 vcc, 60, v25
	v_cndmask_b32_e64 v7, 0, 1, vcc
	v_lshlrev_b32_e32 v7, 2, v7
	v_add_lshl_u32 v29, v7, v17, 2
	ds_bpermute_b32 v7, v29, v3
	v_add_u32_e32 v2, v2, v6
	ds_bpermute_b32 v6, v29, v2
	v_add_u32_e32 v30, 4, v25
	v_cmp_eq_u32_e32 vcc, 0, v2
	s_waitcnt lgkmcnt(1)
	v_cndmask_b32_e32 v7, 0, v7, vcc
	v_cmp_gt_u32_e32 vcc, v30, v5
	v_cndmask_b32_e64 v7, v7, 0, vcc
	s_waitcnt lgkmcnt(0)
	v_cndmask_b32_e64 v6, v6, 0, vcc
	v_cmp_gt_u32_e32 vcc, 56, v25
	v_add_u32_e32 v3, v3, v7
	v_cndmask_b32_e64 v7, 0, 1, vcc
	v_lshlrev_b32_e32 v7, 3, v7
	v_add_lshl_u32 v31, v7, v17, 2
	ds_bpermute_b32 v7, v31, v3
	v_add_u32_e32 v2, v2, v6
	ds_bpermute_b32 v6, v31, v2
	v_add_u32_e32 v32, 8, v25
	v_cmp_eq_u32_e32 vcc, 0, v2
	s_waitcnt lgkmcnt(1)
	v_cndmask_b32_e32 v7, 0, v7, vcc
	v_cmp_gt_u32_e32 vcc, v32, v5
	v_cndmask_b32_e64 v7, v7, 0, vcc
	s_waitcnt lgkmcnt(0)
	v_cndmask_b32_e64 v6, v6, 0, vcc
	v_cmp_gt_u32_e32 vcc, 48, v25
	v_add_u32_e32 v3, v3, v7
	;; [unrolled: 16-line block ×3, first 2 shown]
	v_cndmask_b32_e64 v7, 0, 1, vcc
	v_lshlrev_b32_e32 v7, 5, v7
	v_add_lshl_u32 v35, v7, v17, 2
	ds_bpermute_b32 v7, v35, v3
	v_add_u32_e32 v2, v2, v6
	ds_bpermute_b32 v6, v35, v2
	v_add_u32_e32 v36, 32, v25
	v_cmp_eq_u32_e32 vcc, 0, v2
	s_waitcnt lgkmcnt(1)
	v_cndmask_b32_e32 v7, 0, v7, vcc
	v_cmp_gt_u32_e32 vcc, v36, v5
	v_cndmask_b32_e64 v5, v7, 0, vcc
	v_add_u32_e32 v3, v5, v3
	s_waitcnt lgkmcnt(0)
	v_cndmask_b32_e64 v5, v6, 0, vcc
	v_add_u32_e32 v2, v5, v2
	v_mov_b32_e32 v17, 0
	s_branch .LBB789_71
.LBB789_70:                             ;   in Loop: Header=BB789_71 Depth=1
	s_or_b64 exec, exec, s[28:29]
	v_cmp_eq_u16_sdwa s[28:29], v4, v24 src0_sel:BYTE_0 src1_sel:DWORD
	v_and_b32_e32 v5, s29, v19
	v_or_b32_e32 v5, 0x80000000, v5
	v_and_b32_e32 v20, s28, v18
	v_ffbl_b32_e32 v5, v5
	v_add_u32_e32 v5, 32, v5
	v_ffbl_b32_e32 v20, v20
	v_min_u32_e32 v5, v20, v5
	ds_bpermute_b32 v20, v26, v3
	v_cmp_eq_u32_e32 vcc, 0, v2
	v_cmp_lt_u32_e64 s[28:29], v25, v5
	ds_bpermute_b32 v21, v26, v2
	s_and_b64 vcc, s[28:29], vcc
	s_waitcnt lgkmcnt(1)
	v_cndmask_b32_e32 v20, 0, v20, vcc
	v_add_u32_e32 v3, v20, v3
	ds_bpermute_b32 v20, v27, v3
	s_waitcnt lgkmcnt(1)
	v_cndmask_b32_e64 v21, 0, v21, s[28:29]
	v_add_u32_e32 v2, v21, v2
	v_cmp_eq_u32_e32 vcc, 0, v2
	ds_bpermute_b32 v21, v27, v2
	s_waitcnt lgkmcnt(1)
	v_cndmask_b32_e32 v20, 0, v20, vcc
	v_cmp_gt_u32_e32 vcc, v28, v5
	v_cndmask_b32_e64 v20, v20, 0, vcc
	v_add_u32_e32 v3, v20, v3
	ds_bpermute_b32 v20, v29, v3
	s_waitcnt lgkmcnt(1)
	v_cndmask_b32_e64 v21, v21, 0, vcc
	v_add_u32_e32 v2, v2, v21
	v_cmp_eq_u32_e32 vcc, 0, v2
	ds_bpermute_b32 v21, v29, v2
	s_waitcnt lgkmcnt(1)
	v_cndmask_b32_e32 v20, 0, v20, vcc
	v_cmp_gt_u32_e32 vcc, v30, v5
	v_cndmask_b32_e64 v20, v20, 0, vcc
	v_add_u32_e32 v3, v3, v20
	ds_bpermute_b32 v20, v31, v3
	s_waitcnt lgkmcnt(1)
	v_cndmask_b32_e64 v21, v21, 0, vcc
	v_add_u32_e32 v2, v2, v21
	ds_bpermute_b32 v21, v31, v2
	v_cmp_eq_u32_e32 vcc, 0, v2
	s_waitcnt lgkmcnt(1)
	v_cndmask_b32_e32 v20, 0, v20, vcc
	v_cmp_gt_u32_e32 vcc, v32, v5
	v_cndmask_b32_e64 v20, v20, 0, vcc
	v_add_u32_e32 v3, v3, v20
	ds_bpermute_b32 v20, v33, v3
	s_waitcnt lgkmcnt(1)
	v_cndmask_b32_e64 v21, v21, 0, vcc
	v_add_u32_e32 v2, v2, v21
	ds_bpermute_b32 v21, v33, v2
	v_cmp_eq_u32_e32 vcc, 0, v2
	;; [unrolled: 11-line block ×3, first 2 shown]
	s_waitcnt lgkmcnt(1)
	v_cndmask_b32_e32 v20, 0, v20, vcc
	v_cmp_gt_u32_e32 vcc, v36, v5
	v_cndmask_b32_e64 v5, v20, 0, vcc
	v_add_u32_e32 v3, v5, v3
	s_waitcnt lgkmcnt(0)
	v_cndmask_b32_e64 v5, v21, 0, vcc
	v_cmp_eq_u32_e32 vcc, 0, v6
	v_cndmask_b32_e32 v3, 0, v3, vcc
	v_subrev_u32_e32 v16, 64, v16
	v_add3_u32 v2, v2, v6, v5
	v_add_u32_e32 v3, v3, v7
.LBB789_71:                             ; =>This Loop Header: Depth=1
                                        ;     Child Loop BB789_74 Depth 2
	v_cmp_ne_u16_sdwa s[28:29], v4, v24 src0_sel:BYTE_0 src1_sel:DWORD
	v_mov_b32_e32 v7, v3
	v_cndmask_b32_e64 v3, 0, 1, s[28:29]
	;;#ASMSTART
	;;#ASMEND
	v_cmp_ne_u32_e32 vcc, 0, v3
	s_cmp_lg_u64 vcc, exec
	v_mov_b32_e32 v6, v2
	s_cbranch_scc1 .LBB789_76
; %bb.72:                               ;   in Loop: Header=BB789_71 Depth=1
	v_lshlrev_b64 v[2:3], 4, v[16:17]
	v_mov_b32_e32 v4, s37
	v_add_co_u32_e32 v20, vcc, s36, v2
	v_addc_co_u32_e32 v21, vcc, v4, v3, vcc
	;;#ASMSTART
	global_load_dwordx4 v[2:5], v[20:21] off glc	
s_waitcnt vmcnt(0)
	;;#ASMEND
	v_and_b32_e32 v5, 0xff, v3
	v_and_b32_e32 v37, 0xff00, v3
	v_or3_b32 v5, 0, v5, v37
	v_or3_b32 v2, v2, 0, 0
	v_and_b32_e32 v37, 0xff000000, v3
	v_and_b32_e32 v3, 0xff0000, v3
	v_or3_b32 v3, v5, v3, v37
	v_or3_b32 v2, v2, 0, 0
	v_cmp_eq_u16_sdwa s[52:53], v4, v17 src0_sel:BYTE_0 src1_sel:DWORD
	s_and_saveexec_b64 s[28:29], s[52:53]
	s_cbranch_execz .LBB789_70
; %bb.73:                               ;   in Loop: Header=BB789_71 Depth=1
	s_mov_b64 s[52:53], 0
.LBB789_74:                             ;   Parent Loop BB789_71 Depth=1
                                        ; =>  This Inner Loop Header: Depth=2
	;;#ASMSTART
	global_load_dwordx4 v[2:5], v[20:21] off glc	
s_waitcnt vmcnt(0)
	;;#ASMEND
	v_cmp_ne_u16_sdwa s[56:57], v4, v17 src0_sel:BYTE_0 src1_sel:DWORD
	s_or_b64 s[52:53], s[56:57], s[52:53]
	s_andn2_b64 exec, exec, s[52:53]
	s_cbranch_execnz .LBB789_74
; %bb.75:                               ;   in Loop: Header=BB789_71 Depth=1
	s_or_b64 exec, exec, s[52:53]
	s_branch .LBB789_70
.LBB789_76:                             ;   in Loop: Header=BB789_71 Depth=1
                                        ; implicit-def: $vgpr3
                                        ; implicit-def: $vgpr2
                                        ; implicit-def: $vgpr4
	s_cbranch_execz .LBB789_71
; %bb.77:
	s_and_saveexec_b64 s[28:29], s[24:25]
	s_cbranch_execz .LBB789_79
; %bb.78:
	s_cmp_eq_u32 s7, 0
	s_cselect_b64 vcc, -1, 0
	s_mov_b32 s53, 0
	v_cndmask_b32_e32 v2, 0, v7, vcc
	s_add_i32 s52, s6, 64
	v_add_u32_e32 v2, s54, v2
	s_lshl_b64 s[52:53], s[52:53], 4
	s_add_u32 s52, s36, s52
	v_and_b32_e32 v3, 0xff000000, v2
	v_and_b32_e32 v4, 0xff0000, v2
	s_addc_u32 s53, s37, s53
	v_or_b32_e32 v3, v4, v3
	v_and_b32_e32 v4, 0xff00, v2
	v_and_b32_e32 v2, 0xff, v2
	v_add_u32_e32 v16, s7, v6
	v_mov_b32_e32 v19, 0
	v_or3_b32 v17, v3, v4, v2
	v_mov_b32_e32 v18, 2
	v_pk_mov_b32 v[2:3], s[52:53], s[52:53] op_sel:[0,1]
	;;#ASMSTART
	global_store_dwordx4 v[2:3], v[16:19] off	
s_waitcnt vmcnt(0)
	;;#ASMEND
	v_mov_b32_e32 v4, s7
	v_mov_b32_e32 v5, s54
	ds_write_b128 v19, v[4:7] offset:768
.LBB789_79:
	s_or_b64 exec, exec, s[28:29]
	v_cmp_eq_u32_e32 vcc, 0, v0
	s_and_b64 exec, exec, vcc
	s_cbranch_execz .LBB789_81
; %bb.80:
	v_mov_b32_e32 v2, 0
	ds_write_b64 v2, v[6:7] offset:800
.LBB789_81:
	s_or_b64 exec, exec, s[50:51]
	v_mov_b32_e32 v4, 0
	s_waitcnt lgkmcnt(0)
	s_barrier
	ds_read_b64 v[2:3], v4 offset:800
	v_cndmask_b32_e64 v6, v22, v14, s[24:25]
	v_cmp_eq_u32_e32 vcc, 0, v6
	v_cndmask_b32_e64 v5, v23, v15, s[24:25]
	s_waitcnt lgkmcnt(0)
	v_cndmask_b32_e32 v7, 0, v3, vcc
	v_add_u32_e32 v5, v7, v5
	v_cmp_eq_u32_e32 vcc, 0, v0
	v_cndmask_b32_e32 v41, v5, v3, vcc
	v_cndmask_b32_e64 v3, v6, 0, vcc
	v_cmp_eq_u32_e32 vcc, 0, v57
	v_add_u32_e32 v40, v2, v3
	v_cndmask_b32_e32 v2, 0, v41, vcc
	v_add_u32_e32 v39, v2, v42
	v_cndmask_b32_e64 v2, 0, v39, s[22:23]
	v_add_u32_e32 v37, v2, v42
	v_cndmask_b32_e64 v2, 0, v37, s[20:21]
	;; [unrolled: 2-line block ×7, first 2 shown]
	v_add_u32_e32 v25, v2, v42
	v_add_u32_e32 v38, v40, v57
	v_cndmask_b32_e64 v2, 0, v25, s[8:9]
	v_add_u32_e32 v36, v38, v56
	v_add_u32_e32 v23, v2, v42
	v_add_u32_e32 v34, v36, v55
	v_cndmask_b32_e64 v2, 0, v23, s[26:27]
	v_add_u32_e32 v32, v34, v54
	;; [unrolled: 4-line block ×3, first 2 shown]
	v_add_u32_e32 v19, v2, v42
	s_barrier
	ds_read_b128 v[2:5], v4 offset:768
	v_add_u32_e32 v26, v28, v51
	v_add_u32_e32 v24, v26, v50
	;; [unrolled: 1-line block ×4, first 2 shown]
	v_cndmask_b32_e64 v6, 0, v19, s[2:3]
	v_add_u32_e32 v18, v20, v47
	v_add_u32_e32 v15, v6, v42
	s_waitcnt lgkmcnt(0)
	v_cmp_eq_u32_e32 vcc, 0, v2
	v_add_u32_e32 v14, v18, v46
	v_cndmask_b32_e64 v6, 0, v15, s[0:1]
	v_cndmask_b32_e32 v5, 0, v5, vcc
	v_add_u32_e32 v16, v14, v45
	v_add_u32_e32 v17, v6, v42
	;; [unrolled: 1-line block ×3, first 2 shown]
	s_branch .LBB789_94
.LBB789_82:
                                        ; implicit-def: $vgpr2
                                        ; implicit-def: $vgpr6
                                        ; implicit-def: $vgpr16_vgpr17
                                        ; implicit-def: $vgpr14_vgpr15
                                        ; implicit-def: $vgpr18_vgpr19
                                        ; implicit-def: $vgpr20_vgpr21
                                        ; implicit-def: $vgpr40_vgpr41
                                        ; implicit-def: $vgpr38_vgpr39
                                        ; implicit-def: $vgpr36_vgpr37
                                        ; implicit-def: $vgpr34_vgpr35
                                        ; implicit-def: $vgpr32_vgpr33
                                        ; implicit-def: $vgpr30_vgpr31
                                        ; implicit-def: $vgpr28_vgpr29
                                        ; implicit-def: $vgpr26_vgpr27
                                        ; implicit-def: $vgpr24_vgpr25
                                        ; implicit-def: $vgpr22_vgpr23
	s_cbranch_execz .LBB789_94
; %bb.83:
	s_and_b64 s[0:1], s[38:39], exec
	s_cselect_b32 s1, 0, s49
	s_cselect_b32 s0, 0, s48
	s_cmp_eq_u64 s[0:1], 0
	v_mov_b32_e32 v6, v42
	s_cbranch_scc1 .LBB789_85
; %bb.84:
	v_mov_b32_e32 v2, 0
	global_load_dword v6, v2, s[0:1]
.LBB789_85:
	v_cmp_eq_u32_e64 s[0:1], 0, v56
	v_cndmask_b32_e64 v2, 0, v42, s[0:1]
	v_add_u32_e32 v2, v2, v42
	v_cmp_eq_u32_e64 s[2:3], 0, v55
	v_cndmask_b32_e64 v2, 0, v2, s[2:3]
	v_add_u32_e32 v2, v2, v42
	;; [unrolled: 3-line block ×10, first 2 shown]
	v_cmp_eq_u32_e64 s[20:21], 0, v46
	v_cndmask_b32_e64 v2, 0, v2, s[20:21]
	v_add3_u32 v3, v60, v53, v52
	v_add_u32_e32 v2, v2, v42
	v_cmp_eq_u32_e32 vcc, 0, v45
	v_add3_u32 v3, v3, v51, v50
	v_cndmask_b32_e32 v2, 0, v2, vcc
	v_add3_u32 v3, v3, v49, v48
	v_add_u32_e32 v2, v2, v42
	v_cmp_eq_u32_e64 s[22:23], 0, v44
	v_add3_u32 v3, v3, v47, v46
	v_cndmask_b32_e64 v2, 0, v2, s[22:23]
	v_add3_u32 v3, v3, v45, v44
	v_add_u32_e32 v2, v2, v43
	v_mbcnt_hi_u32_b32 v7, -1, v59
	v_and_b32_e32 v4, 15, v7
	v_mov_b32_dpp v14, v2 row_shr:1 row_mask:0xf bank_mask:0xf
	v_cmp_eq_u32_e64 s[22:23], 0, v3
	v_mov_b32_dpp v5, v3 row_shr:1 row_mask:0xf bank_mask:0xf
	v_cndmask_b32_e64 v14, 0, v14, s[22:23]
	v_cmp_eq_u32_e64 s[22:23], 0, v4
	v_cndmask_b32_e64 v5, v5, 0, s[22:23]
	v_add_u32_e32 v3, v5, v3
	v_cndmask_b32_e64 v5, v14, 0, s[22:23]
	v_add_u32_e32 v2, v5, v2
	v_cmp_eq_u32_e64 s[22:23], 0, v3
	v_mov_b32_dpp v5, v3 row_shr:2 row_mask:0xf bank_mask:0xf
	v_cmp_lt_u32_e64 s[24:25], 1, v4
	v_mov_b32_dpp v14, v2 row_shr:2 row_mask:0xf bank_mask:0xf
	v_cndmask_b32_e64 v5, 0, v5, s[24:25]
	s_and_b64 s[22:23], s[24:25], s[22:23]
	v_cndmask_b32_e64 v14, 0, v14, s[22:23]
	v_add_u32_e32 v3, v3, v5
	v_add_u32_e32 v2, v14, v2
	v_cmp_eq_u32_e64 s[22:23], 0, v3
	v_mov_b32_dpp v5, v3 row_shr:4 row_mask:0xf bank_mask:0xf
	v_cmp_lt_u32_e64 s[24:25], 3, v4
	v_mov_b32_dpp v14, v2 row_shr:4 row_mask:0xf bank_mask:0xf
	v_cndmask_b32_e64 v5, 0, v5, s[24:25]
	s_and_b64 s[22:23], s[24:25], s[22:23]
	v_cndmask_b32_e64 v14, 0, v14, s[22:23]
	v_add_u32_e32 v3, v5, v3
	v_add_u32_e32 v2, v2, v14
	v_cmp_eq_u32_e64 s[22:23], 0, v3
	v_cmp_lt_u32_e64 s[24:25], 7, v4
	v_mov_b32_dpp v5, v3 row_shr:8 row_mask:0xf bank_mask:0xf
	v_mov_b32_dpp v14, v2 row_shr:8 row_mask:0xf bank_mask:0xf
	s_and_b64 s[22:23], s[24:25], s[22:23]
	v_cndmask_b32_e64 v4, 0, v5, s[24:25]
	v_cndmask_b32_e64 v5, 0, v14, s[22:23]
	v_add_u32_e32 v2, v5, v2
	v_add_u32_e32 v3, v4, v3
	v_bfe_i32 v14, v7, 4, 1
	v_mov_b32_dpp v5, v2 row_bcast:15 row_mask:0xf bank_mask:0xf
	v_mov_b32_dpp v4, v3 row_bcast:15 row_mask:0xf bank_mask:0xf
	v_cmp_eq_u32_e64 s[22:23], 0, v3
	v_cndmask_b32_e64 v5, 0, v5, s[22:23]
	v_and_b32_e32 v4, v14, v4
	v_add_u32_e32 v3, v4, v3
	v_and_b32_e32 v4, v14, v5
	v_add_u32_e32 v4, v4, v2
	v_mov_b32_dpp v2, v3 row_bcast:31 row_mask:0xf bank_mask:0xf
	v_cmp_eq_u32_e64 s[22:23], 0, v3
	v_cmp_lt_u32_e64 s[24:25], 31, v7
	v_mov_b32_dpp v5, v4 row_bcast:31 row_mask:0xf bank_mask:0xf
	v_cndmask_b32_e64 v2, 0, v2, s[24:25]
	s_and_b64 s[22:23], s[24:25], s[22:23]
	v_add_u32_e32 v2, v2, v3
	v_cndmask_b32_e64 v3, 0, v5, s[22:23]
	v_add_u32_e32 v3, v3, v4
	v_and_b32_e32 v4, 0xc0, v0
	v_min_u32_e32 v4, 0x80, v4
	v_or_b32_e32 v4, 63, v4
	v_cmp_eq_u32_e64 s[22:23], v4, v0
	v_lshlrev_b32_e32 v5, 3, v58
	s_and_saveexec_b64 s[24:25], s[22:23]
	s_cbranch_execz .LBB789_87
; %bb.86:
	ds_write_b64 v5, v[2:3] offset:784
.LBB789_87:
	s_or_b64 exec, exec, s[24:25]
	v_cmp_gt_u32_e64 s[22:23], 3, v0
	s_waitcnt lgkmcnt(0)
	s_barrier
	s_and_saveexec_b64 s[26:27], s[22:23]
	s_cbranch_execz .LBB789_89
; %bb.88:
	v_lshlrev_b32_e32 v4, 3, v0
	ds_read_b64 v[14:15], v4 offset:784
	v_and_b32_e32 v16, 3, v7
	v_cmp_lt_u32_e64 s[24:25], 1, v16
	s_waitcnt lgkmcnt(0)
	v_mov_b32_dpp v18, v15 row_shr:1 row_mask:0xf bank_mask:0xf
	v_cmp_eq_u32_e64 s[22:23], 0, v14
	v_mov_b32_dpp v17, v14 row_shr:1 row_mask:0xf bank_mask:0xf
	v_cndmask_b32_e64 v18, 0, v18, s[22:23]
	v_cmp_eq_u32_e64 s[22:23], 0, v16
	v_cndmask_b32_e64 v17, v17, 0, s[22:23]
	v_add_u32_e32 v14, v17, v14
	v_cndmask_b32_e64 v17, v18, 0, s[22:23]
	v_add_u32_e32 v15, v17, v15
	v_cmp_eq_u32_e64 s[22:23], 0, v14
	v_mov_b32_dpp v17, v14 row_shr:2 row_mask:0xf bank_mask:0xf
	v_mov_b32_dpp v18, v15 row_shr:2 row_mask:0xf bank_mask:0xf
	v_cndmask_b32_e64 v16, 0, v17, s[24:25]
	s_and_b64 s[22:23], s[24:25], s[22:23]
	v_add_u32_e32 v14, v16, v14
	v_cndmask_b32_e64 v16, 0, v18, s[22:23]
	v_add_u32_e32 v15, v16, v15
	ds_write_b64 v4, v[14:15] offset:784
.LBB789_89:
	s_or_b64 exec, exec, s[26:27]
	v_cmp_lt_u32_e64 s[22:23], 63, v0
	v_mov_b32_e32 v15, 0
	v_mov_b32_e32 v4, 0
	s_waitcnt vmcnt(0)
	v_mov_b32_e32 v14, v6
	s_waitcnt lgkmcnt(0)
	s_barrier
	s_and_saveexec_b64 s[24:25], s[22:23]
	s_cbranch_execz .LBB789_91
; %bb.90:
	ds_read_b64 v[4:5], v5 offset:776
	s_waitcnt lgkmcnt(0)
	v_cmp_eq_u32_e64 s[22:23], 0, v4
	v_cndmask_b32_e64 v14, 0, v6, s[22:23]
	v_add_u32_e32 v14, v14, v5
.LBB789_91:
	s_or_b64 exec, exec, s[24:25]
	v_cmp_eq_u32_e64 s[22:23], 0, v2
	v_add_u32_e32 v5, v4, v2
	v_cndmask_b32_e64 v2, 0, v14, s[22:23]
	v_add_u32_e32 v2, v2, v3
	v_add_u32_e32 v3, -1, v7
	v_and_b32_e32 v16, 64, v7
	v_cmp_lt_i32_e64 s[22:23], v3, v16
	v_cndmask_b32_e64 v3, v3, v7, s[22:23]
	v_lshlrev_b32_e32 v3, 2, v3
	ds_bpermute_b32 v5, v3, v5
	ds_bpermute_b32 v2, v3, v2
	v_cmp_eq_u32_e64 s[22:23], 0, v7
	v_cmp_eq_u32_e64 s[24:25], 0, v57
	s_waitcnt lgkmcnt(1)
	v_cndmask_b32_e64 v3, v5, v4, s[22:23]
	s_waitcnt lgkmcnt(0)
	v_cndmask_b32_e64 v2, v2, v14, s[22:23]
	v_cmp_eq_u32_e64 s[22:23], 0, v0
	v_cndmask_b32_e64 v41, v2, v6, s[22:23]
	v_cndmask_b32_e64 v2, 0, v41, s[24:25]
	v_add_u32_e32 v39, v2, v42
	v_cndmask_b32_e64 v2, 0, v39, s[0:1]
	v_add_u32_e32 v37, v2, v42
	;; [unrolled: 2-line block ×7, first 2 shown]
	v_cndmask_b32_e64 v2, 0, v27, s[12:13]
	v_cndmask_b32_e64 v40, v3, 0, s[22:23]
	v_add_u32_e32 v25, v2, v42
	v_add_u32_e32 v38, v40, v57
	v_cndmask_b32_e64 v2, 0, v25, s[14:15]
	v_add_u32_e32 v36, v38, v56
	v_add_u32_e32 v23, v2, v42
	v_add_u32_e32 v34, v36, v55
	v_cndmask_b32_e64 v2, 0, v23, s[16:17]
	v_add_u32_e32 v32, v34, v54
	;; [unrolled: 4-line block ×3, first 2 shown]
	v_add_u32_e32 v19, v2, v42
	ds_read_b64 v[2:3], v15 offset:800
	v_add_u32_e32 v26, v28, v51
	v_add_u32_e32 v24, v26, v50
	;; [unrolled: 1-line block ×3, first 2 shown]
	v_cndmask_b32_e64 v4, 0, v19, s[20:21]
	v_add_u32_e32 v20, v22, v48
	v_add_u32_e32 v15, v4, v42
	;; [unrolled: 1-line block ×3, first 2 shown]
	v_cndmask_b32_e32 v4, 0, v15, vcc
	s_waitcnt lgkmcnt(0)
	v_cmp_eq_u32_e32 vcc, 0, v2
	v_add_u32_e32 v14, v18, v46
	v_add_u32_e32 v17, v4, v42
	v_cndmask_b32_e32 v4, 0, v6, vcc
	v_add_u32_e32 v16, v14, v45
	v_add_u32_e32 v6, v4, v3
	s_and_saveexec_b64 s[0:1], s[22:23]
	s_cbranch_execz .LBB789_93
; %bb.92:
	s_add_u32 s2, s36, 0x400
	v_and_b32_e32 v3, 0xff000000, v6
	v_and_b32_e32 v4, 0xff0000, v6
	s_addc_u32 s3, s37, 0
	v_or_b32_e32 v3, v4, v3
	v_and_b32_e32 v4, 0xff00, v6
	v_and_b32_e32 v7, 0xff, v6
	v_mov_b32_e32 v5, 0
	v_or3_b32 v3, v3, v4, v7
	v_mov_b32_e32 v4, 2
	v_pk_mov_b32 v[42:43], s[2:3], s[2:3] op_sel:[0,1]
	;;#ASMSTART
	global_store_dwordx4 v[42:43], v[2:5] off	
s_waitcnt vmcnt(0)
	;;#ASMEND
.LBB789_93:
	s_or_b64 exec, exec, s[0:1]
	v_mov_b32_e32 v4, 0
.LBB789_94:
	s_and_b64 s[0:1], s[38:39], exec
	s_cselect_b32 s1, 0, s31
	s_cselect_b32 s0, 0, s30
	s_cmp_eq_u64 s[0:1], 0
	v_pk_mov_b32 v[42:43], 0, 0
	s_waitcnt lgkmcnt(0)
	s_barrier
	s_cbranch_scc1 .LBB789_96
; %bb.95:
	v_mov_b32_e32 v3, 0
	global_load_dwordx2 v[42:43], v3, s[0:1]
.LBB789_96:
	s_waitcnt vmcnt(0)
	v_lshlrev_b64 v[58:59], 1, v[42:43]
	v_mov_b32_e32 v3, s41
	v_add_co_u32_e32 v7, vcc, s40, v58
	v_mov_b32_e32 v5, 0
	v_addc_co_u32_e32 v60, vcc, v3, v59, vcc
	v_lshlrev_b64 v[58:59], 1, v[4:5]
	v_add_co_u32_e32 v3, vcc, v7, v58
	v_addc_co_u32_e32 v7, vcc, v60, v59, vcc
	v_cmp_eq_u32_e32 vcc, 0, v57
	v_cndmask_b32_e64 v58, 1, 2, vcc
	v_cmp_eq_u32_e32 vcc, 0, v56
	v_cndmask_b32_e64 v59, 1, 2, vcc
	v_cmp_eq_u32_e32 vcc, 0, v55
	v_and_b32_e32 v58, v59, v58
	v_cndmask_b32_e64 v59, 1, 2, vcc
	v_cmp_eq_u32_e32 vcc, 0, v54
	v_and_b32_e32 v58, v58, v59
	v_cndmask_b32_e64 v59, 1, 2, vcc
	v_cmp_eq_u32_e32 vcc, 0, v53
	v_and_b32_e32 v58, v58, v59
	v_cndmask_b32_e64 v59, 1, 2, vcc
	v_cmp_eq_u32_e32 vcc, 0, v52
	v_and_b32_e32 v58, v58, v59
	v_cndmask_b32_e64 v59, 1, 2, vcc
	v_cmp_eq_u32_e32 vcc, 0, v51
	v_and_b32_e32 v58, v58, v59
	v_cndmask_b32_e64 v59, 1, 2, vcc
	v_cmp_eq_u32_e32 vcc, 0, v50
	v_and_b32_e32 v58, v58, v59
	v_cndmask_b32_e64 v59, 1, 2, vcc
	v_cmp_eq_u32_e32 vcc, 0, v49
	v_and_b32_e32 v58, v58, v59
	v_cndmask_b32_e64 v59, 1, 2, vcc
	v_cmp_eq_u32_e32 vcc, 0, v48
	v_and_b32_e32 v58, v58, v59
	v_cndmask_b32_e64 v59, 1, 2, vcc
	v_cmp_eq_u32_e32 vcc, 0, v47
	v_and_b32_e32 v58, v58, v59
	v_cndmask_b32_e64 v59, 1, 2, vcc
	v_cmp_eq_u32_e32 vcc, 0, v46
	v_and_b32_e32 v58, v58, v59
	v_cndmask_b32_e64 v59, 1, 2, vcc
	v_cmp_eq_u32_e32 vcc, 0, v45
	v_and_b32_e32 v58, v58, v59
	v_cndmask_b32_e64 v59, 1, 2, vcc
	v_cmp_eq_u32_e32 vcc, 0, v44
	v_and_b32_e32 v58, v58, v59
	v_cndmask_b32_e64 v59, 1, 2, vcc
	s_movk_i32 s28, 0xc0
	v_and_b32_e32 v58, v58, v59
	v_cmp_gt_u32_e32 vcc, s28, v2
	v_cmp_ne_u32_e64 s[26:27], 0, v57
	v_cmp_ne_u32_e64 s[24:25], 0, v56
	;; [unrolled: 1-line block ×14, first 2 shown]
	s_mov_b64 s[30:31], -1
	v_cmp_gt_i16_e64 s[28:29], 2, v58
	s_cbranch_vccz .LBB789_103
; %bb.97:
	s_and_saveexec_b64 s[30:31], s[28:29]
	s_cbranch_execz .LBB789_102
; %bb.98:
	v_cmp_ne_u16_e32 vcc, 1, v58
	s_mov_b64 s[36:37], 0
	s_and_saveexec_b64 s[28:29], vcc
	s_xor_b64 s[28:29], exec, s[28:29]
	s_cbranch_execnz .LBB789_135
; %bb.99:
	s_andn2_saveexec_b64 s[28:29], s[28:29]
	s_cbranch_execnz .LBB789_150
.LBB789_100:
	s_or_b64 exec, exec, s[28:29]
	s_and_b64 exec, exec, s[36:37]
	s_cbranch_execz .LBB789_102
.LBB789_101:
	v_sub_u32_e32 v60, v16, v4
	v_mov_b32_e32 v61, 0
	v_lshlrev_b64 v[60:61], 1, v[60:61]
	v_add_co_u32_e32 v60, vcc, v3, v60
	v_addc_co_u32_e32 v61, vcc, v7, v61, vcc
	global_store_short_d16_hi v[60:61], v1, off
.LBB789_102:
	s_or_b64 exec, exec, s[30:31]
	s_mov_b64 s[30:31], 0
.LBB789_103:
	s_and_b64 vcc, exec, s[30:31]
	s_cbranch_vccz .LBB789_113
; %bb.104:
	v_cmp_gt_i16_e32 vcc, 2, v58
	s_and_saveexec_b64 s[28:29], vcc
	s_cbranch_execz .LBB789_109
; %bb.105:
	v_cmp_ne_u16_e32 vcc, 1, v58
	s_mov_b64 s[36:37], 0
	s_and_saveexec_b64 s[30:31], vcc
	s_xor_b64 s[30:31], exec, s[30:31]
	s_cbranch_execnz .LBB789_151
; %bb.106:
	s_andn2_saveexec_b64 s[0:1], s[30:31]
	s_cbranch_execnz .LBB789_166
.LBB789_107:
	s_or_b64 exec, exec, s[0:1]
	s_and_b64 exec, exec, s[36:37]
	s_cbranch_execz .LBB789_109
.LBB789_108:
	v_sub_u32_e32 v8, v16, v4
	v_lshlrev_b32_e32 v8, 1, v8
	ds_write_b16_d16_hi v8, v1
.LBB789_109:
	s_or_b64 exec, exec, s[28:29]
	v_cmp_lt_u32_e32 vcc, v0, v2
	s_waitcnt lgkmcnt(0)
	s_barrier
	s_and_saveexec_b64 s[0:1], vcc
	s_cbranch_execz .LBB789_112
; %bb.110:
	v_lshlrev_b32_e32 v1, 1, v0
	s_mov_b64 s[2:3], 0
	v_mov_b32_e32 v9, 0
	v_mov_b32_e32 v8, v0
.LBB789_111:                            ; =>This Inner Loop Header: Depth=1
	ds_read_u16 v12, v1
	v_lshlrev_b64 v[10:11], 1, v[8:9]
	v_add_co_u32_e32 v10, vcc, v3, v10
	v_add_u32_e32 v8, 0xc0, v8
	v_addc_co_u32_e32 v11, vcc, v7, v11, vcc
	v_cmp_ge_u32_e32 vcc, v8, v2
	v_add_u32_e32 v1, 0x180, v1
	s_or_b64 s[2:3], vcc, s[2:3]
	s_waitcnt lgkmcnt(0)
	global_store_short v[10:11], v12, off
	s_andn2_b64 exec, exec, s[2:3]
	s_cbranch_execnz .LBB789_111
.LBB789_112:
	s_or_b64 exec, exec, s[0:1]
.LBB789_113:
	s_cmpk_lg_i32 s33, 0xa80
	s_cselect_b64 s[0:1], -1, 0
	v_cndmask_b32_e64 v11, 0, 1, s[44:45]
	s_and_b64 s[0:1], s[34:35], s[0:1]
	v_cmp_eq_u32_e32 vcc, 0, v0
	v_sub_u32_e32 v1, v2, v11
	v_cndmask_b32_e64 v3, 0, 1, s[0:1]
	s_and_b64 s[0:1], vcc, s[44:45]
	v_add_u32_e32 v1, v1, v3
	v_cndmask_b32_e64 v3, v57, 0, s[0:1]
	s_lshr_b32 s0, s33, 1
	s_mul_hi_u32 s0, s0, 0x92492493
	s_lshr_b32 s0, s0, 2
	v_mad_i32_i24 v7, v0, -14, s33
	v_cmp_eq_u32_e32 vcc, s0, v0
	v_cmp_ne_u32_e64 s[0:1], 0, v7
	v_cndmask_b32_e64 v8, 1, v3, s[0:1]
	v_cmp_ne_u32_e64 s[0:1], 1, v7
	v_cndmask_b32_e64 v9, 1, v56, s[0:1]
	;; [unrolled: 2-line block ×13, first 2 shown]
	v_cmp_ne_u32_e64 s[0:1], 13, v7
	s_and_b64 vcc, s[34:35], vcc
	v_cndmask_b32_e64 v7, 1, v44, s[0:1]
	v_cndmask_b32_e32 v13, v53, v13, vcc
	v_cndmask_b32_e32 v12, v54, v12, vcc
	;; [unrolled: 1-line block ×5, first 2 shown]
	v_lshlrev_b64 v[8:9], 3, v[42:43]
	v_cndmask_b32_e32 v44, v44, v7, vcc
	v_cndmask_b32_e32 v45, v45, v64, vcc
	;; [unrolled: 1-line block ×9, first 2 shown]
	v_mov_b32_e32 v3, s43
	v_add_co_u32_e32 v7, vcc, s42, v8
	v_addc_co_u32_e32 v3, vcc, v3, v9, vcc
	v_lshlrev_b64 v[8:9], 3, v[4:5]
	v_add_co_u32_e32 v5, vcc, v7, v8
	v_addc_co_u32_e32 v10, vcc, v3, v9, vcc
	v_lshlrev_b32_e32 v3, 3, v11
	v_add_co_u32_e32 v3, vcc, v3, v5
	v_addc_co_u32_e32 v7, vcc, 0, v10, vcc
	v_add_co_u32_e32 v3, vcc, -8, v3
	v_addc_co_u32_e32 v7, vcc, -1, v7, vcc
	v_cmp_eq_u32_e32 vcc, 0, v55
	v_cndmask_b32_e64 v9, 1, 2, vcc
	v_cmp_eq_u32_e32 vcc, 0, v54
	v_add_u32_e32 v8, v4, v11
	v_cndmask_b32_e64 v11, 1, 2, vcc
	v_cmp_eq_u32_e32 vcc, 0, v53
	v_and_b32_e32 v9, v11, v9
	v_cndmask_b32_e64 v11, 1, 2, vcc
	v_cmp_eq_u32_e32 vcc, 0, v12
	v_and_b32_e32 v9, v9, v11
	;; [unrolled: 3-line block ×12, first 2 shown]
	v_cndmask_b32_e64 v11, 1, 2, vcc
	s_movk_i32 s28, 0xc0
	v_and_b32_e32 v9, v9, v11
	v_cmp_gt_u32_e32 vcc, s28, v1
	v_cmp_ne_u32_e64 s[26:27], 0, v55
	v_cmp_ne_u32_e64 s[24:25], 0, v54
	;; [unrolled: 1-line block ×14, first 2 shown]
	s_mov_b64 s[30:31], -1
	v_cmp_gt_i16_e64 s[28:29], 2, v9
	s_barrier
	s_cbranch_vccz .LBB789_120
; %bb.114:
	s_and_saveexec_b64 s[30:31], s[28:29]
	s_cbranch_execz .LBB789_119
; %bb.115:
	v_cmp_ne_u16_e32 vcc, 1, v9
	s_mov_b64 s[36:37], 0
	s_and_saveexec_b64 s[28:29], vcc
	s_xor_b64 s[28:29], exec, s[28:29]
	s_cbranch_execnz .LBB789_167
; %bb.116:
	s_andn2_saveexec_b64 s[28:29], s[28:29]
	s_cbranch_execnz .LBB789_182
.LBB789_117:
	s_or_b64 exec, exec, s[28:29]
	s_and_b64 exec, exec, s[36:37]
	s_cbranch_execz .LBB789_119
.LBB789_118:
	v_mov_b32_e32 v13, 0
	v_sub_u32_e32 v44, v16, v8
	v_mov_b32_e32 v45, v13
	v_lshlrev_b64 v[44:45], 3, v[44:45]
	v_add_co_u32_e32 v44, vcc, v3, v44
	v_mov_b32_e32 v12, v17
	v_addc_co_u32_e32 v45, vcc, v7, v45, vcc
	global_store_dwordx2 v[44:45], v[12:13], off
.LBB789_119:
	s_or_b64 exec, exec, s[30:31]
	s_mov_b64 s[30:31], 0
.LBB789_120:
	s_and_b64 vcc, exec, s[30:31]
	s_cbranch_vccz .LBB789_130
; %bb.121:
	v_cmp_gt_i16_e32 vcc, 2, v9
	s_and_saveexec_b64 s[28:29], vcc
	s_cbranch_execz .LBB789_126
; %bb.122:
	v_cmp_ne_u16_e32 vcc, 1, v9
	s_mov_b64 s[36:37], 0
	s_and_saveexec_b64 s[30:31], vcc
	s_xor_b64 s[30:31], exec, s[30:31]
	s_cbranch_execnz .LBB789_183
; %bb.123:
	s_andn2_saveexec_b64 s[0:1], s[30:31]
	s_cbranch_execnz .LBB789_198
.LBB789_124:
	s_or_b64 exec, exec, s[0:1]
	s_and_b64 exec, exec, s[36:37]
	s_cbranch_execz .LBB789_126
.LBB789_125:
	v_sub_u32_e32 v8, v16, v8
	v_lshlrev_b32_e32 v8, 2, v8
	ds_write_b32 v8, v17
.LBB789_126:
	s_or_b64 exec, exec, s[28:29]
	v_cmp_lt_u32_e32 vcc, v0, v1
	s_waitcnt lgkmcnt(0)
	s_barrier
	s_and_saveexec_b64 s[0:1], vcc
	s_cbranch_execz .LBB789_129
; %bb.127:
	v_lshlrev_b32_e32 v11, 2, v0
	s_mov_b64 s[2:3], 0
	v_mov_b32_e32 v9, 0
	v_mov_b32_e32 v8, v0
.LBB789_128:                            ; =>This Inner Loop Header: Depth=1
	ds_read_b32 v12, v11
	v_lshlrev_b64 v[14:15], 3, v[8:9]
	v_add_co_u32_e32 v14, vcc, v3, v14
	v_add_u32_e32 v8, 0xc0, v8
	v_addc_co_u32_e32 v15, vcc, v7, v15, vcc
	v_cmp_ge_u32_e32 vcc, v8, v1
	v_mov_b32_e32 v13, v9
	v_add_u32_e32 v11, 0x300, v11
	s_or_b64 s[2:3], vcc, s[2:3]
	s_waitcnt lgkmcnt(0)
	global_store_dwordx2 v[14:15], v[12:13], off
	s_andn2_b64 exec, exec, s[2:3]
	s_cbranch_execnz .LBB789_128
.LBB789_129:
	s_or_b64 exec, exec, s[0:1]
.LBB789_130:
	s_movk_i32 s0, 0xbf
	v_cmp_eq_u32_e32 vcc, s0, v0
	s_and_b64 s[0:1], vcc, s[34:35]
	s_and_saveexec_b64 s[2:3], s[0:1]
	s_cbranch_execz .LBB789_133
; %bb.131:
	v_add_co_u32_e32 v0, vcc, v2, v4
	v_addc_co_u32_e64 v1, s[0:1], 0, 0, vcc
	v_add_co_u32_e32 v0, vcc, v0, v42
	v_mov_b32_e32 v3, 0
	v_addc_co_u32_e32 v1, vcc, v1, v43, vcc
	s_cmpk_lg_i32 s33, 0xa80
	global_store_dwordx2 v3, v[0:1], s[46:47]
	s_cbranch_scc1 .LBB789_133
; %bb.132:
	v_lshlrev_b64 v[0:1], 3, v[2:3]
	v_add_co_u32_e32 v0, vcc, v5, v0
	v_mov_b32_e32 v7, v3
	v_addc_co_u32_e32 v1, vcc, v10, v1, vcc
	global_store_dwordx2 v[0:1], v[6:7], off offset:-8
.LBB789_133:
	s_endpgm
.LBB789_134:
	s_or_b64 exec, exec, s[2:3]
	v_mov_b32_e32 v57, s7
	s_and_saveexec_b64 s[2:3], s[10:11]
	s_cbranch_execnz .LBB789_54
	s_branch .LBB789_55
.LBB789_135:
	s_and_saveexec_b64 s[36:37], s[26:27]
	s_cbranch_execnz .LBB789_199
; %bb.136:
	s_or_b64 exec, exec, s[36:37]
	s_and_saveexec_b64 s[36:37], s[24:25]
	s_cbranch_execnz .LBB789_200
.LBB789_137:
	s_or_b64 exec, exec, s[36:37]
	s_and_saveexec_b64 s[36:37], s[22:23]
	s_cbranch_execnz .LBB789_201
.LBB789_138:
	s_or_b64 exec, exec, s[36:37]
	s_and_saveexec_b64 s[36:37], s[20:21]
	s_cbranch_execnz .LBB789_202
.LBB789_139:
	s_or_b64 exec, exec, s[36:37]
	s_and_saveexec_b64 s[36:37], s[18:19]
	s_cbranch_execnz .LBB789_203
.LBB789_140:
	s_or_b64 exec, exec, s[36:37]
	s_and_saveexec_b64 s[36:37], s[16:17]
	s_cbranch_execnz .LBB789_204
.LBB789_141:
	s_or_b64 exec, exec, s[36:37]
	s_and_saveexec_b64 s[36:37], s[14:15]
	s_cbranch_execnz .LBB789_205
.LBB789_142:
	s_or_b64 exec, exec, s[36:37]
	s_and_saveexec_b64 s[36:37], s[12:13]
	s_cbranch_execnz .LBB789_206
.LBB789_143:
	s_or_b64 exec, exec, s[36:37]
	s_and_saveexec_b64 s[36:37], s[10:11]
	s_cbranch_execnz .LBB789_207
.LBB789_144:
	s_or_b64 exec, exec, s[36:37]
	s_and_saveexec_b64 s[36:37], s[8:9]
	s_cbranch_execnz .LBB789_208
.LBB789_145:
	s_or_b64 exec, exec, s[36:37]
	s_and_saveexec_b64 s[36:37], s[6:7]
	s_cbranch_execnz .LBB789_209
.LBB789_146:
	s_or_b64 exec, exec, s[36:37]
	s_and_saveexec_b64 s[36:37], s[4:5]
	s_cbranch_execnz .LBB789_210
.LBB789_147:
	s_or_b64 exec, exec, s[36:37]
	s_and_saveexec_b64 s[36:37], s[2:3]
	s_cbranch_execz .LBB789_149
.LBB789_148:
	v_sub_u32_e32 v60, v14, v4
	v_mov_b32_e32 v61, 0
	v_lshlrev_b64 v[60:61], 1, v[60:61]
	v_add_co_u32_e32 v60, vcc, v3, v60
	v_addc_co_u32_e32 v61, vcc, v7, v61, vcc
	global_store_short v[60:61], v1, off
.LBB789_149:
	s_or_b64 exec, exec, s[36:37]
	s_and_b64 s[36:37], s[0:1], exec
	s_andn2_saveexec_b64 s[28:29], s[28:29]
	s_cbranch_execz .LBB789_100
.LBB789_150:
	v_sub_u32_e32 v60, v40, v4
	v_mov_b32_e32 v61, 0
	v_lshlrev_b64 v[62:63], 1, v[60:61]
	v_add_co_u32_e32 v62, vcc, v3, v62
	v_addc_co_u32_e32 v63, vcc, v7, v63, vcc
	v_sub_u32_e32 v60, v38, v4
	global_store_short v[62:63], v12, off
	v_lshlrev_b64 v[62:63], 1, v[60:61]
	v_add_co_u32_e32 v62, vcc, v3, v62
	v_addc_co_u32_e32 v63, vcc, v7, v63, vcc
	v_sub_u32_e32 v60, v36, v4
	global_store_short_d16_hi v[62:63], v12, off
	v_lshlrev_b64 v[62:63], 1, v[60:61]
	v_add_co_u32_e32 v62, vcc, v3, v62
	v_addc_co_u32_e32 v63, vcc, v7, v63, vcc
	v_sub_u32_e32 v60, v34, v4
	global_store_short v[62:63], v13, off
	v_lshlrev_b64 v[62:63], 1, v[60:61]
	v_add_co_u32_e32 v62, vcc, v3, v62
	v_addc_co_u32_e32 v63, vcc, v7, v63, vcc
	v_sub_u32_e32 v60, v32, v4
	global_store_short_d16_hi v[62:63], v13, off
	;; [unrolled: 10-line block ×5, first 2 shown]
	v_lshlrev_b64 v[62:63], 1, v[60:61]
	v_add_co_u32_e32 v62, vcc, v3, v62
	v_addc_co_u32_e32 v63, vcc, v7, v63, vcc
	v_sub_u32_e32 v60, v18, v4
	global_store_short v[62:63], v9, off
	v_lshlrev_b64 v[62:63], 1, v[60:61]
	v_add_co_u32_e32 v62, vcc, v3, v62
	v_sub_u32_e32 v60, v14, v4
	v_addc_co_u32_e32 v63, vcc, v7, v63, vcc
	v_lshlrev_b64 v[60:61], 1, v[60:61]
	v_add_co_u32_e32 v60, vcc, v3, v60
	v_addc_co_u32_e32 v61, vcc, v7, v61, vcc
	s_or_b64 s[36:37], s[36:37], exec
	global_store_short_d16_hi v[62:63], v9, off
	global_store_short v[60:61], v1, off
	s_or_b64 exec, exec, s[28:29]
	s_and_b64 exec, exec, s[36:37]
	s_cbranch_execnz .LBB789_101
	s_branch .LBB789_102
.LBB789_151:
	s_and_saveexec_b64 s[36:37], s[26:27]
	s_cbranch_execnz .LBB789_211
; %bb.152:
	s_or_b64 exec, exec, s[36:37]
	s_and_saveexec_b64 s[26:27], s[24:25]
	s_cbranch_execnz .LBB789_212
.LBB789_153:
	s_or_b64 exec, exec, s[26:27]
	s_and_saveexec_b64 s[24:25], s[22:23]
	s_cbranch_execnz .LBB789_213
.LBB789_154:
	s_or_b64 exec, exec, s[24:25]
	s_and_saveexec_b64 s[22:23], s[20:21]
	s_cbranch_execnz .LBB789_214
.LBB789_155:
	s_or_b64 exec, exec, s[22:23]
	s_and_saveexec_b64 s[20:21], s[18:19]
	s_cbranch_execnz .LBB789_215
.LBB789_156:
	s_or_b64 exec, exec, s[20:21]
	s_and_saveexec_b64 s[18:19], s[16:17]
	s_cbranch_execnz .LBB789_216
.LBB789_157:
	s_or_b64 exec, exec, s[18:19]
	s_and_saveexec_b64 s[16:17], s[14:15]
	s_cbranch_execnz .LBB789_217
.LBB789_158:
	s_or_b64 exec, exec, s[16:17]
	s_and_saveexec_b64 s[14:15], s[12:13]
	s_cbranch_execnz .LBB789_218
.LBB789_159:
	s_or_b64 exec, exec, s[14:15]
	s_and_saveexec_b64 s[12:13], s[10:11]
	s_cbranch_execnz .LBB789_219
.LBB789_160:
	s_or_b64 exec, exec, s[12:13]
	s_and_saveexec_b64 s[10:11], s[8:9]
	s_cbranch_execnz .LBB789_220
.LBB789_161:
	s_or_b64 exec, exec, s[10:11]
	s_and_saveexec_b64 s[8:9], s[6:7]
	s_cbranch_execnz .LBB789_221
.LBB789_162:
	s_or_b64 exec, exec, s[8:9]
	s_and_saveexec_b64 s[6:7], s[4:5]
	s_cbranch_execnz .LBB789_222
.LBB789_163:
	s_or_b64 exec, exec, s[6:7]
	s_and_saveexec_b64 s[4:5], s[2:3]
	s_cbranch_execz .LBB789_165
.LBB789_164:
	v_sub_u32_e32 v8, v14, v4
	v_lshlrev_b32_e32 v8, 1, v8
	ds_write_b16 v8, v1
.LBB789_165:
	s_or_b64 exec, exec, s[4:5]
	s_and_b64 s[36:37], s[0:1], exec
                                        ; implicit-def: $vgpr12
                                        ; implicit-def: $vgpr10
                                        ; implicit-def: $vgpr8
	s_andn2_saveexec_b64 s[0:1], s[30:31]
	s_cbranch_execz .LBB789_107
.LBB789_166:
	v_sub_u32_e32 v58, v40, v4
	v_lshlrev_b32_e32 v58, 1, v58
	ds_write_b16 v58, v12
	v_sub_u32_e32 v58, v38, v4
	v_lshlrev_b32_e32 v58, 1, v58
	ds_write_b16_d16_hi v58, v12
	v_sub_u32_e32 v12, v36, v4
	v_lshlrev_b32_e32 v12, 1, v12
	ds_write_b16 v12, v13
	v_sub_u32_e32 v12, v34, v4
	v_lshlrev_b32_e32 v12, 1, v12
	ds_write_b16_d16_hi v12, v13
	v_sub_u32_e32 v12, v32, v4
	v_lshlrev_b32_e32 v12, 1, v12
	ds_write_b16 v12, v10
	v_sub_u32_e32 v12, v30, v4
	v_lshlrev_b32_e32 v12, 1, v12
	ds_write_b16_d16_hi v12, v10
	v_sub_u32_e32 v10, v28, v4
	v_lshlrev_b32_e32 v10, 1, v10
	ds_write_b16 v10, v11
	v_sub_u32_e32 v10, v26, v4
	v_lshlrev_b32_e32 v10, 1, v10
	ds_write_b16_d16_hi v10, v11
	v_sub_u32_e32 v10, v24, v4
	v_lshlrev_b32_e32 v10, 1, v10
	ds_write_b16 v10, v8
	v_sub_u32_e32 v10, v22, v4
	v_lshlrev_b32_e32 v10, 1, v10
	ds_write_b16_d16_hi v10, v8
	v_sub_u32_e32 v8, v20, v4
	v_lshlrev_b32_e32 v8, 1, v8
	ds_write_b16 v8, v9
	v_sub_u32_e32 v8, v18, v4
	v_lshlrev_b32_e32 v8, 1, v8
	ds_write_b16_d16_hi v8, v9
	v_sub_u32_e32 v8, v14, v4
	v_lshlrev_b32_e32 v8, 1, v8
	s_or_b64 s[36:37], s[36:37], exec
	ds_write_b16 v8, v1
	s_or_b64 exec, exec, s[0:1]
	s_and_b64 exec, exec, s[36:37]
	s_cbranch_execnz .LBB789_108
	s_branch .LBB789_109
.LBB789_167:
	s_and_saveexec_b64 s[36:37], s[26:27]
	s_cbranch_execnz .LBB789_223
; %bb.168:
	s_or_b64 exec, exec, s[36:37]
	s_and_saveexec_b64 s[36:37], s[24:25]
	s_cbranch_execnz .LBB789_224
.LBB789_169:
	s_or_b64 exec, exec, s[36:37]
	s_and_saveexec_b64 s[36:37], s[22:23]
	s_cbranch_execnz .LBB789_225
.LBB789_170:
	s_or_b64 exec, exec, s[36:37]
	s_and_saveexec_b64 s[36:37], s[20:21]
	s_cbranch_execnz .LBB789_226
.LBB789_171:
	s_or_b64 exec, exec, s[36:37]
	s_and_saveexec_b64 s[36:37], s[18:19]
	s_cbranch_execnz .LBB789_227
.LBB789_172:
	s_or_b64 exec, exec, s[36:37]
	s_and_saveexec_b64 s[36:37], s[16:17]
	s_cbranch_execnz .LBB789_228
.LBB789_173:
	s_or_b64 exec, exec, s[36:37]
	s_and_saveexec_b64 s[36:37], s[14:15]
	s_cbranch_execnz .LBB789_229
.LBB789_174:
	s_or_b64 exec, exec, s[36:37]
	s_and_saveexec_b64 s[36:37], s[12:13]
	s_cbranch_execnz .LBB789_230
.LBB789_175:
	s_or_b64 exec, exec, s[36:37]
	s_and_saveexec_b64 s[36:37], s[10:11]
	s_cbranch_execnz .LBB789_231
.LBB789_176:
	s_or_b64 exec, exec, s[36:37]
	s_and_saveexec_b64 s[36:37], s[8:9]
	s_cbranch_execnz .LBB789_232
.LBB789_177:
	s_or_b64 exec, exec, s[36:37]
	s_and_saveexec_b64 s[36:37], s[6:7]
	s_cbranch_execnz .LBB789_233
.LBB789_178:
	s_or_b64 exec, exec, s[36:37]
	s_and_saveexec_b64 s[36:37], s[4:5]
	s_cbranch_execnz .LBB789_234
.LBB789_179:
	s_or_b64 exec, exec, s[36:37]
	s_and_saveexec_b64 s[36:37], s[2:3]
	s_cbranch_execz .LBB789_181
.LBB789_180:
	v_sub_u32_e32 v12, v14, v8
	v_mov_b32_e32 v13, 0
	v_lshlrev_b64 v[44:45], 3, v[12:13]
	v_add_co_u32_e32 v44, vcc, v3, v44
	v_addc_co_u32_e32 v45, vcc, v7, v45, vcc
	v_mov_b32_e32 v12, v15
	global_store_dwordx2 v[44:45], v[12:13], off
.LBB789_181:
	s_or_b64 exec, exec, s[36:37]
	s_and_b64 s[36:37], s[0:1], exec
	s_andn2_saveexec_b64 s[28:29], s[28:29]
	s_cbranch_execz .LBB789_117
.LBB789_182:
	v_mov_b32_e32 v13, 0
	v_sub_u32_e32 v44, v40, v8
	v_mov_b32_e32 v45, v13
	v_lshlrev_b64 v[44:45], 3, v[44:45]
	v_add_co_u32_e32 v44, vcc, v3, v44
	v_mov_b32_e32 v12, v41
	v_addc_co_u32_e32 v45, vcc, v7, v45, vcc
	global_store_dwordx2 v[44:45], v[12:13], off
	v_sub_u32_e32 v44, v38, v8
	v_mov_b32_e32 v45, v13
	v_lshlrev_b64 v[44:45], 3, v[44:45]
	v_add_co_u32_e32 v44, vcc, v3, v44
	v_mov_b32_e32 v12, v39
	v_addc_co_u32_e32 v45, vcc, v7, v45, vcc
	global_store_dwordx2 v[44:45], v[12:13], off
	;; [unrolled: 7-line block ×12, first 2 shown]
	v_sub_u32_e32 v44, v14, v8
	v_mov_b32_e32 v45, v13
	v_lshlrev_b64 v[44:45], 3, v[44:45]
	v_add_co_u32_e32 v44, vcc, v3, v44
	v_mov_b32_e32 v12, v15
	v_addc_co_u32_e32 v45, vcc, v7, v45, vcc
	s_or_b64 s[36:37], s[36:37], exec
	global_store_dwordx2 v[44:45], v[12:13], off
	s_or_b64 exec, exec, s[28:29]
	s_and_b64 exec, exec, s[36:37]
	s_cbranch_execnz .LBB789_118
	s_branch .LBB789_119
.LBB789_183:
	s_and_saveexec_b64 s[36:37], s[26:27]
	s_cbranch_execnz .LBB789_235
; %bb.184:
	s_or_b64 exec, exec, s[36:37]
	s_and_saveexec_b64 s[26:27], s[24:25]
	s_cbranch_execnz .LBB789_236
.LBB789_185:
	s_or_b64 exec, exec, s[26:27]
	s_and_saveexec_b64 s[24:25], s[22:23]
	s_cbranch_execnz .LBB789_237
.LBB789_186:
	s_or_b64 exec, exec, s[24:25]
	s_and_saveexec_b64 s[22:23], s[20:21]
	s_cbranch_execnz .LBB789_238
.LBB789_187:
	s_or_b64 exec, exec, s[22:23]
	s_and_saveexec_b64 s[20:21], s[18:19]
	s_cbranch_execnz .LBB789_239
.LBB789_188:
	s_or_b64 exec, exec, s[20:21]
	s_and_saveexec_b64 s[18:19], s[16:17]
	s_cbranch_execnz .LBB789_240
.LBB789_189:
	s_or_b64 exec, exec, s[18:19]
	s_and_saveexec_b64 s[16:17], s[14:15]
	s_cbranch_execnz .LBB789_241
.LBB789_190:
	s_or_b64 exec, exec, s[16:17]
	s_and_saveexec_b64 s[14:15], s[12:13]
	s_cbranch_execnz .LBB789_242
.LBB789_191:
	s_or_b64 exec, exec, s[14:15]
	s_and_saveexec_b64 s[12:13], s[10:11]
	s_cbranch_execnz .LBB789_243
.LBB789_192:
	s_or_b64 exec, exec, s[12:13]
	s_and_saveexec_b64 s[10:11], s[8:9]
	s_cbranch_execnz .LBB789_244
.LBB789_193:
	s_or_b64 exec, exec, s[10:11]
	s_and_saveexec_b64 s[8:9], s[6:7]
	s_cbranch_execnz .LBB789_245
.LBB789_194:
	s_or_b64 exec, exec, s[8:9]
	s_and_saveexec_b64 s[6:7], s[4:5]
	s_cbranch_execnz .LBB789_246
.LBB789_195:
	s_or_b64 exec, exec, s[6:7]
	s_and_saveexec_b64 s[4:5], s[2:3]
	s_cbranch_execz .LBB789_197
.LBB789_196:
	v_sub_u32_e32 v9, v14, v8
	v_lshlrev_b32_e32 v9, 2, v9
	ds_write_b32 v9, v15
.LBB789_197:
	s_or_b64 exec, exec, s[4:5]
	s_and_b64 s[36:37], s[0:1], exec
                                        ; implicit-def: $vgpr14_vgpr15
                                        ; implicit-def: $vgpr18_vgpr19
                                        ; implicit-def: $vgpr20_vgpr21
                                        ; implicit-def: $vgpr40_vgpr41
                                        ; implicit-def: $vgpr38_vgpr39
                                        ; implicit-def: $vgpr36_vgpr37
                                        ; implicit-def: $vgpr34_vgpr35
                                        ; implicit-def: $vgpr32_vgpr33
                                        ; implicit-def: $vgpr30_vgpr31
                                        ; implicit-def: $vgpr28_vgpr29
                                        ; implicit-def: $vgpr26_vgpr27
                                        ; implicit-def: $vgpr24_vgpr25
                                        ; implicit-def: $vgpr22_vgpr23
	s_andn2_saveexec_b64 s[0:1], s[30:31]
	s_cbranch_execz .LBB789_124
.LBB789_198:
	v_sub_u32_e32 v9, v40, v8
	v_lshlrev_b32_e32 v9, 2, v9
	ds_write_b32 v9, v41
	v_sub_u32_e32 v9, v38, v8
	v_lshlrev_b32_e32 v9, 2, v9
	ds_write_b32 v9, v39
	;; [unrolled: 3-line block ×12, first 2 shown]
	v_sub_u32_e32 v9, v14, v8
	v_lshlrev_b32_e32 v9, 2, v9
	s_or_b64 s[36:37], s[36:37], exec
	ds_write_b32 v9, v15
	s_or_b64 exec, exec, s[0:1]
	s_and_b64 exec, exec, s[36:37]
	s_cbranch_execnz .LBB789_125
	s_branch .LBB789_126
.LBB789_199:
	v_sub_u32_e32 v60, v40, v4
	v_mov_b32_e32 v61, 0
	v_lshlrev_b64 v[60:61], 1, v[60:61]
	v_add_co_u32_e32 v60, vcc, v3, v60
	v_addc_co_u32_e32 v61, vcc, v7, v61, vcc
	global_store_short v[60:61], v12, off
	s_or_b64 exec, exec, s[36:37]
	s_and_saveexec_b64 s[36:37], s[24:25]
	s_cbranch_execz .LBB789_137
.LBB789_200:
	v_sub_u32_e32 v60, v38, v4
	v_mov_b32_e32 v61, 0
	v_lshlrev_b64 v[60:61], 1, v[60:61]
	v_add_co_u32_e32 v60, vcc, v3, v60
	v_addc_co_u32_e32 v61, vcc, v7, v61, vcc
	global_store_short_d16_hi v[60:61], v12, off
	s_or_b64 exec, exec, s[36:37]
	s_and_saveexec_b64 s[36:37], s[22:23]
	s_cbranch_execz .LBB789_138
.LBB789_201:
	v_sub_u32_e32 v60, v36, v4
	v_mov_b32_e32 v61, 0
	v_lshlrev_b64 v[60:61], 1, v[60:61]
	v_add_co_u32_e32 v60, vcc, v3, v60
	v_addc_co_u32_e32 v61, vcc, v7, v61, vcc
	global_store_short v[60:61], v13, off
	s_or_b64 exec, exec, s[36:37]
	s_and_saveexec_b64 s[36:37], s[20:21]
	s_cbranch_execz .LBB789_139
.LBB789_202:
	v_sub_u32_e32 v60, v34, v4
	v_mov_b32_e32 v61, 0
	v_lshlrev_b64 v[60:61], 1, v[60:61]
	v_add_co_u32_e32 v60, vcc, v3, v60
	v_addc_co_u32_e32 v61, vcc, v7, v61, vcc
	global_store_short_d16_hi v[60:61], v13, off
	s_or_b64 exec, exec, s[36:37]
	s_and_saveexec_b64 s[36:37], s[18:19]
	s_cbranch_execz .LBB789_140
.LBB789_203:
	v_sub_u32_e32 v60, v32, v4
	v_mov_b32_e32 v61, 0
	v_lshlrev_b64 v[60:61], 1, v[60:61]
	v_add_co_u32_e32 v60, vcc, v3, v60
	v_addc_co_u32_e32 v61, vcc, v7, v61, vcc
	global_store_short v[60:61], v10, off
	s_or_b64 exec, exec, s[36:37]
	s_and_saveexec_b64 s[36:37], s[16:17]
	s_cbranch_execz .LBB789_141
.LBB789_204:
	v_sub_u32_e32 v60, v30, v4
	v_mov_b32_e32 v61, 0
	v_lshlrev_b64 v[60:61], 1, v[60:61]
	v_add_co_u32_e32 v60, vcc, v3, v60
	v_addc_co_u32_e32 v61, vcc, v7, v61, vcc
	global_store_short_d16_hi v[60:61], v10, off
	s_or_b64 exec, exec, s[36:37]
	s_and_saveexec_b64 s[36:37], s[14:15]
	s_cbranch_execz .LBB789_142
.LBB789_205:
	v_sub_u32_e32 v60, v28, v4
	v_mov_b32_e32 v61, 0
	v_lshlrev_b64 v[60:61], 1, v[60:61]
	v_add_co_u32_e32 v60, vcc, v3, v60
	v_addc_co_u32_e32 v61, vcc, v7, v61, vcc
	global_store_short v[60:61], v11, off
	s_or_b64 exec, exec, s[36:37]
	s_and_saveexec_b64 s[36:37], s[12:13]
	s_cbranch_execz .LBB789_143
.LBB789_206:
	v_sub_u32_e32 v60, v26, v4
	v_mov_b32_e32 v61, 0
	v_lshlrev_b64 v[60:61], 1, v[60:61]
	v_add_co_u32_e32 v60, vcc, v3, v60
	v_addc_co_u32_e32 v61, vcc, v7, v61, vcc
	global_store_short_d16_hi v[60:61], v11, off
	s_or_b64 exec, exec, s[36:37]
	s_and_saveexec_b64 s[36:37], s[10:11]
	s_cbranch_execz .LBB789_144
.LBB789_207:
	v_sub_u32_e32 v60, v24, v4
	v_mov_b32_e32 v61, 0
	v_lshlrev_b64 v[60:61], 1, v[60:61]
	v_add_co_u32_e32 v60, vcc, v3, v60
	v_addc_co_u32_e32 v61, vcc, v7, v61, vcc
	global_store_short v[60:61], v8, off
	s_or_b64 exec, exec, s[36:37]
	s_and_saveexec_b64 s[36:37], s[8:9]
	s_cbranch_execz .LBB789_145
.LBB789_208:
	v_sub_u32_e32 v60, v22, v4
	v_mov_b32_e32 v61, 0
	v_lshlrev_b64 v[60:61], 1, v[60:61]
	v_add_co_u32_e32 v60, vcc, v3, v60
	v_addc_co_u32_e32 v61, vcc, v7, v61, vcc
	global_store_short_d16_hi v[60:61], v8, off
	s_or_b64 exec, exec, s[36:37]
	s_and_saveexec_b64 s[36:37], s[6:7]
	s_cbranch_execz .LBB789_146
.LBB789_209:
	v_sub_u32_e32 v60, v20, v4
	v_mov_b32_e32 v61, 0
	v_lshlrev_b64 v[60:61], 1, v[60:61]
	v_add_co_u32_e32 v60, vcc, v3, v60
	v_addc_co_u32_e32 v61, vcc, v7, v61, vcc
	global_store_short v[60:61], v9, off
	s_or_b64 exec, exec, s[36:37]
	s_and_saveexec_b64 s[36:37], s[4:5]
	s_cbranch_execz .LBB789_147
.LBB789_210:
	v_sub_u32_e32 v60, v18, v4
	v_mov_b32_e32 v61, 0
	v_lshlrev_b64 v[60:61], 1, v[60:61]
	v_add_co_u32_e32 v60, vcc, v3, v60
	v_addc_co_u32_e32 v61, vcc, v7, v61, vcc
	global_store_short_d16_hi v[60:61], v9, off
	s_or_b64 exec, exec, s[36:37]
	s_and_saveexec_b64 s[36:37], s[2:3]
	s_cbranch_execnz .LBB789_148
	s_branch .LBB789_149
.LBB789_211:
	v_sub_u32_e32 v58, v40, v4
	v_lshlrev_b32_e32 v58, 1, v58
	ds_write_b16 v58, v12
	s_or_b64 exec, exec, s[36:37]
	s_and_saveexec_b64 s[26:27], s[24:25]
	s_cbranch_execz .LBB789_153
.LBB789_212:
	v_sub_u32_e32 v58, v38, v4
	v_lshlrev_b32_e32 v58, 1, v58
	ds_write_b16_d16_hi v58, v12
	s_or_b64 exec, exec, s[26:27]
	s_and_saveexec_b64 s[24:25], s[22:23]
	s_cbranch_execz .LBB789_154
.LBB789_213:
	v_sub_u32_e32 v12, v36, v4
	v_lshlrev_b32_e32 v12, 1, v12
	ds_write_b16 v12, v13
	s_or_b64 exec, exec, s[24:25]
	s_and_saveexec_b64 s[22:23], s[20:21]
	s_cbranch_execz .LBB789_155
.LBB789_214:
	v_sub_u32_e32 v12, v34, v4
	v_lshlrev_b32_e32 v12, 1, v12
	ds_write_b16_d16_hi v12, v13
	s_or_b64 exec, exec, s[22:23]
	s_and_saveexec_b64 s[20:21], s[18:19]
	s_cbranch_execz .LBB789_156
.LBB789_215:
	v_sub_u32_e32 v12, v32, v4
	v_lshlrev_b32_e32 v12, 1, v12
	ds_write_b16 v12, v10
	s_or_b64 exec, exec, s[20:21]
	s_and_saveexec_b64 s[18:19], s[16:17]
	s_cbranch_execz .LBB789_157
.LBB789_216:
	v_sub_u32_e32 v12, v30, v4
	v_lshlrev_b32_e32 v12, 1, v12
	ds_write_b16_d16_hi v12, v10
	s_or_b64 exec, exec, s[18:19]
	s_and_saveexec_b64 s[16:17], s[14:15]
	s_cbranch_execz .LBB789_158
.LBB789_217:
	v_sub_u32_e32 v10, v28, v4
	v_lshlrev_b32_e32 v10, 1, v10
	ds_write_b16 v10, v11
	s_or_b64 exec, exec, s[16:17]
	s_and_saveexec_b64 s[14:15], s[12:13]
	s_cbranch_execz .LBB789_159
.LBB789_218:
	v_sub_u32_e32 v10, v26, v4
	v_lshlrev_b32_e32 v10, 1, v10
	ds_write_b16_d16_hi v10, v11
	s_or_b64 exec, exec, s[14:15]
	s_and_saveexec_b64 s[12:13], s[10:11]
	s_cbranch_execz .LBB789_160
.LBB789_219:
	v_sub_u32_e32 v10, v24, v4
	v_lshlrev_b32_e32 v10, 1, v10
	ds_write_b16 v10, v8
	s_or_b64 exec, exec, s[12:13]
	s_and_saveexec_b64 s[10:11], s[8:9]
	s_cbranch_execz .LBB789_161
.LBB789_220:
	v_sub_u32_e32 v10, v22, v4
	v_lshlrev_b32_e32 v10, 1, v10
	ds_write_b16_d16_hi v10, v8
	s_or_b64 exec, exec, s[10:11]
	s_and_saveexec_b64 s[8:9], s[6:7]
	s_cbranch_execz .LBB789_162
.LBB789_221:
	v_sub_u32_e32 v8, v20, v4
	v_lshlrev_b32_e32 v8, 1, v8
	ds_write_b16 v8, v9
	s_or_b64 exec, exec, s[8:9]
	s_and_saveexec_b64 s[6:7], s[4:5]
	s_cbranch_execz .LBB789_163
.LBB789_222:
	v_sub_u32_e32 v8, v18, v4
	v_lshlrev_b32_e32 v8, 1, v8
	ds_write_b16_d16_hi v8, v9
	s_or_b64 exec, exec, s[6:7]
	s_and_saveexec_b64 s[4:5], s[2:3]
	s_cbranch_execnz .LBB789_164
	s_branch .LBB789_165
.LBB789_223:
	v_sub_u32_e32 v12, v40, v8
	v_mov_b32_e32 v13, 0
	v_lshlrev_b64 v[44:45], 3, v[12:13]
	v_add_co_u32_e32 v44, vcc, v3, v44
	v_addc_co_u32_e32 v45, vcc, v7, v45, vcc
	v_mov_b32_e32 v12, v41
	global_store_dwordx2 v[44:45], v[12:13], off
	s_or_b64 exec, exec, s[36:37]
	s_and_saveexec_b64 s[36:37], s[24:25]
	s_cbranch_execz .LBB789_169
.LBB789_224:
	v_sub_u32_e32 v12, v38, v8
	v_mov_b32_e32 v13, 0
	v_lshlrev_b64 v[44:45], 3, v[12:13]
	v_add_co_u32_e32 v44, vcc, v3, v44
	v_addc_co_u32_e32 v45, vcc, v7, v45, vcc
	v_mov_b32_e32 v12, v39
	global_store_dwordx2 v[44:45], v[12:13], off
	s_or_b64 exec, exec, s[36:37]
	s_and_saveexec_b64 s[36:37], s[22:23]
	s_cbranch_execz .LBB789_170
.LBB789_225:
	v_sub_u32_e32 v12, v36, v8
	v_mov_b32_e32 v13, 0
	v_lshlrev_b64 v[44:45], 3, v[12:13]
	v_add_co_u32_e32 v44, vcc, v3, v44
	v_addc_co_u32_e32 v45, vcc, v7, v45, vcc
	v_mov_b32_e32 v12, v37
	global_store_dwordx2 v[44:45], v[12:13], off
	s_or_b64 exec, exec, s[36:37]
	s_and_saveexec_b64 s[36:37], s[20:21]
	s_cbranch_execz .LBB789_171
.LBB789_226:
	v_sub_u32_e32 v12, v34, v8
	v_mov_b32_e32 v13, 0
	v_lshlrev_b64 v[44:45], 3, v[12:13]
	v_add_co_u32_e32 v44, vcc, v3, v44
	v_addc_co_u32_e32 v45, vcc, v7, v45, vcc
	v_mov_b32_e32 v12, v35
	global_store_dwordx2 v[44:45], v[12:13], off
	s_or_b64 exec, exec, s[36:37]
	s_and_saveexec_b64 s[36:37], s[18:19]
	s_cbranch_execz .LBB789_172
.LBB789_227:
	v_sub_u32_e32 v12, v32, v8
	v_mov_b32_e32 v13, 0
	v_lshlrev_b64 v[44:45], 3, v[12:13]
	v_add_co_u32_e32 v44, vcc, v3, v44
	v_addc_co_u32_e32 v45, vcc, v7, v45, vcc
	v_mov_b32_e32 v12, v33
	global_store_dwordx2 v[44:45], v[12:13], off
	s_or_b64 exec, exec, s[36:37]
	s_and_saveexec_b64 s[36:37], s[16:17]
	s_cbranch_execz .LBB789_173
.LBB789_228:
	v_sub_u32_e32 v12, v30, v8
	v_mov_b32_e32 v13, 0
	v_lshlrev_b64 v[44:45], 3, v[12:13]
	v_add_co_u32_e32 v44, vcc, v3, v44
	v_addc_co_u32_e32 v45, vcc, v7, v45, vcc
	v_mov_b32_e32 v12, v31
	global_store_dwordx2 v[44:45], v[12:13], off
	s_or_b64 exec, exec, s[36:37]
	s_and_saveexec_b64 s[36:37], s[14:15]
	s_cbranch_execz .LBB789_174
.LBB789_229:
	v_sub_u32_e32 v12, v28, v8
	v_mov_b32_e32 v13, 0
	v_lshlrev_b64 v[44:45], 3, v[12:13]
	v_add_co_u32_e32 v44, vcc, v3, v44
	v_addc_co_u32_e32 v45, vcc, v7, v45, vcc
	v_mov_b32_e32 v12, v29
	global_store_dwordx2 v[44:45], v[12:13], off
	s_or_b64 exec, exec, s[36:37]
	s_and_saveexec_b64 s[36:37], s[12:13]
	s_cbranch_execz .LBB789_175
.LBB789_230:
	v_sub_u32_e32 v12, v26, v8
	v_mov_b32_e32 v13, 0
	v_lshlrev_b64 v[44:45], 3, v[12:13]
	v_add_co_u32_e32 v44, vcc, v3, v44
	v_addc_co_u32_e32 v45, vcc, v7, v45, vcc
	v_mov_b32_e32 v12, v27
	global_store_dwordx2 v[44:45], v[12:13], off
	s_or_b64 exec, exec, s[36:37]
	s_and_saveexec_b64 s[36:37], s[10:11]
	s_cbranch_execz .LBB789_176
.LBB789_231:
	v_sub_u32_e32 v12, v24, v8
	v_mov_b32_e32 v13, 0
	v_lshlrev_b64 v[44:45], 3, v[12:13]
	v_add_co_u32_e32 v44, vcc, v3, v44
	v_addc_co_u32_e32 v45, vcc, v7, v45, vcc
	v_mov_b32_e32 v12, v25
	global_store_dwordx2 v[44:45], v[12:13], off
	s_or_b64 exec, exec, s[36:37]
	s_and_saveexec_b64 s[36:37], s[8:9]
	s_cbranch_execz .LBB789_177
.LBB789_232:
	v_sub_u32_e32 v12, v22, v8
	v_mov_b32_e32 v13, 0
	v_lshlrev_b64 v[44:45], 3, v[12:13]
	v_add_co_u32_e32 v44, vcc, v3, v44
	v_addc_co_u32_e32 v45, vcc, v7, v45, vcc
	v_mov_b32_e32 v12, v23
	global_store_dwordx2 v[44:45], v[12:13], off
	s_or_b64 exec, exec, s[36:37]
	s_and_saveexec_b64 s[36:37], s[6:7]
	s_cbranch_execz .LBB789_178
.LBB789_233:
	v_sub_u32_e32 v12, v20, v8
	v_mov_b32_e32 v13, 0
	v_lshlrev_b64 v[44:45], 3, v[12:13]
	v_add_co_u32_e32 v44, vcc, v3, v44
	v_addc_co_u32_e32 v45, vcc, v7, v45, vcc
	v_mov_b32_e32 v12, v21
	global_store_dwordx2 v[44:45], v[12:13], off
	s_or_b64 exec, exec, s[36:37]
	s_and_saveexec_b64 s[36:37], s[4:5]
	s_cbranch_execz .LBB789_179
.LBB789_234:
	v_sub_u32_e32 v12, v18, v8
	v_mov_b32_e32 v13, 0
	v_lshlrev_b64 v[44:45], 3, v[12:13]
	v_add_co_u32_e32 v44, vcc, v3, v44
	v_addc_co_u32_e32 v45, vcc, v7, v45, vcc
	v_mov_b32_e32 v12, v19
	global_store_dwordx2 v[44:45], v[12:13], off
	s_or_b64 exec, exec, s[36:37]
	s_and_saveexec_b64 s[36:37], s[2:3]
	s_cbranch_execnz .LBB789_180
	s_branch .LBB789_181
.LBB789_235:
	v_sub_u32_e32 v9, v40, v8
	v_lshlrev_b32_e32 v9, 2, v9
	ds_write_b32 v9, v41
	s_or_b64 exec, exec, s[36:37]
	s_and_saveexec_b64 s[26:27], s[24:25]
	s_cbranch_execz .LBB789_185
.LBB789_236:
	v_sub_u32_e32 v9, v38, v8
	v_lshlrev_b32_e32 v9, 2, v9
	ds_write_b32 v9, v39
	s_or_b64 exec, exec, s[26:27]
	s_and_saveexec_b64 s[24:25], s[22:23]
	s_cbranch_execz .LBB789_186
.LBB789_237:
	v_sub_u32_e32 v9, v36, v8
	v_lshlrev_b32_e32 v9, 2, v9
	ds_write_b32 v9, v37
	s_or_b64 exec, exec, s[24:25]
	s_and_saveexec_b64 s[22:23], s[20:21]
	s_cbranch_execz .LBB789_187
.LBB789_238:
	v_sub_u32_e32 v9, v34, v8
	v_lshlrev_b32_e32 v9, 2, v9
	ds_write_b32 v9, v35
	s_or_b64 exec, exec, s[22:23]
	s_and_saveexec_b64 s[20:21], s[18:19]
	s_cbranch_execz .LBB789_188
.LBB789_239:
	v_sub_u32_e32 v9, v32, v8
	v_lshlrev_b32_e32 v9, 2, v9
	ds_write_b32 v9, v33
	s_or_b64 exec, exec, s[20:21]
	s_and_saveexec_b64 s[18:19], s[16:17]
	s_cbranch_execz .LBB789_189
.LBB789_240:
	v_sub_u32_e32 v9, v30, v8
	v_lshlrev_b32_e32 v9, 2, v9
	ds_write_b32 v9, v31
	s_or_b64 exec, exec, s[18:19]
	s_and_saveexec_b64 s[16:17], s[14:15]
	s_cbranch_execz .LBB789_190
.LBB789_241:
	v_sub_u32_e32 v9, v28, v8
	v_lshlrev_b32_e32 v9, 2, v9
	ds_write_b32 v9, v29
	s_or_b64 exec, exec, s[16:17]
	s_and_saveexec_b64 s[14:15], s[12:13]
	s_cbranch_execz .LBB789_191
.LBB789_242:
	v_sub_u32_e32 v9, v26, v8
	v_lshlrev_b32_e32 v9, 2, v9
	ds_write_b32 v9, v27
	s_or_b64 exec, exec, s[14:15]
	s_and_saveexec_b64 s[12:13], s[10:11]
	s_cbranch_execz .LBB789_192
.LBB789_243:
	v_sub_u32_e32 v9, v24, v8
	v_lshlrev_b32_e32 v9, 2, v9
	ds_write_b32 v9, v25
	s_or_b64 exec, exec, s[12:13]
	s_and_saveexec_b64 s[10:11], s[8:9]
	s_cbranch_execz .LBB789_193
.LBB789_244:
	v_sub_u32_e32 v9, v22, v8
	v_lshlrev_b32_e32 v9, 2, v9
	ds_write_b32 v9, v23
	s_or_b64 exec, exec, s[10:11]
	s_and_saveexec_b64 s[8:9], s[6:7]
	s_cbranch_execz .LBB789_194
.LBB789_245:
	v_sub_u32_e32 v9, v20, v8
	v_lshlrev_b32_e32 v9, 2, v9
	ds_write_b32 v9, v21
	s_or_b64 exec, exec, s[8:9]
	s_and_saveexec_b64 s[6:7], s[4:5]
	s_cbranch_execz .LBB789_195
.LBB789_246:
	v_sub_u32_e32 v9, v18, v8
	v_lshlrev_b32_e32 v9, 2, v9
	ds_write_b32 v9, v19
	s_or_b64 exec, exec, s[6:7]
	s_and_saveexec_b64 s[4:5], s[2:3]
	s_cbranch_execnz .LBB789_196
	s_branch .LBB789_197
	.section	.rodata,"a",@progbits
	.p2align	6, 0x0
	.amdhsa_kernel _ZN7rocprim17ROCPRIM_400000_NS6detail17trampoline_kernelINS0_14default_configENS1_33run_length_encode_config_selectorItjNS0_4plusIjEEEEZZNS1_33reduce_by_key_impl_wrapped_configILNS1_25lookback_scan_determinismE0ES3_S7_PKtNS0_17constant_iteratorIjlEEPtPlSF_S6_NS0_8equal_toItEEEE10hipError_tPvRmT2_T3_mT4_T5_T6_T7_T8_P12ihipStream_tbENKUlT_T0_E_clISt17integral_constantIbLb0EESZ_EEDaSU_SV_EUlSU_E_NS1_11comp_targetILNS1_3genE4ELNS1_11target_archE910ELNS1_3gpuE8ELNS1_3repE0EEENS1_30default_config_static_selectorELNS0_4arch9wavefront6targetE1EEEvT1_
		.amdhsa_group_segment_fixed_size 10752
		.amdhsa_private_segment_fixed_size 0
		.amdhsa_kernarg_size 128
		.amdhsa_user_sgpr_count 6
		.amdhsa_user_sgpr_private_segment_buffer 1
		.amdhsa_user_sgpr_dispatch_ptr 0
		.amdhsa_user_sgpr_queue_ptr 0
		.amdhsa_user_sgpr_kernarg_segment_ptr 1
		.amdhsa_user_sgpr_dispatch_id 0
		.amdhsa_user_sgpr_flat_scratch_init 0
		.amdhsa_user_sgpr_kernarg_preload_length 0
		.amdhsa_user_sgpr_kernarg_preload_offset 0
		.amdhsa_user_sgpr_private_segment_size 0
		.amdhsa_uses_dynamic_stack 0
		.amdhsa_system_sgpr_private_segment_wavefront_offset 0
		.amdhsa_system_sgpr_workgroup_id_x 1
		.amdhsa_system_sgpr_workgroup_id_y 0
		.amdhsa_system_sgpr_workgroup_id_z 0
		.amdhsa_system_sgpr_workgroup_info 0
		.amdhsa_system_vgpr_workitem_id 0
		.amdhsa_next_free_vgpr 65
		.amdhsa_next_free_sgpr 62
		.amdhsa_accum_offset 68
		.amdhsa_reserve_vcc 1
		.amdhsa_reserve_flat_scratch 0
		.amdhsa_float_round_mode_32 0
		.amdhsa_float_round_mode_16_64 0
		.amdhsa_float_denorm_mode_32 3
		.amdhsa_float_denorm_mode_16_64 3
		.amdhsa_dx10_clamp 1
		.amdhsa_ieee_mode 1
		.amdhsa_fp16_overflow 0
		.amdhsa_tg_split 0
		.amdhsa_exception_fp_ieee_invalid_op 0
		.amdhsa_exception_fp_denorm_src 0
		.amdhsa_exception_fp_ieee_div_zero 0
		.amdhsa_exception_fp_ieee_overflow 0
		.amdhsa_exception_fp_ieee_underflow 0
		.amdhsa_exception_fp_ieee_inexact 0
		.amdhsa_exception_int_div_zero 0
	.end_amdhsa_kernel
	.section	.text._ZN7rocprim17ROCPRIM_400000_NS6detail17trampoline_kernelINS0_14default_configENS1_33run_length_encode_config_selectorItjNS0_4plusIjEEEEZZNS1_33reduce_by_key_impl_wrapped_configILNS1_25lookback_scan_determinismE0ES3_S7_PKtNS0_17constant_iteratorIjlEEPtPlSF_S6_NS0_8equal_toItEEEE10hipError_tPvRmT2_T3_mT4_T5_T6_T7_T8_P12ihipStream_tbENKUlT_T0_E_clISt17integral_constantIbLb0EESZ_EEDaSU_SV_EUlSU_E_NS1_11comp_targetILNS1_3genE4ELNS1_11target_archE910ELNS1_3gpuE8ELNS1_3repE0EEENS1_30default_config_static_selectorELNS0_4arch9wavefront6targetE1EEEvT1_,"axG",@progbits,_ZN7rocprim17ROCPRIM_400000_NS6detail17trampoline_kernelINS0_14default_configENS1_33run_length_encode_config_selectorItjNS0_4plusIjEEEEZZNS1_33reduce_by_key_impl_wrapped_configILNS1_25lookback_scan_determinismE0ES3_S7_PKtNS0_17constant_iteratorIjlEEPtPlSF_S6_NS0_8equal_toItEEEE10hipError_tPvRmT2_T3_mT4_T5_T6_T7_T8_P12ihipStream_tbENKUlT_T0_E_clISt17integral_constantIbLb0EESZ_EEDaSU_SV_EUlSU_E_NS1_11comp_targetILNS1_3genE4ELNS1_11target_archE910ELNS1_3gpuE8ELNS1_3repE0EEENS1_30default_config_static_selectorELNS0_4arch9wavefront6targetE1EEEvT1_,comdat
.Lfunc_end789:
	.size	_ZN7rocprim17ROCPRIM_400000_NS6detail17trampoline_kernelINS0_14default_configENS1_33run_length_encode_config_selectorItjNS0_4plusIjEEEEZZNS1_33reduce_by_key_impl_wrapped_configILNS1_25lookback_scan_determinismE0ES3_S7_PKtNS0_17constant_iteratorIjlEEPtPlSF_S6_NS0_8equal_toItEEEE10hipError_tPvRmT2_T3_mT4_T5_T6_T7_T8_P12ihipStream_tbENKUlT_T0_E_clISt17integral_constantIbLb0EESZ_EEDaSU_SV_EUlSU_E_NS1_11comp_targetILNS1_3genE4ELNS1_11target_archE910ELNS1_3gpuE8ELNS1_3repE0EEENS1_30default_config_static_selectorELNS0_4arch9wavefront6targetE1EEEvT1_, .Lfunc_end789-_ZN7rocprim17ROCPRIM_400000_NS6detail17trampoline_kernelINS0_14default_configENS1_33run_length_encode_config_selectorItjNS0_4plusIjEEEEZZNS1_33reduce_by_key_impl_wrapped_configILNS1_25lookback_scan_determinismE0ES3_S7_PKtNS0_17constant_iteratorIjlEEPtPlSF_S6_NS0_8equal_toItEEEE10hipError_tPvRmT2_T3_mT4_T5_T6_T7_T8_P12ihipStream_tbENKUlT_T0_E_clISt17integral_constantIbLb0EESZ_EEDaSU_SV_EUlSU_E_NS1_11comp_targetILNS1_3genE4ELNS1_11target_archE910ELNS1_3gpuE8ELNS1_3repE0EEENS1_30default_config_static_selectorELNS0_4arch9wavefront6targetE1EEEvT1_
                                        ; -- End function
	.section	.AMDGPU.csdata,"",@progbits
; Kernel info:
; codeLenInByte = 13300
; NumSgprs: 66
; NumVgprs: 65
; NumAgprs: 0
; TotalNumVgprs: 65
; ScratchSize: 0
; MemoryBound: 0
; FloatMode: 240
; IeeeMode: 1
; LDSByteSize: 10752 bytes/workgroup (compile time only)
; SGPRBlocks: 8
; VGPRBlocks: 8
; NumSGPRsForWavesPerEU: 66
; NumVGPRsForWavesPerEU: 65
; AccumOffset: 68
; Occupancy: 5
; WaveLimiterHint : 1
; COMPUTE_PGM_RSRC2:SCRATCH_EN: 0
; COMPUTE_PGM_RSRC2:USER_SGPR: 6
; COMPUTE_PGM_RSRC2:TRAP_HANDLER: 0
; COMPUTE_PGM_RSRC2:TGID_X_EN: 1
; COMPUTE_PGM_RSRC2:TGID_Y_EN: 0
; COMPUTE_PGM_RSRC2:TGID_Z_EN: 0
; COMPUTE_PGM_RSRC2:TIDIG_COMP_CNT: 0
; COMPUTE_PGM_RSRC3_GFX90A:ACCUM_OFFSET: 16
; COMPUTE_PGM_RSRC3_GFX90A:TG_SPLIT: 0
	.section	.text._ZN7rocprim17ROCPRIM_400000_NS6detail17trampoline_kernelINS0_14default_configENS1_33run_length_encode_config_selectorItjNS0_4plusIjEEEEZZNS1_33reduce_by_key_impl_wrapped_configILNS1_25lookback_scan_determinismE0ES3_S7_PKtNS0_17constant_iteratorIjlEEPtPlSF_S6_NS0_8equal_toItEEEE10hipError_tPvRmT2_T3_mT4_T5_T6_T7_T8_P12ihipStream_tbENKUlT_T0_E_clISt17integral_constantIbLb0EESZ_EEDaSU_SV_EUlSU_E_NS1_11comp_targetILNS1_3genE3ELNS1_11target_archE908ELNS1_3gpuE7ELNS1_3repE0EEENS1_30default_config_static_selectorELNS0_4arch9wavefront6targetE1EEEvT1_,"axG",@progbits,_ZN7rocprim17ROCPRIM_400000_NS6detail17trampoline_kernelINS0_14default_configENS1_33run_length_encode_config_selectorItjNS0_4plusIjEEEEZZNS1_33reduce_by_key_impl_wrapped_configILNS1_25lookback_scan_determinismE0ES3_S7_PKtNS0_17constant_iteratorIjlEEPtPlSF_S6_NS0_8equal_toItEEEE10hipError_tPvRmT2_T3_mT4_T5_T6_T7_T8_P12ihipStream_tbENKUlT_T0_E_clISt17integral_constantIbLb0EESZ_EEDaSU_SV_EUlSU_E_NS1_11comp_targetILNS1_3genE3ELNS1_11target_archE908ELNS1_3gpuE7ELNS1_3repE0EEENS1_30default_config_static_selectorELNS0_4arch9wavefront6targetE1EEEvT1_,comdat
	.protected	_ZN7rocprim17ROCPRIM_400000_NS6detail17trampoline_kernelINS0_14default_configENS1_33run_length_encode_config_selectorItjNS0_4plusIjEEEEZZNS1_33reduce_by_key_impl_wrapped_configILNS1_25lookback_scan_determinismE0ES3_S7_PKtNS0_17constant_iteratorIjlEEPtPlSF_S6_NS0_8equal_toItEEEE10hipError_tPvRmT2_T3_mT4_T5_T6_T7_T8_P12ihipStream_tbENKUlT_T0_E_clISt17integral_constantIbLb0EESZ_EEDaSU_SV_EUlSU_E_NS1_11comp_targetILNS1_3genE3ELNS1_11target_archE908ELNS1_3gpuE7ELNS1_3repE0EEENS1_30default_config_static_selectorELNS0_4arch9wavefront6targetE1EEEvT1_ ; -- Begin function _ZN7rocprim17ROCPRIM_400000_NS6detail17trampoline_kernelINS0_14default_configENS1_33run_length_encode_config_selectorItjNS0_4plusIjEEEEZZNS1_33reduce_by_key_impl_wrapped_configILNS1_25lookback_scan_determinismE0ES3_S7_PKtNS0_17constant_iteratorIjlEEPtPlSF_S6_NS0_8equal_toItEEEE10hipError_tPvRmT2_T3_mT4_T5_T6_T7_T8_P12ihipStream_tbENKUlT_T0_E_clISt17integral_constantIbLb0EESZ_EEDaSU_SV_EUlSU_E_NS1_11comp_targetILNS1_3genE3ELNS1_11target_archE908ELNS1_3gpuE7ELNS1_3repE0EEENS1_30default_config_static_selectorELNS0_4arch9wavefront6targetE1EEEvT1_
	.globl	_ZN7rocprim17ROCPRIM_400000_NS6detail17trampoline_kernelINS0_14default_configENS1_33run_length_encode_config_selectorItjNS0_4plusIjEEEEZZNS1_33reduce_by_key_impl_wrapped_configILNS1_25lookback_scan_determinismE0ES3_S7_PKtNS0_17constant_iteratorIjlEEPtPlSF_S6_NS0_8equal_toItEEEE10hipError_tPvRmT2_T3_mT4_T5_T6_T7_T8_P12ihipStream_tbENKUlT_T0_E_clISt17integral_constantIbLb0EESZ_EEDaSU_SV_EUlSU_E_NS1_11comp_targetILNS1_3genE3ELNS1_11target_archE908ELNS1_3gpuE7ELNS1_3repE0EEENS1_30default_config_static_selectorELNS0_4arch9wavefront6targetE1EEEvT1_
	.p2align	8
	.type	_ZN7rocprim17ROCPRIM_400000_NS6detail17trampoline_kernelINS0_14default_configENS1_33run_length_encode_config_selectorItjNS0_4plusIjEEEEZZNS1_33reduce_by_key_impl_wrapped_configILNS1_25lookback_scan_determinismE0ES3_S7_PKtNS0_17constant_iteratorIjlEEPtPlSF_S6_NS0_8equal_toItEEEE10hipError_tPvRmT2_T3_mT4_T5_T6_T7_T8_P12ihipStream_tbENKUlT_T0_E_clISt17integral_constantIbLb0EESZ_EEDaSU_SV_EUlSU_E_NS1_11comp_targetILNS1_3genE3ELNS1_11target_archE908ELNS1_3gpuE7ELNS1_3repE0EEENS1_30default_config_static_selectorELNS0_4arch9wavefront6targetE1EEEvT1_,@function
_ZN7rocprim17ROCPRIM_400000_NS6detail17trampoline_kernelINS0_14default_configENS1_33run_length_encode_config_selectorItjNS0_4plusIjEEEEZZNS1_33reduce_by_key_impl_wrapped_configILNS1_25lookback_scan_determinismE0ES3_S7_PKtNS0_17constant_iteratorIjlEEPtPlSF_S6_NS0_8equal_toItEEEE10hipError_tPvRmT2_T3_mT4_T5_T6_T7_T8_P12ihipStream_tbENKUlT_T0_E_clISt17integral_constantIbLb0EESZ_EEDaSU_SV_EUlSU_E_NS1_11comp_targetILNS1_3genE3ELNS1_11target_archE908ELNS1_3gpuE7ELNS1_3repE0EEENS1_30default_config_static_selectorELNS0_4arch9wavefront6targetE1EEEvT1_: ; @_ZN7rocprim17ROCPRIM_400000_NS6detail17trampoline_kernelINS0_14default_configENS1_33run_length_encode_config_selectorItjNS0_4plusIjEEEEZZNS1_33reduce_by_key_impl_wrapped_configILNS1_25lookback_scan_determinismE0ES3_S7_PKtNS0_17constant_iteratorIjlEEPtPlSF_S6_NS0_8equal_toItEEEE10hipError_tPvRmT2_T3_mT4_T5_T6_T7_T8_P12ihipStream_tbENKUlT_T0_E_clISt17integral_constantIbLb0EESZ_EEDaSU_SV_EUlSU_E_NS1_11comp_targetILNS1_3genE3ELNS1_11target_archE908ELNS1_3gpuE7ELNS1_3repE0EEENS1_30default_config_static_selectorELNS0_4arch9wavefront6targetE1EEEvT1_
; %bb.0:
	.section	.rodata,"a",@progbits
	.p2align	6, 0x0
	.amdhsa_kernel _ZN7rocprim17ROCPRIM_400000_NS6detail17trampoline_kernelINS0_14default_configENS1_33run_length_encode_config_selectorItjNS0_4plusIjEEEEZZNS1_33reduce_by_key_impl_wrapped_configILNS1_25lookback_scan_determinismE0ES3_S7_PKtNS0_17constant_iteratorIjlEEPtPlSF_S6_NS0_8equal_toItEEEE10hipError_tPvRmT2_T3_mT4_T5_T6_T7_T8_P12ihipStream_tbENKUlT_T0_E_clISt17integral_constantIbLb0EESZ_EEDaSU_SV_EUlSU_E_NS1_11comp_targetILNS1_3genE3ELNS1_11target_archE908ELNS1_3gpuE7ELNS1_3repE0EEENS1_30default_config_static_selectorELNS0_4arch9wavefront6targetE1EEEvT1_
		.amdhsa_group_segment_fixed_size 0
		.amdhsa_private_segment_fixed_size 0
		.amdhsa_kernarg_size 128
		.amdhsa_user_sgpr_count 6
		.amdhsa_user_sgpr_private_segment_buffer 1
		.amdhsa_user_sgpr_dispatch_ptr 0
		.amdhsa_user_sgpr_queue_ptr 0
		.amdhsa_user_sgpr_kernarg_segment_ptr 1
		.amdhsa_user_sgpr_dispatch_id 0
		.amdhsa_user_sgpr_flat_scratch_init 0
		.amdhsa_user_sgpr_kernarg_preload_length 0
		.amdhsa_user_sgpr_kernarg_preload_offset 0
		.amdhsa_user_sgpr_private_segment_size 0
		.amdhsa_uses_dynamic_stack 0
		.amdhsa_system_sgpr_private_segment_wavefront_offset 0
		.amdhsa_system_sgpr_workgroup_id_x 1
		.amdhsa_system_sgpr_workgroup_id_y 0
		.amdhsa_system_sgpr_workgroup_id_z 0
		.amdhsa_system_sgpr_workgroup_info 0
		.amdhsa_system_vgpr_workitem_id 0
		.amdhsa_next_free_vgpr 1
		.amdhsa_next_free_sgpr 0
		.amdhsa_accum_offset 4
		.amdhsa_reserve_vcc 0
		.amdhsa_reserve_flat_scratch 0
		.amdhsa_float_round_mode_32 0
		.amdhsa_float_round_mode_16_64 0
		.amdhsa_float_denorm_mode_32 3
		.amdhsa_float_denorm_mode_16_64 3
		.amdhsa_dx10_clamp 1
		.amdhsa_ieee_mode 1
		.amdhsa_fp16_overflow 0
		.amdhsa_tg_split 0
		.amdhsa_exception_fp_ieee_invalid_op 0
		.amdhsa_exception_fp_denorm_src 0
		.amdhsa_exception_fp_ieee_div_zero 0
		.amdhsa_exception_fp_ieee_overflow 0
		.amdhsa_exception_fp_ieee_underflow 0
		.amdhsa_exception_fp_ieee_inexact 0
		.amdhsa_exception_int_div_zero 0
	.end_amdhsa_kernel
	.section	.text._ZN7rocprim17ROCPRIM_400000_NS6detail17trampoline_kernelINS0_14default_configENS1_33run_length_encode_config_selectorItjNS0_4plusIjEEEEZZNS1_33reduce_by_key_impl_wrapped_configILNS1_25lookback_scan_determinismE0ES3_S7_PKtNS0_17constant_iteratorIjlEEPtPlSF_S6_NS0_8equal_toItEEEE10hipError_tPvRmT2_T3_mT4_T5_T6_T7_T8_P12ihipStream_tbENKUlT_T0_E_clISt17integral_constantIbLb0EESZ_EEDaSU_SV_EUlSU_E_NS1_11comp_targetILNS1_3genE3ELNS1_11target_archE908ELNS1_3gpuE7ELNS1_3repE0EEENS1_30default_config_static_selectorELNS0_4arch9wavefront6targetE1EEEvT1_,"axG",@progbits,_ZN7rocprim17ROCPRIM_400000_NS6detail17trampoline_kernelINS0_14default_configENS1_33run_length_encode_config_selectorItjNS0_4plusIjEEEEZZNS1_33reduce_by_key_impl_wrapped_configILNS1_25lookback_scan_determinismE0ES3_S7_PKtNS0_17constant_iteratorIjlEEPtPlSF_S6_NS0_8equal_toItEEEE10hipError_tPvRmT2_T3_mT4_T5_T6_T7_T8_P12ihipStream_tbENKUlT_T0_E_clISt17integral_constantIbLb0EESZ_EEDaSU_SV_EUlSU_E_NS1_11comp_targetILNS1_3genE3ELNS1_11target_archE908ELNS1_3gpuE7ELNS1_3repE0EEENS1_30default_config_static_selectorELNS0_4arch9wavefront6targetE1EEEvT1_,comdat
.Lfunc_end790:
	.size	_ZN7rocprim17ROCPRIM_400000_NS6detail17trampoline_kernelINS0_14default_configENS1_33run_length_encode_config_selectorItjNS0_4plusIjEEEEZZNS1_33reduce_by_key_impl_wrapped_configILNS1_25lookback_scan_determinismE0ES3_S7_PKtNS0_17constant_iteratorIjlEEPtPlSF_S6_NS0_8equal_toItEEEE10hipError_tPvRmT2_T3_mT4_T5_T6_T7_T8_P12ihipStream_tbENKUlT_T0_E_clISt17integral_constantIbLb0EESZ_EEDaSU_SV_EUlSU_E_NS1_11comp_targetILNS1_3genE3ELNS1_11target_archE908ELNS1_3gpuE7ELNS1_3repE0EEENS1_30default_config_static_selectorELNS0_4arch9wavefront6targetE1EEEvT1_, .Lfunc_end790-_ZN7rocprim17ROCPRIM_400000_NS6detail17trampoline_kernelINS0_14default_configENS1_33run_length_encode_config_selectorItjNS0_4plusIjEEEEZZNS1_33reduce_by_key_impl_wrapped_configILNS1_25lookback_scan_determinismE0ES3_S7_PKtNS0_17constant_iteratorIjlEEPtPlSF_S6_NS0_8equal_toItEEEE10hipError_tPvRmT2_T3_mT4_T5_T6_T7_T8_P12ihipStream_tbENKUlT_T0_E_clISt17integral_constantIbLb0EESZ_EEDaSU_SV_EUlSU_E_NS1_11comp_targetILNS1_3genE3ELNS1_11target_archE908ELNS1_3gpuE7ELNS1_3repE0EEENS1_30default_config_static_selectorELNS0_4arch9wavefront6targetE1EEEvT1_
                                        ; -- End function
	.section	.AMDGPU.csdata,"",@progbits
; Kernel info:
; codeLenInByte = 0
; NumSgprs: 4
; NumVgprs: 0
; NumAgprs: 0
; TotalNumVgprs: 0
; ScratchSize: 0
; MemoryBound: 0
; FloatMode: 240
; IeeeMode: 1
; LDSByteSize: 0 bytes/workgroup (compile time only)
; SGPRBlocks: 0
; VGPRBlocks: 0
; NumSGPRsForWavesPerEU: 4
; NumVGPRsForWavesPerEU: 1
; AccumOffset: 4
; Occupancy: 8
; WaveLimiterHint : 0
; COMPUTE_PGM_RSRC2:SCRATCH_EN: 0
; COMPUTE_PGM_RSRC2:USER_SGPR: 6
; COMPUTE_PGM_RSRC2:TRAP_HANDLER: 0
; COMPUTE_PGM_RSRC2:TGID_X_EN: 1
; COMPUTE_PGM_RSRC2:TGID_Y_EN: 0
; COMPUTE_PGM_RSRC2:TGID_Z_EN: 0
; COMPUTE_PGM_RSRC2:TIDIG_COMP_CNT: 0
; COMPUTE_PGM_RSRC3_GFX90A:ACCUM_OFFSET: 0
; COMPUTE_PGM_RSRC3_GFX90A:TG_SPLIT: 0
	.section	.text._ZN7rocprim17ROCPRIM_400000_NS6detail17trampoline_kernelINS0_14default_configENS1_33run_length_encode_config_selectorItjNS0_4plusIjEEEEZZNS1_33reduce_by_key_impl_wrapped_configILNS1_25lookback_scan_determinismE0ES3_S7_PKtNS0_17constant_iteratorIjlEEPtPlSF_S6_NS0_8equal_toItEEEE10hipError_tPvRmT2_T3_mT4_T5_T6_T7_T8_P12ihipStream_tbENKUlT_T0_E_clISt17integral_constantIbLb0EESZ_EEDaSU_SV_EUlSU_E_NS1_11comp_targetILNS1_3genE2ELNS1_11target_archE906ELNS1_3gpuE6ELNS1_3repE0EEENS1_30default_config_static_selectorELNS0_4arch9wavefront6targetE1EEEvT1_,"axG",@progbits,_ZN7rocprim17ROCPRIM_400000_NS6detail17trampoline_kernelINS0_14default_configENS1_33run_length_encode_config_selectorItjNS0_4plusIjEEEEZZNS1_33reduce_by_key_impl_wrapped_configILNS1_25lookback_scan_determinismE0ES3_S7_PKtNS0_17constant_iteratorIjlEEPtPlSF_S6_NS0_8equal_toItEEEE10hipError_tPvRmT2_T3_mT4_T5_T6_T7_T8_P12ihipStream_tbENKUlT_T0_E_clISt17integral_constantIbLb0EESZ_EEDaSU_SV_EUlSU_E_NS1_11comp_targetILNS1_3genE2ELNS1_11target_archE906ELNS1_3gpuE6ELNS1_3repE0EEENS1_30default_config_static_selectorELNS0_4arch9wavefront6targetE1EEEvT1_,comdat
	.protected	_ZN7rocprim17ROCPRIM_400000_NS6detail17trampoline_kernelINS0_14default_configENS1_33run_length_encode_config_selectorItjNS0_4plusIjEEEEZZNS1_33reduce_by_key_impl_wrapped_configILNS1_25lookback_scan_determinismE0ES3_S7_PKtNS0_17constant_iteratorIjlEEPtPlSF_S6_NS0_8equal_toItEEEE10hipError_tPvRmT2_T3_mT4_T5_T6_T7_T8_P12ihipStream_tbENKUlT_T0_E_clISt17integral_constantIbLb0EESZ_EEDaSU_SV_EUlSU_E_NS1_11comp_targetILNS1_3genE2ELNS1_11target_archE906ELNS1_3gpuE6ELNS1_3repE0EEENS1_30default_config_static_selectorELNS0_4arch9wavefront6targetE1EEEvT1_ ; -- Begin function _ZN7rocprim17ROCPRIM_400000_NS6detail17trampoline_kernelINS0_14default_configENS1_33run_length_encode_config_selectorItjNS0_4plusIjEEEEZZNS1_33reduce_by_key_impl_wrapped_configILNS1_25lookback_scan_determinismE0ES3_S7_PKtNS0_17constant_iteratorIjlEEPtPlSF_S6_NS0_8equal_toItEEEE10hipError_tPvRmT2_T3_mT4_T5_T6_T7_T8_P12ihipStream_tbENKUlT_T0_E_clISt17integral_constantIbLb0EESZ_EEDaSU_SV_EUlSU_E_NS1_11comp_targetILNS1_3genE2ELNS1_11target_archE906ELNS1_3gpuE6ELNS1_3repE0EEENS1_30default_config_static_selectorELNS0_4arch9wavefront6targetE1EEEvT1_
	.globl	_ZN7rocprim17ROCPRIM_400000_NS6detail17trampoline_kernelINS0_14default_configENS1_33run_length_encode_config_selectorItjNS0_4plusIjEEEEZZNS1_33reduce_by_key_impl_wrapped_configILNS1_25lookback_scan_determinismE0ES3_S7_PKtNS0_17constant_iteratorIjlEEPtPlSF_S6_NS0_8equal_toItEEEE10hipError_tPvRmT2_T3_mT4_T5_T6_T7_T8_P12ihipStream_tbENKUlT_T0_E_clISt17integral_constantIbLb0EESZ_EEDaSU_SV_EUlSU_E_NS1_11comp_targetILNS1_3genE2ELNS1_11target_archE906ELNS1_3gpuE6ELNS1_3repE0EEENS1_30default_config_static_selectorELNS0_4arch9wavefront6targetE1EEEvT1_
	.p2align	8
	.type	_ZN7rocprim17ROCPRIM_400000_NS6detail17trampoline_kernelINS0_14default_configENS1_33run_length_encode_config_selectorItjNS0_4plusIjEEEEZZNS1_33reduce_by_key_impl_wrapped_configILNS1_25lookback_scan_determinismE0ES3_S7_PKtNS0_17constant_iteratorIjlEEPtPlSF_S6_NS0_8equal_toItEEEE10hipError_tPvRmT2_T3_mT4_T5_T6_T7_T8_P12ihipStream_tbENKUlT_T0_E_clISt17integral_constantIbLb0EESZ_EEDaSU_SV_EUlSU_E_NS1_11comp_targetILNS1_3genE2ELNS1_11target_archE906ELNS1_3gpuE6ELNS1_3repE0EEENS1_30default_config_static_selectorELNS0_4arch9wavefront6targetE1EEEvT1_,@function
_ZN7rocprim17ROCPRIM_400000_NS6detail17trampoline_kernelINS0_14default_configENS1_33run_length_encode_config_selectorItjNS0_4plusIjEEEEZZNS1_33reduce_by_key_impl_wrapped_configILNS1_25lookback_scan_determinismE0ES3_S7_PKtNS0_17constant_iteratorIjlEEPtPlSF_S6_NS0_8equal_toItEEEE10hipError_tPvRmT2_T3_mT4_T5_T6_T7_T8_P12ihipStream_tbENKUlT_T0_E_clISt17integral_constantIbLb0EESZ_EEDaSU_SV_EUlSU_E_NS1_11comp_targetILNS1_3genE2ELNS1_11target_archE906ELNS1_3gpuE6ELNS1_3repE0EEENS1_30default_config_static_selectorELNS0_4arch9wavefront6targetE1EEEvT1_: ; @_ZN7rocprim17ROCPRIM_400000_NS6detail17trampoline_kernelINS0_14default_configENS1_33run_length_encode_config_selectorItjNS0_4plusIjEEEEZZNS1_33reduce_by_key_impl_wrapped_configILNS1_25lookback_scan_determinismE0ES3_S7_PKtNS0_17constant_iteratorIjlEEPtPlSF_S6_NS0_8equal_toItEEEE10hipError_tPvRmT2_T3_mT4_T5_T6_T7_T8_P12ihipStream_tbENKUlT_T0_E_clISt17integral_constantIbLb0EESZ_EEDaSU_SV_EUlSU_E_NS1_11comp_targetILNS1_3genE2ELNS1_11target_archE906ELNS1_3gpuE6ELNS1_3repE0EEENS1_30default_config_static_selectorELNS0_4arch9wavefront6targetE1EEEvT1_
; %bb.0:
	.section	.rodata,"a",@progbits
	.p2align	6, 0x0
	.amdhsa_kernel _ZN7rocprim17ROCPRIM_400000_NS6detail17trampoline_kernelINS0_14default_configENS1_33run_length_encode_config_selectorItjNS0_4plusIjEEEEZZNS1_33reduce_by_key_impl_wrapped_configILNS1_25lookback_scan_determinismE0ES3_S7_PKtNS0_17constant_iteratorIjlEEPtPlSF_S6_NS0_8equal_toItEEEE10hipError_tPvRmT2_T3_mT4_T5_T6_T7_T8_P12ihipStream_tbENKUlT_T0_E_clISt17integral_constantIbLb0EESZ_EEDaSU_SV_EUlSU_E_NS1_11comp_targetILNS1_3genE2ELNS1_11target_archE906ELNS1_3gpuE6ELNS1_3repE0EEENS1_30default_config_static_selectorELNS0_4arch9wavefront6targetE1EEEvT1_
		.amdhsa_group_segment_fixed_size 0
		.amdhsa_private_segment_fixed_size 0
		.amdhsa_kernarg_size 128
		.amdhsa_user_sgpr_count 6
		.amdhsa_user_sgpr_private_segment_buffer 1
		.amdhsa_user_sgpr_dispatch_ptr 0
		.amdhsa_user_sgpr_queue_ptr 0
		.amdhsa_user_sgpr_kernarg_segment_ptr 1
		.amdhsa_user_sgpr_dispatch_id 0
		.amdhsa_user_sgpr_flat_scratch_init 0
		.amdhsa_user_sgpr_kernarg_preload_length 0
		.amdhsa_user_sgpr_kernarg_preload_offset 0
		.amdhsa_user_sgpr_private_segment_size 0
		.amdhsa_uses_dynamic_stack 0
		.amdhsa_system_sgpr_private_segment_wavefront_offset 0
		.amdhsa_system_sgpr_workgroup_id_x 1
		.amdhsa_system_sgpr_workgroup_id_y 0
		.amdhsa_system_sgpr_workgroup_id_z 0
		.amdhsa_system_sgpr_workgroup_info 0
		.amdhsa_system_vgpr_workitem_id 0
		.amdhsa_next_free_vgpr 1
		.amdhsa_next_free_sgpr 0
		.amdhsa_accum_offset 4
		.amdhsa_reserve_vcc 0
		.amdhsa_reserve_flat_scratch 0
		.amdhsa_float_round_mode_32 0
		.amdhsa_float_round_mode_16_64 0
		.amdhsa_float_denorm_mode_32 3
		.amdhsa_float_denorm_mode_16_64 3
		.amdhsa_dx10_clamp 1
		.amdhsa_ieee_mode 1
		.amdhsa_fp16_overflow 0
		.amdhsa_tg_split 0
		.amdhsa_exception_fp_ieee_invalid_op 0
		.amdhsa_exception_fp_denorm_src 0
		.amdhsa_exception_fp_ieee_div_zero 0
		.amdhsa_exception_fp_ieee_overflow 0
		.amdhsa_exception_fp_ieee_underflow 0
		.amdhsa_exception_fp_ieee_inexact 0
		.amdhsa_exception_int_div_zero 0
	.end_amdhsa_kernel
	.section	.text._ZN7rocprim17ROCPRIM_400000_NS6detail17trampoline_kernelINS0_14default_configENS1_33run_length_encode_config_selectorItjNS0_4plusIjEEEEZZNS1_33reduce_by_key_impl_wrapped_configILNS1_25lookback_scan_determinismE0ES3_S7_PKtNS0_17constant_iteratorIjlEEPtPlSF_S6_NS0_8equal_toItEEEE10hipError_tPvRmT2_T3_mT4_T5_T6_T7_T8_P12ihipStream_tbENKUlT_T0_E_clISt17integral_constantIbLb0EESZ_EEDaSU_SV_EUlSU_E_NS1_11comp_targetILNS1_3genE2ELNS1_11target_archE906ELNS1_3gpuE6ELNS1_3repE0EEENS1_30default_config_static_selectorELNS0_4arch9wavefront6targetE1EEEvT1_,"axG",@progbits,_ZN7rocprim17ROCPRIM_400000_NS6detail17trampoline_kernelINS0_14default_configENS1_33run_length_encode_config_selectorItjNS0_4plusIjEEEEZZNS1_33reduce_by_key_impl_wrapped_configILNS1_25lookback_scan_determinismE0ES3_S7_PKtNS0_17constant_iteratorIjlEEPtPlSF_S6_NS0_8equal_toItEEEE10hipError_tPvRmT2_T3_mT4_T5_T6_T7_T8_P12ihipStream_tbENKUlT_T0_E_clISt17integral_constantIbLb0EESZ_EEDaSU_SV_EUlSU_E_NS1_11comp_targetILNS1_3genE2ELNS1_11target_archE906ELNS1_3gpuE6ELNS1_3repE0EEENS1_30default_config_static_selectorELNS0_4arch9wavefront6targetE1EEEvT1_,comdat
.Lfunc_end791:
	.size	_ZN7rocprim17ROCPRIM_400000_NS6detail17trampoline_kernelINS0_14default_configENS1_33run_length_encode_config_selectorItjNS0_4plusIjEEEEZZNS1_33reduce_by_key_impl_wrapped_configILNS1_25lookback_scan_determinismE0ES3_S7_PKtNS0_17constant_iteratorIjlEEPtPlSF_S6_NS0_8equal_toItEEEE10hipError_tPvRmT2_T3_mT4_T5_T6_T7_T8_P12ihipStream_tbENKUlT_T0_E_clISt17integral_constantIbLb0EESZ_EEDaSU_SV_EUlSU_E_NS1_11comp_targetILNS1_3genE2ELNS1_11target_archE906ELNS1_3gpuE6ELNS1_3repE0EEENS1_30default_config_static_selectorELNS0_4arch9wavefront6targetE1EEEvT1_, .Lfunc_end791-_ZN7rocprim17ROCPRIM_400000_NS6detail17trampoline_kernelINS0_14default_configENS1_33run_length_encode_config_selectorItjNS0_4plusIjEEEEZZNS1_33reduce_by_key_impl_wrapped_configILNS1_25lookback_scan_determinismE0ES3_S7_PKtNS0_17constant_iteratorIjlEEPtPlSF_S6_NS0_8equal_toItEEEE10hipError_tPvRmT2_T3_mT4_T5_T6_T7_T8_P12ihipStream_tbENKUlT_T0_E_clISt17integral_constantIbLb0EESZ_EEDaSU_SV_EUlSU_E_NS1_11comp_targetILNS1_3genE2ELNS1_11target_archE906ELNS1_3gpuE6ELNS1_3repE0EEENS1_30default_config_static_selectorELNS0_4arch9wavefront6targetE1EEEvT1_
                                        ; -- End function
	.section	.AMDGPU.csdata,"",@progbits
; Kernel info:
; codeLenInByte = 0
; NumSgprs: 4
; NumVgprs: 0
; NumAgprs: 0
; TotalNumVgprs: 0
; ScratchSize: 0
; MemoryBound: 0
; FloatMode: 240
; IeeeMode: 1
; LDSByteSize: 0 bytes/workgroup (compile time only)
; SGPRBlocks: 0
; VGPRBlocks: 0
; NumSGPRsForWavesPerEU: 4
; NumVGPRsForWavesPerEU: 1
; AccumOffset: 4
; Occupancy: 8
; WaveLimiterHint : 0
; COMPUTE_PGM_RSRC2:SCRATCH_EN: 0
; COMPUTE_PGM_RSRC2:USER_SGPR: 6
; COMPUTE_PGM_RSRC2:TRAP_HANDLER: 0
; COMPUTE_PGM_RSRC2:TGID_X_EN: 1
; COMPUTE_PGM_RSRC2:TGID_Y_EN: 0
; COMPUTE_PGM_RSRC2:TGID_Z_EN: 0
; COMPUTE_PGM_RSRC2:TIDIG_COMP_CNT: 0
; COMPUTE_PGM_RSRC3_GFX90A:ACCUM_OFFSET: 0
; COMPUTE_PGM_RSRC3_GFX90A:TG_SPLIT: 0
	.section	.text._ZN7rocprim17ROCPRIM_400000_NS6detail17trampoline_kernelINS0_14default_configENS1_33run_length_encode_config_selectorItjNS0_4plusIjEEEEZZNS1_33reduce_by_key_impl_wrapped_configILNS1_25lookback_scan_determinismE0ES3_S7_PKtNS0_17constant_iteratorIjlEEPtPlSF_S6_NS0_8equal_toItEEEE10hipError_tPvRmT2_T3_mT4_T5_T6_T7_T8_P12ihipStream_tbENKUlT_T0_E_clISt17integral_constantIbLb0EESZ_EEDaSU_SV_EUlSU_E_NS1_11comp_targetILNS1_3genE10ELNS1_11target_archE1201ELNS1_3gpuE5ELNS1_3repE0EEENS1_30default_config_static_selectorELNS0_4arch9wavefront6targetE1EEEvT1_,"axG",@progbits,_ZN7rocprim17ROCPRIM_400000_NS6detail17trampoline_kernelINS0_14default_configENS1_33run_length_encode_config_selectorItjNS0_4plusIjEEEEZZNS1_33reduce_by_key_impl_wrapped_configILNS1_25lookback_scan_determinismE0ES3_S7_PKtNS0_17constant_iteratorIjlEEPtPlSF_S6_NS0_8equal_toItEEEE10hipError_tPvRmT2_T3_mT4_T5_T6_T7_T8_P12ihipStream_tbENKUlT_T0_E_clISt17integral_constantIbLb0EESZ_EEDaSU_SV_EUlSU_E_NS1_11comp_targetILNS1_3genE10ELNS1_11target_archE1201ELNS1_3gpuE5ELNS1_3repE0EEENS1_30default_config_static_selectorELNS0_4arch9wavefront6targetE1EEEvT1_,comdat
	.protected	_ZN7rocprim17ROCPRIM_400000_NS6detail17trampoline_kernelINS0_14default_configENS1_33run_length_encode_config_selectorItjNS0_4plusIjEEEEZZNS1_33reduce_by_key_impl_wrapped_configILNS1_25lookback_scan_determinismE0ES3_S7_PKtNS0_17constant_iteratorIjlEEPtPlSF_S6_NS0_8equal_toItEEEE10hipError_tPvRmT2_T3_mT4_T5_T6_T7_T8_P12ihipStream_tbENKUlT_T0_E_clISt17integral_constantIbLb0EESZ_EEDaSU_SV_EUlSU_E_NS1_11comp_targetILNS1_3genE10ELNS1_11target_archE1201ELNS1_3gpuE5ELNS1_3repE0EEENS1_30default_config_static_selectorELNS0_4arch9wavefront6targetE1EEEvT1_ ; -- Begin function _ZN7rocprim17ROCPRIM_400000_NS6detail17trampoline_kernelINS0_14default_configENS1_33run_length_encode_config_selectorItjNS0_4plusIjEEEEZZNS1_33reduce_by_key_impl_wrapped_configILNS1_25lookback_scan_determinismE0ES3_S7_PKtNS0_17constant_iteratorIjlEEPtPlSF_S6_NS0_8equal_toItEEEE10hipError_tPvRmT2_T3_mT4_T5_T6_T7_T8_P12ihipStream_tbENKUlT_T0_E_clISt17integral_constantIbLb0EESZ_EEDaSU_SV_EUlSU_E_NS1_11comp_targetILNS1_3genE10ELNS1_11target_archE1201ELNS1_3gpuE5ELNS1_3repE0EEENS1_30default_config_static_selectorELNS0_4arch9wavefront6targetE1EEEvT1_
	.globl	_ZN7rocprim17ROCPRIM_400000_NS6detail17trampoline_kernelINS0_14default_configENS1_33run_length_encode_config_selectorItjNS0_4plusIjEEEEZZNS1_33reduce_by_key_impl_wrapped_configILNS1_25lookback_scan_determinismE0ES3_S7_PKtNS0_17constant_iteratorIjlEEPtPlSF_S6_NS0_8equal_toItEEEE10hipError_tPvRmT2_T3_mT4_T5_T6_T7_T8_P12ihipStream_tbENKUlT_T0_E_clISt17integral_constantIbLb0EESZ_EEDaSU_SV_EUlSU_E_NS1_11comp_targetILNS1_3genE10ELNS1_11target_archE1201ELNS1_3gpuE5ELNS1_3repE0EEENS1_30default_config_static_selectorELNS0_4arch9wavefront6targetE1EEEvT1_
	.p2align	8
	.type	_ZN7rocprim17ROCPRIM_400000_NS6detail17trampoline_kernelINS0_14default_configENS1_33run_length_encode_config_selectorItjNS0_4plusIjEEEEZZNS1_33reduce_by_key_impl_wrapped_configILNS1_25lookback_scan_determinismE0ES3_S7_PKtNS0_17constant_iteratorIjlEEPtPlSF_S6_NS0_8equal_toItEEEE10hipError_tPvRmT2_T3_mT4_T5_T6_T7_T8_P12ihipStream_tbENKUlT_T0_E_clISt17integral_constantIbLb0EESZ_EEDaSU_SV_EUlSU_E_NS1_11comp_targetILNS1_3genE10ELNS1_11target_archE1201ELNS1_3gpuE5ELNS1_3repE0EEENS1_30default_config_static_selectorELNS0_4arch9wavefront6targetE1EEEvT1_,@function
_ZN7rocprim17ROCPRIM_400000_NS6detail17trampoline_kernelINS0_14default_configENS1_33run_length_encode_config_selectorItjNS0_4plusIjEEEEZZNS1_33reduce_by_key_impl_wrapped_configILNS1_25lookback_scan_determinismE0ES3_S7_PKtNS0_17constant_iteratorIjlEEPtPlSF_S6_NS0_8equal_toItEEEE10hipError_tPvRmT2_T3_mT4_T5_T6_T7_T8_P12ihipStream_tbENKUlT_T0_E_clISt17integral_constantIbLb0EESZ_EEDaSU_SV_EUlSU_E_NS1_11comp_targetILNS1_3genE10ELNS1_11target_archE1201ELNS1_3gpuE5ELNS1_3repE0EEENS1_30default_config_static_selectorELNS0_4arch9wavefront6targetE1EEEvT1_: ; @_ZN7rocprim17ROCPRIM_400000_NS6detail17trampoline_kernelINS0_14default_configENS1_33run_length_encode_config_selectorItjNS0_4plusIjEEEEZZNS1_33reduce_by_key_impl_wrapped_configILNS1_25lookback_scan_determinismE0ES3_S7_PKtNS0_17constant_iteratorIjlEEPtPlSF_S6_NS0_8equal_toItEEEE10hipError_tPvRmT2_T3_mT4_T5_T6_T7_T8_P12ihipStream_tbENKUlT_T0_E_clISt17integral_constantIbLb0EESZ_EEDaSU_SV_EUlSU_E_NS1_11comp_targetILNS1_3genE10ELNS1_11target_archE1201ELNS1_3gpuE5ELNS1_3repE0EEENS1_30default_config_static_selectorELNS0_4arch9wavefront6targetE1EEEvT1_
; %bb.0:
	.section	.rodata,"a",@progbits
	.p2align	6, 0x0
	.amdhsa_kernel _ZN7rocprim17ROCPRIM_400000_NS6detail17trampoline_kernelINS0_14default_configENS1_33run_length_encode_config_selectorItjNS0_4plusIjEEEEZZNS1_33reduce_by_key_impl_wrapped_configILNS1_25lookback_scan_determinismE0ES3_S7_PKtNS0_17constant_iteratorIjlEEPtPlSF_S6_NS0_8equal_toItEEEE10hipError_tPvRmT2_T3_mT4_T5_T6_T7_T8_P12ihipStream_tbENKUlT_T0_E_clISt17integral_constantIbLb0EESZ_EEDaSU_SV_EUlSU_E_NS1_11comp_targetILNS1_3genE10ELNS1_11target_archE1201ELNS1_3gpuE5ELNS1_3repE0EEENS1_30default_config_static_selectorELNS0_4arch9wavefront6targetE1EEEvT1_
		.amdhsa_group_segment_fixed_size 0
		.amdhsa_private_segment_fixed_size 0
		.amdhsa_kernarg_size 128
		.amdhsa_user_sgpr_count 6
		.amdhsa_user_sgpr_private_segment_buffer 1
		.amdhsa_user_sgpr_dispatch_ptr 0
		.amdhsa_user_sgpr_queue_ptr 0
		.amdhsa_user_sgpr_kernarg_segment_ptr 1
		.amdhsa_user_sgpr_dispatch_id 0
		.amdhsa_user_sgpr_flat_scratch_init 0
		.amdhsa_user_sgpr_kernarg_preload_length 0
		.amdhsa_user_sgpr_kernarg_preload_offset 0
		.amdhsa_user_sgpr_private_segment_size 0
		.amdhsa_uses_dynamic_stack 0
		.amdhsa_system_sgpr_private_segment_wavefront_offset 0
		.amdhsa_system_sgpr_workgroup_id_x 1
		.amdhsa_system_sgpr_workgroup_id_y 0
		.amdhsa_system_sgpr_workgroup_id_z 0
		.amdhsa_system_sgpr_workgroup_info 0
		.amdhsa_system_vgpr_workitem_id 0
		.amdhsa_next_free_vgpr 1
		.amdhsa_next_free_sgpr 0
		.amdhsa_accum_offset 4
		.amdhsa_reserve_vcc 0
		.amdhsa_reserve_flat_scratch 0
		.amdhsa_float_round_mode_32 0
		.amdhsa_float_round_mode_16_64 0
		.amdhsa_float_denorm_mode_32 3
		.amdhsa_float_denorm_mode_16_64 3
		.amdhsa_dx10_clamp 1
		.amdhsa_ieee_mode 1
		.amdhsa_fp16_overflow 0
		.amdhsa_tg_split 0
		.amdhsa_exception_fp_ieee_invalid_op 0
		.amdhsa_exception_fp_denorm_src 0
		.amdhsa_exception_fp_ieee_div_zero 0
		.amdhsa_exception_fp_ieee_overflow 0
		.amdhsa_exception_fp_ieee_underflow 0
		.amdhsa_exception_fp_ieee_inexact 0
		.amdhsa_exception_int_div_zero 0
	.end_amdhsa_kernel
	.section	.text._ZN7rocprim17ROCPRIM_400000_NS6detail17trampoline_kernelINS0_14default_configENS1_33run_length_encode_config_selectorItjNS0_4plusIjEEEEZZNS1_33reduce_by_key_impl_wrapped_configILNS1_25lookback_scan_determinismE0ES3_S7_PKtNS0_17constant_iteratorIjlEEPtPlSF_S6_NS0_8equal_toItEEEE10hipError_tPvRmT2_T3_mT4_T5_T6_T7_T8_P12ihipStream_tbENKUlT_T0_E_clISt17integral_constantIbLb0EESZ_EEDaSU_SV_EUlSU_E_NS1_11comp_targetILNS1_3genE10ELNS1_11target_archE1201ELNS1_3gpuE5ELNS1_3repE0EEENS1_30default_config_static_selectorELNS0_4arch9wavefront6targetE1EEEvT1_,"axG",@progbits,_ZN7rocprim17ROCPRIM_400000_NS6detail17trampoline_kernelINS0_14default_configENS1_33run_length_encode_config_selectorItjNS0_4plusIjEEEEZZNS1_33reduce_by_key_impl_wrapped_configILNS1_25lookback_scan_determinismE0ES3_S7_PKtNS0_17constant_iteratorIjlEEPtPlSF_S6_NS0_8equal_toItEEEE10hipError_tPvRmT2_T3_mT4_T5_T6_T7_T8_P12ihipStream_tbENKUlT_T0_E_clISt17integral_constantIbLb0EESZ_EEDaSU_SV_EUlSU_E_NS1_11comp_targetILNS1_3genE10ELNS1_11target_archE1201ELNS1_3gpuE5ELNS1_3repE0EEENS1_30default_config_static_selectorELNS0_4arch9wavefront6targetE1EEEvT1_,comdat
.Lfunc_end792:
	.size	_ZN7rocprim17ROCPRIM_400000_NS6detail17trampoline_kernelINS0_14default_configENS1_33run_length_encode_config_selectorItjNS0_4plusIjEEEEZZNS1_33reduce_by_key_impl_wrapped_configILNS1_25lookback_scan_determinismE0ES3_S7_PKtNS0_17constant_iteratorIjlEEPtPlSF_S6_NS0_8equal_toItEEEE10hipError_tPvRmT2_T3_mT4_T5_T6_T7_T8_P12ihipStream_tbENKUlT_T0_E_clISt17integral_constantIbLb0EESZ_EEDaSU_SV_EUlSU_E_NS1_11comp_targetILNS1_3genE10ELNS1_11target_archE1201ELNS1_3gpuE5ELNS1_3repE0EEENS1_30default_config_static_selectorELNS0_4arch9wavefront6targetE1EEEvT1_, .Lfunc_end792-_ZN7rocprim17ROCPRIM_400000_NS6detail17trampoline_kernelINS0_14default_configENS1_33run_length_encode_config_selectorItjNS0_4plusIjEEEEZZNS1_33reduce_by_key_impl_wrapped_configILNS1_25lookback_scan_determinismE0ES3_S7_PKtNS0_17constant_iteratorIjlEEPtPlSF_S6_NS0_8equal_toItEEEE10hipError_tPvRmT2_T3_mT4_T5_T6_T7_T8_P12ihipStream_tbENKUlT_T0_E_clISt17integral_constantIbLb0EESZ_EEDaSU_SV_EUlSU_E_NS1_11comp_targetILNS1_3genE10ELNS1_11target_archE1201ELNS1_3gpuE5ELNS1_3repE0EEENS1_30default_config_static_selectorELNS0_4arch9wavefront6targetE1EEEvT1_
                                        ; -- End function
	.section	.AMDGPU.csdata,"",@progbits
; Kernel info:
; codeLenInByte = 0
; NumSgprs: 4
; NumVgprs: 0
; NumAgprs: 0
; TotalNumVgprs: 0
; ScratchSize: 0
; MemoryBound: 0
; FloatMode: 240
; IeeeMode: 1
; LDSByteSize: 0 bytes/workgroup (compile time only)
; SGPRBlocks: 0
; VGPRBlocks: 0
; NumSGPRsForWavesPerEU: 4
; NumVGPRsForWavesPerEU: 1
; AccumOffset: 4
; Occupancy: 8
; WaveLimiterHint : 0
; COMPUTE_PGM_RSRC2:SCRATCH_EN: 0
; COMPUTE_PGM_RSRC2:USER_SGPR: 6
; COMPUTE_PGM_RSRC2:TRAP_HANDLER: 0
; COMPUTE_PGM_RSRC2:TGID_X_EN: 1
; COMPUTE_PGM_RSRC2:TGID_Y_EN: 0
; COMPUTE_PGM_RSRC2:TGID_Z_EN: 0
; COMPUTE_PGM_RSRC2:TIDIG_COMP_CNT: 0
; COMPUTE_PGM_RSRC3_GFX90A:ACCUM_OFFSET: 0
; COMPUTE_PGM_RSRC3_GFX90A:TG_SPLIT: 0
	.section	.text._ZN7rocprim17ROCPRIM_400000_NS6detail17trampoline_kernelINS0_14default_configENS1_33run_length_encode_config_selectorItjNS0_4plusIjEEEEZZNS1_33reduce_by_key_impl_wrapped_configILNS1_25lookback_scan_determinismE0ES3_S7_PKtNS0_17constant_iteratorIjlEEPtPlSF_S6_NS0_8equal_toItEEEE10hipError_tPvRmT2_T3_mT4_T5_T6_T7_T8_P12ihipStream_tbENKUlT_T0_E_clISt17integral_constantIbLb0EESZ_EEDaSU_SV_EUlSU_E_NS1_11comp_targetILNS1_3genE10ELNS1_11target_archE1200ELNS1_3gpuE4ELNS1_3repE0EEENS1_30default_config_static_selectorELNS0_4arch9wavefront6targetE1EEEvT1_,"axG",@progbits,_ZN7rocprim17ROCPRIM_400000_NS6detail17trampoline_kernelINS0_14default_configENS1_33run_length_encode_config_selectorItjNS0_4plusIjEEEEZZNS1_33reduce_by_key_impl_wrapped_configILNS1_25lookback_scan_determinismE0ES3_S7_PKtNS0_17constant_iteratorIjlEEPtPlSF_S6_NS0_8equal_toItEEEE10hipError_tPvRmT2_T3_mT4_T5_T6_T7_T8_P12ihipStream_tbENKUlT_T0_E_clISt17integral_constantIbLb0EESZ_EEDaSU_SV_EUlSU_E_NS1_11comp_targetILNS1_3genE10ELNS1_11target_archE1200ELNS1_3gpuE4ELNS1_3repE0EEENS1_30default_config_static_selectorELNS0_4arch9wavefront6targetE1EEEvT1_,comdat
	.protected	_ZN7rocprim17ROCPRIM_400000_NS6detail17trampoline_kernelINS0_14default_configENS1_33run_length_encode_config_selectorItjNS0_4plusIjEEEEZZNS1_33reduce_by_key_impl_wrapped_configILNS1_25lookback_scan_determinismE0ES3_S7_PKtNS0_17constant_iteratorIjlEEPtPlSF_S6_NS0_8equal_toItEEEE10hipError_tPvRmT2_T3_mT4_T5_T6_T7_T8_P12ihipStream_tbENKUlT_T0_E_clISt17integral_constantIbLb0EESZ_EEDaSU_SV_EUlSU_E_NS1_11comp_targetILNS1_3genE10ELNS1_11target_archE1200ELNS1_3gpuE4ELNS1_3repE0EEENS1_30default_config_static_selectorELNS0_4arch9wavefront6targetE1EEEvT1_ ; -- Begin function _ZN7rocprim17ROCPRIM_400000_NS6detail17trampoline_kernelINS0_14default_configENS1_33run_length_encode_config_selectorItjNS0_4plusIjEEEEZZNS1_33reduce_by_key_impl_wrapped_configILNS1_25lookback_scan_determinismE0ES3_S7_PKtNS0_17constant_iteratorIjlEEPtPlSF_S6_NS0_8equal_toItEEEE10hipError_tPvRmT2_T3_mT4_T5_T6_T7_T8_P12ihipStream_tbENKUlT_T0_E_clISt17integral_constantIbLb0EESZ_EEDaSU_SV_EUlSU_E_NS1_11comp_targetILNS1_3genE10ELNS1_11target_archE1200ELNS1_3gpuE4ELNS1_3repE0EEENS1_30default_config_static_selectorELNS0_4arch9wavefront6targetE1EEEvT1_
	.globl	_ZN7rocprim17ROCPRIM_400000_NS6detail17trampoline_kernelINS0_14default_configENS1_33run_length_encode_config_selectorItjNS0_4plusIjEEEEZZNS1_33reduce_by_key_impl_wrapped_configILNS1_25lookback_scan_determinismE0ES3_S7_PKtNS0_17constant_iteratorIjlEEPtPlSF_S6_NS0_8equal_toItEEEE10hipError_tPvRmT2_T3_mT4_T5_T6_T7_T8_P12ihipStream_tbENKUlT_T0_E_clISt17integral_constantIbLb0EESZ_EEDaSU_SV_EUlSU_E_NS1_11comp_targetILNS1_3genE10ELNS1_11target_archE1200ELNS1_3gpuE4ELNS1_3repE0EEENS1_30default_config_static_selectorELNS0_4arch9wavefront6targetE1EEEvT1_
	.p2align	8
	.type	_ZN7rocprim17ROCPRIM_400000_NS6detail17trampoline_kernelINS0_14default_configENS1_33run_length_encode_config_selectorItjNS0_4plusIjEEEEZZNS1_33reduce_by_key_impl_wrapped_configILNS1_25lookback_scan_determinismE0ES3_S7_PKtNS0_17constant_iteratorIjlEEPtPlSF_S6_NS0_8equal_toItEEEE10hipError_tPvRmT2_T3_mT4_T5_T6_T7_T8_P12ihipStream_tbENKUlT_T0_E_clISt17integral_constantIbLb0EESZ_EEDaSU_SV_EUlSU_E_NS1_11comp_targetILNS1_3genE10ELNS1_11target_archE1200ELNS1_3gpuE4ELNS1_3repE0EEENS1_30default_config_static_selectorELNS0_4arch9wavefront6targetE1EEEvT1_,@function
_ZN7rocprim17ROCPRIM_400000_NS6detail17trampoline_kernelINS0_14default_configENS1_33run_length_encode_config_selectorItjNS0_4plusIjEEEEZZNS1_33reduce_by_key_impl_wrapped_configILNS1_25lookback_scan_determinismE0ES3_S7_PKtNS0_17constant_iteratorIjlEEPtPlSF_S6_NS0_8equal_toItEEEE10hipError_tPvRmT2_T3_mT4_T5_T6_T7_T8_P12ihipStream_tbENKUlT_T0_E_clISt17integral_constantIbLb0EESZ_EEDaSU_SV_EUlSU_E_NS1_11comp_targetILNS1_3genE10ELNS1_11target_archE1200ELNS1_3gpuE4ELNS1_3repE0EEENS1_30default_config_static_selectorELNS0_4arch9wavefront6targetE1EEEvT1_: ; @_ZN7rocprim17ROCPRIM_400000_NS6detail17trampoline_kernelINS0_14default_configENS1_33run_length_encode_config_selectorItjNS0_4plusIjEEEEZZNS1_33reduce_by_key_impl_wrapped_configILNS1_25lookback_scan_determinismE0ES3_S7_PKtNS0_17constant_iteratorIjlEEPtPlSF_S6_NS0_8equal_toItEEEE10hipError_tPvRmT2_T3_mT4_T5_T6_T7_T8_P12ihipStream_tbENKUlT_T0_E_clISt17integral_constantIbLb0EESZ_EEDaSU_SV_EUlSU_E_NS1_11comp_targetILNS1_3genE10ELNS1_11target_archE1200ELNS1_3gpuE4ELNS1_3repE0EEENS1_30default_config_static_selectorELNS0_4arch9wavefront6targetE1EEEvT1_
; %bb.0:
	.section	.rodata,"a",@progbits
	.p2align	6, 0x0
	.amdhsa_kernel _ZN7rocprim17ROCPRIM_400000_NS6detail17trampoline_kernelINS0_14default_configENS1_33run_length_encode_config_selectorItjNS0_4plusIjEEEEZZNS1_33reduce_by_key_impl_wrapped_configILNS1_25lookback_scan_determinismE0ES3_S7_PKtNS0_17constant_iteratorIjlEEPtPlSF_S6_NS0_8equal_toItEEEE10hipError_tPvRmT2_T3_mT4_T5_T6_T7_T8_P12ihipStream_tbENKUlT_T0_E_clISt17integral_constantIbLb0EESZ_EEDaSU_SV_EUlSU_E_NS1_11comp_targetILNS1_3genE10ELNS1_11target_archE1200ELNS1_3gpuE4ELNS1_3repE0EEENS1_30default_config_static_selectorELNS0_4arch9wavefront6targetE1EEEvT1_
		.amdhsa_group_segment_fixed_size 0
		.amdhsa_private_segment_fixed_size 0
		.amdhsa_kernarg_size 128
		.amdhsa_user_sgpr_count 6
		.amdhsa_user_sgpr_private_segment_buffer 1
		.amdhsa_user_sgpr_dispatch_ptr 0
		.amdhsa_user_sgpr_queue_ptr 0
		.amdhsa_user_sgpr_kernarg_segment_ptr 1
		.amdhsa_user_sgpr_dispatch_id 0
		.amdhsa_user_sgpr_flat_scratch_init 0
		.amdhsa_user_sgpr_kernarg_preload_length 0
		.amdhsa_user_sgpr_kernarg_preload_offset 0
		.amdhsa_user_sgpr_private_segment_size 0
		.amdhsa_uses_dynamic_stack 0
		.amdhsa_system_sgpr_private_segment_wavefront_offset 0
		.amdhsa_system_sgpr_workgroup_id_x 1
		.amdhsa_system_sgpr_workgroup_id_y 0
		.amdhsa_system_sgpr_workgroup_id_z 0
		.amdhsa_system_sgpr_workgroup_info 0
		.amdhsa_system_vgpr_workitem_id 0
		.amdhsa_next_free_vgpr 1
		.amdhsa_next_free_sgpr 0
		.amdhsa_accum_offset 4
		.amdhsa_reserve_vcc 0
		.amdhsa_reserve_flat_scratch 0
		.amdhsa_float_round_mode_32 0
		.amdhsa_float_round_mode_16_64 0
		.amdhsa_float_denorm_mode_32 3
		.amdhsa_float_denorm_mode_16_64 3
		.amdhsa_dx10_clamp 1
		.amdhsa_ieee_mode 1
		.amdhsa_fp16_overflow 0
		.amdhsa_tg_split 0
		.amdhsa_exception_fp_ieee_invalid_op 0
		.amdhsa_exception_fp_denorm_src 0
		.amdhsa_exception_fp_ieee_div_zero 0
		.amdhsa_exception_fp_ieee_overflow 0
		.amdhsa_exception_fp_ieee_underflow 0
		.amdhsa_exception_fp_ieee_inexact 0
		.amdhsa_exception_int_div_zero 0
	.end_amdhsa_kernel
	.section	.text._ZN7rocprim17ROCPRIM_400000_NS6detail17trampoline_kernelINS0_14default_configENS1_33run_length_encode_config_selectorItjNS0_4plusIjEEEEZZNS1_33reduce_by_key_impl_wrapped_configILNS1_25lookback_scan_determinismE0ES3_S7_PKtNS0_17constant_iteratorIjlEEPtPlSF_S6_NS0_8equal_toItEEEE10hipError_tPvRmT2_T3_mT4_T5_T6_T7_T8_P12ihipStream_tbENKUlT_T0_E_clISt17integral_constantIbLb0EESZ_EEDaSU_SV_EUlSU_E_NS1_11comp_targetILNS1_3genE10ELNS1_11target_archE1200ELNS1_3gpuE4ELNS1_3repE0EEENS1_30default_config_static_selectorELNS0_4arch9wavefront6targetE1EEEvT1_,"axG",@progbits,_ZN7rocprim17ROCPRIM_400000_NS6detail17trampoline_kernelINS0_14default_configENS1_33run_length_encode_config_selectorItjNS0_4plusIjEEEEZZNS1_33reduce_by_key_impl_wrapped_configILNS1_25lookback_scan_determinismE0ES3_S7_PKtNS0_17constant_iteratorIjlEEPtPlSF_S6_NS0_8equal_toItEEEE10hipError_tPvRmT2_T3_mT4_T5_T6_T7_T8_P12ihipStream_tbENKUlT_T0_E_clISt17integral_constantIbLb0EESZ_EEDaSU_SV_EUlSU_E_NS1_11comp_targetILNS1_3genE10ELNS1_11target_archE1200ELNS1_3gpuE4ELNS1_3repE0EEENS1_30default_config_static_selectorELNS0_4arch9wavefront6targetE1EEEvT1_,comdat
.Lfunc_end793:
	.size	_ZN7rocprim17ROCPRIM_400000_NS6detail17trampoline_kernelINS0_14default_configENS1_33run_length_encode_config_selectorItjNS0_4plusIjEEEEZZNS1_33reduce_by_key_impl_wrapped_configILNS1_25lookback_scan_determinismE0ES3_S7_PKtNS0_17constant_iteratorIjlEEPtPlSF_S6_NS0_8equal_toItEEEE10hipError_tPvRmT2_T3_mT4_T5_T6_T7_T8_P12ihipStream_tbENKUlT_T0_E_clISt17integral_constantIbLb0EESZ_EEDaSU_SV_EUlSU_E_NS1_11comp_targetILNS1_3genE10ELNS1_11target_archE1200ELNS1_3gpuE4ELNS1_3repE0EEENS1_30default_config_static_selectorELNS0_4arch9wavefront6targetE1EEEvT1_, .Lfunc_end793-_ZN7rocprim17ROCPRIM_400000_NS6detail17trampoline_kernelINS0_14default_configENS1_33run_length_encode_config_selectorItjNS0_4plusIjEEEEZZNS1_33reduce_by_key_impl_wrapped_configILNS1_25lookback_scan_determinismE0ES3_S7_PKtNS0_17constant_iteratorIjlEEPtPlSF_S6_NS0_8equal_toItEEEE10hipError_tPvRmT2_T3_mT4_T5_T6_T7_T8_P12ihipStream_tbENKUlT_T0_E_clISt17integral_constantIbLb0EESZ_EEDaSU_SV_EUlSU_E_NS1_11comp_targetILNS1_3genE10ELNS1_11target_archE1200ELNS1_3gpuE4ELNS1_3repE0EEENS1_30default_config_static_selectorELNS0_4arch9wavefront6targetE1EEEvT1_
                                        ; -- End function
	.section	.AMDGPU.csdata,"",@progbits
; Kernel info:
; codeLenInByte = 0
; NumSgprs: 4
; NumVgprs: 0
; NumAgprs: 0
; TotalNumVgprs: 0
; ScratchSize: 0
; MemoryBound: 0
; FloatMode: 240
; IeeeMode: 1
; LDSByteSize: 0 bytes/workgroup (compile time only)
; SGPRBlocks: 0
; VGPRBlocks: 0
; NumSGPRsForWavesPerEU: 4
; NumVGPRsForWavesPerEU: 1
; AccumOffset: 4
; Occupancy: 8
; WaveLimiterHint : 0
; COMPUTE_PGM_RSRC2:SCRATCH_EN: 0
; COMPUTE_PGM_RSRC2:USER_SGPR: 6
; COMPUTE_PGM_RSRC2:TRAP_HANDLER: 0
; COMPUTE_PGM_RSRC2:TGID_X_EN: 1
; COMPUTE_PGM_RSRC2:TGID_Y_EN: 0
; COMPUTE_PGM_RSRC2:TGID_Z_EN: 0
; COMPUTE_PGM_RSRC2:TIDIG_COMP_CNT: 0
; COMPUTE_PGM_RSRC3_GFX90A:ACCUM_OFFSET: 0
; COMPUTE_PGM_RSRC3_GFX90A:TG_SPLIT: 0
	.section	.text._ZN7rocprim17ROCPRIM_400000_NS6detail17trampoline_kernelINS0_14default_configENS1_33run_length_encode_config_selectorItjNS0_4plusIjEEEEZZNS1_33reduce_by_key_impl_wrapped_configILNS1_25lookback_scan_determinismE0ES3_S7_PKtNS0_17constant_iteratorIjlEEPtPlSF_S6_NS0_8equal_toItEEEE10hipError_tPvRmT2_T3_mT4_T5_T6_T7_T8_P12ihipStream_tbENKUlT_T0_E_clISt17integral_constantIbLb0EESZ_EEDaSU_SV_EUlSU_E_NS1_11comp_targetILNS1_3genE9ELNS1_11target_archE1100ELNS1_3gpuE3ELNS1_3repE0EEENS1_30default_config_static_selectorELNS0_4arch9wavefront6targetE1EEEvT1_,"axG",@progbits,_ZN7rocprim17ROCPRIM_400000_NS6detail17trampoline_kernelINS0_14default_configENS1_33run_length_encode_config_selectorItjNS0_4plusIjEEEEZZNS1_33reduce_by_key_impl_wrapped_configILNS1_25lookback_scan_determinismE0ES3_S7_PKtNS0_17constant_iteratorIjlEEPtPlSF_S6_NS0_8equal_toItEEEE10hipError_tPvRmT2_T3_mT4_T5_T6_T7_T8_P12ihipStream_tbENKUlT_T0_E_clISt17integral_constantIbLb0EESZ_EEDaSU_SV_EUlSU_E_NS1_11comp_targetILNS1_3genE9ELNS1_11target_archE1100ELNS1_3gpuE3ELNS1_3repE0EEENS1_30default_config_static_selectorELNS0_4arch9wavefront6targetE1EEEvT1_,comdat
	.protected	_ZN7rocprim17ROCPRIM_400000_NS6detail17trampoline_kernelINS0_14default_configENS1_33run_length_encode_config_selectorItjNS0_4plusIjEEEEZZNS1_33reduce_by_key_impl_wrapped_configILNS1_25lookback_scan_determinismE0ES3_S7_PKtNS0_17constant_iteratorIjlEEPtPlSF_S6_NS0_8equal_toItEEEE10hipError_tPvRmT2_T3_mT4_T5_T6_T7_T8_P12ihipStream_tbENKUlT_T0_E_clISt17integral_constantIbLb0EESZ_EEDaSU_SV_EUlSU_E_NS1_11comp_targetILNS1_3genE9ELNS1_11target_archE1100ELNS1_3gpuE3ELNS1_3repE0EEENS1_30default_config_static_selectorELNS0_4arch9wavefront6targetE1EEEvT1_ ; -- Begin function _ZN7rocprim17ROCPRIM_400000_NS6detail17trampoline_kernelINS0_14default_configENS1_33run_length_encode_config_selectorItjNS0_4plusIjEEEEZZNS1_33reduce_by_key_impl_wrapped_configILNS1_25lookback_scan_determinismE0ES3_S7_PKtNS0_17constant_iteratorIjlEEPtPlSF_S6_NS0_8equal_toItEEEE10hipError_tPvRmT2_T3_mT4_T5_T6_T7_T8_P12ihipStream_tbENKUlT_T0_E_clISt17integral_constantIbLb0EESZ_EEDaSU_SV_EUlSU_E_NS1_11comp_targetILNS1_3genE9ELNS1_11target_archE1100ELNS1_3gpuE3ELNS1_3repE0EEENS1_30default_config_static_selectorELNS0_4arch9wavefront6targetE1EEEvT1_
	.globl	_ZN7rocprim17ROCPRIM_400000_NS6detail17trampoline_kernelINS0_14default_configENS1_33run_length_encode_config_selectorItjNS0_4plusIjEEEEZZNS1_33reduce_by_key_impl_wrapped_configILNS1_25lookback_scan_determinismE0ES3_S7_PKtNS0_17constant_iteratorIjlEEPtPlSF_S6_NS0_8equal_toItEEEE10hipError_tPvRmT2_T3_mT4_T5_T6_T7_T8_P12ihipStream_tbENKUlT_T0_E_clISt17integral_constantIbLb0EESZ_EEDaSU_SV_EUlSU_E_NS1_11comp_targetILNS1_3genE9ELNS1_11target_archE1100ELNS1_3gpuE3ELNS1_3repE0EEENS1_30default_config_static_selectorELNS0_4arch9wavefront6targetE1EEEvT1_
	.p2align	8
	.type	_ZN7rocprim17ROCPRIM_400000_NS6detail17trampoline_kernelINS0_14default_configENS1_33run_length_encode_config_selectorItjNS0_4plusIjEEEEZZNS1_33reduce_by_key_impl_wrapped_configILNS1_25lookback_scan_determinismE0ES3_S7_PKtNS0_17constant_iteratorIjlEEPtPlSF_S6_NS0_8equal_toItEEEE10hipError_tPvRmT2_T3_mT4_T5_T6_T7_T8_P12ihipStream_tbENKUlT_T0_E_clISt17integral_constantIbLb0EESZ_EEDaSU_SV_EUlSU_E_NS1_11comp_targetILNS1_3genE9ELNS1_11target_archE1100ELNS1_3gpuE3ELNS1_3repE0EEENS1_30default_config_static_selectorELNS0_4arch9wavefront6targetE1EEEvT1_,@function
_ZN7rocprim17ROCPRIM_400000_NS6detail17trampoline_kernelINS0_14default_configENS1_33run_length_encode_config_selectorItjNS0_4plusIjEEEEZZNS1_33reduce_by_key_impl_wrapped_configILNS1_25lookback_scan_determinismE0ES3_S7_PKtNS0_17constant_iteratorIjlEEPtPlSF_S6_NS0_8equal_toItEEEE10hipError_tPvRmT2_T3_mT4_T5_T6_T7_T8_P12ihipStream_tbENKUlT_T0_E_clISt17integral_constantIbLb0EESZ_EEDaSU_SV_EUlSU_E_NS1_11comp_targetILNS1_3genE9ELNS1_11target_archE1100ELNS1_3gpuE3ELNS1_3repE0EEENS1_30default_config_static_selectorELNS0_4arch9wavefront6targetE1EEEvT1_: ; @_ZN7rocprim17ROCPRIM_400000_NS6detail17trampoline_kernelINS0_14default_configENS1_33run_length_encode_config_selectorItjNS0_4plusIjEEEEZZNS1_33reduce_by_key_impl_wrapped_configILNS1_25lookback_scan_determinismE0ES3_S7_PKtNS0_17constant_iteratorIjlEEPtPlSF_S6_NS0_8equal_toItEEEE10hipError_tPvRmT2_T3_mT4_T5_T6_T7_T8_P12ihipStream_tbENKUlT_T0_E_clISt17integral_constantIbLb0EESZ_EEDaSU_SV_EUlSU_E_NS1_11comp_targetILNS1_3genE9ELNS1_11target_archE1100ELNS1_3gpuE3ELNS1_3repE0EEENS1_30default_config_static_selectorELNS0_4arch9wavefront6targetE1EEEvT1_
; %bb.0:
	.section	.rodata,"a",@progbits
	.p2align	6, 0x0
	.amdhsa_kernel _ZN7rocprim17ROCPRIM_400000_NS6detail17trampoline_kernelINS0_14default_configENS1_33run_length_encode_config_selectorItjNS0_4plusIjEEEEZZNS1_33reduce_by_key_impl_wrapped_configILNS1_25lookback_scan_determinismE0ES3_S7_PKtNS0_17constant_iteratorIjlEEPtPlSF_S6_NS0_8equal_toItEEEE10hipError_tPvRmT2_T3_mT4_T5_T6_T7_T8_P12ihipStream_tbENKUlT_T0_E_clISt17integral_constantIbLb0EESZ_EEDaSU_SV_EUlSU_E_NS1_11comp_targetILNS1_3genE9ELNS1_11target_archE1100ELNS1_3gpuE3ELNS1_3repE0EEENS1_30default_config_static_selectorELNS0_4arch9wavefront6targetE1EEEvT1_
		.amdhsa_group_segment_fixed_size 0
		.amdhsa_private_segment_fixed_size 0
		.amdhsa_kernarg_size 128
		.amdhsa_user_sgpr_count 6
		.amdhsa_user_sgpr_private_segment_buffer 1
		.amdhsa_user_sgpr_dispatch_ptr 0
		.amdhsa_user_sgpr_queue_ptr 0
		.amdhsa_user_sgpr_kernarg_segment_ptr 1
		.amdhsa_user_sgpr_dispatch_id 0
		.amdhsa_user_sgpr_flat_scratch_init 0
		.amdhsa_user_sgpr_kernarg_preload_length 0
		.amdhsa_user_sgpr_kernarg_preload_offset 0
		.amdhsa_user_sgpr_private_segment_size 0
		.amdhsa_uses_dynamic_stack 0
		.amdhsa_system_sgpr_private_segment_wavefront_offset 0
		.amdhsa_system_sgpr_workgroup_id_x 1
		.amdhsa_system_sgpr_workgroup_id_y 0
		.amdhsa_system_sgpr_workgroup_id_z 0
		.amdhsa_system_sgpr_workgroup_info 0
		.amdhsa_system_vgpr_workitem_id 0
		.amdhsa_next_free_vgpr 1
		.amdhsa_next_free_sgpr 0
		.amdhsa_accum_offset 4
		.amdhsa_reserve_vcc 0
		.amdhsa_reserve_flat_scratch 0
		.amdhsa_float_round_mode_32 0
		.amdhsa_float_round_mode_16_64 0
		.amdhsa_float_denorm_mode_32 3
		.amdhsa_float_denorm_mode_16_64 3
		.amdhsa_dx10_clamp 1
		.amdhsa_ieee_mode 1
		.amdhsa_fp16_overflow 0
		.amdhsa_tg_split 0
		.amdhsa_exception_fp_ieee_invalid_op 0
		.amdhsa_exception_fp_denorm_src 0
		.amdhsa_exception_fp_ieee_div_zero 0
		.amdhsa_exception_fp_ieee_overflow 0
		.amdhsa_exception_fp_ieee_underflow 0
		.amdhsa_exception_fp_ieee_inexact 0
		.amdhsa_exception_int_div_zero 0
	.end_amdhsa_kernel
	.section	.text._ZN7rocprim17ROCPRIM_400000_NS6detail17trampoline_kernelINS0_14default_configENS1_33run_length_encode_config_selectorItjNS0_4plusIjEEEEZZNS1_33reduce_by_key_impl_wrapped_configILNS1_25lookback_scan_determinismE0ES3_S7_PKtNS0_17constant_iteratorIjlEEPtPlSF_S6_NS0_8equal_toItEEEE10hipError_tPvRmT2_T3_mT4_T5_T6_T7_T8_P12ihipStream_tbENKUlT_T0_E_clISt17integral_constantIbLb0EESZ_EEDaSU_SV_EUlSU_E_NS1_11comp_targetILNS1_3genE9ELNS1_11target_archE1100ELNS1_3gpuE3ELNS1_3repE0EEENS1_30default_config_static_selectorELNS0_4arch9wavefront6targetE1EEEvT1_,"axG",@progbits,_ZN7rocprim17ROCPRIM_400000_NS6detail17trampoline_kernelINS0_14default_configENS1_33run_length_encode_config_selectorItjNS0_4plusIjEEEEZZNS1_33reduce_by_key_impl_wrapped_configILNS1_25lookback_scan_determinismE0ES3_S7_PKtNS0_17constant_iteratorIjlEEPtPlSF_S6_NS0_8equal_toItEEEE10hipError_tPvRmT2_T3_mT4_T5_T6_T7_T8_P12ihipStream_tbENKUlT_T0_E_clISt17integral_constantIbLb0EESZ_EEDaSU_SV_EUlSU_E_NS1_11comp_targetILNS1_3genE9ELNS1_11target_archE1100ELNS1_3gpuE3ELNS1_3repE0EEENS1_30default_config_static_selectorELNS0_4arch9wavefront6targetE1EEEvT1_,comdat
.Lfunc_end794:
	.size	_ZN7rocprim17ROCPRIM_400000_NS6detail17trampoline_kernelINS0_14default_configENS1_33run_length_encode_config_selectorItjNS0_4plusIjEEEEZZNS1_33reduce_by_key_impl_wrapped_configILNS1_25lookback_scan_determinismE0ES3_S7_PKtNS0_17constant_iteratorIjlEEPtPlSF_S6_NS0_8equal_toItEEEE10hipError_tPvRmT2_T3_mT4_T5_T6_T7_T8_P12ihipStream_tbENKUlT_T0_E_clISt17integral_constantIbLb0EESZ_EEDaSU_SV_EUlSU_E_NS1_11comp_targetILNS1_3genE9ELNS1_11target_archE1100ELNS1_3gpuE3ELNS1_3repE0EEENS1_30default_config_static_selectorELNS0_4arch9wavefront6targetE1EEEvT1_, .Lfunc_end794-_ZN7rocprim17ROCPRIM_400000_NS6detail17trampoline_kernelINS0_14default_configENS1_33run_length_encode_config_selectorItjNS0_4plusIjEEEEZZNS1_33reduce_by_key_impl_wrapped_configILNS1_25lookback_scan_determinismE0ES3_S7_PKtNS0_17constant_iteratorIjlEEPtPlSF_S6_NS0_8equal_toItEEEE10hipError_tPvRmT2_T3_mT4_T5_T6_T7_T8_P12ihipStream_tbENKUlT_T0_E_clISt17integral_constantIbLb0EESZ_EEDaSU_SV_EUlSU_E_NS1_11comp_targetILNS1_3genE9ELNS1_11target_archE1100ELNS1_3gpuE3ELNS1_3repE0EEENS1_30default_config_static_selectorELNS0_4arch9wavefront6targetE1EEEvT1_
                                        ; -- End function
	.section	.AMDGPU.csdata,"",@progbits
; Kernel info:
; codeLenInByte = 0
; NumSgprs: 4
; NumVgprs: 0
; NumAgprs: 0
; TotalNumVgprs: 0
; ScratchSize: 0
; MemoryBound: 0
; FloatMode: 240
; IeeeMode: 1
; LDSByteSize: 0 bytes/workgroup (compile time only)
; SGPRBlocks: 0
; VGPRBlocks: 0
; NumSGPRsForWavesPerEU: 4
; NumVGPRsForWavesPerEU: 1
; AccumOffset: 4
; Occupancy: 8
; WaveLimiterHint : 0
; COMPUTE_PGM_RSRC2:SCRATCH_EN: 0
; COMPUTE_PGM_RSRC2:USER_SGPR: 6
; COMPUTE_PGM_RSRC2:TRAP_HANDLER: 0
; COMPUTE_PGM_RSRC2:TGID_X_EN: 1
; COMPUTE_PGM_RSRC2:TGID_Y_EN: 0
; COMPUTE_PGM_RSRC2:TGID_Z_EN: 0
; COMPUTE_PGM_RSRC2:TIDIG_COMP_CNT: 0
; COMPUTE_PGM_RSRC3_GFX90A:ACCUM_OFFSET: 0
; COMPUTE_PGM_RSRC3_GFX90A:TG_SPLIT: 0
	.section	.text._ZN7rocprim17ROCPRIM_400000_NS6detail17trampoline_kernelINS0_14default_configENS1_33run_length_encode_config_selectorItjNS0_4plusIjEEEEZZNS1_33reduce_by_key_impl_wrapped_configILNS1_25lookback_scan_determinismE0ES3_S7_PKtNS0_17constant_iteratorIjlEEPtPlSF_S6_NS0_8equal_toItEEEE10hipError_tPvRmT2_T3_mT4_T5_T6_T7_T8_P12ihipStream_tbENKUlT_T0_E_clISt17integral_constantIbLb0EESZ_EEDaSU_SV_EUlSU_E_NS1_11comp_targetILNS1_3genE8ELNS1_11target_archE1030ELNS1_3gpuE2ELNS1_3repE0EEENS1_30default_config_static_selectorELNS0_4arch9wavefront6targetE1EEEvT1_,"axG",@progbits,_ZN7rocprim17ROCPRIM_400000_NS6detail17trampoline_kernelINS0_14default_configENS1_33run_length_encode_config_selectorItjNS0_4plusIjEEEEZZNS1_33reduce_by_key_impl_wrapped_configILNS1_25lookback_scan_determinismE0ES3_S7_PKtNS0_17constant_iteratorIjlEEPtPlSF_S6_NS0_8equal_toItEEEE10hipError_tPvRmT2_T3_mT4_T5_T6_T7_T8_P12ihipStream_tbENKUlT_T0_E_clISt17integral_constantIbLb0EESZ_EEDaSU_SV_EUlSU_E_NS1_11comp_targetILNS1_3genE8ELNS1_11target_archE1030ELNS1_3gpuE2ELNS1_3repE0EEENS1_30default_config_static_selectorELNS0_4arch9wavefront6targetE1EEEvT1_,comdat
	.protected	_ZN7rocprim17ROCPRIM_400000_NS6detail17trampoline_kernelINS0_14default_configENS1_33run_length_encode_config_selectorItjNS0_4plusIjEEEEZZNS1_33reduce_by_key_impl_wrapped_configILNS1_25lookback_scan_determinismE0ES3_S7_PKtNS0_17constant_iteratorIjlEEPtPlSF_S6_NS0_8equal_toItEEEE10hipError_tPvRmT2_T3_mT4_T5_T6_T7_T8_P12ihipStream_tbENKUlT_T0_E_clISt17integral_constantIbLb0EESZ_EEDaSU_SV_EUlSU_E_NS1_11comp_targetILNS1_3genE8ELNS1_11target_archE1030ELNS1_3gpuE2ELNS1_3repE0EEENS1_30default_config_static_selectorELNS0_4arch9wavefront6targetE1EEEvT1_ ; -- Begin function _ZN7rocprim17ROCPRIM_400000_NS6detail17trampoline_kernelINS0_14default_configENS1_33run_length_encode_config_selectorItjNS0_4plusIjEEEEZZNS1_33reduce_by_key_impl_wrapped_configILNS1_25lookback_scan_determinismE0ES3_S7_PKtNS0_17constant_iteratorIjlEEPtPlSF_S6_NS0_8equal_toItEEEE10hipError_tPvRmT2_T3_mT4_T5_T6_T7_T8_P12ihipStream_tbENKUlT_T0_E_clISt17integral_constantIbLb0EESZ_EEDaSU_SV_EUlSU_E_NS1_11comp_targetILNS1_3genE8ELNS1_11target_archE1030ELNS1_3gpuE2ELNS1_3repE0EEENS1_30default_config_static_selectorELNS0_4arch9wavefront6targetE1EEEvT1_
	.globl	_ZN7rocprim17ROCPRIM_400000_NS6detail17trampoline_kernelINS0_14default_configENS1_33run_length_encode_config_selectorItjNS0_4plusIjEEEEZZNS1_33reduce_by_key_impl_wrapped_configILNS1_25lookback_scan_determinismE0ES3_S7_PKtNS0_17constant_iteratorIjlEEPtPlSF_S6_NS0_8equal_toItEEEE10hipError_tPvRmT2_T3_mT4_T5_T6_T7_T8_P12ihipStream_tbENKUlT_T0_E_clISt17integral_constantIbLb0EESZ_EEDaSU_SV_EUlSU_E_NS1_11comp_targetILNS1_3genE8ELNS1_11target_archE1030ELNS1_3gpuE2ELNS1_3repE0EEENS1_30default_config_static_selectorELNS0_4arch9wavefront6targetE1EEEvT1_
	.p2align	8
	.type	_ZN7rocprim17ROCPRIM_400000_NS6detail17trampoline_kernelINS0_14default_configENS1_33run_length_encode_config_selectorItjNS0_4plusIjEEEEZZNS1_33reduce_by_key_impl_wrapped_configILNS1_25lookback_scan_determinismE0ES3_S7_PKtNS0_17constant_iteratorIjlEEPtPlSF_S6_NS0_8equal_toItEEEE10hipError_tPvRmT2_T3_mT4_T5_T6_T7_T8_P12ihipStream_tbENKUlT_T0_E_clISt17integral_constantIbLb0EESZ_EEDaSU_SV_EUlSU_E_NS1_11comp_targetILNS1_3genE8ELNS1_11target_archE1030ELNS1_3gpuE2ELNS1_3repE0EEENS1_30default_config_static_selectorELNS0_4arch9wavefront6targetE1EEEvT1_,@function
_ZN7rocprim17ROCPRIM_400000_NS6detail17trampoline_kernelINS0_14default_configENS1_33run_length_encode_config_selectorItjNS0_4plusIjEEEEZZNS1_33reduce_by_key_impl_wrapped_configILNS1_25lookback_scan_determinismE0ES3_S7_PKtNS0_17constant_iteratorIjlEEPtPlSF_S6_NS0_8equal_toItEEEE10hipError_tPvRmT2_T3_mT4_T5_T6_T7_T8_P12ihipStream_tbENKUlT_T0_E_clISt17integral_constantIbLb0EESZ_EEDaSU_SV_EUlSU_E_NS1_11comp_targetILNS1_3genE8ELNS1_11target_archE1030ELNS1_3gpuE2ELNS1_3repE0EEENS1_30default_config_static_selectorELNS0_4arch9wavefront6targetE1EEEvT1_: ; @_ZN7rocprim17ROCPRIM_400000_NS6detail17trampoline_kernelINS0_14default_configENS1_33run_length_encode_config_selectorItjNS0_4plusIjEEEEZZNS1_33reduce_by_key_impl_wrapped_configILNS1_25lookback_scan_determinismE0ES3_S7_PKtNS0_17constant_iteratorIjlEEPtPlSF_S6_NS0_8equal_toItEEEE10hipError_tPvRmT2_T3_mT4_T5_T6_T7_T8_P12ihipStream_tbENKUlT_T0_E_clISt17integral_constantIbLb0EESZ_EEDaSU_SV_EUlSU_E_NS1_11comp_targetILNS1_3genE8ELNS1_11target_archE1030ELNS1_3gpuE2ELNS1_3repE0EEENS1_30default_config_static_selectorELNS0_4arch9wavefront6targetE1EEEvT1_
; %bb.0:
	.section	.rodata,"a",@progbits
	.p2align	6, 0x0
	.amdhsa_kernel _ZN7rocprim17ROCPRIM_400000_NS6detail17trampoline_kernelINS0_14default_configENS1_33run_length_encode_config_selectorItjNS0_4plusIjEEEEZZNS1_33reduce_by_key_impl_wrapped_configILNS1_25lookback_scan_determinismE0ES3_S7_PKtNS0_17constant_iteratorIjlEEPtPlSF_S6_NS0_8equal_toItEEEE10hipError_tPvRmT2_T3_mT4_T5_T6_T7_T8_P12ihipStream_tbENKUlT_T0_E_clISt17integral_constantIbLb0EESZ_EEDaSU_SV_EUlSU_E_NS1_11comp_targetILNS1_3genE8ELNS1_11target_archE1030ELNS1_3gpuE2ELNS1_3repE0EEENS1_30default_config_static_selectorELNS0_4arch9wavefront6targetE1EEEvT1_
		.amdhsa_group_segment_fixed_size 0
		.amdhsa_private_segment_fixed_size 0
		.amdhsa_kernarg_size 128
		.amdhsa_user_sgpr_count 6
		.amdhsa_user_sgpr_private_segment_buffer 1
		.amdhsa_user_sgpr_dispatch_ptr 0
		.amdhsa_user_sgpr_queue_ptr 0
		.amdhsa_user_sgpr_kernarg_segment_ptr 1
		.amdhsa_user_sgpr_dispatch_id 0
		.amdhsa_user_sgpr_flat_scratch_init 0
		.amdhsa_user_sgpr_kernarg_preload_length 0
		.amdhsa_user_sgpr_kernarg_preload_offset 0
		.amdhsa_user_sgpr_private_segment_size 0
		.amdhsa_uses_dynamic_stack 0
		.amdhsa_system_sgpr_private_segment_wavefront_offset 0
		.amdhsa_system_sgpr_workgroup_id_x 1
		.amdhsa_system_sgpr_workgroup_id_y 0
		.amdhsa_system_sgpr_workgroup_id_z 0
		.amdhsa_system_sgpr_workgroup_info 0
		.amdhsa_system_vgpr_workitem_id 0
		.amdhsa_next_free_vgpr 1
		.amdhsa_next_free_sgpr 0
		.amdhsa_accum_offset 4
		.amdhsa_reserve_vcc 0
		.amdhsa_reserve_flat_scratch 0
		.amdhsa_float_round_mode_32 0
		.amdhsa_float_round_mode_16_64 0
		.amdhsa_float_denorm_mode_32 3
		.amdhsa_float_denorm_mode_16_64 3
		.amdhsa_dx10_clamp 1
		.amdhsa_ieee_mode 1
		.amdhsa_fp16_overflow 0
		.amdhsa_tg_split 0
		.amdhsa_exception_fp_ieee_invalid_op 0
		.amdhsa_exception_fp_denorm_src 0
		.amdhsa_exception_fp_ieee_div_zero 0
		.amdhsa_exception_fp_ieee_overflow 0
		.amdhsa_exception_fp_ieee_underflow 0
		.amdhsa_exception_fp_ieee_inexact 0
		.amdhsa_exception_int_div_zero 0
	.end_amdhsa_kernel
	.section	.text._ZN7rocprim17ROCPRIM_400000_NS6detail17trampoline_kernelINS0_14default_configENS1_33run_length_encode_config_selectorItjNS0_4plusIjEEEEZZNS1_33reduce_by_key_impl_wrapped_configILNS1_25lookback_scan_determinismE0ES3_S7_PKtNS0_17constant_iteratorIjlEEPtPlSF_S6_NS0_8equal_toItEEEE10hipError_tPvRmT2_T3_mT4_T5_T6_T7_T8_P12ihipStream_tbENKUlT_T0_E_clISt17integral_constantIbLb0EESZ_EEDaSU_SV_EUlSU_E_NS1_11comp_targetILNS1_3genE8ELNS1_11target_archE1030ELNS1_3gpuE2ELNS1_3repE0EEENS1_30default_config_static_selectorELNS0_4arch9wavefront6targetE1EEEvT1_,"axG",@progbits,_ZN7rocprim17ROCPRIM_400000_NS6detail17trampoline_kernelINS0_14default_configENS1_33run_length_encode_config_selectorItjNS0_4plusIjEEEEZZNS1_33reduce_by_key_impl_wrapped_configILNS1_25lookback_scan_determinismE0ES3_S7_PKtNS0_17constant_iteratorIjlEEPtPlSF_S6_NS0_8equal_toItEEEE10hipError_tPvRmT2_T3_mT4_T5_T6_T7_T8_P12ihipStream_tbENKUlT_T0_E_clISt17integral_constantIbLb0EESZ_EEDaSU_SV_EUlSU_E_NS1_11comp_targetILNS1_3genE8ELNS1_11target_archE1030ELNS1_3gpuE2ELNS1_3repE0EEENS1_30default_config_static_selectorELNS0_4arch9wavefront6targetE1EEEvT1_,comdat
.Lfunc_end795:
	.size	_ZN7rocprim17ROCPRIM_400000_NS6detail17trampoline_kernelINS0_14default_configENS1_33run_length_encode_config_selectorItjNS0_4plusIjEEEEZZNS1_33reduce_by_key_impl_wrapped_configILNS1_25lookback_scan_determinismE0ES3_S7_PKtNS0_17constant_iteratorIjlEEPtPlSF_S6_NS0_8equal_toItEEEE10hipError_tPvRmT2_T3_mT4_T5_T6_T7_T8_P12ihipStream_tbENKUlT_T0_E_clISt17integral_constantIbLb0EESZ_EEDaSU_SV_EUlSU_E_NS1_11comp_targetILNS1_3genE8ELNS1_11target_archE1030ELNS1_3gpuE2ELNS1_3repE0EEENS1_30default_config_static_selectorELNS0_4arch9wavefront6targetE1EEEvT1_, .Lfunc_end795-_ZN7rocprim17ROCPRIM_400000_NS6detail17trampoline_kernelINS0_14default_configENS1_33run_length_encode_config_selectorItjNS0_4plusIjEEEEZZNS1_33reduce_by_key_impl_wrapped_configILNS1_25lookback_scan_determinismE0ES3_S7_PKtNS0_17constant_iteratorIjlEEPtPlSF_S6_NS0_8equal_toItEEEE10hipError_tPvRmT2_T3_mT4_T5_T6_T7_T8_P12ihipStream_tbENKUlT_T0_E_clISt17integral_constantIbLb0EESZ_EEDaSU_SV_EUlSU_E_NS1_11comp_targetILNS1_3genE8ELNS1_11target_archE1030ELNS1_3gpuE2ELNS1_3repE0EEENS1_30default_config_static_selectorELNS0_4arch9wavefront6targetE1EEEvT1_
                                        ; -- End function
	.section	.AMDGPU.csdata,"",@progbits
; Kernel info:
; codeLenInByte = 0
; NumSgprs: 4
; NumVgprs: 0
; NumAgprs: 0
; TotalNumVgprs: 0
; ScratchSize: 0
; MemoryBound: 0
; FloatMode: 240
; IeeeMode: 1
; LDSByteSize: 0 bytes/workgroup (compile time only)
; SGPRBlocks: 0
; VGPRBlocks: 0
; NumSGPRsForWavesPerEU: 4
; NumVGPRsForWavesPerEU: 1
; AccumOffset: 4
; Occupancy: 8
; WaveLimiterHint : 0
; COMPUTE_PGM_RSRC2:SCRATCH_EN: 0
; COMPUTE_PGM_RSRC2:USER_SGPR: 6
; COMPUTE_PGM_RSRC2:TRAP_HANDLER: 0
; COMPUTE_PGM_RSRC2:TGID_X_EN: 1
; COMPUTE_PGM_RSRC2:TGID_Y_EN: 0
; COMPUTE_PGM_RSRC2:TGID_Z_EN: 0
; COMPUTE_PGM_RSRC2:TIDIG_COMP_CNT: 0
; COMPUTE_PGM_RSRC3_GFX90A:ACCUM_OFFSET: 0
; COMPUTE_PGM_RSRC3_GFX90A:TG_SPLIT: 0
	.section	.text._ZN7rocprim17ROCPRIM_400000_NS6detail17trampoline_kernelINS0_14default_configENS1_33run_length_encode_config_selectorItjNS0_4plusIjEEEEZZNS1_33reduce_by_key_impl_wrapped_configILNS1_25lookback_scan_determinismE0ES3_S7_PKtNS0_17constant_iteratorIjlEEPtPlSF_S6_NS0_8equal_toItEEEE10hipError_tPvRmT2_T3_mT4_T5_T6_T7_T8_P12ihipStream_tbENKUlT_T0_E_clISt17integral_constantIbLb1EESZ_EEDaSU_SV_EUlSU_E_NS1_11comp_targetILNS1_3genE0ELNS1_11target_archE4294967295ELNS1_3gpuE0ELNS1_3repE0EEENS1_30default_config_static_selectorELNS0_4arch9wavefront6targetE1EEEvT1_,"axG",@progbits,_ZN7rocprim17ROCPRIM_400000_NS6detail17trampoline_kernelINS0_14default_configENS1_33run_length_encode_config_selectorItjNS0_4plusIjEEEEZZNS1_33reduce_by_key_impl_wrapped_configILNS1_25lookback_scan_determinismE0ES3_S7_PKtNS0_17constant_iteratorIjlEEPtPlSF_S6_NS0_8equal_toItEEEE10hipError_tPvRmT2_T3_mT4_T5_T6_T7_T8_P12ihipStream_tbENKUlT_T0_E_clISt17integral_constantIbLb1EESZ_EEDaSU_SV_EUlSU_E_NS1_11comp_targetILNS1_3genE0ELNS1_11target_archE4294967295ELNS1_3gpuE0ELNS1_3repE0EEENS1_30default_config_static_selectorELNS0_4arch9wavefront6targetE1EEEvT1_,comdat
	.protected	_ZN7rocprim17ROCPRIM_400000_NS6detail17trampoline_kernelINS0_14default_configENS1_33run_length_encode_config_selectorItjNS0_4plusIjEEEEZZNS1_33reduce_by_key_impl_wrapped_configILNS1_25lookback_scan_determinismE0ES3_S7_PKtNS0_17constant_iteratorIjlEEPtPlSF_S6_NS0_8equal_toItEEEE10hipError_tPvRmT2_T3_mT4_T5_T6_T7_T8_P12ihipStream_tbENKUlT_T0_E_clISt17integral_constantIbLb1EESZ_EEDaSU_SV_EUlSU_E_NS1_11comp_targetILNS1_3genE0ELNS1_11target_archE4294967295ELNS1_3gpuE0ELNS1_3repE0EEENS1_30default_config_static_selectorELNS0_4arch9wavefront6targetE1EEEvT1_ ; -- Begin function _ZN7rocprim17ROCPRIM_400000_NS6detail17trampoline_kernelINS0_14default_configENS1_33run_length_encode_config_selectorItjNS0_4plusIjEEEEZZNS1_33reduce_by_key_impl_wrapped_configILNS1_25lookback_scan_determinismE0ES3_S7_PKtNS0_17constant_iteratorIjlEEPtPlSF_S6_NS0_8equal_toItEEEE10hipError_tPvRmT2_T3_mT4_T5_T6_T7_T8_P12ihipStream_tbENKUlT_T0_E_clISt17integral_constantIbLb1EESZ_EEDaSU_SV_EUlSU_E_NS1_11comp_targetILNS1_3genE0ELNS1_11target_archE4294967295ELNS1_3gpuE0ELNS1_3repE0EEENS1_30default_config_static_selectorELNS0_4arch9wavefront6targetE1EEEvT1_
	.globl	_ZN7rocprim17ROCPRIM_400000_NS6detail17trampoline_kernelINS0_14default_configENS1_33run_length_encode_config_selectorItjNS0_4plusIjEEEEZZNS1_33reduce_by_key_impl_wrapped_configILNS1_25lookback_scan_determinismE0ES3_S7_PKtNS0_17constant_iteratorIjlEEPtPlSF_S6_NS0_8equal_toItEEEE10hipError_tPvRmT2_T3_mT4_T5_T6_T7_T8_P12ihipStream_tbENKUlT_T0_E_clISt17integral_constantIbLb1EESZ_EEDaSU_SV_EUlSU_E_NS1_11comp_targetILNS1_3genE0ELNS1_11target_archE4294967295ELNS1_3gpuE0ELNS1_3repE0EEENS1_30default_config_static_selectorELNS0_4arch9wavefront6targetE1EEEvT1_
	.p2align	8
	.type	_ZN7rocprim17ROCPRIM_400000_NS6detail17trampoline_kernelINS0_14default_configENS1_33run_length_encode_config_selectorItjNS0_4plusIjEEEEZZNS1_33reduce_by_key_impl_wrapped_configILNS1_25lookback_scan_determinismE0ES3_S7_PKtNS0_17constant_iteratorIjlEEPtPlSF_S6_NS0_8equal_toItEEEE10hipError_tPvRmT2_T3_mT4_T5_T6_T7_T8_P12ihipStream_tbENKUlT_T0_E_clISt17integral_constantIbLb1EESZ_EEDaSU_SV_EUlSU_E_NS1_11comp_targetILNS1_3genE0ELNS1_11target_archE4294967295ELNS1_3gpuE0ELNS1_3repE0EEENS1_30default_config_static_selectorELNS0_4arch9wavefront6targetE1EEEvT1_,@function
_ZN7rocprim17ROCPRIM_400000_NS6detail17trampoline_kernelINS0_14default_configENS1_33run_length_encode_config_selectorItjNS0_4plusIjEEEEZZNS1_33reduce_by_key_impl_wrapped_configILNS1_25lookback_scan_determinismE0ES3_S7_PKtNS0_17constant_iteratorIjlEEPtPlSF_S6_NS0_8equal_toItEEEE10hipError_tPvRmT2_T3_mT4_T5_T6_T7_T8_P12ihipStream_tbENKUlT_T0_E_clISt17integral_constantIbLb1EESZ_EEDaSU_SV_EUlSU_E_NS1_11comp_targetILNS1_3genE0ELNS1_11target_archE4294967295ELNS1_3gpuE0ELNS1_3repE0EEENS1_30default_config_static_selectorELNS0_4arch9wavefront6targetE1EEEvT1_: ; @_ZN7rocprim17ROCPRIM_400000_NS6detail17trampoline_kernelINS0_14default_configENS1_33run_length_encode_config_selectorItjNS0_4plusIjEEEEZZNS1_33reduce_by_key_impl_wrapped_configILNS1_25lookback_scan_determinismE0ES3_S7_PKtNS0_17constant_iteratorIjlEEPtPlSF_S6_NS0_8equal_toItEEEE10hipError_tPvRmT2_T3_mT4_T5_T6_T7_T8_P12ihipStream_tbENKUlT_T0_E_clISt17integral_constantIbLb1EESZ_EEDaSU_SV_EUlSU_E_NS1_11comp_targetILNS1_3genE0ELNS1_11target_archE4294967295ELNS1_3gpuE0ELNS1_3repE0EEENS1_30default_config_static_selectorELNS0_4arch9wavefront6targetE1EEEvT1_
; %bb.0:
	.section	.rodata,"a",@progbits
	.p2align	6, 0x0
	.amdhsa_kernel _ZN7rocprim17ROCPRIM_400000_NS6detail17trampoline_kernelINS0_14default_configENS1_33run_length_encode_config_selectorItjNS0_4plusIjEEEEZZNS1_33reduce_by_key_impl_wrapped_configILNS1_25lookback_scan_determinismE0ES3_S7_PKtNS0_17constant_iteratorIjlEEPtPlSF_S6_NS0_8equal_toItEEEE10hipError_tPvRmT2_T3_mT4_T5_T6_T7_T8_P12ihipStream_tbENKUlT_T0_E_clISt17integral_constantIbLb1EESZ_EEDaSU_SV_EUlSU_E_NS1_11comp_targetILNS1_3genE0ELNS1_11target_archE4294967295ELNS1_3gpuE0ELNS1_3repE0EEENS1_30default_config_static_selectorELNS0_4arch9wavefront6targetE1EEEvT1_
		.amdhsa_group_segment_fixed_size 0
		.amdhsa_private_segment_fixed_size 0
		.amdhsa_kernarg_size 128
		.amdhsa_user_sgpr_count 6
		.amdhsa_user_sgpr_private_segment_buffer 1
		.amdhsa_user_sgpr_dispatch_ptr 0
		.amdhsa_user_sgpr_queue_ptr 0
		.amdhsa_user_sgpr_kernarg_segment_ptr 1
		.amdhsa_user_sgpr_dispatch_id 0
		.amdhsa_user_sgpr_flat_scratch_init 0
		.amdhsa_user_sgpr_kernarg_preload_length 0
		.amdhsa_user_sgpr_kernarg_preload_offset 0
		.amdhsa_user_sgpr_private_segment_size 0
		.amdhsa_uses_dynamic_stack 0
		.amdhsa_system_sgpr_private_segment_wavefront_offset 0
		.amdhsa_system_sgpr_workgroup_id_x 1
		.amdhsa_system_sgpr_workgroup_id_y 0
		.amdhsa_system_sgpr_workgroup_id_z 0
		.amdhsa_system_sgpr_workgroup_info 0
		.amdhsa_system_vgpr_workitem_id 0
		.amdhsa_next_free_vgpr 1
		.amdhsa_next_free_sgpr 0
		.amdhsa_accum_offset 4
		.amdhsa_reserve_vcc 0
		.amdhsa_reserve_flat_scratch 0
		.amdhsa_float_round_mode_32 0
		.amdhsa_float_round_mode_16_64 0
		.amdhsa_float_denorm_mode_32 3
		.amdhsa_float_denorm_mode_16_64 3
		.amdhsa_dx10_clamp 1
		.amdhsa_ieee_mode 1
		.amdhsa_fp16_overflow 0
		.amdhsa_tg_split 0
		.amdhsa_exception_fp_ieee_invalid_op 0
		.amdhsa_exception_fp_denorm_src 0
		.amdhsa_exception_fp_ieee_div_zero 0
		.amdhsa_exception_fp_ieee_overflow 0
		.amdhsa_exception_fp_ieee_underflow 0
		.amdhsa_exception_fp_ieee_inexact 0
		.amdhsa_exception_int_div_zero 0
	.end_amdhsa_kernel
	.section	.text._ZN7rocprim17ROCPRIM_400000_NS6detail17trampoline_kernelINS0_14default_configENS1_33run_length_encode_config_selectorItjNS0_4plusIjEEEEZZNS1_33reduce_by_key_impl_wrapped_configILNS1_25lookback_scan_determinismE0ES3_S7_PKtNS0_17constant_iteratorIjlEEPtPlSF_S6_NS0_8equal_toItEEEE10hipError_tPvRmT2_T3_mT4_T5_T6_T7_T8_P12ihipStream_tbENKUlT_T0_E_clISt17integral_constantIbLb1EESZ_EEDaSU_SV_EUlSU_E_NS1_11comp_targetILNS1_3genE0ELNS1_11target_archE4294967295ELNS1_3gpuE0ELNS1_3repE0EEENS1_30default_config_static_selectorELNS0_4arch9wavefront6targetE1EEEvT1_,"axG",@progbits,_ZN7rocprim17ROCPRIM_400000_NS6detail17trampoline_kernelINS0_14default_configENS1_33run_length_encode_config_selectorItjNS0_4plusIjEEEEZZNS1_33reduce_by_key_impl_wrapped_configILNS1_25lookback_scan_determinismE0ES3_S7_PKtNS0_17constant_iteratorIjlEEPtPlSF_S6_NS0_8equal_toItEEEE10hipError_tPvRmT2_T3_mT4_T5_T6_T7_T8_P12ihipStream_tbENKUlT_T0_E_clISt17integral_constantIbLb1EESZ_EEDaSU_SV_EUlSU_E_NS1_11comp_targetILNS1_3genE0ELNS1_11target_archE4294967295ELNS1_3gpuE0ELNS1_3repE0EEENS1_30default_config_static_selectorELNS0_4arch9wavefront6targetE1EEEvT1_,comdat
.Lfunc_end796:
	.size	_ZN7rocprim17ROCPRIM_400000_NS6detail17trampoline_kernelINS0_14default_configENS1_33run_length_encode_config_selectorItjNS0_4plusIjEEEEZZNS1_33reduce_by_key_impl_wrapped_configILNS1_25lookback_scan_determinismE0ES3_S7_PKtNS0_17constant_iteratorIjlEEPtPlSF_S6_NS0_8equal_toItEEEE10hipError_tPvRmT2_T3_mT4_T5_T6_T7_T8_P12ihipStream_tbENKUlT_T0_E_clISt17integral_constantIbLb1EESZ_EEDaSU_SV_EUlSU_E_NS1_11comp_targetILNS1_3genE0ELNS1_11target_archE4294967295ELNS1_3gpuE0ELNS1_3repE0EEENS1_30default_config_static_selectorELNS0_4arch9wavefront6targetE1EEEvT1_, .Lfunc_end796-_ZN7rocprim17ROCPRIM_400000_NS6detail17trampoline_kernelINS0_14default_configENS1_33run_length_encode_config_selectorItjNS0_4plusIjEEEEZZNS1_33reduce_by_key_impl_wrapped_configILNS1_25lookback_scan_determinismE0ES3_S7_PKtNS0_17constant_iteratorIjlEEPtPlSF_S6_NS0_8equal_toItEEEE10hipError_tPvRmT2_T3_mT4_T5_T6_T7_T8_P12ihipStream_tbENKUlT_T0_E_clISt17integral_constantIbLb1EESZ_EEDaSU_SV_EUlSU_E_NS1_11comp_targetILNS1_3genE0ELNS1_11target_archE4294967295ELNS1_3gpuE0ELNS1_3repE0EEENS1_30default_config_static_selectorELNS0_4arch9wavefront6targetE1EEEvT1_
                                        ; -- End function
	.section	.AMDGPU.csdata,"",@progbits
; Kernel info:
; codeLenInByte = 0
; NumSgprs: 4
; NumVgprs: 0
; NumAgprs: 0
; TotalNumVgprs: 0
; ScratchSize: 0
; MemoryBound: 0
; FloatMode: 240
; IeeeMode: 1
; LDSByteSize: 0 bytes/workgroup (compile time only)
; SGPRBlocks: 0
; VGPRBlocks: 0
; NumSGPRsForWavesPerEU: 4
; NumVGPRsForWavesPerEU: 1
; AccumOffset: 4
; Occupancy: 8
; WaveLimiterHint : 0
; COMPUTE_PGM_RSRC2:SCRATCH_EN: 0
; COMPUTE_PGM_RSRC2:USER_SGPR: 6
; COMPUTE_PGM_RSRC2:TRAP_HANDLER: 0
; COMPUTE_PGM_RSRC2:TGID_X_EN: 1
; COMPUTE_PGM_RSRC2:TGID_Y_EN: 0
; COMPUTE_PGM_RSRC2:TGID_Z_EN: 0
; COMPUTE_PGM_RSRC2:TIDIG_COMP_CNT: 0
; COMPUTE_PGM_RSRC3_GFX90A:ACCUM_OFFSET: 0
; COMPUTE_PGM_RSRC3_GFX90A:TG_SPLIT: 0
	.section	.text._ZN7rocprim17ROCPRIM_400000_NS6detail17trampoline_kernelINS0_14default_configENS1_33run_length_encode_config_selectorItjNS0_4plusIjEEEEZZNS1_33reduce_by_key_impl_wrapped_configILNS1_25lookback_scan_determinismE0ES3_S7_PKtNS0_17constant_iteratorIjlEEPtPlSF_S6_NS0_8equal_toItEEEE10hipError_tPvRmT2_T3_mT4_T5_T6_T7_T8_P12ihipStream_tbENKUlT_T0_E_clISt17integral_constantIbLb1EESZ_EEDaSU_SV_EUlSU_E_NS1_11comp_targetILNS1_3genE5ELNS1_11target_archE942ELNS1_3gpuE9ELNS1_3repE0EEENS1_30default_config_static_selectorELNS0_4arch9wavefront6targetE1EEEvT1_,"axG",@progbits,_ZN7rocprim17ROCPRIM_400000_NS6detail17trampoline_kernelINS0_14default_configENS1_33run_length_encode_config_selectorItjNS0_4plusIjEEEEZZNS1_33reduce_by_key_impl_wrapped_configILNS1_25lookback_scan_determinismE0ES3_S7_PKtNS0_17constant_iteratorIjlEEPtPlSF_S6_NS0_8equal_toItEEEE10hipError_tPvRmT2_T3_mT4_T5_T6_T7_T8_P12ihipStream_tbENKUlT_T0_E_clISt17integral_constantIbLb1EESZ_EEDaSU_SV_EUlSU_E_NS1_11comp_targetILNS1_3genE5ELNS1_11target_archE942ELNS1_3gpuE9ELNS1_3repE0EEENS1_30default_config_static_selectorELNS0_4arch9wavefront6targetE1EEEvT1_,comdat
	.protected	_ZN7rocprim17ROCPRIM_400000_NS6detail17trampoline_kernelINS0_14default_configENS1_33run_length_encode_config_selectorItjNS0_4plusIjEEEEZZNS1_33reduce_by_key_impl_wrapped_configILNS1_25lookback_scan_determinismE0ES3_S7_PKtNS0_17constant_iteratorIjlEEPtPlSF_S6_NS0_8equal_toItEEEE10hipError_tPvRmT2_T3_mT4_T5_T6_T7_T8_P12ihipStream_tbENKUlT_T0_E_clISt17integral_constantIbLb1EESZ_EEDaSU_SV_EUlSU_E_NS1_11comp_targetILNS1_3genE5ELNS1_11target_archE942ELNS1_3gpuE9ELNS1_3repE0EEENS1_30default_config_static_selectorELNS0_4arch9wavefront6targetE1EEEvT1_ ; -- Begin function _ZN7rocprim17ROCPRIM_400000_NS6detail17trampoline_kernelINS0_14default_configENS1_33run_length_encode_config_selectorItjNS0_4plusIjEEEEZZNS1_33reduce_by_key_impl_wrapped_configILNS1_25lookback_scan_determinismE0ES3_S7_PKtNS0_17constant_iteratorIjlEEPtPlSF_S6_NS0_8equal_toItEEEE10hipError_tPvRmT2_T3_mT4_T5_T6_T7_T8_P12ihipStream_tbENKUlT_T0_E_clISt17integral_constantIbLb1EESZ_EEDaSU_SV_EUlSU_E_NS1_11comp_targetILNS1_3genE5ELNS1_11target_archE942ELNS1_3gpuE9ELNS1_3repE0EEENS1_30default_config_static_selectorELNS0_4arch9wavefront6targetE1EEEvT1_
	.globl	_ZN7rocprim17ROCPRIM_400000_NS6detail17trampoline_kernelINS0_14default_configENS1_33run_length_encode_config_selectorItjNS0_4plusIjEEEEZZNS1_33reduce_by_key_impl_wrapped_configILNS1_25lookback_scan_determinismE0ES3_S7_PKtNS0_17constant_iteratorIjlEEPtPlSF_S6_NS0_8equal_toItEEEE10hipError_tPvRmT2_T3_mT4_T5_T6_T7_T8_P12ihipStream_tbENKUlT_T0_E_clISt17integral_constantIbLb1EESZ_EEDaSU_SV_EUlSU_E_NS1_11comp_targetILNS1_3genE5ELNS1_11target_archE942ELNS1_3gpuE9ELNS1_3repE0EEENS1_30default_config_static_selectorELNS0_4arch9wavefront6targetE1EEEvT1_
	.p2align	8
	.type	_ZN7rocprim17ROCPRIM_400000_NS6detail17trampoline_kernelINS0_14default_configENS1_33run_length_encode_config_selectorItjNS0_4plusIjEEEEZZNS1_33reduce_by_key_impl_wrapped_configILNS1_25lookback_scan_determinismE0ES3_S7_PKtNS0_17constant_iteratorIjlEEPtPlSF_S6_NS0_8equal_toItEEEE10hipError_tPvRmT2_T3_mT4_T5_T6_T7_T8_P12ihipStream_tbENKUlT_T0_E_clISt17integral_constantIbLb1EESZ_EEDaSU_SV_EUlSU_E_NS1_11comp_targetILNS1_3genE5ELNS1_11target_archE942ELNS1_3gpuE9ELNS1_3repE0EEENS1_30default_config_static_selectorELNS0_4arch9wavefront6targetE1EEEvT1_,@function
_ZN7rocprim17ROCPRIM_400000_NS6detail17trampoline_kernelINS0_14default_configENS1_33run_length_encode_config_selectorItjNS0_4plusIjEEEEZZNS1_33reduce_by_key_impl_wrapped_configILNS1_25lookback_scan_determinismE0ES3_S7_PKtNS0_17constant_iteratorIjlEEPtPlSF_S6_NS0_8equal_toItEEEE10hipError_tPvRmT2_T3_mT4_T5_T6_T7_T8_P12ihipStream_tbENKUlT_T0_E_clISt17integral_constantIbLb1EESZ_EEDaSU_SV_EUlSU_E_NS1_11comp_targetILNS1_3genE5ELNS1_11target_archE942ELNS1_3gpuE9ELNS1_3repE0EEENS1_30default_config_static_selectorELNS0_4arch9wavefront6targetE1EEEvT1_: ; @_ZN7rocprim17ROCPRIM_400000_NS6detail17trampoline_kernelINS0_14default_configENS1_33run_length_encode_config_selectorItjNS0_4plusIjEEEEZZNS1_33reduce_by_key_impl_wrapped_configILNS1_25lookback_scan_determinismE0ES3_S7_PKtNS0_17constant_iteratorIjlEEPtPlSF_S6_NS0_8equal_toItEEEE10hipError_tPvRmT2_T3_mT4_T5_T6_T7_T8_P12ihipStream_tbENKUlT_T0_E_clISt17integral_constantIbLb1EESZ_EEDaSU_SV_EUlSU_E_NS1_11comp_targetILNS1_3genE5ELNS1_11target_archE942ELNS1_3gpuE9ELNS1_3repE0EEENS1_30default_config_static_selectorELNS0_4arch9wavefront6targetE1EEEvT1_
; %bb.0:
	.section	.rodata,"a",@progbits
	.p2align	6, 0x0
	.amdhsa_kernel _ZN7rocprim17ROCPRIM_400000_NS6detail17trampoline_kernelINS0_14default_configENS1_33run_length_encode_config_selectorItjNS0_4plusIjEEEEZZNS1_33reduce_by_key_impl_wrapped_configILNS1_25lookback_scan_determinismE0ES3_S7_PKtNS0_17constant_iteratorIjlEEPtPlSF_S6_NS0_8equal_toItEEEE10hipError_tPvRmT2_T3_mT4_T5_T6_T7_T8_P12ihipStream_tbENKUlT_T0_E_clISt17integral_constantIbLb1EESZ_EEDaSU_SV_EUlSU_E_NS1_11comp_targetILNS1_3genE5ELNS1_11target_archE942ELNS1_3gpuE9ELNS1_3repE0EEENS1_30default_config_static_selectorELNS0_4arch9wavefront6targetE1EEEvT1_
		.amdhsa_group_segment_fixed_size 0
		.amdhsa_private_segment_fixed_size 0
		.amdhsa_kernarg_size 128
		.amdhsa_user_sgpr_count 6
		.amdhsa_user_sgpr_private_segment_buffer 1
		.amdhsa_user_sgpr_dispatch_ptr 0
		.amdhsa_user_sgpr_queue_ptr 0
		.amdhsa_user_sgpr_kernarg_segment_ptr 1
		.amdhsa_user_sgpr_dispatch_id 0
		.amdhsa_user_sgpr_flat_scratch_init 0
		.amdhsa_user_sgpr_kernarg_preload_length 0
		.amdhsa_user_sgpr_kernarg_preload_offset 0
		.amdhsa_user_sgpr_private_segment_size 0
		.amdhsa_uses_dynamic_stack 0
		.amdhsa_system_sgpr_private_segment_wavefront_offset 0
		.amdhsa_system_sgpr_workgroup_id_x 1
		.amdhsa_system_sgpr_workgroup_id_y 0
		.amdhsa_system_sgpr_workgroup_id_z 0
		.amdhsa_system_sgpr_workgroup_info 0
		.amdhsa_system_vgpr_workitem_id 0
		.amdhsa_next_free_vgpr 1
		.amdhsa_next_free_sgpr 0
		.amdhsa_accum_offset 4
		.amdhsa_reserve_vcc 0
		.amdhsa_reserve_flat_scratch 0
		.amdhsa_float_round_mode_32 0
		.amdhsa_float_round_mode_16_64 0
		.amdhsa_float_denorm_mode_32 3
		.amdhsa_float_denorm_mode_16_64 3
		.amdhsa_dx10_clamp 1
		.amdhsa_ieee_mode 1
		.amdhsa_fp16_overflow 0
		.amdhsa_tg_split 0
		.amdhsa_exception_fp_ieee_invalid_op 0
		.amdhsa_exception_fp_denorm_src 0
		.amdhsa_exception_fp_ieee_div_zero 0
		.amdhsa_exception_fp_ieee_overflow 0
		.amdhsa_exception_fp_ieee_underflow 0
		.amdhsa_exception_fp_ieee_inexact 0
		.amdhsa_exception_int_div_zero 0
	.end_amdhsa_kernel
	.section	.text._ZN7rocprim17ROCPRIM_400000_NS6detail17trampoline_kernelINS0_14default_configENS1_33run_length_encode_config_selectorItjNS0_4plusIjEEEEZZNS1_33reduce_by_key_impl_wrapped_configILNS1_25lookback_scan_determinismE0ES3_S7_PKtNS0_17constant_iteratorIjlEEPtPlSF_S6_NS0_8equal_toItEEEE10hipError_tPvRmT2_T3_mT4_T5_T6_T7_T8_P12ihipStream_tbENKUlT_T0_E_clISt17integral_constantIbLb1EESZ_EEDaSU_SV_EUlSU_E_NS1_11comp_targetILNS1_3genE5ELNS1_11target_archE942ELNS1_3gpuE9ELNS1_3repE0EEENS1_30default_config_static_selectorELNS0_4arch9wavefront6targetE1EEEvT1_,"axG",@progbits,_ZN7rocprim17ROCPRIM_400000_NS6detail17trampoline_kernelINS0_14default_configENS1_33run_length_encode_config_selectorItjNS0_4plusIjEEEEZZNS1_33reduce_by_key_impl_wrapped_configILNS1_25lookback_scan_determinismE0ES3_S7_PKtNS0_17constant_iteratorIjlEEPtPlSF_S6_NS0_8equal_toItEEEE10hipError_tPvRmT2_T3_mT4_T5_T6_T7_T8_P12ihipStream_tbENKUlT_T0_E_clISt17integral_constantIbLb1EESZ_EEDaSU_SV_EUlSU_E_NS1_11comp_targetILNS1_3genE5ELNS1_11target_archE942ELNS1_3gpuE9ELNS1_3repE0EEENS1_30default_config_static_selectorELNS0_4arch9wavefront6targetE1EEEvT1_,comdat
.Lfunc_end797:
	.size	_ZN7rocprim17ROCPRIM_400000_NS6detail17trampoline_kernelINS0_14default_configENS1_33run_length_encode_config_selectorItjNS0_4plusIjEEEEZZNS1_33reduce_by_key_impl_wrapped_configILNS1_25lookback_scan_determinismE0ES3_S7_PKtNS0_17constant_iteratorIjlEEPtPlSF_S6_NS0_8equal_toItEEEE10hipError_tPvRmT2_T3_mT4_T5_T6_T7_T8_P12ihipStream_tbENKUlT_T0_E_clISt17integral_constantIbLb1EESZ_EEDaSU_SV_EUlSU_E_NS1_11comp_targetILNS1_3genE5ELNS1_11target_archE942ELNS1_3gpuE9ELNS1_3repE0EEENS1_30default_config_static_selectorELNS0_4arch9wavefront6targetE1EEEvT1_, .Lfunc_end797-_ZN7rocprim17ROCPRIM_400000_NS6detail17trampoline_kernelINS0_14default_configENS1_33run_length_encode_config_selectorItjNS0_4plusIjEEEEZZNS1_33reduce_by_key_impl_wrapped_configILNS1_25lookback_scan_determinismE0ES3_S7_PKtNS0_17constant_iteratorIjlEEPtPlSF_S6_NS0_8equal_toItEEEE10hipError_tPvRmT2_T3_mT4_T5_T6_T7_T8_P12ihipStream_tbENKUlT_T0_E_clISt17integral_constantIbLb1EESZ_EEDaSU_SV_EUlSU_E_NS1_11comp_targetILNS1_3genE5ELNS1_11target_archE942ELNS1_3gpuE9ELNS1_3repE0EEENS1_30default_config_static_selectorELNS0_4arch9wavefront6targetE1EEEvT1_
                                        ; -- End function
	.section	.AMDGPU.csdata,"",@progbits
; Kernel info:
; codeLenInByte = 0
; NumSgprs: 4
; NumVgprs: 0
; NumAgprs: 0
; TotalNumVgprs: 0
; ScratchSize: 0
; MemoryBound: 0
; FloatMode: 240
; IeeeMode: 1
; LDSByteSize: 0 bytes/workgroup (compile time only)
; SGPRBlocks: 0
; VGPRBlocks: 0
; NumSGPRsForWavesPerEU: 4
; NumVGPRsForWavesPerEU: 1
; AccumOffset: 4
; Occupancy: 8
; WaveLimiterHint : 0
; COMPUTE_PGM_RSRC2:SCRATCH_EN: 0
; COMPUTE_PGM_RSRC2:USER_SGPR: 6
; COMPUTE_PGM_RSRC2:TRAP_HANDLER: 0
; COMPUTE_PGM_RSRC2:TGID_X_EN: 1
; COMPUTE_PGM_RSRC2:TGID_Y_EN: 0
; COMPUTE_PGM_RSRC2:TGID_Z_EN: 0
; COMPUTE_PGM_RSRC2:TIDIG_COMP_CNT: 0
; COMPUTE_PGM_RSRC3_GFX90A:ACCUM_OFFSET: 0
; COMPUTE_PGM_RSRC3_GFX90A:TG_SPLIT: 0
	.section	.text._ZN7rocprim17ROCPRIM_400000_NS6detail17trampoline_kernelINS0_14default_configENS1_33run_length_encode_config_selectorItjNS0_4plusIjEEEEZZNS1_33reduce_by_key_impl_wrapped_configILNS1_25lookback_scan_determinismE0ES3_S7_PKtNS0_17constant_iteratorIjlEEPtPlSF_S6_NS0_8equal_toItEEEE10hipError_tPvRmT2_T3_mT4_T5_T6_T7_T8_P12ihipStream_tbENKUlT_T0_E_clISt17integral_constantIbLb1EESZ_EEDaSU_SV_EUlSU_E_NS1_11comp_targetILNS1_3genE4ELNS1_11target_archE910ELNS1_3gpuE8ELNS1_3repE0EEENS1_30default_config_static_selectorELNS0_4arch9wavefront6targetE1EEEvT1_,"axG",@progbits,_ZN7rocprim17ROCPRIM_400000_NS6detail17trampoline_kernelINS0_14default_configENS1_33run_length_encode_config_selectorItjNS0_4plusIjEEEEZZNS1_33reduce_by_key_impl_wrapped_configILNS1_25lookback_scan_determinismE0ES3_S7_PKtNS0_17constant_iteratorIjlEEPtPlSF_S6_NS0_8equal_toItEEEE10hipError_tPvRmT2_T3_mT4_T5_T6_T7_T8_P12ihipStream_tbENKUlT_T0_E_clISt17integral_constantIbLb1EESZ_EEDaSU_SV_EUlSU_E_NS1_11comp_targetILNS1_3genE4ELNS1_11target_archE910ELNS1_3gpuE8ELNS1_3repE0EEENS1_30default_config_static_selectorELNS0_4arch9wavefront6targetE1EEEvT1_,comdat
	.protected	_ZN7rocprim17ROCPRIM_400000_NS6detail17trampoline_kernelINS0_14default_configENS1_33run_length_encode_config_selectorItjNS0_4plusIjEEEEZZNS1_33reduce_by_key_impl_wrapped_configILNS1_25lookback_scan_determinismE0ES3_S7_PKtNS0_17constant_iteratorIjlEEPtPlSF_S6_NS0_8equal_toItEEEE10hipError_tPvRmT2_T3_mT4_T5_T6_T7_T8_P12ihipStream_tbENKUlT_T0_E_clISt17integral_constantIbLb1EESZ_EEDaSU_SV_EUlSU_E_NS1_11comp_targetILNS1_3genE4ELNS1_11target_archE910ELNS1_3gpuE8ELNS1_3repE0EEENS1_30default_config_static_selectorELNS0_4arch9wavefront6targetE1EEEvT1_ ; -- Begin function _ZN7rocprim17ROCPRIM_400000_NS6detail17trampoline_kernelINS0_14default_configENS1_33run_length_encode_config_selectorItjNS0_4plusIjEEEEZZNS1_33reduce_by_key_impl_wrapped_configILNS1_25lookback_scan_determinismE0ES3_S7_PKtNS0_17constant_iteratorIjlEEPtPlSF_S6_NS0_8equal_toItEEEE10hipError_tPvRmT2_T3_mT4_T5_T6_T7_T8_P12ihipStream_tbENKUlT_T0_E_clISt17integral_constantIbLb1EESZ_EEDaSU_SV_EUlSU_E_NS1_11comp_targetILNS1_3genE4ELNS1_11target_archE910ELNS1_3gpuE8ELNS1_3repE0EEENS1_30default_config_static_selectorELNS0_4arch9wavefront6targetE1EEEvT1_
	.globl	_ZN7rocprim17ROCPRIM_400000_NS6detail17trampoline_kernelINS0_14default_configENS1_33run_length_encode_config_selectorItjNS0_4plusIjEEEEZZNS1_33reduce_by_key_impl_wrapped_configILNS1_25lookback_scan_determinismE0ES3_S7_PKtNS0_17constant_iteratorIjlEEPtPlSF_S6_NS0_8equal_toItEEEE10hipError_tPvRmT2_T3_mT4_T5_T6_T7_T8_P12ihipStream_tbENKUlT_T0_E_clISt17integral_constantIbLb1EESZ_EEDaSU_SV_EUlSU_E_NS1_11comp_targetILNS1_3genE4ELNS1_11target_archE910ELNS1_3gpuE8ELNS1_3repE0EEENS1_30default_config_static_selectorELNS0_4arch9wavefront6targetE1EEEvT1_
	.p2align	8
	.type	_ZN7rocprim17ROCPRIM_400000_NS6detail17trampoline_kernelINS0_14default_configENS1_33run_length_encode_config_selectorItjNS0_4plusIjEEEEZZNS1_33reduce_by_key_impl_wrapped_configILNS1_25lookback_scan_determinismE0ES3_S7_PKtNS0_17constant_iteratorIjlEEPtPlSF_S6_NS0_8equal_toItEEEE10hipError_tPvRmT2_T3_mT4_T5_T6_T7_T8_P12ihipStream_tbENKUlT_T0_E_clISt17integral_constantIbLb1EESZ_EEDaSU_SV_EUlSU_E_NS1_11comp_targetILNS1_3genE4ELNS1_11target_archE910ELNS1_3gpuE8ELNS1_3repE0EEENS1_30default_config_static_selectorELNS0_4arch9wavefront6targetE1EEEvT1_,@function
_ZN7rocprim17ROCPRIM_400000_NS6detail17trampoline_kernelINS0_14default_configENS1_33run_length_encode_config_selectorItjNS0_4plusIjEEEEZZNS1_33reduce_by_key_impl_wrapped_configILNS1_25lookback_scan_determinismE0ES3_S7_PKtNS0_17constant_iteratorIjlEEPtPlSF_S6_NS0_8equal_toItEEEE10hipError_tPvRmT2_T3_mT4_T5_T6_T7_T8_P12ihipStream_tbENKUlT_T0_E_clISt17integral_constantIbLb1EESZ_EEDaSU_SV_EUlSU_E_NS1_11comp_targetILNS1_3genE4ELNS1_11target_archE910ELNS1_3gpuE8ELNS1_3repE0EEENS1_30default_config_static_selectorELNS0_4arch9wavefront6targetE1EEEvT1_: ; @_ZN7rocprim17ROCPRIM_400000_NS6detail17trampoline_kernelINS0_14default_configENS1_33run_length_encode_config_selectorItjNS0_4plusIjEEEEZZNS1_33reduce_by_key_impl_wrapped_configILNS1_25lookback_scan_determinismE0ES3_S7_PKtNS0_17constant_iteratorIjlEEPtPlSF_S6_NS0_8equal_toItEEEE10hipError_tPvRmT2_T3_mT4_T5_T6_T7_T8_P12ihipStream_tbENKUlT_T0_E_clISt17integral_constantIbLb1EESZ_EEDaSU_SV_EUlSU_E_NS1_11comp_targetILNS1_3genE4ELNS1_11target_archE910ELNS1_3gpuE8ELNS1_3repE0EEENS1_30default_config_static_selectorELNS0_4arch9wavefront6targetE1EEEvT1_
; %bb.0:
	s_load_dword s12, s[4:5], 0x10
	s_load_dwordx4 s[44:47], s[4:5], 0x20
	s_load_dwordx2 s[34:35], s[4:5], 0x30
	s_load_dwordx2 s[48:49], s[4:5], 0x70
	s_load_dwordx4 s[28:31], s[4:5], 0x60
	s_load_dwordx8 s[36:43], s[4:5], 0x40
	v_cmp_ne_u32_e64 s[2:3], 0, v0
	v_cmp_eq_u32_e64 s[0:1], 0, v0
	s_and_saveexec_b64 s[6:7], s[0:1]
	s_cbranch_execz .LBB798_4
; %bb.1:
	s_mov_b64 s[10:11], exec
	v_mbcnt_lo_u32_b32 v1, s10, 0
	v_mbcnt_hi_u32_b32 v1, s11, v1
	v_cmp_eq_u32_e32 vcc, 0, v1
                                        ; implicit-def: $vgpr2
	s_and_saveexec_b64 s[8:9], vcc
	s_cbranch_execz .LBB798_3
; %bb.2:
	s_load_dwordx2 s[14:15], s[4:5], 0x78
	s_bcnt1_i32_b64 s10, s[10:11]
	v_mov_b32_e32 v2, 0
	v_mov_b32_e32 v3, s10
	s_waitcnt lgkmcnt(0)
	global_atomic_add v2, v2, v3, s[14:15] glc
.LBB798_3:
	s_or_b64 exec, exec, s[8:9]
	s_waitcnt vmcnt(0)
	v_readfirstlane_b32 s8, v2
	v_add_u32_e32 v1, s8, v1
	v_mov_b32_e32 v2, 0
	ds_write_b32 v2, v1
.LBB798_4:
	s_or_b64 exec, exec, s[6:7]
	s_load_dwordx4 s[4:7], s[4:5], 0x0
	v_mov_b32_e32 v3, 0
	s_waitcnt lgkmcnt(0)
	s_barrier
	ds_read_b32 v1, v3
	s_mul_i32 s8, s40, s39
	s_mul_hi_u32 s9, s40, s38
	s_add_i32 s8, s9, s8
	s_mul_i32 s9, s41, s38
	s_add_i32 s8, s8, s9
	s_lshl_b64 s[6:7], s[6:7], 1
	s_add_u32 s4, s4, s6
	s_movk_i32 s6, 0xa80
	s_waitcnt lgkmcnt(0)
	v_mul_lo_u32 v2, v1, s6
	s_mul_i32 s9, s40, s38
	s_addc_u32 s5, s5, s7
	v_readfirstlane_b32 s56, v1
	v_lshlrev_b64 v[2:3], 1, v[2:3]
	v_add_co_u32_e32 v2, vcc, s4, v2
	s_add_u32 s4, s9, s56
	v_mov_b32_e32 v1, s5
	s_addc_u32 s5, s8, 0
	s_add_u32 s6, s42, -1
	s_addc_u32 s7, s43, -1
	s_cmp_eq_u64 s[4:5], s[6:7]
	v_addc_co_u32_e32 v3, vcc, v1, v3, vcc
	s_cselect_b64 s[40:41], -1, 0
	s_cmp_lg_u64 s[4:5], s[6:7]
	s_mov_b64 s[10:11], -1
	s_cselect_b64 s[8:9], -1, 0
	s_mul_i32 s33, s6, 0xfffff580
	s_and_b64 vcc, exec, s[40:41]
	s_barrier
	s_cbranch_vccnz .LBB798_6
; %bb.5:
	v_lshlrev_b32_e32 v1, 1, v0
	v_add_co_u32_e32 v4, vcc, v2, v1
	v_addc_co_u32_e32 v5, vcc, 0, v3, vcc
	s_movk_i32 s10, 0x1000
	v_readfirstlane_b32 s6, v2
	v_readfirstlane_b32 s7, v3
	v_add_co_u32_e32 v4, vcc, s10, v4
	s_nop 3
	global_load_ushort v6, v1, s[6:7]
	global_load_ushort v7, v1, s[6:7] offset:384
	global_load_ushort v8, v1, s[6:7] offset:768
	;; [unrolled: 1-line block ×7, first 2 shown]
	v_addc_co_u32_e32 v5, vcc, 0, v5, vcc
	global_load_ushort v14, v1, s[6:7] offset:3072
	global_load_ushort v15, v1, s[6:7] offset:3456
	;; [unrolled: 1-line block ×3, first 2 shown]
	global_load_ushort v17, v[4:5], off offset:128
	global_load_ushort v18, v[4:5], off offset:512
	;; [unrolled: 1-line block ×3, first 2 shown]
	v_mad_u32_u24 v4, v0, 26, v1
	s_mov_b64 s[6:7], -1
	s_waitcnt vmcnt(13)
	ds_write_b16 v1, v6
	s_waitcnt vmcnt(12)
	ds_write_b16 v1, v7 offset:384
	s_waitcnt vmcnt(11)
	ds_write_b16 v1, v8 offset:768
	;; [unrolled: 2-line block ×13, first 2 shown]
	s_waitcnt lgkmcnt(0)
	s_barrier
	ds_read2_b32 v[12:13], v4 offset1:1
	ds_read2_b32 v[10:11], v4 offset0:2 offset1:3
	ds_read2_b32 v[8:9], v4 offset0:4 offset1:5
	ds_read_b32 v1, v4 offset:24
	s_add_i32 s33, s33, s28
	s_cbranch_execz .LBB798_7
	s_branch .LBB798_36
.LBB798_6:
	s_mov_b64 s[6:7], 0
                                        ; implicit-def: $vgpr12
                                        ; implicit-def: $vgpr10
                                        ; implicit-def: $vgpr8
                                        ; implicit-def: $vgpr1
	s_add_i32 s33, s33, s28
	s_andn2_b64 vcc, exec, s[10:11]
	s_cbranch_vccnz .LBB798_36
.LBB798_7:
	v_cmp_gt_u32_e32 vcc, s33, v0
                                        ; implicit-def: $vgpr1
	s_and_saveexec_b64 s[6:7], vcc
	s_cbranch_execz .LBB798_9
; %bb.8:
	s_waitcnt lgkmcnt(0)
	v_lshlrev_b32_e32 v1, 1, v0
	v_readfirstlane_b32 s10, v2
	v_readfirstlane_b32 s11, v3
	s_nop 4
	global_load_ushort v1, v1, s[10:11]
.LBB798_9:
	s_or_b64 exec, exec, s[6:7]
	v_add_u32_e32 v4, 0xc0, v0
	v_cmp_gt_u32_e32 vcc, s33, v4
                                        ; implicit-def: $vgpr4
	s_and_saveexec_b64 s[6:7], vcc
	s_cbranch_execz .LBB798_11
; %bb.10:
	v_lshlrev_b32_e32 v4, 1, v0
	v_readfirstlane_b32 s10, v2
	v_readfirstlane_b32 s11, v3
	s_nop 4
	global_load_ushort v4, v4, s[10:11] offset:384
.LBB798_11:
	s_or_b64 exec, exec, s[6:7]
	v_add_u32_e32 v5, 0x180, v0
	v_cmp_gt_u32_e32 vcc, s33, v5
                                        ; implicit-def: $vgpr5
	s_and_saveexec_b64 s[6:7], vcc
	s_cbranch_execz .LBB798_13
; %bb.12:
	v_lshlrev_b32_e32 v5, 1, v0
	v_readfirstlane_b32 s10, v2
	v_readfirstlane_b32 s11, v3
	s_nop 4
	global_load_ushort v5, v5, s[10:11] offset:768
.LBB798_13:
	s_or_b64 exec, exec, s[6:7]
	v_add_u32_e32 v6, 0x240, v0
	v_cmp_gt_u32_e32 vcc, s33, v6
                                        ; implicit-def: $vgpr6
	s_and_saveexec_b64 s[6:7], vcc
	s_cbranch_execz .LBB798_15
; %bb.14:
	v_lshlrev_b32_e32 v6, 1, v0
	v_readfirstlane_b32 s10, v2
	v_readfirstlane_b32 s11, v3
	s_nop 4
	global_load_ushort v6, v6, s[10:11] offset:1152
.LBB798_15:
	s_or_b64 exec, exec, s[6:7]
	v_or_b32_e32 v7, 0x300, v0
	v_cmp_gt_u32_e32 vcc, s33, v7
                                        ; implicit-def: $vgpr7
	s_and_saveexec_b64 s[6:7], vcc
	s_cbranch_execz .LBB798_17
; %bb.16:
	v_lshlrev_b32_e32 v7, 1, v0
	v_readfirstlane_b32 s10, v2
	v_readfirstlane_b32 s11, v3
	s_nop 4
	global_load_ushort v7, v7, s[10:11] offset:1536
.LBB798_17:
	s_or_b64 exec, exec, s[6:7]
	s_waitcnt lgkmcnt(1)
	v_add_u32_e32 v8, 0x3c0, v0
	v_cmp_gt_u32_e32 vcc, s33, v8
                                        ; implicit-def: $vgpr8
	s_and_saveexec_b64 s[6:7], vcc
	s_cbranch_execz .LBB798_19
; %bb.18:
	v_lshlrev_b32_e32 v8, 1, v0
	v_readfirstlane_b32 s10, v2
	v_readfirstlane_b32 s11, v3
	s_nop 4
	global_load_ushort v8, v8, s[10:11] offset:1920
.LBB798_19:
	s_or_b64 exec, exec, s[6:7]
	v_add_u32_e32 v9, 0x480, v0
	v_cmp_gt_u32_e32 vcc, s33, v9
                                        ; implicit-def: $vgpr9
	s_and_saveexec_b64 s[6:7], vcc
	s_cbranch_execz .LBB798_21
; %bb.20:
	v_lshlrev_b32_e32 v9, 1, v0
	v_readfirstlane_b32 s10, v2
	v_readfirstlane_b32 s11, v3
	s_nop 4
	global_load_ushort v9, v9, s[10:11] offset:2304
.LBB798_21:
	s_or_b64 exec, exec, s[6:7]
	v_add_u32_e32 v10, 0x540, v0
	v_cmp_gt_u32_e32 vcc, s33, v10
                                        ; implicit-def: $vgpr10
	s_and_saveexec_b64 s[6:7], vcc
	s_cbranch_execz .LBB798_23
; %bb.22:
	v_lshlrev_b32_e32 v10, 1, v0
	v_readfirstlane_b32 s10, v2
	v_readfirstlane_b32 s11, v3
	s_nop 4
	global_load_ushort v10, v10, s[10:11] offset:2688
.LBB798_23:
	s_or_b64 exec, exec, s[6:7]
	v_or_b32_e32 v11, 0x600, v0
	v_cmp_gt_u32_e32 vcc, s33, v11
                                        ; implicit-def: $vgpr11
	s_and_saveexec_b64 s[6:7], vcc
	s_cbranch_execz .LBB798_25
; %bb.24:
	v_lshlrev_b32_e32 v11, 1, v0
	v_readfirstlane_b32 s10, v2
	v_readfirstlane_b32 s11, v3
	s_nop 4
	global_load_ushort v11, v11, s[10:11] offset:3072
.LBB798_25:
	s_or_b64 exec, exec, s[6:7]
	v_add_u32_e32 v12, 0x6c0, v0
	v_cmp_gt_u32_e32 vcc, s33, v12
                                        ; implicit-def: $vgpr12
	s_and_saveexec_b64 s[6:7], vcc
	s_cbranch_execz .LBB798_27
; %bb.26:
	v_lshlrev_b32_e32 v12, 1, v0
	v_readfirstlane_b32 s10, v2
	v_readfirstlane_b32 s11, v3
	s_nop 4
	global_load_ushort v12, v12, s[10:11] offset:3456
.LBB798_27:
	s_or_b64 exec, exec, s[6:7]
	v_add_u32_e32 v13, 0x780, v0
	v_cmp_gt_u32_e32 vcc, s33, v13
                                        ; implicit-def: $vgpr13
	s_and_saveexec_b64 s[6:7], vcc
	s_cbranch_execz .LBB798_29
; %bb.28:
	v_lshlrev_b32_e32 v13, 1, v0
	v_readfirstlane_b32 s10, v2
	v_readfirstlane_b32 s11, v3
	s_nop 4
	global_load_ushort v13, v13, s[10:11] offset:3840
.LBB798_29:
	s_or_b64 exec, exec, s[6:7]
	v_add_u32_e32 v15, 0x840, v0
	v_cmp_gt_u32_e32 vcc, s33, v15
                                        ; implicit-def: $vgpr14
	s_and_saveexec_b64 s[6:7], vcc
	s_cbranch_execz .LBB798_31
; %bb.30:
	v_lshlrev_b32_e32 v14, 1, v15
	v_readfirstlane_b32 s10, v2
	v_readfirstlane_b32 s11, v3
	s_nop 4
	global_load_ushort v14, v14, s[10:11]
.LBB798_31:
	s_or_b64 exec, exec, s[6:7]
	v_or_b32_e32 v16, 0x900, v0
	v_cmp_gt_u32_e32 vcc, s33, v16
                                        ; implicit-def: $vgpr15
	s_and_saveexec_b64 s[6:7], vcc
	s_cbranch_execz .LBB798_33
; %bb.32:
	v_lshlrev_b32_e32 v15, 1, v16
	v_readfirstlane_b32 s10, v2
	v_readfirstlane_b32 s11, v3
	s_nop 4
	global_load_ushort v15, v15, s[10:11]
.LBB798_33:
	s_or_b64 exec, exec, s[6:7]
	v_add_u32_e32 v17, 0x9c0, v0
	v_cmp_gt_u32_e32 vcc, s33, v17
                                        ; implicit-def: $vgpr16
	s_and_saveexec_b64 s[6:7], vcc
	s_cbranch_execz .LBB798_35
; %bb.34:
	v_lshlrev_b32_e32 v16, 1, v17
	v_readfirstlane_b32 s10, v2
	v_readfirstlane_b32 s11, v3
	s_nop 4
	global_load_ushort v16, v16, s[10:11]
.LBB798_35:
	s_or_b64 exec, exec, s[6:7]
	v_lshlrev_b32_e32 v17, 1, v0
	s_waitcnt vmcnt(0) lgkmcnt(0)
	ds_write_b16 v17, v1
	ds_write_b16 v17, v4 offset:384
	ds_write_b16 v17, v5 offset:768
	;; [unrolled: 1-line block ×13, first 2 shown]
	v_mad_u32_u24 v1, v0, 26, v17
	s_waitcnt lgkmcnt(0)
	s_barrier
	ds_read2_b32 v[12:13], v1 offset1:1
	ds_read2_b32 v[10:11], v1 offset0:2 offset1:3
	ds_read2_b32 v[8:9], v1 offset0:4 offset1:5
	ds_read_b32 v1, v1 offset:24
	v_mad_u32_u24 v4, v0, 14, 13
	v_cmp_gt_u32_e64 s[6:7], s33, v4
.LBB798_36:
	v_mov_b32_e32 v42, s12
                                        ; implicit-def: $vgpr43
	s_and_saveexec_b64 s[10:11], s[6:7]
; %bb.37:
	v_mov_b32_e32 v43, s12
; %bb.38:
	s_or_b64 exec, exec, s[10:11]
	s_cmp_eq_u64 s[4:5], 0
	s_cselect_b64 s[42:43], -1, 0
	s_cmp_lg_u64 s[4:5], 0
	s_mov_b64 s[6:7], 0
	s_cselect_b64 s[10:11], -1, 0
	s_and_b64 vcc, exec, s[8:9]
	s_waitcnt lgkmcnt(0)
	s_barrier
	s_cbranch_vccz .LBB798_44
; %bb.39:
	s_and_b64 vcc, exec, s[10:11]
	s_cbranch_vccz .LBB798_45
; %bb.40:
	global_load_ushort v4, v[2:3], off offset:-2
	v_lshrrev_b32_e32 v6, 16, v1
	v_lshlrev_b32_e32 v5, 1, v0
	v_cmp_ne_u16_e32 vcc, v1, v6
	v_cmp_ne_u16_sdwa s[6:7], v9, v1 src0_sel:WORD_1 src1_sel:DWORD
	v_cmp_ne_u16_sdwa s[8:9], v9, v9 src0_sel:DWORD src1_sel:WORD_1
	v_cmp_ne_u16_sdwa s[12:13], v8, v9 src0_sel:WORD_1 src1_sel:DWORD
	v_cmp_ne_u16_sdwa s[14:15], v8, v8 src0_sel:DWORD src1_sel:WORD_1
	;; [unrolled: 2-line block ×6, first 2 shown]
	ds_write_b16 v5, v6
	s_waitcnt lgkmcnt(0)
	s_barrier
	s_and_saveexec_b64 s[54:55], s[2:3]
	s_cbranch_execz .LBB798_42
; %bb.41:
	s_waitcnt vmcnt(0)
	v_add_u32_e32 v4, -2, v5
	ds_read_u16 v4, v4
.LBB798_42:
	s_or_b64 exec, exec, s[54:55]
	v_cndmask_b32_e64 v44, 0, 1, vcc
	v_cndmask_b32_e64 v45, 0, 1, s[6:7]
	v_cndmask_b32_e64 v46, 0, 1, s[8:9]
	;; [unrolled: 1-line block ×12, first 2 shown]
	s_waitcnt vmcnt(0) lgkmcnt(0)
	v_cmp_ne_u16_e64 s[8:9], v4, v12
	s_mov_b64 s[6:7], -1
.LBB798_43:
                                        ; implicit-def: $sgpr14
	s_branch .LBB798_57
.LBB798_44:
                                        ; implicit-def: $sgpr8_sgpr9
                                        ; implicit-def: $vgpr44
                                        ; implicit-def: $vgpr45
                                        ; implicit-def: $vgpr46
                                        ; implicit-def: $vgpr47
                                        ; implicit-def: $vgpr48
                                        ; implicit-def: $vgpr49
                                        ; implicit-def: $vgpr50
                                        ; implicit-def: $vgpr51
                                        ; implicit-def: $vgpr52
                                        ; implicit-def: $vgpr53
                                        ; implicit-def: $vgpr54
                                        ; implicit-def: $vgpr55
                                        ; implicit-def: $vgpr56
                                        ; implicit-def: $sgpr14
	s_cbranch_execnz .LBB798_49
	s_branch .LBB798_57
.LBB798_45:
                                        ; implicit-def: $sgpr8_sgpr9
                                        ; implicit-def: $vgpr44
                                        ; implicit-def: $vgpr45
                                        ; implicit-def: $vgpr46
                                        ; implicit-def: $vgpr47
                                        ; implicit-def: $vgpr48
                                        ; implicit-def: $vgpr49
                                        ; implicit-def: $vgpr50
                                        ; implicit-def: $vgpr51
                                        ; implicit-def: $vgpr52
                                        ; implicit-def: $vgpr53
                                        ; implicit-def: $vgpr54
                                        ; implicit-def: $vgpr55
                                        ; implicit-def: $vgpr56
	s_cbranch_execz .LBB798_43
; %bb.46:
	v_cmp_ne_u16_sdwa s[8:9], v9, v1 src0_sel:WORD_1 src1_sel:DWORD
	v_cndmask_b32_e64 v45, 0, 1, s[8:9]
	v_cmp_ne_u16_sdwa s[8:9], v9, v9 src0_sel:DWORD src1_sel:WORD_1
	v_cndmask_b32_e64 v46, 0, 1, s[8:9]
	v_cmp_ne_u16_sdwa s[8:9], v8, v9 src0_sel:WORD_1 src1_sel:DWORD
	v_cndmask_b32_e64 v47, 0, 1, s[8:9]
	v_cmp_ne_u16_sdwa s[8:9], v8, v8 src0_sel:DWORD src1_sel:WORD_1
	v_cndmask_b32_e64 v48, 0, 1, s[8:9]
	;; [unrolled: 4-line block ×4, first 2 shown]
	v_cmp_ne_u16_sdwa s[8:9], v13, v10 src0_sel:WORD_1 src1_sel:DWORD
	v_cndmask_b32_e64 v53, 0, 1, s[8:9]
	v_cmp_ne_u16_sdwa s[8:9], v13, v13 src0_sel:DWORD src1_sel:WORD_1
	v_lshrrev_b32_e32 v5, 16, v1
	v_cndmask_b32_e64 v54, 0, 1, s[8:9]
	v_cmp_ne_u16_sdwa s[8:9], v12, v13 src0_sel:WORD_1 src1_sel:DWORD
	v_cmp_ne_u16_e32 vcc, v1, v5
	v_cndmask_b32_e64 v55, 0, 1, s[8:9]
	v_cmp_ne_u16_sdwa s[8:9], v12, v12 src0_sel:DWORD src1_sel:WORD_1
	s_mov_b32 s14, 1
	v_lshlrev_b32_e32 v4, 1, v0
	v_cndmask_b32_e64 v44, 0, 1, vcc
	v_cndmask_b32_e64 v56, 0, 1, s[8:9]
	ds_write_b16 v4, v5
	s_waitcnt lgkmcnt(0)
	s_barrier
	s_waitcnt lgkmcnt(0)
                                        ; implicit-def: $sgpr8_sgpr9
	s_and_saveexec_b64 s[12:13], s[2:3]
	s_xor_b64 s[12:13], exec, s[12:13]
	s_cbranch_execz .LBB798_48
; %bb.47:
	v_add_u32_e32 v4, -2, v4
	ds_read_u16 v4, v4
	s_or_b64 s[6:7], s[6:7], exec
	s_waitcnt lgkmcnt(0)
	v_cmp_ne_u16_e32 vcc, v4, v12
	s_and_b64 s[8:9], vcc, exec
.LBB798_48:
	s_or_b64 exec, exec, s[12:13]
	s_branch .LBB798_57
.LBB798_49:
	s_mul_hi_u32 s8, s4, 0xfffff580
	s_mulk_i32 s5, 0xf580
	s_sub_i32 s8, s8, s4
	s_add_i32 s8, s8, s5
	s_mulk_i32 s4, 0xf580
	s_add_u32 s12, s4, s28
	s_addc_u32 s13, s8, s29
	s_and_b64 vcc, exec, s[10:11]
	s_cbranch_vccz .LBB798_54
; %bb.50:
	global_load_ushort v6, v[2:3], off offset:-2
	v_lshrrev_b32_e32 v7, 16, v1
	v_mad_u32_u24 v4, v0, 14, 13
	v_mov_b32_e32 v5, 0
	v_cmp_gt_u64_e32 vcc, s[12:13], v[4:5]
	v_cmp_ne_u16_e64 s[4:5], v1, v7
	v_mad_u32_u24 v4, v0, 14, 12
	s_and_b64 s[4:5], vcc, s[4:5]
	v_cmp_gt_u64_e32 vcc, s[12:13], v[4:5]
	v_cmp_ne_u16_sdwa s[6:7], v9, v1 src0_sel:WORD_1 src1_sel:DWORD
	v_mad_u32_u24 v4, v0, 14, 11
	s_and_b64 s[6:7], vcc, s[6:7]
	v_cmp_gt_u64_e32 vcc, s[12:13], v[4:5]
	v_cmp_ne_u16_sdwa s[8:9], v9, v9 src0_sel:DWORD src1_sel:WORD_1
	v_mad_u32_u24 v4, v0, 14, 10
	s_and_b64 s[8:9], vcc, s[8:9]
	v_cmp_gt_u64_e32 vcc, s[12:13], v[4:5]
	v_cmp_ne_u16_sdwa s[10:11], v8, v9 src0_sel:WORD_1 src1_sel:DWORD
	v_mad_u32_u24 v4, v0, 14, 9
	s_and_b64 s[10:11], vcc, s[10:11]
	v_cmp_gt_u64_e32 vcc, s[12:13], v[4:5]
	v_cmp_ne_u16_sdwa s[14:15], v8, v8 src0_sel:DWORD src1_sel:WORD_1
	;; [unrolled: 8-line block ×4, first 2 shown]
	v_mad_u32_u24 v4, v0, 14, 4
	s_and_b64 s[22:23], vcc, s[22:23]
	v_cmp_gt_u64_e32 vcc, s[12:13], v[4:5]
	v_cmp_ne_u16_sdwa s[24:25], v13, v10 src0_sel:WORD_1 src1_sel:DWORD
	v_mad_u32_u24 v4, v0, 14, 3
	v_mul_u32_u24_e32 v2, 14, v0
	s_and_b64 s[24:25], vcc, s[24:25]
	v_cmp_gt_u64_e32 vcc, s[12:13], v[4:5]
	v_cmp_ne_u16_sdwa s[26:27], v13, v13 src0_sel:DWORD src1_sel:WORD_1
	v_mad_u32_u24 v4, v0, 14, 2
	s_and_b64 s[26:27], vcc, s[26:27]
	v_cmp_gt_u64_e32 vcc, s[12:13], v[4:5]
	v_cmp_ne_u16_sdwa s[28:29], v12, v13 src0_sel:WORD_1 src1_sel:DWORD
	v_or_b32_e32 v4, 1, v2
	s_and_b64 s[28:29], vcc, s[28:29]
	v_cmp_gt_u64_e32 vcc, s[12:13], v[4:5]
	v_cmp_ne_u16_sdwa s[50:51], v12, v12 src0_sel:DWORD src1_sel:WORD_1
	v_lshlrev_b32_e32 v3, 1, v0
	s_and_b64 s[50:51], vcc, s[50:51]
	ds_write_b16 v3, v7
	s_waitcnt lgkmcnt(0)
	s_barrier
	s_and_saveexec_b64 s[52:53], s[2:3]
	s_cbranch_execz .LBB798_52
; %bb.51:
	v_add_u32_e32 v3, -2, v3
	s_waitcnt vmcnt(0)
	ds_read_u16 v6, v3
.LBB798_52:
	s_or_b64 exec, exec, s[52:53]
	v_mov_b32_e32 v3, v5
	v_cndmask_b32_e64 v44, 0, 1, s[4:5]
	v_cmp_gt_u64_e32 vcc, s[12:13], v[2:3]
	s_waitcnt vmcnt(0) lgkmcnt(0)
	v_cmp_ne_u16_e64 s[4:5], v6, v12
	v_cndmask_b32_e64 v45, 0, 1, s[6:7]
	v_cndmask_b32_e64 v46, 0, 1, s[8:9]
	v_cndmask_b32_e64 v47, 0, 1, s[10:11]
	v_cndmask_b32_e64 v48, 0, 1, s[14:15]
	v_cndmask_b32_e64 v49, 0, 1, s[16:17]
	v_cndmask_b32_e64 v50, 0, 1, s[18:19]
	v_cndmask_b32_e64 v51, 0, 1, s[20:21]
	v_cndmask_b32_e64 v52, 0, 1, s[22:23]
	v_cndmask_b32_e64 v53, 0, 1, s[24:25]
	v_cndmask_b32_e64 v54, 0, 1, s[26:27]
	v_cndmask_b32_e64 v55, 0, 1, s[28:29]
	v_cndmask_b32_e64 v56, 0, 1, s[50:51]
	s_and_b64 s[8:9], vcc, s[4:5]
	s_mov_b64 s[6:7], -1
.LBB798_53:
                                        ; implicit-def: $sgpr14
	v_mov_b32_e32 v57, s14
	s_and_saveexec_b64 s[2:3], s[6:7]
	s_cbranch_execnz .LBB798_58
	s_branch .LBB798_59
.LBB798_54:
                                        ; implicit-def: $sgpr8_sgpr9
                                        ; implicit-def: $vgpr44
                                        ; implicit-def: $vgpr45
                                        ; implicit-def: $vgpr46
                                        ; implicit-def: $vgpr47
                                        ; implicit-def: $vgpr48
                                        ; implicit-def: $vgpr49
                                        ; implicit-def: $vgpr50
                                        ; implicit-def: $vgpr51
                                        ; implicit-def: $vgpr52
                                        ; implicit-def: $vgpr53
                                        ; implicit-def: $vgpr54
                                        ; implicit-def: $vgpr55
                                        ; implicit-def: $vgpr56
	s_cbranch_execz .LBB798_53
; %bb.55:
	v_lshrrev_b32_e32 v6, 16, v1
	v_mad_u32_u24 v4, v0, 14, 13
	v_mov_b32_e32 v5, 0
	v_cmp_gt_u64_e32 vcc, s[12:13], v[4:5]
	v_cmp_ne_u16_e64 s[4:5], v1, v6
	s_and_b64 s[4:5], vcc, s[4:5]
	v_mad_u32_u24 v4, v0, 14, 12
	v_cndmask_b32_e64 v44, 0, 1, s[4:5]
	v_cmp_gt_u64_e32 vcc, s[12:13], v[4:5]
	v_cmp_ne_u16_sdwa s[4:5], v9, v1 src0_sel:WORD_1 src1_sel:DWORD
	s_and_b64 s[4:5], vcc, s[4:5]
	v_mad_u32_u24 v4, v0, 14, 11
	v_cndmask_b32_e64 v45, 0, 1, s[4:5]
	v_cmp_gt_u64_e32 vcc, s[12:13], v[4:5]
	v_cmp_ne_u16_sdwa s[4:5], v9, v9 src0_sel:DWORD src1_sel:WORD_1
	s_and_b64 s[4:5], vcc, s[4:5]
	v_mad_u32_u24 v4, v0, 14, 10
	v_cndmask_b32_e64 v46, 0, 1, s[4:5]
	v_cmp_gt_u64_e32 vcc, s[12:13], v[4:5]
	v_cmp_ne_u16_sdwa s[4:5], v8, v9 src0_sel:WORD_1 src1_sel:DWORD
	s_and_b64 s[4:5], vcc, s[4:5]
	v_mad_u32_u24 v4, v0, 14, 9
	v_cndmask_b32_e64 v47, 0, 1, s[4:5]
	v_cmp_gt_u64_e32 vcc, s[12:13], v[4:5]
	v_cmp_ne_u16_sdwa s[4:5], v8, v8 src0_sel:DWORD src1_sel:WORD_1
	;; [unrolled: 10-line block ×5, first 2 shown]
	s_and_b64 s[4:5], vcc, s[4:5]
	v_mad_u32_u24 v4, v0, 14, 2
	v_mul_u32_u24_e32 v2, 14, v0
	v_cndmask_b32_e64 v54, 0, 1, s[4:5]
	v_cmp_gt_u64_e32 vcc, s[12:13], v[4:5]
	v_cmp_ne_u16_sdwa s[4:5], v12, v13 src0_sel:WORD_1 src1_sel:DWORD
	s_and_b64 s[4:5], vcc, s[4:5]
	v_or_b32_e32 v4, 1, v2
	v_cndmask_b32_e64 v55, 0, 1, s[4:5]
	v_cmp_gt_u64_e32 vcc, s[12:13], v[4:5]
	v_cmp_ne_u16_sdwa s[4:5], v12, v12 src0_sel:DWORD src1_sel:WORD_1
	s_and_b64 s[4:5], vcc, s[4:5]
	s_mov_b32 s14, 1
	v_lshlrev_b32_e32 v3, 1, v0
	v_cndmask_b32_e64 v56, 0, 1, s[4:5]
	ds_write_b16 v3, v6
	s_waitcnt lgkmcnt(0)
	s_barrier
	s_waitcnt lgkmcnt(0)
                                        ; implicit-def: $sgpr8_sgpr9
	s_and_saveexec_b64 s[4:5], s[2:3]
	s_cbranch_execz .LBB798_142
; %bb.56:
	v_add_u32_e32 v3, -2, v3
	ds_read_u16 v4, v3
	v_mov_b32_e32 v3, v5
	v_cmp_gt_u64_e32 vcc, s[12:13], v[2:3]
	s_or_b64 s[6:7], s[6:7], exec
	s_waitcnt lgkmcnt(0)
	v_cmp_ne_u16_e64 s[2:3], v4, v12
	s_and_b64 s[2:3], vcc, s[2:3]
	s_and_b64 s[8:9], s[2:3], exec
	s_or_b64 exec, exec, s[4:5]
.LBB798_57:
	v_mov_b32_e32 v57, s14
	s_and_saveexec_b64 s[2:3], s[6:7]
.LBB798_58:
	v_cndmask_b32_e64 v57, 0, 1, s[8:9]
.LBB798_59:
	s_or_b64 exec, exec, s[2:3]
	s_cmp_eq_u64 s[38:39], 0
	v_add_u32_e32 v2, v56, v57
	s_cselect_b64 s[38:39], -1, 0
	s_cmp_lg_u32 s56, 0
	v_cmp_eq_u32_e64 s[24:25], 0, v56
	v_cmp_eq_u32_e64 s[22:23], 0, v55
	v_add3_u32 v60, v2, v55, v54
	v_cmp_eq_u32_e64 s[20:21], 0, v54
	v_cmp_eq_u32_e64 s[18:19], 0, v53
	;; [unrolled: 1-line block ×10, first 2 shown]
	v_cmp_eq_u32_e32 vcc, 0, v44
	v_mbcnt_lo_u32_b32 v59, -1, 0
	v_lshrrev_b32_e32 v58, 6, v0
	s_cbranch_scc0 .LBB798_90
; %bb.60:
	v_cndmask_b32_e64 v2, 0, v42, s[24:25]
	v_add_u32_e32 v2, v2, v42
	v_cndmask_b32_e64 v2, 0, v2, s[22:23]
	v_add_u32_e32 v2, v2, v42
	;; [unrolled: 2-line block ×10, first 2 shown]
	v_cndmask_b32_e64 v2, 0, v2, s[4:5]
	v_add3_u32 v3, v60, v53, v52
	v_add_u32_e32 v2, v2, v42
	v_add3_u32 v3, v3, v51, v50
	v_cndmask_b32_e64 v2, 0, v2, s[2:3]
	v_add3_u32 v3, v3, v49, v48
	v_add_u32_e32 v2, v2, v42
	v_add3_u32 v3, v3, v47, v46
	v_cndmask_b32_e32 v2, 0, v2, vcc
	v_add3_u32 v3, v3, v45, v44
	v_add_u32_e32 v2, v2, v43
	v_mbcnt_hi_u32_b32 v17, -1, v59
	v_and_b32_e32 v4, 15, v17
	v_mov_b32_dpp v6, v2 row_shr:1 row_mask:0xf bank_mask:0xf
	v_cmp_eq_u32_e32 vcc, 0, v3
	v_mov_b32_dpp v5, v3 row_shr:1 row_mask:0xf bank_mask:0xf
	v_cndmask_b32_e32 v6, 0, v6, vcc
	v_cmp_eq_u32_e32 vcc, 0, v4
	v_cndmask_b32_e64 v5, v5, 0, vcc
	v_add_u32_e32 v3, v5, v3
	v_cndmask_b32_e64 v5, v6, 0, vcc
	v_add_u32_e32 v2, v5, v2
	v_cmp_eq_u32_e32 vcc, 0, v3
	v_mov_b32_dpp v5, v3 row_shr:2 row_mask:0xf bank_mask:0xf
	v_cmp_lt_u32_e64 s[26:27], 1, v4
	v_mov_b32_dpp v6, v2 row_shr:2 row_mask:0xf bank_mask:0xf
	v_cndmask_b32_e64 v5, 0, v5, s[26:27]
	s_and_b64 vcc, s[26:27], vcc
	v_cndmask_b32_e32 v6, 0, v6, vcc
	v_add_u32_e32 v3, v3, v5
	v_add_u32_e32 v2, v6, v2
	v_cmp_eq_u32_e32 vcc, 0, v3
	v_mov_b32_dpp v5, v3 row_shr:4 row_mask:0xf bank_mask:0xf
	v_cmp_lt_u32_e64 s[26:27], 3, v4
	v_mov_b32_dpp v6, v2 row_shr:4 row_mask:0xf bank_mask:0xf
	v_cndmask_b32_e64 v5, 0, v5, s[26:27]
	s_and_b64 vcc, s[26:27], vcc
	v_cndmask_b32_e32 v6, 0, v6, vcc
	v_add_u32_e32 v3, v5, v3
	v_add_u32_e32 v2, v2, v6
	v_cmp_eq_u32_e32 vcc, 0, v3
	v_cmp_lt_u32_e64 s[26:27], 7, v4
	v_mov_b32_dpp v5, v3 row_shr:8 row_mask:0xf bank_mask:0xf
	v_mov_b32_dpp v6, v2 row_shr:8 row_mask:0xf bank_mask:0xf
	s_and_b64 vcc, s[26:27], vcc
	v_cndmask_b32_e64 v4, 0, v5, s[26:27]
	v_cndmask_b32_e32 v5, 0, v6, vcc
	v_add_u32_e32 v2, v5, v2
	v_add_u32_e32 v3, v4, v3
	v_bfe_i32 v6, v17, 4, 1
	v_mov_b32_dpp v5, v2 row_bcast:15 row_mask:0xf bank_mask:0xf
	v_mov_b32_dpp v4, v3 row_bcast:15 row_mask:0xf bank_mask:0xf
	v_cmp_eq_u32_e32 vcc, 0, v3
	v_cndmask_b32_e32 v5, 0, v5, vcc
	v_and_b32_e32 v4, v6, v4
	v_add_u32_e32 v3, v4, v3
	v_and_b32_e32 v4, v6, v5
	v_add_u32_e32 v4, v4, v2
	v_mov_b32_dpp v2, v3 row_bcast:31 row_mask:0xf bank_mask:0xf
	v_cmp_eq_u32_e32 vcc, 0, v3
	v_cmp_lt_u32_e64 s[26:27], 31, v17
	v_mov_b32_dpp v5, v4 row_bcast:31 row_mask:0xf bank_mask:0xf
	v_cndmask_b32_e64 v2, 0, v2, s[26:27]
	s_and_b64 vcc, s[26:27], vcc
	v_add_u32_e32 v2, v2, v3
	v_cndmask_b32_e32 v3, 0, v5, vcc
	v_add_u32_e32 v3, v3, v4
	v_and_b32_e32 v4, 0xc0, v0
	v_min_u32_e32 v4, 0x80, v4
	v_or_b32_e32 v4, 63, v4
	v_cmp_eq_u32_e32 vcc, v4, v0
	v_lshlrev_b32_e32 v4, 3, v58
	s_and_saveexec_b64 s[26:27], vcc
	s_cbranch_execz .LBB798_62
; %bb.61:
	ds_write_b64 v4, v[2:3] offset:784
.LBB798_62:
	s_or_b64 exec, exec, s[26:27]
	v_cmp_gt_u32_e32 vcc, 3, v0
	s_waitcnt lgkmcnt(0)
	s_barrier
	s_and_saveexec_b64 s[28:29], vcc
	s_cbranch_execz .LBB798_64
; %bb.63:
	v_lshlrev_b32_e32 v5, 3, v0
	ds_read_b64 v[6:7], v5 offset:784
	v_and_b32_e32 v14, 3, v17
	v_cmp_lt_u32_e64 s[26:27], 1, v14
	s_waitcnt lgkmcnt(0)
	v_mov_b32_dpp v16, v7 row_shr:1 row_mask:0xf bank_mask:0xf
	v_cmp_eq_u32_e32 vcc, 0, v6
	v_mov_b32_dpp v15, v6 row_shr:1 row_mask:0xf bank_mask:0xf
	v_cndmask_b32_e32 v16, 0, v16, vcc
	v_cmp_eq_u32_e32 vcc, 0, v14
	v_cndmask_b32_e64 v15, v15, 0, vcc
	v_add_u32_e32 v6, v15, v6
	v_cndmask_b32_e64 v15, v16, 0, vcc
	v_add_u32_e32 v7, v15, v7
	v_cmp_eq_u32_e32 vcc, 0, v6
	v_mov_b32_dpp v15, v6 row_shr:2 row_mask:0xf bank_mask:0xf
	v_mov_b32_dpp v16, v7 row_shr:2 row_mask:0xf bank_mask:0xf
	v_cndmask_b32_e64 v14, 0, v15, s[26:27]
	s_and_b64 vcc, s[26:27], vcc
	v_add_u32_e32 v6, v14, v6
	v_cndmask_b32_e32 v14, 0, v16, vcc
	v_add_u32_e32 v7, v14, v7
	ds_write_b64 v5, v[6:7] offset:784
.LBB798_64:
	s_or_b64 exec, exec, s[28:29]
	v_cmp_gt_u32_e32 vcc, 64, v0
	v_cmp_lt_u32_e64 s[26:27], 63, v0
	v_mov_b32_e32 v14, 0
	v_mov_b32_e32 v15, 0
	s_waitcnt lgkmcnt(0)
	s_barrier
	s_and_saveexec_b64 s[28:29], s[26:27]
	s_cbranch_execz .LBB798_66
; %bb.65:
	ds_read_b64 v[14:15], v4 offset:776
	v_cmp_eq_u32_e64 s[26:27], 0, v2
	s_waitcnt lgkmcnt(0)
	v_add_u32_e32 v4, v14, v2
	v_cndmask_b32_e64 v2, 0, v15, s[26:27]
	v_add_u32_e32 v3, v2, v3
	v_mov_b32_e32 v2, v4
.LBB798_66:
	s_or_b64 exec, exec, s[28:29]
	v_add_u32_e32 v4, -1, v17
	v_and_b32_e32 v5, 64, v17
	v_cmp_lt_i32_e64 s[26:27], v4, v5
	v_cndmask_b32_e64 v4, v4, v17, s[26:27]
	v_lshlrev_b32_e32 v4, 2, v4
	ds_bpermute_b32 v22, v4, v2
	ds_bpermute_b32 v23, v4, v3
	v_cmp_eq_u32_e64 s[26:27], 0, v17
	s_and_saveexec_b64 s[50:51], vcc
	s_cbranch_execz .LBB798_89
; %bb.67:
	v_mov_b32_e32 v7, 0
	ds_read_b64 v[2:3], v7 offset:800
	s_waitcnt lgkmcnt(0)
	v_readfirstlane_b32 s54, v2
	v_readfirstlane_b32 s55, v3
	s_and_saveexec_b64 s[28:29], s[26:27]
	s_cbranch_execz .LBB798_69
; %bb.68:
	s_add_i32 s52, s56, 64
	s_mov_b32 s53, 0
	s_lshl_b64 s[58:59], s[52:53], 4
	s_add_u32 s58, s36, s58
	s_addc_u32 s59, s37, s59
	s_and_b32 s61, s55, 0xff000000
	s_mov_b32 s60, s53
	s_and_b32 s63, s55, 0xff0000
	s_mov_b32 s62, s53
	s_or_b64 s[60:61], s[62:63], s[60:61]
	s_and_b32 s63, s55, 0xff00
	s_or_b64 s[60:61], s[60:61], s[62:63]
	s_and_b32 s63, s55, 0xff
	s_or_b64 s[52:53], s[60:61], s[62:63]
	v_mov_b32_e32 v4, s54
	v_mov_b32_e32 v5, s53
	;; [unrolled: 1-line block ×3, first 2 shown]
	v_pk_mov_b32 v[2:3], s[58:59], s[58:59] op_sel:[0,1]
	;;#ASMSTART
	global_store_dwordx4 v[2:3], v[4:7] off	
s_waitcnt vmcnt(0)
	;;#ASMEND
.LBB798_69:
	s_or_b64 exec, exec, s[28:29]
	v_xad_u32 v16, v17, -1, s56
	v_add_u32_e32 v6, 64, v16
	v_lshlrev_b64 v[2:3], 4, v[6:7]
	v_mov_b32_e32 v4, s37
	v_add_co_u32_e32 v18, vcc, s36, v2
	v_addc_co_u32_e32 v19, vcc, v4, v3, vcc
	;;#ASMSTART
	global_load_dwordx4 v[2:5], v[18:19] off glc	
s_waitcnt vmcnt(0)
	;;#ASMEND
	v_and_b32_e32 v5, 0xff, v3
	v_and_b32_e32 v6, 0xff00, v3
	v_or3_b32 v5, 0, v5, v6
	v_or3_b32 v2, v2, 0, 0
	v_and_b32_e32 v6, 0xff000000, v3
	v_and_b32_e32 v3, 0xff0000, v3
	v_or3_b32 v3, v5, v3, v6
	v_or3_b32 v2, v2, 0, 0
	v_cmp_eq_u16_sdwa s[52:53], v4, v7 src0_sel:BYTE_0 src1_sel:DWORD
	s_and_saveexec_b64 s[28:29], s[52:53]
	s_cbranch_execz .LBB798_75
; %bb.70:
	s_mov_b32 s57, 1
	s_mov_b64 s[52:53], 0
	v_mov_b32_e32 v6, 0
.LBB798_71:                             ; =>This Loop Header: Depth=1
                                        ;     Child Loop BB798_72 Depth 2
	s_max_u32 s58, s57, 1
.LBB798_72:                             ;   Parent Loop BB798_71 Depth=1
                                        ; =>  This Inner Loop Header: Depth=2
	s_add_i32 s58, s58, -1
	s_cmp_eq_u32 s58, 0
	s_sleep 1
	s_cbranch_scc0 .LBB798_72
; %bb.73:                               ;   in Loop: Header=BB798_71 Depth=1
	s_cmp_lt_u32 s57, 32
	s_cselect_b64 s[58:59], -1, 0
	s_cmp_lg_u64 s[58:59], 0
	s_addc_u32 s57, s57, 0
	;;#ASMSTART
	global_load_dwordx4 v[2:5], v[18:19] off glc	
s_waitcnt vmcnt(0)
	;;#ASMEND
	v_cmp_ne_u16_sdwa s[58:59], v4, v6 src0_sel:BYTE_0 src1_sel:DWORD
	s_or_b64 s[52:53], s[58:59], s[52:53]
	s_andn2_b64 exec, exec, s[52:53]
	s_cbranch_execnz .LBB798_71
; %bb.74:
	s_or_b64 exec, exec, s[52:53]
.LBB798_75:
	s_or_b64 exec, exec, s[28:29]
	v_mov_b32_e32 v24, 2
	v_cmp_eq_u16_sdwa s[28:29], v4, v24 src0_sel:BYTE_0 src1_sel:DWORD
	v_lshlrev_b64 v[18:19], v17, -1
	v_and_b32_e32 v5, s29, v19
	v_and_b32_e32 v25, 63, v17
	v_or_b32_e32 v5, 0x80000000, v5
	v_cmp_ne_u32_e32 vcc, 63, v25
	v_and_b32_e32 v6, s28, v18
	v_ffbl_b32_e32 v5, v5
	v_addc_co_u32_e32 v7, vcc, 0, v17, vcc
	v_add_u32_e32 v5, 32, v5
	v_ffbl_b32_e32 v6, v6
	v_lshlrev_b32_e32 v26, 2, v7
	v_min_u32_e32 v5, v6, v5
	ds_bpermute_b32 v6, v26, v3
	v_cmp_eq_u32_e32 vcc, 0, v2
	v_cmp_lt_u32_e64 s[28:29], v25, v5
	ds_bpermute_b32 v7, v26, v2
	s_and_b64 vcc, s[28:29], vcc
	s_waitcnt lgkmcnt(1)
	v_cndmask_b32_e32 v6, 0, v6, vcc
	v_cmp_gt_u32_e32 vcc, 62, v25
	v_add_u32_e32 v3, v6, v3
	v_cndmask_b32_e64 v6, 0, 1, vcc
	v_lshlrev_b32_e32 v6, 1, v6
	v_add_lshl_u32 v27, v6, v17, 2
	s_waitcnt lgkmcnt(0)
	v_cndmask_b32_e64 v7, 0, v7, s[28:29]
	ds_bpermute_b32 v6, v27, v3
	v_add_u32_e32 v2, v7, v2
	ds_bpermute_b32 v7, v27, v2
	v_add_u32_e32 v28, 2, v25
	v_cmp_eq_u32_e32 vcc, 0, v2
	s_waitcnt lgkmcnt(1)
	v_cndmask_b32_e32 v6, 0, v6, vcc
	v_cmp_gt_u32_e32 vcc, v28, v5
	v_cndmask_b32_e64 v6, v6, 0, vcc
	v_add_u32_e32 v3, v6, v3
	s_waitcnt lgkmcnt(0)
	v_cndmask_b32_e64 v6, v7, 0, vcc
	v_cmp_gt_u32_e32 vcc, 60, v25
	v_cndmask_b32_e64 v7, 0, 1, vcc
	v_lshlrev_b32_e32 v7, 2, v7
	v_add_lshl_u32 v29, v7, v17, 2
	ds_bpermute_b32 v7, v29, v3
	v_add_u32_e32 v2, v2, v6
	ds_bpermute_b32 v6, v29, v2
	v_add_u32_e32 v30, 4, v25
	v_cmp_eq_u32_e32 vcc, 0, v2
	s_waitcnt lgkmcnt(1)
	v_cndmask_b32_e32 v7, 0, v7, vcc
	v_cmp_gt_u32_e32 vcc, v30, v5
	v_cndmask_b32_e64 v7, v7, 0, vcc
	s_waitcnt lgkmcnt(0)
	v_cndmask_b32_e64 v6, v6, 0, vcc
	v_cmp_gt_u32_e32 vcc, 56, v25
	v_add_u32_e32 v3, v3, v7
	v_cndmask_b32_e64 v7, 0, 1, vcc
	v_lshlrev_b32_e32 v7, 3, v7
	v_add_lshl_u32 v31, v7, v17, 2
	ds_bpermute_b32 v7, v31, v3
	v_add_u32_e32 v2, v2, v6
	ds_bpermute_b32 v6, v31, v2
	v_add_u32_e32 v32, 8, v25
	v_cmp_eq_u32_e32 vcc, 0, v2
	s_waitcnt lgkmcnt(1)
	v_cndmask_b32_e32 v7, 0, v7, vcc
	v_cmp_gt_u32_e32 vcc, v32, v5
	v_cndmask_b32_e64 v7, v7, 0, vcc
	s_waitcnt lgkmcnt(0)
	v_cndmask_b32_e64 v6, v6, 0, vcc
	v_cmp_gt_u32_e32 vcc, 48, v25
	v_add_u32_e32 v3, v3, v7
	;; [unrolled: 16-line block ×3, first 2 shown]
	v_cndmask_b32_e64 v7, 0, 1, vcc
	v_lshlrev_b32_e32 v7, 5, v7
	v_add_lshl_u32 v35, v7, v17, 2
	ds_bpermute_b32 v7, v35, v3
	v_add_u32_e32 v2, v2, v6
	ds_bpermute_b32 v6, v35, v2
	v_add_u32_e32 v36, 32, v25
	v_cmp_eq_u32_e32 vcc, 0, v2
	s_waitcnt lgkmcnt(1)
	v_cndmask_b32_e32 v7, 0, v7, vcc
	v_cmp_gt_u32_e32 vcc, v36, v5
	v_cndmask_b32_e64 v5, v7, 0, vcc
	v_add_u32_e32 v3, v5, v3
	s_waitcnt lgkmcnt(0)
	v_cndmask_b32_e64 v5, v6, 0, vcc
	v_add_u32_e32 v2, v5, v2
	v_mov_b32_e32 v17, 0
	s_branch .LBB798_77
.LBB798_76:                             ;   in Loop: Header=BB798_77 Depth=1
	s_or_b64 exec, exec, s[28:29]
	v_cmp_eq_u16_sdwa s[28:29], v4, v24 src0_sel:BYTE_0 src1_sel:DWORD
	v_and_b32_e32 v5, s29, v19
	v_or_b32_e32 v5, 0x80000000, v5
	v_and_b32_e32 v20, s28, v18
	v_ffbl_b32_e32 v5, v5
	v_add_u32_e32 v5, 32, v5
	v_ffbl_b32_e32 v20, v20
	v_min_u32_e32 v5, v20, v5
	ds_bpermute_b32 v20, v26, v3
	v_cmp_eq_u32_e32 vcc, 0, v2
	v_cmp_lt_u32_e64 s[28:29], v25, v5
	ds_bpermute_b32 v21, v26, v2
	s_and_b64 vcc, s[28:29], vcc
	s_waitcnt lgkmcnt(1)
	v_cndmask_b32_e32 v20, 0, v20, vcc
	v_add_u32_e32 v3, v20, v3
	ds_bpermute_b32 v20, v27, v3
	s_waitcnt lgkmcnt(1)
	v_cndmask_b32_e64 v21, 0, v21, s[28:29]
	v_add_u32_e32 v2, v21, v2
	v_cmp_eq_u32_e32 vcc, 0, v2
	ds_bpermute_b32 v21, v27, v2
	s_waitcnt lgkmcnt(1)
	v_cndmask_b32_e32 v20, 0, v20, vcc
	v_cmp_gt_u32_e32 vcc, v28, v5
	v_cndmask_b32_e64 v20, v20, 0, vcc
	v_add_u32_e32 v3, v20, v3
	ds_bpermute_b32 v20, v29, v3
	s_waitcnt lgkmcnt(1)
	v_cndmask_b32_e64 v21, v21, 0, vcc
	v_add_u32_e32 v2, v2, v21
	v_cmp_eq_u32_e32 vcc, 0, v2
	ds_bpermute_b32 v21, v29, v2
	s_waitcnt lgkmcnt(1)
	v_cndmask_b32_e32 v20, 0, v20, vcc
	v_cmp_gt_u32_e32 vcc, v30, v5
	v_cndmask_b32_e64 v20, v20, 0, vcc
	v_add_u32_e32 v3, v3, v20
	ds_bpermute_b32 v20, v31, v3
	s_waitcnt lgkmcnt(1)
	v_cndmask_b32_e64 v21, v21, 0, vcc
	v_add_u32_e32 v2, v2, v21
	ds_bpermute_b32 v21, v31, v2
	v_cmp_eq_u32_e32 vcc, 0, v2
	s_waitcnt lgkmcnt(1)
	v_cndmask_b32_e32 v20, 0, v20, vcc
	v_cmp_gt_u32_e32 vcc, v32, v5
	v_cndmask_b32_e64 v20, v20, 0, vcc
	v_add_u32_e32 v3, v3, v20
	ds_bpermute_b32 v20, v33, v3
	s_waitcnt lgkmcnt(1)
	v_cndmask_b32_e64 v21, v21, 0, vcc
	v_add_u32_e32 v2, v2, v21
	ds_bpermute_b32 v21, v33, v2
	v_cmp_eq_u32_e32 vcc, 0, v2
	;; [unrolled: 11-line block ×3, first 2 shown]
	s_waitcnt lgkmcnt(1)
	v_cndmask_b32_e32 v20, 0, v20, vcc
	v_cmp_gt_u32_e32 vcc, v36, v5
	v_cndmask_b32_e64 v5, v20, 0, vcc
	v_add_u32_e32 v3, v5, v3
	s_waitcnt lgkmcnt(0)
	v_cndmask_b32_e64 v5, v21, 0, vcc
	v_cmp_eq_u32_e32 vcc, 0, v6
	v_cndmask_b32_e32 v3, 0, v3, vcc
	v_subrev_u32_e32 v16, 64, v16
	v_add3_u32 v2, v2, v6, v5
	v_add_u32_e32 v3, v3, v7
.LBB798_77:                             ; =>This Loop Header: Depth=1
                                        ;     Child Loop BB798_80 Depth 2
                                        ;       Child Loop BB798_81 Depth 3
	v_cmp_ne_u16_sdwa s[28:29], v4, v24 src0_sel:BYTE_0 src1_sel:DWORD
	v_mov_b32_e32 v7, v3
	v_cndmask_b32_e64 v3, 0, 1, s[28:29]
	;;#ASMSTART
	;;#ASMEND
	v_cmp_ne_u32_e32 vcc, 0, v3
	s_cmp_lg_u64 vcc, exec
	v_mov_b32_e32 v6, v2
	s_cbranch_scc1 .LBB798_84
; %bb.78:                               ;   in Loop: Header=BB798_77 Depth=1
	v_lshlrev_b64 v[2:3], 4, v[16:17]
	v_mov_b32_e32 v4, s37
	v_add_co_u32_e32 v20, vcc, s36, v2
	v_addc_co_u32_e32 v21, vcc, v4, v3, vcc
	;;#ASMSTART
	global_load_dwordx4 v[2:5], v[20:21] off glc	
s_waitcnt vmcnt(0)
	;;#ASMEND
	v_and_b32_e32 v5, 0xff, v3
	v_and_b32_e32 v37, 0xff00, v3
	v_or3_b32 v5, 0, v5, v37
	v_or3_b32 v2, v2, 0, 0
	v_and_b32_e32 v37, 0xff000000, v3
	v_and_b32_e32 v3, 0xff0000, v3
	v_or3_b32 v3, v5, v3, v37
	v_or3_b32 v2, v2, 0, 0
	v_cmp_eq_u16_sdwa s[52:53], v4, v17 src0_sel:BYTE_0 src1_sel:DWORD
	s_and_saveexec_b64 s[28:29], s[52:53]
	s_cbranch_execz .LBB798_76
; %bb.79:                               ;   in Loop: Header=BB798_77 Depth=1
	s_mov_b32 s57, 1
	s_mov_b64 s[52:53], 0
.LBB798_80:                             ;   Parent Loop BB798_77 Depth=1
                                        ; =>  This Loop Header: Depth=2
                                        ;       Child Loop BB798_81 Depth 3
	s_max_u32 s58, s57, 1
.LBB798_81:                             ;   Parent Loop BB798_77 Depth=1
                                        ;     Parent Loop BB798_80 Depth=2
                                        ; =>    This Inner Loop Header: Depth=3
	s_add_i32 s58, s58, -1
	s_cmp_eq_u32 s58, 0
	s_sleep 1
	s_cbranch_scc0 .LBB798_81
; %bb.82:                               ;   in Loop: Header=BB798_80 Depth=2
	s_cmp_lt_u32 s57, 32
	s_cselect_b64 s[58:59], -1, 0
	s_cmp_lg_u64 s[58:59], 0
	s_addc_u32 s57, s57, 0
	;;#ASMSTART
	global_load_dwordx4 v[2:5], v[20:21] off glc	
s_waitcnt vmcnt(0)
	;;#ASMEND
	v_cmp_ne_u16_sdwa s[58:59], v4, v17 src0_sel:BYTE_0 src1_sel:DWORD
	s_or_b64 s[52:53], s[58:59], s[52:53]
	s_andn2_b64 exec, exec, s[52:53]
	s_cbranch_execnz .LBB798_80
; %bb.83:                               ;   in Loop: Header=BB798_77 Depth=1
	s_or_b64 exec, exec, s[52:53]
	s_branch .LBB798_76
.LBB798_84:                             ;   in Loop: Header=BB798_77 Depth=1
                                        ; implicit-def: $vgpr3
                                        ; implicit-def: $vgpr2
                                        ; implicit-def: $vgpr4
	s_cbranch_execz .LBB798_77
; %bb.85:
	s_and_saveexec_b64 s[28:29], s[26:27]
	s_cbranch_execz .LBB798_87
; %bb.86:
	s_cmp_eq_u32 s54, 0
	s_cselect_b64 vcc, -1, 0
	s_mov_b32 s53, 0
	v_cndmask_b32_e32 v2, 0, v7, vcc
	s_add_i32 s52, s56, 64
	v_add_u32_e32 v2, s55, v2
	s_lshl_b64 s[52:53], s[52:53], 4
	s_add_u32 s52, s36, s52
	v_and_b32_e32 v3, 0xff000000, v2
	v_and_b32_e32 v4, 0xff0000, v2
	s_addc_u32 s53, s37, s53
	v_or_b32_e32 v3, v4, v3
	v_and_b32_e32 v4, 0xff00, v2
	v_and_b32_e32 v2, 0xff, v2
	v_add_u32_e32 v16, s54, v6
	v_mov_b32_e32 v19, 0
	v_or3_b32 v17, v3, v4, v2
	v_mov_b32_e32 v18, 2
	v_pk_mov_b32 v[2:3], s[52:53], s[52:53] op_sel:[0,1]
	;;#ASMSTART
	global_store_dwordx4 v[2:3], v[16:19] off	
s_waitcnt vmcnt(0)
	;;#ASMEND
	v_mov_b32_e32 v4, s54
	v_mov_b32_e32 v5, s55
	ds_write_b128 v19, v[4:7] offset:768
.LBB798_87:
	s_or_b64 exec, exec, s[28:29]
	s_and_b64 exec, exec, s[0:1]
	s_cbranch_execz .LBB798_89
; %bb.88:
	v_mov_b32_e32 v2, 0
	ds_write_b64 v2, v[6:7] offset:800
.LBB798_89:
	s_or_b64 exec, exec, s[50:51]
	v_mov_b32_e32 v4, 0
	s_waitcnt lgkmcnt(0)
	s_barrier
	ds_read_b64 v[2:3], v4 offset:800
	v_cndmask_b32_e64 v6, v22, v14, s[26:27]
	v_cmp_eq_u32_e32 vcc, 0, v6
	v_cndmask_b32_e64 v5, v23, v15, s[26:27]
	s_waitcnt lgkmcnt(0)
	v_cndmask_b32_e32 v7, 0, v3, vcc
	v_add_u32_e32 v5, v7, v5
	v_cndmask_b32_e64 v41, v5, v3, s[0:1]
	v_cndmask_b32_e64 v3, v6, 0, s[0:1]
	v_cmp_eq_u32_e32 vcc, 0, v57
	v_add_u32_e32 v40, v2, v3
	v_cndmask_b32_e32 v2, 0, v41, vcc
	v_add_u32_e32 v39, v2, v42
	v_cndmask_b32_e64 v2, 0, v39, s[24:25]
	v_add_u32_e32 v37, v2, v42
	v_cndmask_b32_e64 v2, 0, v37, s[22:23]
	;; [unrolled: 2-line block ×7, first 2 shown]
	v_add_u32_e32 v25, v2, v42
	v_add_u32_e32 v38, v40, v57
	v_cndmask_b32_e64 v2, 0, v25, s[10:11]
	v_add_u32_e32 v36, v38, v56
	v_add_u32_e32 v23, v2, v42
	v_add_u32_e32 v34, v36, v55
	v_cndmask_b32_e64 v2, 0, v23, s[8:9]
	v_add_u32_e32 v32, v34, v54
	;; [unrolled: 4-line block ×3, first 2 shown]
	v_add_u32_e32 v19, v2, v42
	s_barrier
	ds_read_b128 v[2:5], v4 offset:768
	v_add_u32_e32 v26, v28, v51
	v_add_u32_e32 v24, v26, v50
	;; [unrolled: 1-line block ×4, first 2 shown]
	v_cndmask_b32_e64 v6, 0, v19, s[4:5]
	v_add_u32_e32 v18, v20, v47
	v_add_u32_e32 v15, v6, v42
	s_waitcnt lgkmcnt(0)
	v_cmp_eq_u32_e32 vcc, 0, v2
	v_add_u32_e32 v14, v18, v46
	v_cndmask_b32_e64 v6, 0, v15, s[2:3]
	v_cndmask_b32_e32 v5, 0, v5, vcc
	v_add_u32_e32 v16, v14, v45
	v_add_u32_e32 v17, v6, v42
	;; [unrolled: 1-line block ×3, first 2 shown]
	s_branch .LBB798_102
.LBB798_90:
                                        ; implicit-def: $vgpr2
                                        ; implicit-def: $vgpr6
                                        ; implicit-def: $vgpr16_vgpr17
                                        ; implicit-def: $vgpr14_vgpr15
                                        ; implicit-def: $vgpr18_vgpr19
                                        ; implicit-def: $vgpr20_vgpr21
                                        ; implicit-def: $vgpr40_vgpr41
                                        ; implicit-def: $vgpr38_vgpr39
                                        ; implicit-def: $vgpr36_vgpr37
                                        ; implicit-def: $vgpr34_vgpr35
                                        ; implicit-def: $vgpr32_vgpr33
                                        ; implicit-def: $vgpr30_vgpr31
                                        ; implicit-def: $vgpr28_vgpr29
                                        ; implicit-def: $vgpr26_vgpr27
                                        ; implicit-def: $vgpr24_vgpr25
                                        ; implicit-def: $vgpr22_vgpr23
	s_cbranch_execz .LBB798_102
; %bb.91:
	s_and_b64 s[2:3], s[38:39], exec
	s_cselect_b32 s3, 0, s49
	s_cselect_b32 s2, 0, s48
	s_cmp_eq_u64 s[2:3], 0
	v_mov_b32_e32 v6, v42
	s_cbranch_scc1 .LBB798_93
; %bb.92:
	v_mov_b32_e32 v2, 0
	global_load_dword v6, v2, s[2:3]
.LBB798_93:
	v_cmp_eq_u32_e64 s[2:3], 0, v56
	v_cndmask_b32_e64 v2, 0, v42, s[2:3]
	v_add_u32_e32 v2, v2, v42
	v_cmp_eq_u32_e64 s[4:5], 0, v55
	v_cndmask_b32_e64 v2, 0, v2, s[4:5]
	v_add_u32_e32 v2, v2, v42
	v_cmp_eq_u32_e64 s[6:7], 0, v54
	v_cndmask_b32_e64 v2, 0, v2, s[6:7]
	v_add_u32_e32 v2, v2, v42
	v_cmp_eq_u32_e64 s[8:9], 0, v53
	v_cndmask_b32_e64 v2, 0, v2, s[8:9]
	v_add_u32_e32 v2, v2, v42
	v_cmp_eq_u32_e64 s[10:11], 0, v52
	v_cndmask_b32_e64 v2, 0, v2, s[10:11]
	v_add_u32_e32 v2, v2, v42
	v_cmp_eq_u32_e64 s[12:13], 0, v51
	v_cndmask_b32_e64 v2, 0, v2, s[12:13]
	v_add_u32_e32 v2, v2, v42
	v_cmp_eq_u32_e64 s[14:15], 0, v50
	v_cndmask_b32_e64 v2, 0, v2, s[14:15]
	v_add_u32_e32 v2, v2, v42
	v_cmp_eq_u32_e64 s[16:17], 0, v49
	v_cndmask_b32_e64 v2, 0, v2, s[16:17]
	v_add_u32_e32 v2, v2, v42
	v_cmp_eq_u32_e64 s[18:19], 0, v48
	v_cndmask_b32_e64 v2, 0, v2, s[18:19]
	v_add_u32_e32 v2, v2, v42
	v_cmp_eq_u32_e64 s[20:21], 0, v47
	v_cndmask_b32_e64 v2, 0, v2, s[20:21]
	v_add_u32_e32 v2, v2, v42
	v_cmp_eq_u32_e64 s[22:23], 0, v46
	v_cndmask_b32_e64 v2, 0, v2, s[22:23]
	v_add3_u32 v3, v60, v53, v52
	v_add_u32_e32 v2, v2, v42
	v_cmp_eq_u32_e32 vcc, 0, v45
	v_add3_u32 v3, v3, v51, v50
	v_cndmask_b32_e32 v2, 0, v2, vcc
	v_add3_u32 v3, v3, v49, v48
	v_add_u32_e32 v2, v2, v42
	v_cmp_eq_u32_e64 s[24:25], 0, v44
	v_add3_u32 v3, v3, v47, v46
	v_cndmask_b32_e64 v2, 0, v2, s[24:25]
	v_add3_u32 v3, v3, v45, v44
	v_add_u32_e32 v2, v2, v43
	v_mbcnt_hi_u32_b32 v7, -1, v59
	v_and_b32_e32 v4, 15, v7
	v_mov_b32_dpp v14, v2 row_shr:1 row_mask:0xf bank_mask:0xf
	v_cmp_eq_u32_e64 s[24:25], 0, v3
	v_mov_b32_dpp v5, v3 row_shr:1 row_mask:0xf bank_mask:0xf
	v_cndmask_b32_e64 v14, 0, v14, s[24:25]
	v_cmp_eq_u32_e64 s[24:25], 0, v4
	v_cndmask_b32_e64 v5, v5, 0, s[24:25]
	v_add_u32_e32 v3, v5, v3
	v_cndmask_b32_e64 v5, v14, 0, s[24:25]
	v_add_u32_e32 v2, v5, v2
	v_cmp_eq_u32_e64 s[24:25], 0, v3
	v_mov_b32_dpp v5, v3 row_shr:2 row_mask:0xf bank_mask:0xf
	v_cmp_lt_u32_e64 s[26:27], 1, v4
	v_mov_b32_dpp v14, v2 row_shr:2 row_mask:0xf bank_mask:0xf
	v_cndmask_b32_e64 v5, 0, v5, s[26:27]
	s_and_b64 s[24:25], s[26:27], s[24:25]
	v_cndmask_b32_e64 v14, 0, v14, s[24:25]
	v_add_u32_e32 v3, v3, v5
	v_add_u32_e32 v2, v14, v2
	v_cmp_eq_u32_e64 s[24:25], 0, v3
	v_mov_b32_dpp v5, v3 row_shr:4 row_mask:0xf bank_mask:0xf
	v_cmp_lt_u32_e64 s[26:27], 3, v4
	v_mov_b32_dpp v14, v2 row_shr:4 row_mask:0xf bank_mask:0xf
	v_cndmask_b32_e64 v5, 0, v5, s[26:27]
	s_and_b64 s[24:25], s[26:27], s[24:25]
	v_cndmask_b32_e64 v14, 0, v14, s[24:25]
	v_add_u32_e32 v3, v5, v3
	v_add_u32_e32 v2, v2, v14
	v_cmp_eq_u32_e64 s[24:25], 0, v3
	v_cmp_lt_u32_e64 s[26:27], 7, v4
	v_mov_b32_dpp v5, v3 row_shr:8 row_mask:0xf bank_mask:0xf
	v_mov_b32_dpp v14, v2 row_shr:8 row_mask:0xf bank_mask:0xf
	s_and_b64 s[24:25], s[26:27], s[24:25]
	v_cndmask_b32_e64 v4, 0, v5, s[26:27]
	v_cndmask_b32_e64 v5, 0, v14, s[24:25]
	v_add_u32_e32 v2, v5, v2
	v_add_u32_e32 v3, v4, v3
	v_bfe_i32 v14, v7, 4, 1
	v_mov_b32_dpp v5, v2 row_bcast:15 row_mask:0xf bank_mask:0xf
	v_mov_b32_dpp v4, v3 row_bcast:15 row_mask:0xf bank_mask:0xf
	v_cmp_eq_u32_e64 s[24:25], 0, v3
	v_cndmask_b32_e64 v5, 0, v5, s[24:25]
	v_and_b32_e32 v4, v14, v4
	v_add_u32_e32 v3, v4, v3
	v_and_b32_e32 v4, v14, v5
	v_add_u32_e32 v4, v4, v2
	v_mov_b32_dpp v2, v3 row_bcast:31 row_mask:0xf bank_mask:0xf
	v_cmp_eq_u32_e64 s[24:25], 0, v3
	v_cmp_lt_u32_e64 s[26:27], 31, v7
	v_mov_b32_dpp v5, v4 row_bcast:31 row_mask:0xf bank_mask:0xf
	v_cndmask_b32_e64 v2, 0, v2, s[26:27]
	s_and_b64 s[24:25], s[26:27], s[24:25]
	v_add_u32_e32 v2, v2, v3
	v_cndmask_b32_e64 v3, 0, v5, s[24:25]
	v_add_u32_e32 v3, v3, v4
	v_and_b32_e32 v4, 0xc0, v0
	v_min_u32_e32 v4, 0x80, v4
	v_or_b32_e32 v4, 63, v4
	v_cmp_eq_u32_e64 s[24:25], v4, v0
	s_and_saveexec_b64 s[26:27], s[24:25]
	s_cbranch_execz .LBB798_95
; %bb.94:
	v_lshlrev_b32_e32 v4, 3, v58
	ds_write_b64 v4, v[2:3] offset:784
.LBB798_95:
	s_or_b64 exec, exec, s[26:27]
	v_cmp_gt_u32_e64 s[24:25], 3, v0
	s_waitcnt lgkmcnt(0)
	s_barrier
	s_and_saveexec_b64 s[28:29], s[24:25]
	s_cbranch_execz .LBB798_97
; %bb.96:
	v_lshlrev_b32_e32 v14, 3, v0
	ds_read_b64 v[4:5], v14 offset:784
	v_and_b32_e32 v15, 3, v7
	v_cmp_lt_u32_e64 s[26:27], 1, v15
	s_waitcnt lgkmcnt(0)
	v_mov_b32_dpp v17, v5 row_shr:1 row_mask:0xf bank_mask:0xf
	v_cmp_eq_u32_e64 s[24:25], 0, v4
	v_mov_b32_dpp v16, v4 row_shr:1 row_mask:0xf bank_mask:0xf
	v_cndmask_b32_e64 v17, 0, v17, s[24:25]
	v_cmp_eq_u32_e64 s[24:25], 0, v15
	v_cndmask_b32_e64 v16, v16, 0, s[24:25]
	v_add_u32_e32 v4, v16, v4
	v_cndmask_b32_e64 v16, v17, 0, s[24:25]
	v_add_u32_e32 v5, v16, v5
	v_cmp_eq_u32_e64 s[24:25], 0, v4
	v_mov_b32_dpp v16, v4 row_shr:2 row_mask:0xf bank_mask:0xf
	v_mov_b32_dpp v17, v5 row_shr:2 row_mask:0xf bank_mask:0xf
	v_cndmask_b32_e64 v15, 0, v16, s[26:27]
	s_and_b64 s[24:25], s[26:27], s[24:25]
	v_add_u32_e32 v4, v15, v4
	v_cndmask_b32_e64 v15, 0, v17, s[24:25]
	v_add_u32_e32 v5, v15, v5
	ds_write_b64 v14, v[4:5] offset:784
.LBB798_97:
	s_or_b64 exec, exec, s[28:29]
	v_cmp_lt_u32_e64 s[24:25], 63, v0
	v_mov_b32_e32 v15, 0
	v_mov_b32_e32 v4, 0
	s_waitcnt vmcnt(0)
	v_mov_b32_e32 v5, v6
	s_waitcnt lgkmcnt(0)
	s_barrier
	s_and_saveexec_b64 s[26:27], s[24:25]
	s_cbranch_execz .LBB798_99
; %bb.98:
	v_lshlrev_b32_e32 v4, 3, v58
	ds_read_b64 v[4:5], v4 offset:776
	s_waitcnt lgkmcnt(0)
	v_cmp_eq_u32_e64 s[24:25], 0, v4
	v_cndmask_b32_e64 v14, 0, v6, s[24:25]
	v_add_u32_e32 v5, v14, v5
.LBB798_99:
	s_or_b64 exec, exec, s[26:27]
	v_cmp_eq_u32_e64 s[24:25], 0, v2
	v_add_u32_e32 v14, v4, v2
	v_cndmask_b32_e64 v2, 0, v5, s[24:25]
	v_add_u32_e32 v2, v2, v3
	v_add_u32_e32 v3, -1, v7
	v_and_b32_e32 v16, 64, v7
	v_cmp_lt_i32_e64 s[24:25], v3, v16
	v_cndmask_b32_e64 v3, v3, v7, s[24:25]
	v_lshlrev_b32_e32 v3, 2, v3
	ds_bpermute_b32 v2, v3, v2
	ds_bpermute_b32 v14, v3, v14
	v_cmp_eq_u32_e64 s[24:25], 0, v7
	s_waitcnt lgkmcnt(1)
	v_cndmask_b32_e64 v2, v2, v5, s[24:25]
	s_waitcnt lgkmcnt(0)
	v_cndmask_b32_e64 v3, v14, v4, s[24:25]
	v_cndmask_b32_e64 v41, v2, v6, s[0:1]
	v_cmp_eq_u32_e64 s[24:25], 0, v57
	v_cndmask_b32_e64 v2, 0, v41, s[24:25]
	v_add_u32_e32 v39, v2, v42
	v_cndmask_b32_e64 v2, 0, v39, s[2:3]
	v_add_u32_e32 v37, v2, v42
	;; [unrolled: 2-line block ×7, first 2 shown]
	v_cndmask_b32_e64 v2, 0, v27, s[14:15]
	v_cndmask_b32_e64 v40, v3, 0, s[0:1]
	v_add_u32_e32 v25, v2, v42
	v_add_u32_e32 v38, v40, v57
	v_cndmask_b32_e64 v2, 0, v25, s[16:17]
	v_add_u32_e32 v36, v38, v56
	v_add_u32_e32 v23, v2, v42
	v_add_u32_e32 v34, v36, v55
	v_cndmask_b32_e64 v2, 0, v23, s[18:19]
	v_add_u32_e32 v32, v34, v54
	;; [unrolled: 4-line block ×3, first 2 shown]
	v_add_u32_e32 v19, v2, v42
	ds_read_b64 v[2:3], v15 offset:800
	v_add_u32_e32 v26, v28, v51
	v_add_u32_e32 v24, v26, v50
	;; [unrolled: 1-line block ×3, first 2 shown]
	v_cndmask_b32_e64 v4, 0, v19, s[22:23]
	v_add_u32_e32 v20, v22, v48
	v_add_u32_e32 v15, v4, v42
	;; [unrolled: 1-line block ×3, first 2 shown]
	v_cndmask_b32_e32 v4, 0, v15, vcc
	s_waitcnt lgkmcnt(0)
	v_cmp_eq_u32_e32 vcc, 0, v2
	v_add_u32_e32 v14, v18, v46
	v_add_u32_e32 v17, v4, v42
	v_cndmask_b32_e32 v4, 0, v6, vcc
	v_add_u32_e32 v16, v14, v45
	v_add_u32_e32 v6, v4, v3
	s_and_saveexec_b64 s[2:3], s[0:1]
	s_cbranch_execz .LBB798_101
; %bb.100:
	s_add_u32 s4, s36, 0x400
	v_and_b32_e32 v3, 0xff000000, v6
	v_and_b32_e32 v4, 0xff0000, v6
	s_addc_u32 s5, s37, 0
	v_or_b32_e32 v3, v4, v3
	v_and_b32_e32 v4, 0xff00, v6
	v_and_b32_e32 v7, 0xff, v6
	v_mov_b32_e32 v5, 0
	v_or3_b32 v3, v3, v4, v7
	v_mov_b32_e32 v4, 2
	v_pk_mov_b32 v[42:43], s[4:5], s[4:5] op_sel:[0,1]
	;;#ASMSTART
	global_store_dwordx4 v[42:43], v[2:5] off	
s_waitcnt vmcnt(0)
	;;#ASMEND
.LBB798_101:
	s_or_b64 exec, exec, s[2:3]
	v_mov_b32_e32 v4, 0
.LBB798_102:
	s_and_b64 s[2:3], s[38:39], exec
	s_cselect_b32 s3, 0, s31
	s_cselect_b32 s2, 0, s30
	s_cmp_eq_u64 s[2:3], 0
	v_pk_mov_b32 v[42:43], 0, 0
	s_barrier
	s_cbranch_scc1 .LBB798_104
; %bb.103:
	v_mov_b32_e32 v3, 0
	global_load_dwordx2 v[42:43], v3, s[2:3]
.LBB798_104:
	s_waitcnt vmcnt(0)
	v_lshlrev_b64 v[58:59], 1, v[42:43]
	v_mov_b32_e32 v3, s45
	v_add_co_u32_e32 v7, vcc, s44, v58
	v_mov_b32_e32 v5, 0
	v_addc_co_u32_e32 v60, vcc, v3, v59, vcc
	v_lshlrev_b64 v[58:59], 1, v[4:5]
	v_add_co_u32_e32 v3, vcc, v7, v58
	v_addc_co_u32_e32 v7, vcc, v60, v59, vcc
	v_cmp_eq_u32_e32 vcc, 0, v57
	v_cndmask_b32_e64 v58, 1, 2, vcc
	v_cmp_eq_u32_e32 vcc, 0, v56
	v_cndmask_b32_e64 v59, 1, 2, vcc
	v_cmp_eq_u32_e32 vcc, 0, v55
	v_and_b32_e32 v58, v59, v58
	v_cndmask_b32_e64 v59, 1, 2, vcc
	v_cmp_eq_u32_e32 vcc, 0, v54
	v_and_b32_e32 v58, v58, v59
	;; [unrolled: 3-line block ×12, first 2 shown]
	v_cndmask_b32_e64 v59, 1, 2, vcc
	s_movk_i32 s30, 0xc0
	v_and_b32_e32 v58, v58, v59
	v_cmp_gt_u32_e32 vcc, s30, v2
	v_cmp_ne_u32_e64 s[28:29], 0, v57
	v_cmp_ne_u32_e64 s[26:27], 0, v56
	;; [unrolled: 1-line block ×14, first 2 shown]
	s_mov_b64 s[36:37], -1
	v_cmp_gt_i16_e64 s[30:31], 2, v58
	s_cbranch_vccz .LBB798_111
; %bb.105:
	s_and_saveexec_b64 s[36:37], s[30:31]
	s_cbranch_execz .LBB798_110
; %bb.106:
	v_cmp_ne_u16_e32 vcc, 1, v58
	s_mov_b64 s[38:39], 0
	s_and_saveexec_b64 s[30:31], vcc
	s_xor_b64 s[30:31], exec, s[30:31]
	s_cbranch_execnz .LBB798_143
; %bb.107:
	s_andn2_saveexec_b64 s[30:31], s[30:31]
	s_cbranch_execnz .LBB798_158
.LBB798_108:
	s_or_b64 exec, exec, s[30:31]
	s_and_b64 exec, exec, s[38:39]
	s_cbranch_execz .LBB798_110
.LBB798_109:
	v_sub_u32_e32 v60, v16, v4
	v_mov_b32_e32 v61, 0
	v_lshlrev_b64 v[60:61], 1, v[60:61]
	v_add_co_u32_e32 v60, vcc, v3, v60
	v_addc_co_u32_e32 v61, vcc, v7, v61, vcc
	global_store_short_d16_hi v[60:61], v1, off
.LBB798_110:
	s_or_b64 exec, exec, s[36:37]
	s_mov_b64 s[36:37], 0
.LBB798_111:
	s_and_b64 vcc, exec, s[36:37]
	s_cbranch_vccz .LBB798_121
; %bb.112:
	v_cmp_gt_i16_e32 vcc, 2, v58
	s_and_saveexec_b64 s[30:31], vcc
	s_cbranch_execz .LBB798_117
; %bb.113:
	v_cmp_ne_u16_e32 vcc, 1, v58
	s_mov_b64 s[38:39], 0
	s_and_saveexec_b64 s[36:37], vcc
	s_xor_b64 s[36:37], exec, s[36:37]
	s_cbranch_execnz .LBB798_159
; %bb.114:
	s_andn2_saveexec_b64 s[2:3], s[36:37]
	s_cbranch_execnz .LBB798_174
.LBB798_115:
	s_or_b64 exec, exec, s[2:3]
	s_and_b64 exec, exec, s[38:39]
	s_cbranch_execz .LBB798_117
.LBB798_116:
	v_sub_u32_e32 v8, v16, v4
	v_lshlrev_b32_e32 v8, 1, v8
	ds_write_b16_d16_hi v8, v1
.LBB798_117:
	s_or_b64 exec, exec, s[30:31]
	v_cmp_lt_u32_e32 vcc, v0, v2
	s_waitcnt lgkmcnt(0)
	s_barrier
	s_and_saveexec_b64 s[2:3], vcc
	s_cbranch_execz .LBB798_120
; %bb.118:
	v_lshlrev_b32_e32 v1, 1, v0
	s_mov_b64 s[4:5], 0
	v_mov_b32_e32 v9, 0
	v_mov_b32_e32 v8, v0
.LBB798_119:                            ; =>This Inner Loop Header: Depth=1
	ds_read_u16 v12, v1
	v_lshlrev_b64 v[10:11], 1, v[8:9]
	v_add_co_u32_e32 v10, vcc, v3, v10
	v_add_u32_e32 v8, 0xc0, v8
	v_addc_co_u32_e32 v11, vcc, v7, v11, vcc
	v_cmp_ge_u32_e32 vcc, v8, v2
	v_add_u32_e32 v1, 0x180, v1
	s_or_b64 s[4:5], vcc, s[4:5]
	s_waitcnt lgkmcnt(0)
	global_store_short v[10:11], v12, off
	s_andn2_b64 exec, exec, s[4:5]
	s_cbranch_execnz .LBB798_119
.LBB798_120:
	s_or_b64 exec, exec, s[2:3]
.LBB798_121:
	s_cmpk_lg_i32 s33, 0xa80
	s_cselect_b64 s[2:3], -1, 0
	v_cndmask_b32_e64 v11, 0, 1, s[42:43]
	s_and_b64 s[2:3], s[2:3], s[40:41]
	v_sub_u32_e32 v1, v2, v11
	v_cndmask_b32_e64 v3, 0, 1, s[2:3]
	s_and_b64 s[0:1], s[0:1], s[42:43]
	v_add_u32_e32 v1, v1, v3
	v_cndmask_b32_e64 v3, v57, 0, s[0:1]
	s_lshr_b32 s0, s33, 1
	s_mul_hi_u32 s0, s0, 0x92492493
	s_lshr_b32 s0, s0, 2
	v_mad_i32_i24 v7, v0, -14, s33
	v_cmp_eq_u32_e32 vcc, s0, v0
	v_cmp_ne_u32_e64 s[0:1], 0, v7
	v_cndmask_b32_e64 v8, 1, v3, s[0:1]
	v_cmp_ne_u32_e64 s[0:1], 1, v7
	v_cndmask_b32_e64 v9, 1, v56, s[0:1]
	;; [unrolled: 2-line block ×13, first 2 shown]
	v_cmp_ne_u32_e64 s[0:1], 13, v7
	s_and_b64 vcc, vcc, s[40:41]
	v_cndmask_b32_e64 v7, 1, v44, s[0:1]
	v_cndmask_b32_e32 v13, v53, v13, vcc
	v_cndmask_b32_e32 v12, v54, v12, vcc
	v_cndmask_b32_e32 v53, v55, v10, vcc
	v_cndmask_b32_e32 v54, v56, v9, vcc
	v_cndmask_b32_e32 v55, v3, v8, vcc
	v_lshlrev_b64 v[8:9], 3, v[42:43]
	v_cndmask_b32_e32 v44, v44, v7, vcc
	v_cndmask_b32_e32 v45, v45, v64, vcc
	;; [unrolled: 1-line block ×9, first 2 shown]
	v_mov_b32_e32 v3, s47
	v_add_co_u32_e32 v7, vcc, s46, v8
	v_addc_co_u32_e32 v3, vcc, v3, v9, vcc
	v_lshlrev_b64 v[8:9], 3, v[4:5]
	v_add_co_u32_e32 v5, vcc, v7, v8
	v_addc_co_u32_e32 v10, vcc, v3, v9, vcc
	v_lshlrev_b32_e32 v3, 3, v11
	v_add_co_u32_e32 v3, vcc, v3, v5
	v_addc_co_u32_e32 v7, vcc, 0, v10, vcc
	v_add_co_u32_e32 v3, vcc, -8, v3
	v_addc_co_u32_e32 v7, vcc, -1, v7, vcc
	v_cmp_eq_u32_e32 vcc, 0, v55
	v_cndmask_b32_e64 v9, 1, 2, vcc
	v_cmp_eq_u32_e32 vcc, 0, v54
	v_add_u32_e32 v8, v4, v11
	v_cndmask_b32_e64 v11, 1, 2, vcc
	v_cmp_eq_u32_e32 vcc, 0, v53
	v_and_b32_e32 v9, v11, v9
	v_cndmask_b32_e64 v11, 1, 2, vcc
	v_cmp_eq_u32_e32 vcc, 0, v12
	v_and_b32_e32 v9, v9, v11
	;; [unrolled: 3-line block ×12, first 2 shown]
	v_cndmask_b32_e64 v11, 1, 2, vcc
	s_movk_i32 s28, 0xc0
	v_and_b32_e32 v9, v9, v11
	v_cmp_gt_u32_e32 vcc, s28, v1
	v_cmp_ne_u32_e64 s[26:27], 0, v55
	v_cmp_ne_u32_e64 s[24:25], 0, v54
	;; [unrolled: 1-line block ×14, first 2 shown]
	s_mov_b64 s[30:31], -1
	v_cmp_gt_i16_e64 s[28:29], 2, v9
	s_barrier
	s_cbranch_vccz .LBB798_128
; %bb.122:
	s_and_saveexec_b64 s[30:31], s[28:29]
	s_cbranch_execz .LBB798_127
; %bb.123:
	v_cmp_ne_u16_e32 vcc, 1, v9
	s_mov_b64 s[36:37], 0
	s_and_saveexec_b64 s[28:29], vcc
	s_xor_b64 s[28:29], exec, s[28:29]
	s_cbranch_execnz .LBB798_175
; %bb.124:
	s_andn2_saveexec_b64 s[28:29], s[28:29]
	s_cbranch_execnz .LBB798_190
.LBB798_125:
	s_or_b64 exec, exec, s[28:29]
	s_and_b64 exec, exec, s[36:37]
	s_cbranch_execz .LBB798_127
.LBB798_126:
	v_mov_b32_e32 v13, 0
	v_sub_u32_e32 v44, v16, v8
	v_mov_b32_e32 v45, v13
	v_lshlrev_b64 v[44:45], 3, v[44:45]
	v_add_co_u32_e32 v44, vcc, v3, v44
	v_mov_b32_e32 v12, v17
	v_addc_co_u32_e32 v45, vcc, v7, v45, vcc
	global_store_dwordx2 v[44:45], v[12:13], off
.LBB798_127:
	s_or_b64 exec, exec, s[30:31]
	s_mov_b64 s[30:31], 0
.LBB798_128:
	s_and_b64 vcc, exec, s[30:31]
	s_cbranch_vccz .LBB798_138
; %bb.129:
	v_cmp_gt_i16_e32 vcc, 2, v9
	s_and_saveexec_b64 s[28:29], vcc
	s_cbranch_execz .LBB798_134
; %bb.130:
	v_cmp_ne_u16_e32 vcc, 1, v9
	s_mov_b64 s[36:37], 0
	s_and_saveexec_b64 s[30:31], vcc
	s_xor_b64 s[30:31], exec, s[30:31]
	s_cbranch_execnz .LBB798_191
; %bb.131:
	s_andn2_saveexec_b64 s[0:1], s[30:31]
	s_cbranch_execnz .LBB798_206
.LBB798_132:
	s_or_b64 exec, exec, s[0:1]
	s_and_b64 exec, exec, s[36:37]
	s_cbranch_execz .LBB798_134
.LBB798_133:
	v_sub_u32_e32 v8, v16, v8
	v_lshlrev_b32_e32 v8, 2, v8
	ds_write_b32 v8, v17
.LBB798_134:
	s_or_b64 exec, exec, s[28:29]
	v_cmp_lt_u32_e32 vcc, v0, v1
	s_waitcnt lgkmcnt(0)
	s_barrier
	s_and_saveexec_b64 s[0:1], vcc
	s_cbranch_execz .LBB798_137
; %bb.135:
	v_lshlrev_b32_e32 v11, 2, v0
	s_mov_b64 s[2:3], 0
	v_mov_b32_e32 v9, 0
	v_mov_b32_e32 v8, v0
.LBB798_136:                            ; =>This Inner Loop Header: Depth=1
	ds_read_b32 v12, v11
	v_lshlrev_b64 v[14:15], 3, v[8:9]
	v_add_co_u32_e32 v14, vcc, v3, v14
	v_add_u32_e32 v8, 0xc0, v8
	v_addc_co_u32_e32 v15, vcc, v7, v15, vcc
	v_cmp_ge_u32_e32 vcc, v8, v1
	v_mov_b32_e32 v13, v9
	v_add_u32_e32 v11, 0x300, v11
	s_or_b64 s[2:3], vcc, s[2:3]
	s_waitcnt lgkmcnt(0)
	global_store_dwordx2 v[14:15], v[12:13], off
	s_andn2_b64 exec, exec, s[2:3]
	s_cbranch_execnz .LBB798_136
.LBB798_137:
	s_or_b64 exec, exec, s[0:1]
.LBB798_138:
	s_movk_i32 s0, 0xbf
	v_cmp_eq_u32_e32 vcc, s0, v0
	s_and_b64 s[0:1], vcc, s[40:41]
	s_and_saveexec_b64 s[2:3], s[0:1]
	s_cbranch_execz .LBB798_141
; %bb.139:
	v_add_co_u32_e32 v0, vcc, v2, v4
	v_addc_co_u32_e64 v1, s[0:1], 0, 0, vcc
	v_add_co_u32_e32 v0, vcc, v0, v42
	v_mov_b32_e32 v3, 0
	v_addc_co_u32_e32 v1, vcc, v1, v43, vcc
	s_cmpk_lg_i32 s33, 0xa80
	global_store_dwordx2 v3, v[0:1], s[34:35]
	s_cbranch_scc1 .LBB798_141
; %bb.140:
	v_lshlrev_b64 v[0:1], 3, v[2:3]
	v_add_co_u32_e32 v0, vcc, v5, v0
	v_mov_b32_e32 v7, v3
	v_addc_co_u32_e32 v1, vcc, v10, v1, vcc
	global_store_dwordx2 v[0:1], v[6:7], off offset:-8
.LBB798_141:
	s_endpgm
.LBB798_142:
	s_or_b64 exec, exec, s[4:5]
	v_mov_b32_e32 v57, s14
	s_and_saveexec_b64 s[2:3], s[6:7]
	s_cbranch_execnz .LBB798_58
	s_branch .LBB798_59
.LBB798_143:
	s_and_saveexec_b64 s[38:39], s[28:29]
	s_cbranch_execnz .LBB798_207
; %bb.144:
	s_or_b64 exec, exec, s[38:39]
	s_and_saveexec_b64 s[38:39], s[26:27]
	s_cbranch_execnz .LBB798_208
.LBB798_145:
	s_or_b64 exec, exec, s[38:39]
	s_and_saveexec_b64 s[38:39], s[24:25]
	s_cbranch_execnz .LBB798_209
.LBB798_146:
	s_or_b64 exec, exec, s[38:39]
	s_and_saveexec_b64 s[38:39], s[22:23]
	s_cbranch_execnz .LBB798_210
.LBB798_147:
	s_or_b64 exec, exec, s[38:39]
	s_and_saveexec_b64 s[38:39], s[20:21]
	s_cbranch_execnz .LBB798_211
.LBB798_148:
	s_or_b64 exec, exec, s[38:39]
	s_and_saveexec_b64 s[38:39], s[18:19]
	s_cbranch_execnz .LBB798_212
.LBB798_149:
	s_or_b64 exec, exec, s[38:39]
	s_and_saveexec_b64 s[38:39], s[16:17]
	s_cbranch_execnz .LBB798_213
.LBB798_150:
	s_or_b64 exec, exec, s[38:39]
	s_and_saveexec_b64 s[38:39], s[14:15]
	s_cbranch_execnz .LBB798_214
.LBB798_151:
	s_or_b64 exec, exec, s[38:39]
	s_and_saveexec_b64 s[38:39], s[12:13]
	s_cbranch_execnz .LBB798_215
.LBB798_152:
	s_or_b64 exec, exec, s[38:39]
	s_and_saveexec_b64 s[38:39], s[10:11]
	s_cbranch_execnz .LBB798_216
.LBB798_153:
	s_or_b64 exec, exec, s[38:39]
	s_and_saveexec_b64 s[38:39], s[8:9]
	s_cbranch_execnz .LBB798_217
.LBB798_154:
	s_or_b64 exec, exec, s[38:39]
	s_and_saveexec_b64 s[38:39], s[6:7]
	s_cbranch_execnz .LBB798_218
.LBB798_155:
	s_or_b64 exec, exec, s[38:39]
	s_and_saveexec_b64 s[38:39], s[4:5]
	s_cbranch_execz .LBB798_157
.LBB798_156:
	v_sub_u32_e32 v60, v14, v4
	v_mov_b32_e32 v61, 0
	v_lshlrev_b64 v[60:61], 1, v[60:61]
	v_add_co_u32_e32 v60, vcc, v3, v60
	v_addc_co_u32_e32 v61, vcc, v7, v61, vcc
	global_store_short v[60:61], v1, off
.LBB798_157:
	s_or_b64 exec, exec, s[38:39]
	s_and_b64 s[38:39], s[2:3], exec
	s_andn2_saveexec_b64 s[30:31], s[30:31]
	s_cbranch_execz .LBB798_108
.LBB798_158:
	v_sub_u32_e32 v60, v40, v4
	v_mov_b32_e32 v61, 0
	v_lshlrev_b64 v[62:63], 1, v[60:61]
	v_add_co_u32_e32 v62, vcc, v3, v62
	v_addc_co_u32_e32 v63, vcc, v7, v63, vcc
	v_sub_u32_e32 v60, v38, v4
	global_store_short v[62:63], v12, off
	v_lshlrev_b64 v[62:63], 1, v[60:61]
	v_add_co_u32_e32 v62, vcc, v3, v62
	v_addc_co_u32_e32 v63, vcc, v7, v63, vcc
	v_sub_u32_e32 v60, v36, v4
	global_store_short_d16_hi v[62:63], v12, off
	v_lshlrev_b64 v[62:63], 1, v[60:61]
	v_add_co_u32_e32 v62, vcc, v3, v62
	v_addc_co_u32_e32 v63, vcc, v7, v63, vcc
	v_sub_u32_e32 v60, v34, v4
	global_store_short v[62:63], v13, off
	v_lshlrev_b64 v[62:63], 1, v[60:61]
	v_add_co_u32_e32 v62, vcc, v3, v62
	v_addc_co_u32_e32 v63, vcc, v7, v63, vcc
	v_sub_u32_e32 v60, v32, v4
	global_store_short_d16_hi v[62:63], v13, off
	;; [unrolled: 10-line block ×5, first 2 shown]
	v_lshlrev_b64 v[62:63], 1, v[60:61]
	v_add_co_u32_e32 v62, vcc, v3, v62
	v_addc_co_u32_e32 v63, vcc, v7, v63, vcc
	v_sub_u32_e32 v60, v18, v4
	global_store_short v[62:63], v9, off
	v_lshlrev_b64 v[62:63], 1, v[60:61]
	v_add_co_u32_e32 v62, vcc, v3, v62
	v_sub_u32_e32 v60, v14, v4
	v_addc_co_u32_e32 v63, vcc, v7, v63, vcc
	v_lshlrev_b64 v[60:61], 1, v[60:61]
	v_add_co_u32_e32 v60, vcc, v3, v60
	v_addc_co_u32_e32 v61, vcc, v7, v61, vcc
	s_or_b64 s[38:39], s[38:39], exec
	global_store_short_d16_hi v[62:63], v9, off
	global_store_short v[60:61], v1, off
	s_or_b64 exec, exec, s[30:31]
	s_and_b64 exec, exec, s[38:39]
	s_cbranch_execnz .LBB798_109
	s_branch .LBB798_110
.LBB798_159:
	s_and_saveexec_b64 s[38:39], s[28:29]
	s_cbranch_execnz .LBB798_219
; %bb.160:
	s_or_b64 exec, exec, s[38:39]
	s_and_saveexec_b64 s[28:29], s[26:27]
	s_cbranch_execnz .LBB798_220
.LBB798_161:
	s_or_b64 exec, exec, s[28:29]
	s_and_saveexec_b64 s[26:27], s[24:25]
	s_cbranch_execnz .LBB798_221
.LBB798_162:
	s_or_b64 exec, exec, s[26:27]
	s_and_saveexec_b64 s[24:25], s[22:23]
	s_cbranch_execnz .LBB798_222
.LBB798_163:
	s_or_b64 exec, exec, s[24:25]
	s_and_saveexec_b64 s[22:23], s[20:21]
	s_cbranch_execnz .LBB798_223
.LBB798_164:
	s_or_b64 exec, exec, s[22:23]
	s_and_saveexec_b64 s[20:21], s[18:19]
	s_cbranch_execnz .LBB798_224
.LBB798_165:
	s_or_b64 exec, exec, s[20:21]
	s_and_saveexec_b64 s[18:19], s[16:17]
	s_cbranch_execnz .LBB798_225
.LBB798_166:
	s_or_b64 exec, exec, s[18:19]
	s_and_saveexec_b64 s[16:17], s[14:15]
	s_cbranch_execnz .LBB798_226
.LBB798_167:
	s_or_b64 exec, exec, s[16:17]
	s_and_saveexec_b64 s[14:15], s[12:13]
	s_cbranch_execnz .LBB798_227
.LBB798_168:
	s_or_b64 exec, exec, s[14:15]
	s_and_saveexec_b64 s[12:13], s[10:11]
	s_cbranch_execnz .LBB798_228
.LBB798_169:
	s_or_b64 exec, exec, s[12:13]
	s_and_saveexec_b64 s[10:11], s[8:9]
	s_cbranch_execnz .LBB798_229
.LBB798_170:
	s_or_b64 exec, exec, s[10:11]
	s_and_saveexec_b64 s[8:9], s[6:7]
	s_cbranch_execnz .LBB798_230
.LBB798_171:
	s_or_b64 exec, exec, s[8:9]
	s_and_saveexec_b64 s[6:7], s[4:5]
	s_cbranch_execz .LBB798_173
.LBB798_172:
	v_sub_u32_e32 v8, v14, v4
	v_lshlrev_b32_e32 v8, 1, v8
	ds_write_b16 v8, v1
.LBB798_173:
	s_or_b64 exec, exec, s[6:7]
	s_and_b64 s[38:39], s[2:3], exec
                                        ; implicit-def: $vgpr12
                                        ; implicit-def: $vgpr10
                                        ; implicit-def: $vgpr8
	s_andn2_saveexec_b64 s[2:3], s[36:37]
	s_cbranch_execz .LBB798_115
.LBB798_174:
	v_sub_u32_e32 v58, v40, v4
	v_lshlrev_b32_e32 v58, 1, v58
	ds_write_b16 v58, v12
	v_sub_u32_e32 v58, v38, v4
	v_lshlrev_b32_e32 v58, 1, v58
	ds_write_b16_d16_hi v58, v12
	v_sub_u32_e32 v12, v36, v4
	v_lshlrev_b32_e32 v12, 1, v12
	ds_write_b16 v12, v13
	v_sub_u32_e32 v12, v34, v4
	v_lshlrev_b32_e32 v12, 1, v12
	ds_write_b16_d16_hi v12, v13
	;; [unrolled: 6-line block ×6, first 2 shown]
	v_sub_u32_e32 v8, v14, v4
	v_lshlrev_b32_e32 v8, 1, v8
	s_or_b64 s[38:39], s[38:39], exec
	ds_write_b16 v8, v1
	s_or_b64 exec, exec, s[2:3]
	s_and_b64 exec, exec, s[38:39]
	s_cbranch_execnz .LBB798_116
	s_branch .LBB798_117
.LBB798_175:
	s_and_saveexec_b64 s[36:37], s[26:27]
	s_cbranch_execnz .LBB798_231
; %bb.176:
	s_or_b64 exec, exec, s[36:37]
	s_and_saveexec_b64 s[36:37], s[24:25]
	s_cbranch_execnz .LBB798_232
.LBB798_177:
	s_or_b64 exec, exec, s[36:37]
	s_and_saveexec_b64 s[36:37], s[22:23]
	s_cbranch_execnz .LBB798_233
.LBB798_178:
	s_or_b64 exec, exec, s[36:37]
	s_and_saveexec_b64 s[36:37], s[20:21]
	s_cbranch_execnz .LBB798_234
.LBB798_179:
	s_or_b64 exec, exec, s[36:37]
	s_and_saveexec_b64 s[36:37], s[18:19]
	s_cbranch_execnz .LBB798_235
.LBB798_180:
	s_or_b64 exec, exec, s[36:37]
	s_and_saveexec_b64 s[36:37], s[16:17]
	s_cbranch_execnz .LBB798_236
.LBB798_181:
	s_or_b64 exec, exec, s[36:37]
	s_and_saveexec_b64 s[36:37], s[14:15]
	s_cbranch_execnz .LBB798_237
.LBB798_182:
	s_or_b64 exec, exec, s[36:37]
	s_and_saveexec_b64 s[36:37], s[12:13]
	s_cbranch_execnz .LBB798_238
.LBB798_183:
	s_or_b64 exec, exec, s[36:37]
	s_and_saveexec_b64 s[36:37], s[10:11]
	s_cbranch_execnz .LBB798_239
.LBB798_184:
	s_or_b64 exec, exec, s[36:37]
	s_and_saveexec_b64 s[36:37], s[8:9]
	s_cbranch_execnz .LBB798_240
.LBB798_185:
	s_or_b64 exec, exec, s[36:37]
	s_and_saveexec_b64 s[36:37], s[6:7]
	s_cbranch_execnz .LBB798_241
.LBB798_186:
	s_or_b64 exec, exec, s[36:37]
	s_and_saveexec_b64 s[36:37], s[4:5]
	s_cbranch_execnz .LBB798_242
.LBB798_187:
	s_or_b64 exec, exec, s[36:37]
	s_and_saveexec_b64 s[36:37], s[2:3]
	s_cbranch_execz .LBB798_189
.LBB798_188:
	v_sub_u32_e32 v12, v14, v8
	v_mov_b32_e32 v13, 0
	v_lshlrev_b64 v[44:45], 3, v[12:13]
	v_add_co_u32_e32 v44, vcc, v3, v44
	v_addc_co_u32_e32 v45, vcc, v7, v45, vcc
	v_mov_b32_e32 v12, v15
	global_store_dwordx2 v[44:45], v[12:13], off
.LBB798_189:
	s_or_b64 exec, exec, s[36:37]
	s_and_b64 s[36:37], s[0:1], exec
	s_andn2_saveexec_b64 s[28:29], s[28:29]
	s_cbranch_execz .LBB798_125
.LBB798_190:
	v_mov_b32_e32 v13, 0
	v_sub_u32_e32 v44, v40, v8
	v_mov_b32_e32 v45, v13
	v_lshlrev_b64 v[44:45], 3, v[44:45]
	v_add_co_u32_e32 v44, vcc, v3, v44
	v_mov_b32_e32 v12, v41
	v_addc_co_u32_e32 v45, vcc, v7, v45, vcc
	global_store_dwordx2 v[44:45], v[12:13], off
	v_sub_u32_e32 v44, v38, v8
	v_mov_b32_e32 v45, v13
	v_lshlrev_b64 v[44:45], 3, v[44:45]
	v_add_co_u32_e32 v44, vcc, v3, v44
	v_mov_b32_e32 v12, v39
	v_addc_co_u32_e32 v45, vcc, v7, v45, vcc
	global_store_dwordx2 v[44:45], v[12:13], off
	;; [unrolled: 7-line block ×12, first 2 shown]
	v_sub_u32_e32 v44, v14, v8
	v_mov_b32_e32 v45, v13
	v_lshlrev_b64 v[44:45], 3, v[44:45]
	v_add_co_u32_e32 v44, vcc, v3, v44
	v_mov_b32_e32 v12, v15
	v_addc_co_u32_e32 v45, vcc, v7, v45, vcc
	s_or_b64 s[36:37], s[36:37], exec
	global_store_dwordx2 v[44:45], v[12:13], off
	s_or_b64 exec, exec, s[28:29]
	s_and_b64 exec, exec, s[36:37]
	s_cbranch_execnz .LBB798_126
	s_branch .LBB798_127
.LBB798_191:
	s_and_saveexec_b64 s[36:37], s[26:27]
	s_cbranch_execnz .LBB798_243
; %bb.192:
	s_or_b64 exec, exec, s[36:37]
	s_and_saveexec_b64 s[26:27], s[24:25]
	s_cbranch_execnz .LBB798_244
.LBB798_193:
	s_or_b64 exec, exec, s[26:27]
	s_and_saveexec_b64 s[24:25], s[22:23]
	s_cbranch_execnz .LBB798_245
.LBB798_194:
	s_or_b64 exec, exec, s[24:25]
	s_and_saveexec_b64 s[22:23], s[20:21]
	s_cbranch_execnz .LBB798_246
.LBB798_195:
	s_or_b64 exec, exec, s[22:23]
	s_and_saveexec_b64 s[20:21], s[18:19]
	s_cbranch_execnz .LBB798_247
.LBB798_196:
	s_or_b64 exec, exec, s[20:21]
	s_and_saveexec_b64 s[18:19], s[16:17]
	s_cbranch_execnz .LBB798_248
.LBB798_197:
	s_or_b64 exec, exec, s[18:19]
	s_and_saveexec_b64 s[16:17], s[14:15]
	s_cbranch_execnz .LBB798_249
.LBB798_198:
	s_or_b64 exec, exec, s[16:17]
	s_and_saveexec_b64 s[14:15], s[12:13]
	s_cbranch_execnz .LBB798_250
.LBB798_199:
	s_or_b64 exec, exec, s[14:15]
	s_and_saveexec_b64 s[12:13], s[10:11]
	s_cbranch_execnz .LBB798_251
.LBB798_200:
	s_or_b64 exec, exec, s[12:13]
	s_and_saveexec_b64 s[10:11], s[8:9]
	s_cbranch_execnz .LBB798_252
.LBB798_201:
	s_or_b64 exec, exec, s[10:11]
	s_and_saveexec_b64 s[8:9], s[6:7]
	s_cbranch_execnz .LBB798_253
.LBB798_202:
	s_or_b64 exec, exec, s[8:9]
	s_and_saveexec_b64 s[6:7], s[4:5]
	s_cbranch_execnz .LBB798_254
.LBB798_203:
	s_or_b64 exec, exec, s[6:7]
	s_and_saveexec_b64 s[4:5], s[2:3]
	s_cbranch_execz .LBB798_205
.LBB798_204:
	v_sub_u32_e32 v9, v14, v8
	v_lshlrev_b32_e32 v9, 2, v9
	ds_write_b32 v9, v15
.LBB798_205:
	s_or_b64 exec, exec, s[4:5]
	s_and_b64 s[36:37], s[0:1], exec
                                        ; implicit-def: $vgpr14_vgpr15
                                        ; implicit-def: $vgpr18_vgpr19
                                        ; implicit-def: $vgpr20_vgpr21
                                        ; implicit-def: $vgpr40_vgpr41
                                        ; implicit-def: $vgpr38_vgpr39
                                        ; implicit-def: $vgpr36_vgpr37
                                        ; implicit-def: $vgpr34_vgpr35
                                        ; implicit-def: $vgpr32_vgpr33
                                        ; implicit-def: $vgpr30_vgpr31
                                        ; implicit-def: $vgpr28_vgpr29
                                        ; implicit-def: $vgpr26_vgpr27
                                        ; implicit-def: $vgpr24_vgpr25
                                        ; implicit-def: $vgpr22_vgpr23
	s_andn2_saveexec_b64 s[0:1], s[30:31]
	s_cbranch_execz .LBB798_132
.LBB798_206:
	v_sub_u32_e32 v9, v40, v8
	v_lshlrev_b32_e32 v9, 2, v9
	ds_write_b32 v9, v41
	v_sub_u32_e32 v9, v38, v8
	v_lshlrev_b32_e32 v9, 2, v9
	ds_write_b32 v9, v39
	;; [unrolled: 3-line block ×12, first 2 shown]
	v_sub_u32_e32 v9, v14, v8
	v_lshlrev_b32_e32 v9, 2, v9
	s_or_b64 s[36:37], s[36:37], exec
	ds_write_b32 v9, v15
	s_or_b64 exec, exec, s[0:1]
	s_and_b64 exec, exec, s[36:37]
	s_cbranch_execnz .LBB798_133
	s_branch .LBB798_134
.LBB798_207:
	v_sub_u32_e32 v60, v40, v4
	v_mov_b32_e32 v61, 0
	v_lshlrev_b64 v[60:61], 1, v[60:61]
	v_add_co_u32_e32 v60, vcc, v3, v60
	v_addc_co_u32_e32 v61, vcc, v7, v61, vcc
	global_store_short v[60:61], v12, off
	s_or_b64 exec, exec, s[38:39]
	s_and_saveexec_b64 s[38:39], s[26:27]
	s_cbranch_execz .LBB798_145
.LBB798_208:
	v_sub_u32_e32 v60, v38, v4
	v_mov_b32_e32 v61, 0
	v_lshlrev_b64 v[60:61], 1, v[60:61]
	v_add_co_u32_e32 v60, vcc, v3, v60
	v_addc_co_u32_e32 v61, vcc, v7, v61, vcc
	global_store_short_d16_hi v[60:61], v12, off
	s_or_b64 exec, exec, s[38:39]
	s_and_saveexec_b64 s[38:39], s[24:25]
	s_cbranch_execz .LBB798_146
.LBB798_209:
	v_sub_u32_e32 v60, v36, v4
	v_mov_b32_e32 v61, 0
	v_lshlrev_b64 v[60:61], 1, v[60:61]
	v_add_co_u32_e32 v60, vcc, v3, v60
	v_addc_co_u32_e32 v61, vcc, v7, v61, vcc
	global_store_short v[60:61], v13, off
	s_or_b64 exec, exec, s[38:39]
	s_and_saveexec_b64 s[38:39], s[22:23]
	s_cbranch_execz .LBB798_147
.LBB798_210:
	v_sub_u32_e32 v60, v34, v4
	v_mov_b32_e32 v61, 0
	v_lshlrev_b64 v[60:61], 1, v[60:61]
	v_add_co_u32_e32 v60, vcc, v3, v60
	v_addc_co_u32_e32 v61, vcc, v7, v61, vcc
	global_store_short_d16_hi v[60:61], v13, off
	s_or_b64 exec, exec, s[38:39]
	s_and_saveexec_b64 s[38:39], s[20:21]
	s_cbranch_execz .LBB798_148
.LBB798_211:
	v_sub_u32_e32 v60, v32, v4
	v_mov_b32_e32 v61, 0
	v_lshlrev_b64 v[60:61], 1, v[60:61]
	v_add_co_u32_e32 v60, vcc, v3, v60
	v_addc_co_u32_e32 v61, vcc, v7, v61, vcc
	global_store_short v[60:61], v10, off
	s_or_b64 exec, exec, s[38:39]
	s_and_saveexec_b64 s[38:39], s[18:19]
	s_cbranch_execz .LBB798_149
.LBB798_212:
	v_sub_u32_e32 v60, v30, v4
	v_mov_b32_e32 v61, 0
	v_lshlrev_b64 v[60:61], 1, v[60:61]
	v_add_co_u32_e32 v60, vcc, v3, v60
	v_addc_co_u32_e32 v61, vcc, v7, v61, vcc
	global_store_short_d16_hi v[60:61], v10, off
	s_or_b64 exec, exec, s[38:39]
	s_and_saveexec_b64 s[38:39], s[16:17]
	s_cbranch_execz .LBB798_150
.LBB798_213:
	v_sub_u32_e32 v60, v28, v4
	v_mov_b32_e32 v61, 0
	v_lshlrev_b64 v[60:61], 1, v[60:61]
	v_add_co_u32_e32 v60, vcc, v3, v60
	v_addc_co_u32_e32 v61, vcc, v7, v61, vcc
	global_store_short v[60:61], v11, off
	s_or_b64 exec, exec, s[38:39]
	s_and_saveexec_b64 s[38:39], s[14:15]
	s_cbranch_execz .LBB798_151
.LBB798_214:
	v_sub_u32_e32 v60, v26, v4
	v_mov_b32_e32 v61, 0
	v_lshlrev_b64 v[60:61], 1, v[60:61]
	v_add_co_u32_e32 v60, vcc, v3, v60
	v_addc_co_u32_e32 v61, vcc, v7, v61, vcc
	global_store_short_d16_hi v[60:61], v11, off
	s_or_b64 exec, exec, s[38:39]
	s_and_saveexec_b64 s[38:39], s[12:13]
	s_cbranch_execz .LBB798_152
.LBB798_215:
	v_sub_u32_e32 v60, v24, v4
	v_mov_b32_e32 v61, 0
	v_lshlrev_b64 v[60:61], 1, v[60:61]
	v_add_co_u32_e32 v60, vcc, v3, v60
	v_addc_co_u32_e32 v61, vcc, v7, v61, vcc
	global_store_short v[60:61], v8, off
	s_or_b64 exec, exec, s[38:39]
	s_and_saveexec_b64 s[38:39], s[10:11]
	s_cbranch_execz .LBB798_153
.LBB798_216:
	v_sub_u32_e32 v60, v22, v4
	v_mov_b32_e32 v61, 0
	v_lshlrev_b64 v[60:61], 1, v[60:61]
	v_add_co_u32_e32 v60, vcc, v3, v60
	v_addc_co_u32_e32 v61, vcc, v7, v61, vcc
	global_store_short_d16_hi v[60:61], v8, off
	s_or_b64 exec, exec, s[38:39]
	s_and_saveexec_b64 s[38:39], s[8:9]
	s_cbranch_execz .LBB798_154
.LBB798_217:
	v_sub_u32_e32 v60, v20, v4
	v_mov_b32_e32 v61, 0
	v_lshlrev_b64 v[60:61], 1, v[60:61]
	v_add_co_u32_e32 v60, vcc, v3, v60
	v_addc_co_u32_e32 v61, vcc, v7, v61, vcc
	global_store_short v[60:61], v9, off
	s_or_b64 exec, exec, s[38:39]
	s_and_saveexec_b64 s[38:39], s[6:7]
	s_cbranch_execz .LBB798_155
.LBB798_218:
	v_sub_u32_e32 v60, v18, v4
	v_mov_b32_e32 v61, 0
	v_lshlrev_b64 v[60:61], 1, v[60:61]
	v_add_co_u32_e32 v60, vcc, v3, v60
	v_addc_co_u32_e32 v61, vcc, v7, v61, vcc
	global_store_short_d16_hi v[60:61], v9, off
	s_or_b64 exec, exec, s[38:39]
	s_and_saveexec_b64 s[38:39], s[4:5]
	s_cbranch_execnz .LBB798_156
	s_branch .LBB798_157
.LBB798_219:
	v_sub_u32_e32 v58, v40, v4
	v_lshlrev_b32_e32 v58, 1, v58
	ds_write_b16 v58, v12
	s_or_b64 exec, exec, s[38:39]
	s_and_saveexec_b64 s[28:29], s[26:27]
	s_cbranch_execz .LBB798_161
.LBB798_220:
	v_sub_u32_e32 v58, v38, v4
	v_lshlrev_b32_e32 v58, 1, v58
	ds_write_b16_d16_hi v58, v12
	s_or_b64 exec, exec, s[28:29]
	s_and_saveexec_b64 s[26:27], s[24:25]
	s_cbranch_execz .LBB798_162
.LBB798_221:
	v_sub_u32_e32 v12, v36, v4
	v_lshlrev_b32_e32 v12, 1, v12
	ds_write_b16 v12, v13
	s_or_b64 exec, exec, s[26:27]
	s_and_saveexec_b64 s[24:25], s[22:23]
	s_cbranch_execz .LBB798_163
.LBB798_222:
	v_sub_u32_e32 v12, v34, v4
	v_lshlrev_b32_e32 v12, 1, v12
	ds_write_b16_d16_hi v12, v13
	s_or_b64 exec, exec, s[24:25]
	s_and_saveexec_b64 s[22:23], s[20:21]
	s_cbranch_execz .LBB798_164
.LBB798_223:
	v_sub_u32_e32 v12, v32, v4
	v_lshlrev_b32_e32 v12, 1, v12
	ds_write_b16 v12, v10
	s_or_b64 exec, exec, s[22:23]
	s_and_saveexec_b64 s[20:21], s[18:19]
	s_cbranch_execz .LBB798_165
.LBB798_224:
	v_sub_u32_e32 v12, v30, v4
	v_lshlrev_b32_e32 v12, 1, v12
	ds_write_b16_d16_hi v12, v10
	s_or_b64 exec, exec, s[20:21]
	s_and_saveexec_b64 s[18:19], s[16:17]
	s_cbranch_execz .LBB798_166
.LBB798_225:
	v_sub_u32_e32 v10, v28, v4
	v_lshlrev_b32_e32 v10, 1, v10
	ds_write_b16 v10, v11
	s_or_b64 exec, exec, s[18:19]
	s_and_saveexec_b64 s[16:17], s[14:15]
	s_cbranch_execz .LBB798_167
.LBB798_226:
	v_sub_u32_e32 v10, v26, v4
	v_lshlrev_b32_e32 v10, 1, v10
	ds_write_b16_d16_hi v10, v11
	s_or_b64 exec, exec, s[16:17]
	s_and_saveexec_b64 s[14:15], s[12:13]
	s_cbranch_execz .LBB798_168
.LBB798_227:
	v_sub_u32_e32 v10, v24, v4
	v_lshlrev_b32_e32 v10, 1, v10
	ds_write_b16 v10, v8
	s_or_b64 exec, exec, s[14:15]
	s_and_saveexec_b64 s[12:13], s[10:11]
	s_cbranch_execz .LBB798_169
.LBB798_228:
	v_sub_u32_e32 v10, v22, v4
	v_lshlrev_b32_e32 v10, 1, v10
	ds_write_b16_d16_hi v10, v8
	s_or_b64 exec, exec, s[12:13]
	s_and_saveexec_b64 s[10:11], s[8:9]
	s_cbranch_execz .LBB798_170
.LBB798_229:
	v_sub_u32_e32 v8, v20, v4
	v_lshlrev_b32_e32 v8, 1, v8
	ds_write_b16 v8, v9
	s_or_b64 exec, exec, s[10:11]
	s_and_saveexec_b64 s[8:9], s[6:7]
	s_cbranch_execz .LBB798_171
.LBB798_230:
	v_sub_u32_e32 v8, v18, v4
	v_lshlrev_b32_e32 v8, 1, v8
	ds_write_b16_d16_hi v8, v9
	s_or_b64 exec, exec, s[8:9]
	s_and_saveexec_b64 s[6:7], s[4:5]
	s_cbranch_execnz .LBB798_172
	s_branch .LBB798_173
.LBB798_231:
	v_sub_u32_e32 v12, v40, v8
	v_mov_b32_e32 v13, 0
	v_lshlrev_b64 v[44:45], 3, v[12:13]
	v_add_co_u32_e32 v44, vcc, v3, v44
	v_addc_co_u32_e32 v45, vcc, v7, v45, vcc
	v_mov_b32_e32 v12, v41
	global_store_dwordx2 v[44:45], v[12:13], off
	s_or_b64 exec, exec, s[36:37]
	s_and_saveexec_b64 s[36:37], s[24:25]
	s_cbranch_execz .LBB798_177
.LBB798_232:
	v_sub_u32_e32 v12, v38, v8
	v_mov_b32_e32 v13, 0
	v_lshlrev_b64 v[44:45], 3, v[12:13]
	v_add_co_u32_e32 v44, vcc, v3, v44
	v_addc_co_u32_e32 v45, vcc, v7, v45, vcc
	v_mov_b32_e32 v12, v39
	global_store_dwordx2 v[44:45], v[12:13], off
	s_or_b64 exec, exec, s[36:37]
	s_and_saveexec_b64 s[36:37], s[22:23]
	s_cbranch_execz .LBB798_178
.LBB798_233:
	v_sub_u32_e32 v12, v36, v8
	v_mov_b32_e32 v13, 0
	v_lshlrev_b64 v[44:45], 3, v[12:13]
	v_add_co_u32_e32 v44, vcc, v3, v44
	v_addc_co_u32_e32 v45, vcc, v7, v45, vcc
	v_mov_b32_e32 v12, v37
	global_store_dwordx2 v[44:45], v[12:13], off
	s_or_b64 exec, exec, s[36:37]
	s_and_saveexec_b64 s[36:37], s[20:21]
	s_cbranch_execz .LBB798_179
.LBB798_234:
	v_sub_u32_e32 v12, v34, v8
	v_mov_b32_e32 v13, 0
	v_lshlrev_b64 v[44:45], 3, v[12:13]
	v_add_co_u32_e32 v44, vcc, v3, v44
	v_addc_co_u32_e32 v45, vcc, v7, v45, vcc
	v_mov_b32_e32 v12, v35
	global_store_dwordx2 v[44:45], v[12:13], off
	s_or_b64 exec, exec, s[36:37]
	s_and_saveexec_b64 s[36:37], s[18:19]
	s_cbranch_execz .LBB798_180
.LBB798_235:
	v_sub_u32_e32 v12, v32, v8
	v_mov_b32_e32 v13, 0
	v_lshlrev_b64 v[44:45], 3, v[12:13]
	v_add_co_u32_e32 v44, vcc, v3, v44
	v_addc_co_u32_e32 v45, vcc, v7, v45, vcc
	v_mov_b32_e32 v12, v33
	global_store_dwordx2 v[44:45], v[12:13], off
	s_or_b64 exec, exec, s[36:37]
	s_and_saveexec_b64 s[36:37], s[16:17]
	s_cbranch_execz .LBB798_181
.LBB798_236:
	v_sub_u32_e32 v12, v30, v8
	v_mov_b32_e32 v13, 0
	v_lshlrev_b64 v[44:45], 3, v[12:13]
	v_add_co_u32_e32 v44, vcc, v3, v44
	v_addc_co_u32_e32 v45, vcc, v7, v45, vcc
	v_mov_b32_e32 v12, v31
	global_store_dwordx2 v[44:45], v[12:13], off
	s_or_b64 exec, exec, s[36:37]
	s_and_saveexec_b64 s[36:37], s[14:15]
	s_cbranch_execz .LBB798_182
.LBB798_237:
	v_sub_u32_e32 v12, v28, v8
	v_mov_b32_e32 v13, 0
	v_lshlrev_b64 v[44:45], 3, v[12:13]
	v_add_co_u32_e32 v44, vcc, v3, v44
	v_addc_co_u32_e32 v45, vcc, v7, v45, vcc
	v_mov_b32_e32 v12, v29
	global_store_dwordx2 v[44:45], v[12:13], off
	s_or_b64 exec, exec, s[36:37]
	s_and_saveexec_b64 s[36:37], s[12:13]
	s_cbranch_execz .LBB798_183
.LBB798_238:
	v_sub_u32_e32 v12, v26, v8
	v_mov_b32_e32 v13, 0
	v_lshlrev_b64 v[44:45], 3, v[12:13]
	v_add_co_u32_e32 v44, vcc, v3, v44
	v_addc_co_u32_e32 v45, vcc, v7, v45, vcc
	v_mov_b32_e32 v12, v27
	global_store_dwordx2 v[44:45], v[12:13], off
	s_or_b64 exec, exec, s[36:37]
	s_and_saveexec_b64 s[36:37], s[10:11]
	s_cbranch_execz .LBB798_184
.LBB798_239:
	v_sub_u32_e32 v12, v24, v8
	v_mov_b32_e32 v13, 0
	v_lshlrev_b64 v[44:45], 3, v[12:13]
	v_add_co_u32_e32 v44, vcc, v3, v44
	v_addc_co_u32_e32 v45, vcc, v7, v45, vcc
	v_mov_b32_e32 v12, v25
	global_store_dwordx2 v[44:45], v[12:13], off
	s_or_b64 exec, exec, s[36:37]
	s_and_saveexec_b64 s[36:37], s[8:9]
	s_cbranch_execz .LBB798_185
.LBB798_240:
	v_sub_u32_e32 v12, v22, v8
	v_mov_b32_e32 v13, 0
	v_lshlrev_b64 v[44:45], 3, v[12:13]
	v_add_co_u32_e32 v44, vcc, v3, v44
	v_addc_co_u32_e32 v45, vcc, v7, v45, vcc
	v_mov_b32_e32 v12, v23
	global_store_dwordx2 v[44:45], v[12:13], off
	s_or_b64 exec, exec, s[36:37]
	s_and_saveexec_b64 s[36:37], s[6:7]
	s_cbranch_execz .LBB798_186
.LBB798_241:
	v_sub_u32_e32 v12, v20, v8
	v_mov_b32_e32 v13, 0
	v_lshlrev_b64 v[44:45], 3, v[12:13]
	v_add_co_u32_e32 v44, vcc, v3, v44
	v_addc_co_u32_e32 v45, vcc, v7, v45, vcc
	v_mov_b32_e32 v12, v21
	global_store_dwordx2 v[44:45], v[12:13], off
	s_or_b64 exec, exec, s[36:37]
	s_and_saveexec_b64 s[36:37], s[4:5]
	s_cbranch_execz .LBB798_187
.LBB798_242:
	v_sub_u32_e32 v12, v18, v8
	v_mov_b32_e32 v13, 0
	v_lshlrev_b64 v[44:45], 3, v[12:13]
	v_add_co_u32_e32 v44, vcc, v3, v44
	v_addc_co_u32_e32 v45, vcc, v7, v45, vcc
	v_mov_b32_e32 v12, v19
	global_store_dwordx2 v[44:45], v[12:13], off
	s_or_b64 exec, exec, s[36:37]
	s_and_saveexec_b64 s[36:37], s[2:3]
	s_cbranch_execnz .LBB798_188
	s_branch .LBB798_189
.LBB798_243:
	v_sub_u32_e32 v9, v40, v8
	v_lshlrev_b32_e32 v9, 2, v9
	ds_write_b32 v9, v41
	s_or_b64 exec, exec, s[36:37]
	s_and_saveexec_b64 s[26:27], s[24:25]
	s_cbranch_execz .LBB798_193
.LBB798_244:
	v_sub_u32_e32 v9, v38, v8
	v_lshlrev_b32_e32 v9, 2, v9
	ds_write_b32 v9, v39
	s_or_b64 exec, exec, s[26:27]
	s_and_saveexec_b64 s[24:25], s[22:23]
	s_cbranch_execz .LBB798_194
.LBB798_245:
	v_sub_u32_e32 v9, v36, v8
	v_lshlrev_b32_e32 v9, 2, v9
	ds_write_b32 v9, v37
	s_or_b64 exec, exec, s[24:25]
	s_and_saveexec_b64 s[22:23], s[20:21]
	s_cbranch_execz .LBB798_195
.LBB798_246:
	v_sub_u32_e32 v9, v34, v8
	v_lshlrev_b32_e32 v9, 2, v9
	ds_write_b32 v9, v35
	s_or_b64 exec, exec, s[22:23]
	s_and_saveexec_b64 s[20:21], s[18:19]
	s_cbranch_execz .LBB798_196
.LBB798_247:
	v_sub_u32_e32 v9, v32, v8
	v_lshlrev_b32_e32 v9, 2, v9
	ds_write_b32 v9, v33
	s_or_b64 exec, exec, s[20:21]
	s_and_saveexec_b64 s[18:19], s[16:17]
	s_cbranch_execz .LBB798_197
.LBB798_248:
	v_sub_u32_e32 v9, v30, v8
	v_lshlrev_b32_e32 v9, 2, v9
	ds_write_b32 v9, v31
	s_or_b64 exec, exec, s[18:19]
	s_and_saveexec_b64 s[16:17], s[14:15]
	s_cbranch_execz .LBB798_198
.LBB798_249:
	v_sub_u32_e32 v9, v28, v8
	v_lshlrev_b32_e32 v9, 2, v9
	ds_write_b32 v9, v29
	s_or_b64 exec, exec, s[16:17]
	s_and_saveexec_b64 s[14:15], s[12:13]
	s_cbranch_execz .LBB798_199
.LBB798_250:
	v_sub_u32_e32 v9, v26, v8
	v_lshlrev_b32_e32 v9, 2, v9
	ds_write_b32 v9, v27
	s_or_b64 exec, exec, s[14:15]
	s_and_saveexec_b64 s[12:13], s[10:11]
	s_cbranch_execz .LBB798_200
.LBB798_251:
	v_sub_u32_e32 v9, v24, v8
	v_lshlrev_b32_e32 v9, 2, v9
	ds_write_b32 v9, v25
	s_or_b64 exec, exec, s[12:13]
	s_and_saveexec_b64 s[10:11], s[8:9]
	s_cbranch_execz .LBB798_201
.LBB798_252:
	v_sub_u32_e32 v9, v22, v8
	v_lshlrev_b32_e32 v9, 2, v9
	ds_write_b32 v9, v23
	s_or_b64 exec, exec, s[10:11]
	s_and_saveexec_b64 s[8:9], s[6:7]
	s_cbranch_execz .LBB798_202
.LBB798_253:
	v_sub_u32_e32 v9, v20, v8
	v_lshlrev_b32_e32 v9, 2, v9
	ds_write_b32 v9, v21
	s_or_b64 exec, exec, s[8:9]
	s_and_saveexec_b64 s[6:7], s[4:5]
	s_cbranch_execz .LBB798_203
.LBB798_254:
	v_sub_u32_e32 v9, v18, v8
	v_lshlrev_b32_e32 v9, 2, v9
	ds_write_b32 v9, v19
	s_or_b64 exec, exec, s[6:7]
	s_and_saveexec_b64 s[4:5], s[2:3]
	s_cbranch_execnz .LBB798_204
	s_branch .LBB798_205
	.section	.rodata,"a",@progbits
	.p2align	6, 0x0
	.amdhsa_kernel _ZN7rocprim17ROCPRIM_400000_NS6detail17trampoline_kernelINS0_14default_configENS1_33run_length_encode_config_selectorItjNS0_4plusIjEEEEZZNS1_33reduce_by_key_impl_wrapped_configILNS1_25lookback_scan_determinismE0ES3_S7_PKtNS0_17constant_iteratorIjlEEPtPlSF_S6_NS0_8equal_toItEEEE10hipError_tPvRmT2_T3_mT4_T5_T6_T7_T8_P12ihipStream_tbENKUlT_T0_E_clISt17integral_constantIbLb1EESZ_EEDaSU_SV_EUlSU_E_NS1_11comp_targetILNS1_3genE4ELNS1_11target_archE910ELNS1_3gpuE8ELNS1_3repE0EEENS1_30default_config_static_selectorELNS0_4arch9wavefront6targetE1EEEvT1_
		.amdhsa_group_segment_fixed_size 10752
		.amdhsa_private_segment_fixed_size 0
		.amdhsa_kernarg_size 128
		.amdhsa_user_sgpr_count 6
		.amdhsa_user_sgpr_private_segment_buffer 1
		.amdhsa_user_sgpr_dispatch_ptr 0
		.amdhsa_user_sgpr_queue_ptr 0
		.amdhsa_user_sgpr_kernarg_segment_ptr 1
		.amdhsa_user_sgpr_dispatch_id 0
		.amdhsa_user_sgpr_flat_scratch_init 0
		.amdhsa_user_sgpr_kernarg_preload_length 0
		.amdhsa_user_sgpr_kernarg_preload_offset 0
		.amdhsa_user_sgpr_private_segment_size 0
		.amdhsa_uses_dynamic_stack 0
		.amdhsa_system_sgpr_private_segment_wavefront_offset 0
		.amdhsa_system_sgpr_workgroup_id_x 1
		.amdhsa_system_sgpr_workgroup_id_y 0
		.amdhsa_system_sgpr_workgroup_id_z 0
		.amdhsa_system_sgpr_workgroup_info 0
		.amdhsa_system_vgpr_workitem_id 0
		.amdhsa_next_free_vgpr 65
		.amdhsa_next_free_sgpr 64
		.amdhsa_accum_offset 68
		.amdhsa_reserve_vcc 1
		.amdhsa_reserve_flat_scratch 0
		.amdhsa_float_round_mode_32 0
		.amdhsa_float_round_mode_16_64 0
		.amdhsa_float_denorm_mode_32 3
		.amdhsa_float_denorm_mode_16_64 3
		.amdhsa_dx10_clamp 1
		.amdhsa_ieee_mode 1
		.amdhsa_fp16_overflow 0
		.amdhsa_tg_split 0
		.amdhsa_exception_fp_ieee_invalid_op 0
		.amdhsa_exception_fp_denorm_src 0
		.amdhsa_exception_fp_ieee_div_zero 0
		.amdhsa_exception_fp_ieee_overflow 0
		.amdhsa_exception_fp_ieee_underflow 0
		.amdhsa_exception_fp_ieee_inexact 0
		.amdhsa_exception_int_div_zero 0
	.end_amdhsa_kernel
	.section	.text._ZN7rocprim17ROCPRIM_400000_NS6detail17trampoline_kernelINS0_14default_configENS1_33run_length_encode_config_selectorItjNS0_4plusIjEEEEZZNS1_33reduce_by_key_impl_wrapped_configILNS1_25lookback_scan_determinismE0ES3_S7_PKtNS0_17constant_iteratorIjlEEPtPlSF_S6_NS0_8equal_toItEEEE10hipError_tPvRmT2_T3_mT4_T5_T6_T7_T8_P12ihipStream_tbENKUlT_T0_E_clISt17integral_constantIbLb1EESZ_EEDaSU_SV_EUlSU_E_NS1_11comp_targetILNS1_3genE4ELNS1_11target_archE910ELNS1_3gpuE8ELNS1_3repE0EEENS1_30default_config_static_selectorELNS0_4arch9wavefront6targetE1EEEvT1_,"axG",@progbits,_ZN7rocprim17ROCPRIM_400000_NS6detail17trampoline_kernelINS0_14default_configENS1_33run_length_encode_config_selectorItjNS0_4plusIjEEEEZZNS1_33reduce_by_key_impl_wrapped_configILNS1_25lookback_scan_determinismE0ES3_S7_PKtNS0_17constant_iteratorIjlEEPtPlSF_S6_NS0_8equal_toItEEEE10hipError_tPvRmT2_T3_mT4_T5_T6_T7_T8_P12ihipStream_tbENKUlT_T0_E_clISt17integral_constantIbLb1EESZ_EEDaSU_SV_EUlSU_E_NS1_11comp_targetILNS1_3genE4ELNS1_11target_archE910ELNS1_3gpuE8ELNS1_3repE0EEENS1_30default_config_static_selectorELNS0_4arch9wavefront6targetE1EEEvT1_,comdat
.Lfunc_end798:
	.size	_ZN7rocprim17ROCPRIM_400000_NS6detail17trampoline_kernelINS0_14default_configENS1_33run_length_encode_config_selectorItjNS0_4plusIjEEEEZZNS1_33reduce_by_key_impl_wrapped_configILNS1_25lookback_scan_determinismE0ES3_S7_PKtNS0_17constant_iteratorIjlEEPtPlSF_S6_NS0_8equal_toItEEEE10hipError_tPvRmT2_T3_mT4_T5_T6_T7_T8_P12ihipStream_tbENKUlT_T0_E_clISt17integral_constantIbLb1EESZ_EEDaSU_SV_EUlSU_E_NS1_11comp_targetILNS1_3genE4ELNS1_11target_archE910ELNS1_3gpuE8ELNS1_3repE0EEENS1_30default_config_static_selectorELNS0_4arch9wavefront6targetE1EEEvT1_, .Lfunc_end798-_ZN7rocprim17ROCPRIM_400000_NS6detail17trampoline_kernelINS0_14default_configENS1_33run_length_encode_config_selectorItjNS0_4plusIjEEEEZZNS1_33reduce_by_key_impl_wrapped_configILNS1_25lookback_scan_determinismE0ES3_S7_PKtNS0_17constant_iteratorIjlEEPtPlSF_S6_NS0_8equal_toItEEEE10hipError_tPvRmT2_T3_mT4_T5_T6_T7_T8_P12ihipStream_tbENKUlT_T0_E_clISt17integral_constantIbLb1EESZ_EEDaSU_SV_EUlSU_E_NS1_11comp_targetILNS1_3genE4ELNS1_11target_archE910ELNS1_3gpuE8ELNS1_3repE0EEENS1_30default_config_static_selectorELNS0_4arch9wavefront6targetE1EEEvT1_
                                        ; -- End function
	.section	.AMDGPU.csdata,"",@progbits
; Kernel info:
; codeLenInByte = 13672
; NumSgprs: 68
; NumVgprs: 65
; NumAgprs: 0
; TotalNumVgprs: 65
; ScratchSize: 0
; MemoryBound: 0
; FloatMode: 240
; IeeeMode: 1
; LDSByteSize: 10752 bytes/workgroup (compile time only)
; SGPRBlocks: 8
; VGPRBlocks: 8
; NumSGPRsForWavesPerEU: 68
; NumVGPRsForWavesPerEU: 65
; AccumOffset: 68
; Occupancy: 5
; WaveLimiterHint : 1
; COMPUTE_PGM_RSRC2:SCRATCH_EN: 0
; COMPUTE_PGM_RSRC2:USER_SGPR: 6
; COMPUTE_PGM_RSRC2:TRAP_HANDLER: 0
; COMPUTE_PGM_RSRC2:TGID_X_EN: 1
; COMPUTE_PGM_RSRC2:TGID_Y_EN: 0
; COMPUTE_PGM_RSRC2:TGID_Z_EN: 0
; COMPUTE_PGM_RSRC2:TIDIG_COMP_CNT: 0
; COMPUTE_PGM_RSRC3_GFX90A:ACCUM_OFFSET: 16
; COMPUTE_PGM_RSRC3_GFX90A:TG_SPLIT: 0
	.section	.text._ZN7rocprim17ROCPRIM_400000_NS6detail17trampoline_kernelINS0_14default_configENS1_33run_length_encode_config_selectorItjNS0_4plusIjEEEEZZNS1_33reduce_by_key_impl_wrapped_configILNS1_25lookback_scan_determinismE0ES3_S7_PKtNS0_17constant_iteratorIjlEEPtPlSF_S6_NS0_8equal_toItEEEE10hipError_tPvRmT2_T3_mT4_T5_T6_T7_T8_P12ihipStream_tbENKUlT_T0_E_clISt17integral_constantIbLb1EESZ_EEDaSU_SV_EUlSU_E_NS1_11comp_targetILNS1_3genE3ELNS1_11target_archE908ELNS1_3gpuE7ELNS1_3repE0EEENS1_30default_config_static_selectorELNS0_4arch9wavefront6targetE1EEEvT1_,"axG",@progbits,_ZN7rocprim17ROCPRIM_400000_NS6detail17trampoline_kernelINS0_14default_configENS1_33run_length_encode_config_selectorItjNS0_4plusIjEEEEZZNS1_33reduce_by_key_impl_wrapped_configILNS1_25lookback_scan_determinismE0ES3_S7_PKtNS0_17constant_iteratorIjlEEPtPlSF_S6_NS0_8equal_toItEEEE10hipError_tPvRmT2_T3_mT4_T5_T6_T7_T8_P12ihipStream_tbENKUlT_T0_E_clISt17integral_constantIbLb1EESZ_EEDaSU_SV_EUlSU_E_NS1_11comp_targetILNS1_3genE3ELNS1_11target_archE908ELNS1_3gpuE7ELNS1_3repE0EEENS1_30default_config_static_selectorELNS0_4arch9wavefront6targetE1EEEvT1_,comdat
	.protected	_ZN7rocprim17ROCPRIM_400000_NS6detail17trampoline_kernelINS0_14default_configENS1_33run_length_encode_config_selectorItjNS0_4plusIjEEEEZZNS1_33reduce_by_key_impl_wrapped_configILNS1_25lookback_scan_determinismE0ES3_S7_PKtNS0_17constant_iteratorIjlEEPtPlSF_S6_NS0_8equal_toItEEEE10hipError_tPvRmT2_T3_mT4_T5_T6_T7_T8_P12ihipStream_tbENKUlT_T0_E_clISt17integral_constantIbLb1EESZ_EEDaSU_SV_EUlSU_E_NS1_11comp_targetILNS1_3genE3ELNS1_11target_archE908ELNS1_3gpuE7ELNS1_3repE0EEENS1_30default_config_static_selectorELNS0_4arch9wavefront6targetE1EEEvT1_ ; -- Begin function _ZN7rocprim17ROCPRIM_400000_NS6detail17trampoline_kernelINS0_14default_configENS1_33run_length_encode_config_selectorItjNS0_4plusIjEEEEZZNS1_33reduce_by_key_impl_wrapped_configILNS1_25lookback_scan_determinismE0ES3_S7_PKtNS0_17constant_iteratorIjlEEPtPlSF_S6_NS0_8equal_toItEEEE10hipError_tPvRmT2_T3_mT4_T5_T6_T7_T8_P12ihipStream_tbENKUlT_T0_E_clISt17integral_constantIbLb1EESZ_EEDaSU_SV_EUlSU_E_NS1_11comp_targetILNS1_3genE3ELNS1_11target_archE908ELNS1_3gpuE7ELNS1_3repE0EEENS1_30default_config_static_selectorELNS0_4arch9wavefront6targetE1EEEvT1_
	.globl	_ZN7rocprim17ROCPRIM_400000_NS6detail17trampoline_kernelINS0_14default_configENS1_33run_length_encode_config_selectorItjNS0_4plusIjEEEEZZNS1_33reduce_by_key_impl_wrapped_configILNS1_25lookback_scan_determinismE0ES3_S7_PKtNS0_17constant_iteratorIjlEEPtPlSF_S6_NS0_8equal_toItEEEE10hipError_tPvRmT2_T3_mT4_T5_T6_T7_T8_P12ihipStream_tbENKUlT_T0_E_clISt17integral_constantIbLb1EESZ_EEDaSU_SV_EUlSU_E_NS1_11comp_targetILNS1_3genE3ELNS1_11target_archE908ELNS1_3gpuE7ELNS1_3repE0EEENS1_30default_config_static_selectorELNS0_4arch9wavefront6targetE1EEEvT1_
	.p2align	8
	.type	_ZN7rocprim17ROCPRIM_400000_NS6detail17trampoline_kernelINS0_14default_configENS1_33run_length_encode_config_selectorItjNS0_4plusIjEEEEZZNS1_33reduce_by_key_impl_wrapped_configILNS1_25lookback_scan_determinismE0ES3_S7_PKtNS0_17constant_iteratorIjlEEPtPlSF_S6_NS0_8equal_toItEEEE10hipError_tPvRmT2_T3_mT4_T5_T6_T7_T8_P12ihipStream_tbENKUlT_T0_E_clISt17integral_constantIbLb1EESZ_EEDaSU_SV_EUlSU_E_NS1_11comp_targetILNS1_3genE3ELNS1_11target_archE908ELNS1_3gpuE7ELNS1_3repE0EEENS1_30default_config_static_selectorELNS0_4arch9wavefront6targetE1EEEvT1_,@function
_ZN7rocprim17ROCPRIM_400000_NS6detail17trampoline_kernelINS0_14default_configENS1_33run_length_encode_config_selectorItjNS0_4plusIjEEEEZZNS1_33reduce_by_key_impl_wrapped_configILNS1_25lookback_scan_determinismE0ES3_S7_PKtNS0_17constant_iteratorIjlEEPtPlSF_S6_NS0_8equal_toItEEEE10hipError_tPvRmT2_T3_mT4_T5_T6_T7_T8_P12ihipStream_tbENKUlT_T0_E_clISt17integral_constantIbLb1EESZ_EEDaSU_SV_EUlSU_E_NS1_11comp_targetILNS1_3genE3ELNS1_11target_archE908ELNS1_3gpuE7ELNS1_3repE0EEENS1_30default_config_static_selectorELNS0_4arch9wavefront6targetE1EEEvT1_: ; @_ZN7rocprim17ROCPRIM_400000_NS6detail17trampoline_kernelINS0_14default_configENS1_33run_length_encode_config_selectorItjNS0_4plusIjEEEEZZNS1_33reduce_by_key_impl_wrapped_configILNS1_25lookback_scan_determinismE0ES3_S7_PKtNS0_17constant_iteratorIjlEEPtPlSF_S6_NS0_8equal_toItEEEE10hipError_tPvRmT2_T3_mT4_T5_T6_T7_T8_P12ihipStream_tbENKUlT_T0_E_clISt17integral_constantIbLb1EESZ_EEDaSU_SV_EUlSU_E_NS1_11comp_targetILNS1_3genE3ELNS1_11target_archE908ELNS1_3gpuE7ELNS1_3repE0EEENS1_30default_config_static_selectorELNS0_4arch9wavefront6targetE1EEEvT1_
; %bb.0:
	.section	.rodata,"a",@progbits
	.p2align	6, 0x0
	.amdhsa_kernel _ZN7rocprim17ROCPRIM_400000_NS6detail17trampoline_kernelINS0_14default_configENS1_33run_length_encode_config_selectorItjNS0_4plusIjEEEEZZNS1_33reduce_by_key_impl_wrapped_configILNS1_25lookback_scan_determinismE0ES3_S7_PKtNS0_17constant_iteratorIjlEEPtPlSF_S6_NS0_8equal_toItEEEE10hipError_tPvRmT2_T3_mT4_T5_T6_T7_T8_P12ihipStream_tbENKUlT_T0_E_clISt17integral_constantIbLb1EESZ_EEDaSU_SV_EUlSU_E_NS1_11comp_targetILNS1_3genE3ELNS1_11target_archE908ELNS1_3gpuE7ELNS1_3repE0EEENS1_30default_config_static_selectorELNS0_4arch9wavefront6targetE1EEEvT1_
		.amdhsa_group_segment_fixed_size 0
		.amdhsa_private_segment_fixed_size 0
		.amdhsa_kernarg_size 128
		.amdhsa_user_sgpr_count 6
		.amdhsa_user_sgpr_private_segment_buffer 1
		.amdhsa_user_sgpr_dispatch_ptr 0
		.amdhsa_user_sgpr_queue_ptr 0
		.amdhsa_user_sgpr_kernarg_segment_ptr 1
		.amdhsa_user_sgpr_dispatch_id 0
		.amdhsa_user_sgpr_flat_scratch_init 0
		.amdhsa_user_sgpr_kernarg_preload_length 0
		.amdhsa_user_sgpr_kernarg_preload_offset 0
		.amdhsa_user_sgpr_private_segment_size 0
		.amdhsa_uses_dynamic_stack 0
		.amdhsa_system_sgpr_private_segment_wavefront_offset 0
		.amdhsa_system_sgpr_workgroup_id_x 1
		.amdhsa_system_sgpr_workgroup_id_y 0
		.amdhsa_system_sgpr_workgroup_id_z 0
		.amdhsa_system_sgpr_workgroup_info 0
		.amdhsa_system_vgpr_workitem_id 0
		.amdhsa_next_free_vgpr 1
		.amdhsa_next_free_sgpr 0
		.amdhsa_accum_offset 4
		.amdhsa_reserve_vcc 0
		.amdhsa_reserve_flat_scratch 0
		.amdhsa_float_round_mode_32 0
		.amdhsa_float_round_mode_16_64 0
		.amdhsa_float_denorm_mode_32 3
		.amdhsa_float_denorm_mode_16_64 3
		.amdhsa_dx10_clamp 1
		.amdhsa_ieee_mode 1
		.amdhsa_fp16_overflow 0
		.amdhsa_tg_split 0
		.amdhsa_exception_fp_ieee_invalid_op 0
		.amdhsa_exception_fp_denorm_src 0
		.amdhsa_exception_fp_ieee_div_zero 0
		.amdhsa_exception_fp_ieee_overflow 0
		.amdhsa_exception_fp_ieee_underflow 0
		.amdhsa_exception_fp_ieee_inexact 0
		.amdhsa_exception_int_div_zero 0
	.end_amdhsa_kernel
	.section	.text._ZN7rocprim17ROCPRIM_400000_NS6detail17trampoline_kernelINS0_14default_configENS1_33run_length_encode_config_selectorItjNS0_4plusIjEEEEZZNS1_33reduce_by_key_impl_wrapped_configILNS1_25lookback_scan_determinismE0ES3_S7_PKtNS0_17constant_iteratorIjlEEPtPlSF_S6_NS0_8equal_toItEEEE10hipError_tPvRmT2_T3_mT4_T5_T6_T7_T8_P12ihipStream_tbENKUlT_T0_E_clISt17integral_constantIbLb1EESZ_EEDaSU_SV_EUlSU_E_NS1_11comp_targetILNS1_3genE3ELNS1_11target_archE908ELNS1_3gpuE7ELNS1_3repE0EEENS1_30default_config_static_selectorELNS0_4arch9wavefront6targetE1EEEvT1_,"axG",@progbits,_ZN7rocprim17ROCPRIM_400000_NS6detail17trampoline_kernelINS0_14default_configENS1_33run_length_encode_config_selectorItjNS0_4plusIjEEEEZZNS1_33reduce_by_key_impl_wrapped_configILNS1_25lookback_scan_determinismE0ES3_S7_PKtNS0_17constant_iteratorIjlEEPtPlSF_S6_NS0_8equal_toItEEEE10hipError_tPvRmT2_T3_mT4_T5_T6_T7_T8_P12ihipStream_tbENKUlT_T0_E_clISt17integral_constantIbLb1EESZ_EEDaSU_SV_EUlSU_E_NS1_11comp_targetILNS1_3genE3ELNS1_11target_archE908ELNS1_3gpuE7ELNS1_3repE0EEENS1_30default_config_static_selectorELNS0_4arch9wavefront6targetE1EEEvT1_,comdat
.Lfunc_end799:
	.size	_ZN7rocprim17ROCPRIM_400000_NS6detail17trampoline_kernelINS0_14default_configENS1_33run_length_encode_config_selectorItjNS0_4plusIjEEEEZZNS1_33reduce_by_key_impl_wrapped_configILNS1_25lookback_scan_determinismE0ES3_S7_PKtNS0_17constant_iteratorIjlEEPtPlSF_S6_NS0_8equal_toItEEEE10hipError_tPvRmT2_T3_mT4_T5_T6_T7_T8_P12ihipStream_tbENKUlT_T0_E_clISt17integral_constantIbLb1EESZ_EEDaSU_SV_EUlSU_E_NS1_11comp_targetILNS1_3genE3ELNS1_11target_archE908ELNS1_3gpuE7ELNS1_3repE0EEENS1_30default_config_static_selectorELNS0_4arch9wavefront6targetE1EEEvT1_, .Lfunc_end799-_ZN7rocprim17ROCPRIM_400000_NS6detail17trampoline_kernelINS0_14default_configENS1_33run_length_encode_config_selectorItjNS0_4plusIjEEEEZZNS1_33reduce_by_key_impl_wrapped_configILNS1_25lookback_scan_determinismE0ES3_S7_PKtNS0_17constant_iteratorIjlEEPtPlSF_S6_NS0_8equal_toItEEEE10hipError_tPvRmT2_T3_mT4_T5_T6_T7_T8_P12ihipStream_tbENKUlT_T0_E_clISt17integral_constantIbLb1EESZ_EEDaSU_SV_EUlSU_E_NS1_11comp_targetILNS1_3genE3ELNS1_11target_archE908ELNS1_3gpuE7ELNS1_3repE0EEENS1_30default_config_static_selectorELNS0_4arch9wavefront6targetE1EEEvT1_
                                        ; -- End function
	.section	.AMDGPU.csdata,"",@progbits
; Kernel info:
; codeLenInByte = 0
; NumSgprs: 4
; NumVgprs: 0
; NumAgprs: 0
; TotalNumVgprs: 0
; ScratchSize: 0
; MemoryBound: 0
; FloatMode: 240
; IeeeMode: 1
; LDSByteSize: 0 bytes/workgroup (compile time only)
; SGPRBlocks: 0
; VGPRBlocks: 0
; NumSGPRsForWavesPerEU: 4
; NumVGPRsForWavesPerEU: 1
; AccumOffset: 4
; Occupancy: 8
; WaveLimiterHint : 0
; COMPUTE_PGM_RSRC2:SCRATCH_EN: 0
; COMPUTE_PGM_RSRC2:USER_SGPR: 6
; COMPUTE_PGM_RSRC2:TRAP_HANDLER: 0
; COMPUTE_PGM_RSRC2:TGID_X_EN: 1
; COMPUTE_PGM_RSRC2:TGID_Y_EN: 0
; COMPUTE_PGM_RSRC2:TGID_Z_EN: 0
; COMPUTE_PGM_RSRC2:TIDIG_COMP_CNT: 0
; COMPUTE_PGM_RSRC3_GFX90A:ACCUM_OFFSET: 0
; COMPUTE_PGM_RSRC3_GFX90A:TG_SPLIT: 0
	.section	.text._ZN7rocprim17ROCPRIM_400000_NS6detail17trampoline_kernelINS0_14default_configENS1_33run_length_encode_config_selectorItjNS0_4plusIjEEEEZZNS1_33reduce_by_key_impl_wrapped_configILNS1_25lookback_scan_determinismE0ES3_S7_PKtNS0_17constant_iteratorIjlEEPtPlSF_S6_NS0_8equal_toItEEEE10hipError_tPvRmT2_T3_mT4_T5_T6_T7_T8_P12ihipStream_tbENKUlT_T0_E_clISt17integral_constantIbLb1EESZ_EEDaSU_SV_EUlSU_E_NS1_11comp_targetILNS1_3genE2ELNS1_11target_archE906ELNS1_3gpuE6ELNS1_3repE0EEENS1_30default_config_static_selectorELNS0_4arch9wavefront6targetE1EEEvT1_,"axG",@progbits,_ZN7rocprim17ROCPRIM_400000_NS6detail17trampoline_kernelINS0_14default_configENS1_33run_length_encode_config_selectorItjNS0_4plusIjEEEEZZNS1_33reduce_by_key_impl_wrapped_configILNS1_25lookback_scan_determinismE0ES3_S7_PKtNS0_17constant_iteratorIjlEEPtPlSF_S6_NS0_8equal_toItEEEE10hipError_tPvRmT2_T3_mT4_T5_T6_T7_T8_P12ihipStream_tbENKUlT_T0_E_clISt17integral_constantIbLb1EESZ_EEDaSU_SV_EUlSU_E_NS1_11comp_targetILNS1_3genE2ELNS1_11target_archE906ELNS1_3gpuE6ELNS1_3repE0EEENS1_30default_config_static_selectorELNS0_4arch9wavefront6targetE1EEEvT1_,comdat
	.protected	_ZN7rocprim17ROCPRIM_400000_NS6detail17trampoline_kernelINS0_14default_configENS1_33run_length_encode_config_selectorItjNS0_4plusIjEEEEZZNS1_33reduce_by_key_impl_wrapped_configILNS1_25lookback_scan_determinismE0ES3_S7_PKtNS0_17constant_iteratorIjlEEPtPlSF_S6_NS0_8equal_toItEEEE10hipError_tPvRmT2_T3_mT4_T5_T6_T7_T8_P12ihipStream_tbENKUlT_T0_E_clISt17integral_constantIbLb1EESZ_EEDaSU_SV_EUlSU_E_NS1_11comp_targetILNS1_3genE2ELNS1_11target_archE906ELNS1_3gpuE6ELNS1_3repE0EEENS1_30default_config_static_selectorELNS0_4arch9wavefront6targetE1EEEvT1_ ; -- Begin function _ZN7rocprim17ROCPRIM_400000_NS6detail17trampoline_kernelINS0_14default_configENS1_33run_length_encode_config_selectorItjNS0_4plusIjEEEEZZNS1_33reduce_by_key_impl_wrapped_configILNS1_25lookback_scan_determinismE0ES3_S7_PKtNS0_17constant_iteratorIjlEEPtPlSF_S6_NS0_8equal_toItEEEE10hipError_tPvRmT2_T3_mT4_T5_T6_T7_T8_P12ihipStream_tbENKUlT_T0_E_clISt17integral_constantIbLb1EESZ_EEDaSU_SV_EUlSU_E_NS1_11comp_targetILNS1_3genE2ELNS1_11target_archE906ELNS1_3gpuE6ELNS1_3repE0EEENS1_30default_config_static_selectorELNS0_4arch9wavefront6targetE1EEEvT1_
	.globl	_ZN7rocprim17ROCPRIM_400000_NS6detail17trampoline_kernelINS0_14default_configENS1_33run_length_encode_config_selectorItjNS0_4plusIjEEEEZZNS1_33reduce_by_key_impl_wrapped_configILNS1_25lookback_scan_determinismE0ES3_S7_PKtNS0_17constant_iteratorIjlEEPtPlSF_S6_NS0_8equal_toItEEEE10hipError_tPvRmT2_T3_mT4_T5_T6_T7_T8_P12ihipStream_tbENKUlT_T0_E_clISt17integral_constantIbLb1EESZ_EEDaSU_SV_EUlSU_E_NS1_11comp_targetILNS1_3genE2ELNS1_11target_archE906ELNS1_3gpuE6ELNS1_3repE0EEENS1_30default_config_static_selectorELNS0_4arch9wavefront6targetE1EEEvT1_
	.p2align	8
	.type	_ZN7rocprim17ROCPRIM_400000_NS6detail17trampoline_kernelINS0_14default_configENS1_33run_length_encode_config_selectorItjNS0_4plusIjEEEEZZNS1_33reduce_by_key_impl_wrapped_configILNS1_25lookback_scan_determinismE0ES3_S7_PKtNS0_17constant_iteratorIjlEEPtPlSF_S6_NS0_8equal_toItEEEE10hipError_tPvRmT2_T3_mT4_T5_T6_T7_T8_P12ihipStream_tbENKUlT_T0_E_clISt17integral_constantIbLb1EESZ_EEDaSU_SV_EUlSU_E_NS1_11comp_targetILNS1_3genE2ELNS1_11target_archE906ELNS1_3gpuE6ELNS1_3repE0EEENS1_30default_config_static_selectorELNS0_4arch9wavefront6targetE1EEEvT1_,@function
_ZN7rocprim17ROCPRIM_400000_NS6detail17trampoline_kernelINS0_14default_configENS1_33run_length_encode_config_selectorItjNS0_4plusIjEEEEZZNS1_33reduce_by_key_impl_wrapped_configILNS1_25lookback_scan_determinismE0ES3_S7_PKtNS0_17constant_iteratorIjlEEPtPlSF_S6_NS0_8equal_toItEEEE10hipError_tPvRmT2_T3_mT4_T5_T6_T7_T8_P12ihipStream_tbENKUlT_T0_E_clISt17integral_constantIbLb1EESZ_EEDaSU_SV_EUlSU_E_NS1_11comp_targetILNS1_3genE2ELNS1_11target_archE906ELNS1_3gpuE6ELNS1_3repE0EEENS1_30default_config_static_selectorELNS0_4arch9wavefront6targetE1EEEvT1_: ; @_ZN7rocprim17ROCPRIM_400000_NS6detail17trampoline_kernelINS0_14default_configENS1_33run_length_encode_config_selectorItjNS0_4plusIjEEEEZZNS1_33reduce_by_key_impl_wrapped_configILNS1_25lookback_scan_determinismE0ES3_S7_PKtNS0_17constant_iteratorIjlEEPtPlSF_S6_NS0_8equal_toItEEEE10hipError_tPvRmT2_T3_mT4_T5_T6_T7_T8_P12ihipStream_tbENKUlT_T0_E_clISt17integral_constantIbLb1EESZ_EEDaSU_SV_EUlSU_E_NS1_11comp_targetILNS1_3genE2ELNS1_11target_archE906ELNS1_3gpuE6ELNS1_3repE0EEENS1_30default_config_static_selectorELNS0_4arch9wavefront6targetE1EEEvT1_
; %bb.0:
	.section	.rodata,"a",@progbits
	.p2align	6, 0x0
	.amdhsa_kernel _ZN7rocprim17ROCPRIM_400000_NS6detail17trampoline_kernelINS0_14default_configENS1_33run_length_encode_config_selectorItjNS0_4plusIjEEEEZZNS1_33reduce_by_key_impl_wrapped_configILNS1_25lookback_scan_determinismE0ES3_S7_PKtNS0_17constant_iteratorIjlEEPtPlSF_S6_NS0_8equal_toItEEEE10hipError_tPvRmT2_T3_mT4_T5_T6_T7_T8_P12ihipStream_tbENKUlT_T0_E_clISt17integral_constantIbLb1EESZ_EEDaSU_SV_EUlSU_E_NS1_11comp_targetILNS1_3genE2ELNS1_11target_archE906ELNS1_3gpuE6ELNS1_3repE0EEENS1_30default_config_static_selectorELNS0_4arch9wavefront6targetE1EEEvT1_
		.amdhsa_group_segment_fixed_size 0
		.amdhsa_private_segment_fixed_size 0
		.amdhsa_kernarg_size 128
		.amdhsa_user_sgpr_count 6
		.amdhsa_user_sgpr_private_segment_buffer 1
		.amdhsa_user_sgpr_dispatch_ptr 0
		.amdhsa_user_sgpr_queue_ptr 0
		.amdhsa_user_sgpr_kernarg_segment_ptr 1
		.amdhsa_user_sgpr_dispatch_id 0
		.amdhsa_user_sgpr_flat_scratch_init 0
		.amdhsa_user_sgpr_kernarg_preload_length 0
		.amdhsa_user_sgpr_kernarg_preload_offset 0
		.amdhsa_user_sgpr_private_segment_size 0
		.amdhsa_uses_dynamic_stack 0
		.amdhsa_system_sgpr_private_segment_wavefront_offset 0
		.amdhsa_system_sgpr_workgroup_id_x 1
		.amdhsa_system_sgpr_workgroup_id_y 0
		.amdhsa_system_sgpr_workgroup_id_z 0
		.amdhsa_system_sgpr_workgroup_info 0
		.amdhsa_system_vgpr_workitem_id 0
		.amdhsa_next_free_vgpr 1
		.amdhsa_next_free_sgpr 0
		.amdhsa_accum_offset 4
		.amdhsa_reserve_vcc 0
		.amdhsa_reserve_flat_scratch 0
		.amdhsa_float_round_mode_32 0
		.amdhsa_float_round_mode_16_64 0
		.amdhsa_float_denorm_mode_32 3
		.amdhsa_float_denorm_mode_16_64 3
		.amdhsa_dx10_clamp 1
		.amdhsa_ieee_mode 1
		.amdhsa_fp16_overflow 0
		.amdhsa_tg_split 0
		.amdhsa_exception_fp_ieee_invalid_op 0
		.amdhsa_exception_fp_denorm_src 0
		.amdhsa_exception_fp_ieee_div_zero 0
		.amdhsa_exception_fp_ieee_overflow 0
		.amdhsa_exception_fp_ieee_underflow 0
		.amdhsa_exception_fp_ieee_inexact 0
		.amdhsa_exception_int_div_zero 0
	.end_amdhsa_kernel
	.section	.text._ZN7rocprim17ROCPRIM_400000_NS6detail17trampoline_kernelINS0_14default_configENS1_33run_length_encode_config_selectorItjNS0_4plusIjEEEEZZNS1_33reduce_by_key_impl_wrapped_configILNS1_25lookback_scan_determinismE0ES3_S7_PKtNS0_17constant_iteratorIjlEEPtPlSF_S6_NS0_8equal_toItEEEE10hipError_tPvRmT2_T3_mT4_T5_T6_T7_T8_P12ihipStream_tbENKUlT_T0_E_clISt17integral_constantIbLb1EESZ_EEDaSU_SV_EUlSU_E_NS1_11comp_targetILNS1_3genE2ELNS1_11target_archE906ELNS1_3gpuE6ELNS1_3repE0EEENS1_30default_config_static_selectorELNS0_4arch9wavefront6targetE1EEEvT1_,"axG",@progbits,_ZN7rocprim17ROCPRIM_400000_NS6detail17trampoline_kernelINS0_14default_configENS1_33run_length_encode_config_selectorItjNS0_4plusIjEEEEZZNS1_33reduce_by_key_impl_wrapped_configILNS1_25lookback_scan_determinismE0ES3_S7_PKtNS0_17constant_iteratorIjlEEPtPlSF_S6_NS0_8equal_toItEEEE10hipError_tPvRmT2_T3_mT4_T5_T6_T7_T8_P12ihipStream_tbENKUlT_T0_E_clISt17integral_constantIbLb1EESZ_EEDaSU_SV_EUlSU_E_NS1_11comp_targetILNS1_3genE2ELNS1_11target_archE906ELNS1_3gpuE6ELNS1_3repE0EEENS1_30default_config_static_selectorELNS0_4arch9wavefront6targetE1EEEvT1_,comdat
.Lfunc_end800:
	.size	_ZN7rocprim17ROCPRIM_400000_NS6detail17trampoline_kernelINS0_14default_configENS1_33run_length_encode_config_selectorItjNS0_4plusIjEEEEZZNS1_33reduce_by_key_impl_wrapped_configILNS1_25lookback_scan_determinismE0ES3_S7_PKtNS0_17constant_iteratorIjlEEPtPlSF_S6_NS0_8equal_toItEEEE10hipError_tPvRmT2_T3_mT4_T5_T6_T7_T8_P12ihipStream_tbENKUlT_T0_E_clISt17integral_constantIbLb1EESZ_EEDaSU_SV_EUlSU_E_NS1_11comp_targetILNS1_3genE2ELNS1_11target_archE906ELNS1_3gpuE6ELNS1_3repE0EEENS1_30default_config_static_selectorELNS0_4arch9wavefront6targetE1EEEvT1_, .Lfunc_end800-_ZN7rocprim17ROCPRIM_400000_NS6detail17trampoline_kernelINS0_14default_configENS1_33run_length_encode_config_selectorItjNS0_4plusIjEEEEZZNS1_33reduce_by_key_impl_wrapped_configILNS1_25lookback_scan_determinismE0ES3_S7_PKtNS0_17constant_iteratorIjlEEPtPlSF_S6_NS0_8equal_toItEEEE10hipError_tPvRmT2_T3_mT4_T5_T6_T7_T8_P12ihipStream_tbENKUlT_T0_E_clISt17integral_constantIbLb1EESZ_EEDaSU_SV_EUlSU_E_NS1_11comp_targetILNS1_3genE2ELNS1_11target_archE906ELNS1_3gpuE6ELNS1_3repE0EEENS1_30default_config_static_selectorELNS0_4arch9wavefront6targetE1EEEvT1_
                                        ; -- End function
	.section	.AMDGPU.csdata,"",@progbits
; Kernel info:
; codeLenInByte = 0
; NumSgprs: 4
; NumVgprs: 0
; NumAgprs: 0
; TotalNumVgprs: 0
; ScratchSize: 0
; MemoryBound: 0
; FloatMode: 240
; IeeeMode: 1
; LDSByteSize: 0 bytes/workgroup (compile time only)
; SGPRBlocks: 0
; VGPRBlocks: 0
; NumSGPRsForWavesPerEU: 4
; NumVGPRsForWavesPerEU: 1
; AccumOffset: 4
; Occupancy: 8
; WaveLimiterHint : 0
; COMPUTE_PGM_RSRC2:SCRATCH_EN: 0
; COMPUTE_PGM_RSRC2:USER_SGPR: 6
; COMPUTE_PGM_RSRC2:TRAP_HANDLER: 0
; COMPUTE_PGM_RSRC2:TGID_X_EN: 1
; COMPUTE_PGM_RSRC2:TGID_Y_EN: 0
; COMPUTE_PGM_RSRC2:TGID_Z_EN: 0
; COMPUTE_PGM_RSRC2:TIDIG_COMP_CNT: 0
; COMPUTE_PGM_RSRC3_GFX90A:ACCUM_OFFSET: 0
; COMPUTE_PGM_RSRC3_GFX90A:TG_SPLIT: 0
	.section	.text._ZN7rocprim17ROCPRIM_400000_NS6detail17trampoline_kernelINS0_14default_configENS1_33run_length_encode_config_selectorItjNS0_4plusIjEEEEZZNS1_33reduce_by_key_impl_wrapped_configILNS1_25lookback_scan_determinismE0ES3_S7_PKtNS0_17constant_iteratorIjlEEPtPlSF_S6_NS0_8equal_toItEEEE10hipError_tPvRmT2_T3_mT4_T5_T6_T7_T8_P12ihipStream_tbENKUlT_T0_E_clISt17integral_constantIbLb1EESZ_EEDaSU_SV_EUlSU_E_NS1_11comp_targetILNS1_3genE10ELNS1_11target_archE1201ELNS1_3gpuE5ELNS1_3repE0EEENS1_30default_config_static_selectorELNS0_4arch9wavefront6targetE1EEEvT1_,"axG",@progbits,_ZN7rocprim17ROCPRIM_400000_NS6detail17trampoline_kernelINS0_14default_configENS1_33run_length_encode_config_selectorItjNS0_4plusIjEEEEZZNS1_33reduce_by_key_impl_wrapped_configILNS1_25lookback_scan_determinismE0ES3_S7_PKtNS0_17constant_iteratorIjlEEPtPlSF_S6_NS0_8equal_toItEEEE10hipError_tPvRmT2_T3_mT4_T5_T6_T7_T8_P12ihipStream_tbENKUlT_T0_E_clISt17integral_constantIbLb1EESZ_EEDaSU_SV_EUlSU_E_NS1_11comp_targetILNS1_3genE10ELNS1_11target_archE1201ELNS1_3gpuE5ELNS1_3repE0EEENS1_30default_config_static_selectorELNS0_4arch9wavefront6targetE1EEEvT1_,comdat
	.protected	_ZN7rocprim17ROCPRIM_400000_NS6detail17trampoline_kernelINS0_14default_configENS1_33run_length_encode_config_selectorItjNS0_4plusIjEEEEZZNS1_33reduce_by_key_impl_wrapped_configILNS1_25lookback_scan_determinismE0ES3_S7_PKtNS0_17constant_iteratorIjlEEPtPlSF_S6_NS0_8equal_toItEEEE10hipError_tPvRmT2_T3_mT4_T5_T6_T7_T8_P12ihipStream_tbENKUlT_T0_E_clISt17integral_constantIbLb1EESZ_EEDaSU_SV_EUlSU_E_NS1_11comp_targetILNS1_3genE10ELNS1_11target_archE1201ELNS1_3gpuE5ELNS1_3repE0EEENS1_30default_config_static_selectorELNS0_4arch9wavefront6targetE1EEEvT1_ ; -- Begin function _ZN7rocprim17ROCPRIM_400000_NS6detail17trampoline_kernelINS0_14default_configENS1_33run_length_encode_config_selectorItjNS0_4plusIjEEEEZZNS1_33reduce_by_key_impl_wrapped_configILNS1_25lookback_scan_determinismE0ES3_S7_PKtNS0_17constant_iteratorIjlEEPtPlSF_S6_NS0_8equal_toItEEEE10hipError_tPvRmT2_T3_mT4_T5_T6_T7_T8_P12ihipStream_tbENKUlT_T0_E_clISt17integral_constantIbLb1EESZ_EEDaSU_SV_EUlSU_E_NS1_11comp_targetILNS1_3genE10ELNS1_11target_archE1201ELNS1_3gpuE5ELNS1_3repE0EEENS1_30default_config_static_selectorELNS0_4arch9wavefront6targetE1EEEvT1_
	.globl	_ZN7rocprim17ROCPRIM_400000_NS6detail17trampoline_kernelINS0_14default_configENS1_33run_length_encode_config_selectorItjNS0_4plusIjEEEEZZNS1_33reduce_by_key_impl_wrapped_configILNS1_25lookback_scan_determinismE0ES3_S7_PKtNS0_17constant_iteratorIjlEEPtPlSF_S6_NS0_8equal_toItEEEE10hipError_tPvRmT2_T3_mT4_T5_T6_T7_T8_P12ihipStream_tbENKUlT_T0_E_clISt17integral_constantIbLb1EESZ_EEDaSU_SV_EUlSU_E_NS1_11comp_targetILNS1_3genE10ELNS1_11target_archE1201ELNS1_3gpuE5ELNS1_3repE0EEENS1_30default_config_static_selectorELNS0_4arch9wavefront6targetE1EEEvT1_
	.p2align	8
	.type	_ZN7rocprim17ROCPRIM_400000_NS6detail17trampoline_kernelINS0_14default_configENS1_33run_length_encode_config_selectorItjNS0_4plusIjEEEEZZNS1_33reduce_by_key_impl_wrapped_configILNS1_25lookback_scan_determinismE0ES3_S7_PKtNS0_17constant_iteratorIjlEEPtPlSF_S6_NS0_8equal_toItEEEE10hipError_tPvRmT2_T3_mT4_T5_T6_T7_T8_P12ihipStream_tbENKUlT_T0_E_clISt17integral_constantIbLb1EESZ_EEDaSU_SV_EUlSU_E_NS1_11comp_targetILNS1_3genE10ELNS1_11target_archE1201ELNS1_3gpuE5ELNS1_3repE0EEENS1_30default_config_static_selectorELNS0_4arch9wavefront6targetE1EEEvT1_,@function
_ZN7rocprim17ROCPRIM_400000_NS6detail17trampoline_kernelINS0_14default_configENS1_33run_length_encode_config_selectorItjNS0_4plusIjEEEEZZNS1_33reduce_by_key_impl_wrapped_configILNS1_25lookback_scan_determinismE0ES3_S7_PKtNS0_17constant_iteratorIjlEEPtPlSF_S6_NS0_8equal_toItEEEE10hipError_tPvRmT2_T3_mT4_T5_T6_T7_T8_P12ihipStream_tbENKUlT_T0_E_clISt17integral_constantIbLb1EESZ_EEDaSU_SV_EUlSU_E_NS1_11comp_targetILNS1_3genE10ELNS1_11target_archE1201ELNS1_3gpuE5ELNS1_3repE0EEENS1_30default_config_static_selectorELNS0_4arch9wavefront6targetE1EEEvT1_: ; @_ZN7rocprim17ROCPRIM_400000_NS6detail17trampoline_kernelINS0_14default_configENS1_33run_length_encode_config_selectorItjNS0_4plusIjEEEEZZNS1_33reduce_by_key_impl_wrapped_configILNS1_25lookback_scan_determinismE0ES3_S7_PKtNS0_17constant_iteratorIjlEEPtPlSF_S6_NS0_8equal_toItEEEE10hipError_tPvRmT2_T3_mT4_T5_T6_T7_T8_P12ihipStream_tbENKUlT_T0_E_clISt17integral_constantIbLb1EESZ_EEDaSU_SV_EUlSU_E_NS1_11comp_targetILNS1_3genE10ELNS1_11target_archE1201ELNS1_3gpuE5ELNS1_3repE0EEENS1_30default_config_static_selectorELNS0_4arch9wavefront6targetE1EEEvT1_
; %bb.0:
	.section	.rodata,"a",@progbits
	.p2align	6, 0x0
	.amdhsa_kernel _ZN7rocprim17ROCPRIM_400000_NS6detail17trampoline_kernelINS0_14default_configENS1_33run_length_encode_config_selectorItjNS0_4plusIjEEEEZZNS1_33reduce_by_key_impl_wrapped_configILNS1_25lookback_scan_determinismE0ES3_S7_PKtNS0_17constant_iteratorIjlEEPtPlSF_S6_NS0_8equal_toItEEEE10hipError_tPvRmT2_T3_mT4_T5_T6_T7_T8_P12ihipStream_tbENKUlT_T0_E_clISt17integral_constantIbLb1EESZ_EEDaSU_SV_EUlSU_E_NS1_11comp_targetILNS1_3genE10ELNS1_11target_archE1201ELNS1_3gpuE5ELNS1_3repE0EEENS1_30default_config_static_selectorELNS0_4arch9wavefront6targetE1EEEvT1_
		.amdhsa_group_segment_fixed_size 0
		.amdhsa_private_segment_fixed_size 0
		.amdhsa_kernarg_size 128
		.amdhsa_user_sgpr_count 6
		.amdhsa_user_sgpr_private_segment_buffer 1
		.amdhsa_user_sgpr_dispatch_ptr 0
		.amdhsa_user_sgpr_queue_ptr 0
		.amdhsa_user_sgpr_kernarg_segment_ptr 1
		.amdhsa_user_sgpr_dispatch_id 0
		.amdhsa_user_sgpr_flat_scratch_init 0
		.amdhsa_user_sgpr_kernarg_preload_length 0
		.amdhsa_user_sgpr_kernarg_preload_offset 0
		.amdhsa_user_sgpr_private_segment_size 0
		.amdhsa_uses_dynamic_stack 0
		.amdhsa_system_sgpr_private_segment_wavefront_offset 0
		.amdhsa_system_sgpr_workgroup_id_x 1
		.amdhsa_system_sgpr_workgroup_id_y 0
		.amdhsa_system_sgpr_workgroup_id_z 0
		.amdhsa_system_sgpr_workgroup_info 0
		.amdhsa_system_vgpr_workitem_id 0
		.amdhsa_next_free_vgpr 1
		.amdhsa_next_free_sgpr 0
		.amdhsa_accum_offset 4
		.amdhsa_reserve_vcc 0
		.amdhsa_reserve_flat_scratch 0
		.amdhsa_float_round_mode_32 0
		.amdhsa_float_round_mode_16_64 0
		.amdhsa_float_denorm_mode_32 3
		.amdhsa_float_denorm_mode_16_64 3
		.amdhsa_dx10_clamp 1
		.amdhsa_ieee_mode 1
		.amdhsa_fp16_overflow 0
		.amdhsa_tg_split 0
		.amdhsa_exception_fp_ieee_invalid_op 0
		.amdhsa_exception_fp_denorm_src 0
		.amdhsa_exception_fp_ieee_div_zero 0
		.amdhsa_exception_fp_ieee_overflow 0
		.amdhsa_exception_fp_ieee_underflow 0
		.amdhsa_exception_fp_ieee_inexact 0
		.amdhsa_exception_int_div_zero 0
	.end_amdhsa_kernel
	.section	.text._ZN7rocprim17ROCPRIM_400000_NS6detail17trampoline_kernelINS0_14default_configENS1_33run_length_encode_config_selectorItjNS0_4plusIjEEEEZZNS1_33reduce_by_key_impl_wrapped_configILNS1_25lookback_scan_determinismE0ES3_S7_PKtNS0_17constant_iteratorIjlEEPtPlSF_S6_NS0_8equal_toItEEEE10hipError_tPvRmT2_T3_mT4_T5_T6_T7_T8_P12ihipStream_tbENKUlT_T0_E_clISt17integral_constantIbLb1EESZ_EEDaSU_SV_EUlSU_E_NS1_11comp_targetILNS1_3genE10ELNS1_11target_archE1201ELNS1_3gpuE5ELNS1_3repE0EEENS1_30default_config_static_selectorELNS0_4arch9wavefront6targetE1EEEvT1_,"axG",@progbits,_ZN7rocprim17ROCPRIM_400000_NS6detail17trampoline_kernelINS0_14default_configENS1_33run_length_encode_config_selectorItjNS0_4plusIjEEEEZZNS1_33reduce_by_key_impl_wrapped_configILNS1_25lookback_scan_determinismE0ES3_S7_PKtNS0_17constant_iteratorIjlEEPtPlSF_S6_NS0_8equal_toItEEEE10hipError_tPvRmT2_T3_mT4_T5_T6_T7_T8_P12ihipStream_tbENKUlT_T0_E_clISt17integral_constantIbLb1EESZ_EEDaSU_SV_EUlSU_E_NS1_11comp_targetILNS1_3genE10ELNS1_11target_archE1201ELNS1_3gpuE5ELNS1_3repE0EEENS1_30default_config_static_selectorELNS0_4arch9wavefront6targetE1EEEvT1_,comdat
.Lfunc_end801:
	.size	_ZN7rocprim17ROCPRIM_400000_NS6detail17trampoline_kernelINS0_14default_configENS1_33run_length_encode_config_selectorItjNS0_4plusIjEEEEZZNS1_33reduce_by_key_impl_wrapped_configILNS1_25lookback_scan_determinismE0ES3_S7_PKtNS0_17constant_iteratorIjlEEPtPlSF_S6_NS0_8equal_toItEEEE10hipError_tPvRmT2_T3_mT4_T5_T6_T7_T8_P12ihipStream_tbENKUlT_T0_E_clISt17integral_constantIbLb1EESZ_EEDaSU_SV_EUlSU_E_NS1_11comp_targetILNS1_3genE10ELNS1_11target_archE1201ELNS1_3gpuE5ELNS1_3repE0EEENS1_30default_config_static_selectorELNS0_4arch9wavefront6targetE1EEEvT1_, .Lfunc_end801-_ZN7rocprim17ROCPRIM_400000_NS6detail17trampoline_kernelINS0_14default_configENS1_33run_length_encode_config_selectorItjNS0_4plusIjEEEEZZNS1_33reduce_by_key_impl_wrapped_configILNS1_25lookback_scan_determinismE0ES3_S7_PKtNS0_17constant_iteratorIjlEEPtPlSF_S6_NS0_8equal_toItEEEE10hipError_tPvRmT2_T3_mT4_T5_T6_T7_T8_P12ihipStream_tbENKUlT_T0_E_clISt17integral_constantIbLb1EESZ_EEDaSU_SV_EUlSU_E_NS1_11comp_targetILNS1_3genE10ELNS1_11target_archE1201ELNS1_3gpuE5ELNS1_3repE0EEENS1_30default_config_static_selectorELNS0_4arch9wavefront6targetE1EEEvT1_
                                        ; -- End function
	.section	.AMDGPU.csdata,"",@progbits
; Kernel info:
; codeLenInByte = 0
; NumSgprs: 4
; NumVgprs: 0
; NumAgprs: 0
; TotalNumVgprs: 0
; ScratchSize: 0
; MemoryBound: 0
; FloatMode: 240
; IeeeMode: 1
; LDSByteSize: 0 bytes/workgroup (compile time only)
; SGPRBlocks: 0
; VGPRBlocks: 0
; NumSGPRsForWavesPerEU: 4
; NumVGPRsForWavesPerEU: 1
; AccumOffset: 4
; Occupancy: 8
; WaveLimiterHint : 0
; COMPUTE_PGM_RSRC2:SCRATCH_EN: 0
; COMPUTE_PGM_RSRC2:USER_SGPR: 6
; COMPUTE_PGM_RSRC2:TRAP_HANDLER: 0
; COMPUTE_PGM_RSRC2:TGID_X_EN: 1
; COMPUTE_PGM_RSRC2:TGID_Y_EN: 0
; COMPUTE_PGM_RSRC2:TGID_Z_EN: 0
; COMPUTE_PGM_RSRC2:TIDIG_COMP_CNT: 0
; COMPUTE_PGM_RSRC3_GFX90A:ACCUM_OFFSET: 0
; COMPUTE_PGM_RSRC3_GFX90A:TG_SPLIT: 0
	.section	.text._ZN7rocprim17ROCPRIM_400000_NS6detail17trampoline_kernelINS0_14default_configENS1_33run_length_encode_config_selectorItjNS0_4plusIjEEEEZZNS1_33reduce_by_key_impl_wrapped_configILNS1_25lookback_scan_determinismE0ES3_S7_PKtNS0_17constant_iteratorIjlEEPtPlSF_S6_NS0_8equal_toItEEEE10hipError_tPvRmT2_T3_mT4_T5_T6_T7_T8_P12ihipStream_tbENKUlT_T0_E_clISt17integral_constantIbLb1EESZ_EEDaSU_SV_EUlSU_E_NS1_11comp_targetILNS1_3genE10ELNS1_11target_archE1200ELNS1_3gpuE4ELNS1_3repE0EEENS1_30default_config_static_selectorELNS0_4arch9wavefront6targetE1EEEvT1_,"axG",@progbits,_ZN7rocprim17ROCPRIM_400000_NS6detail17trampoline_kernelINS0_14default_configENS1_33run_length_encode_config_selectorItjNS0_4plusIjEEEEZZNS1_33reduce_by_key_impl_wrapped_configILNS1_25lookback_scan_determinismE0ES3_S7_PKtNS0_17constant_iteratorIjlEEPtPlSF_S6_NS0_8equal_toItEEEE10hipError_tPvRmT2_T3_mT4_T5_T6_T7_T8_P12ihipStream_tbENKUlT_T0_E_clISt17integral_constantIbLb1EESZ_EEDaSU_SV_EUlSU_E_NS1_11comp_targetILNS1_3genE10ELNS1_11target_archE1200ELNS1_3gpuE4ELNS1_3repE0EEENS1_30default_config_static_selectorELNS0_4arch9wavefront6targetE1EEEvT1_,comdat
	.protected	_ZN7rocprim17ROCPRIM_400000_NS6detail17trampoline_kernelINS0_14default_configENS1_33run_length_encode_config_selectorItjNS0_4plusIjEEEEZZNS1_33reduce_by_key_impl_wrapped_configILNS1_25lookback_scan_determinismE0ES3_S7_PKtNS0_17constant_iteratorIjlEEPtPlSF_S6_NS0_8equal_toItEEEE10hipError_tPvRmT2_T3_mT4_T5_T6_T7_T8_P12ihipStream_tbENKUlT_T0_E_clISt17integral_constantIbLb1EESZ_EEDaSU_SV_EUlSU_E_NS1_11comp_targetILNS1_3genE10ELNS1_11target_archE1200ELNS1_3gpuE4ELNS1_3repE0EEENS1_30default_config_static_selectorELNS0_4arch9wavefront6targetE1EEEvT1_ ; -- Begin function _ZN7rocprim17ROCPRIM_400000_NS6detail17trampoline_kernelINS0_14default_configENS1_33run_length_encode_config_selectorItjNS0_4plusIjEEEEZZNS1_33reduce_by_key_impl_wrapped_configILNS1_25lookback_scan_determinismE0ES3_S7_PKtNS0_17constant_iteratorIjlEEPtPlSF_S6_NS0_8equal_toItEEEE10hipError_tPvRmT2_T3_mT4_T5_T6_T7_T8_P12ihipStream_tbENKUlT_T0_E_clISt17integral_constantIbLb1EESZ_EEDaSU_SV_EUlSU_E_NS1_11comp_targetILNS1_3genE10ELNS1_11target_archE1200ELNS1_3gpuE4ELNS1_3repE0EEENS1_30default_config_static_selectorELNS0_4arch9wavefront6targetE1EEEvT1_
	.globl	_ZN7rocprim17ROCPRIM_400000_NS6detail17trampoline_kernelINS0_14default_configENS1_33run_length_encode_config_selectorItjNS0_4plusIjEEEEZZNS1_33reduce_by_key_impl_wrapped_configILNS1_25lookback_scan_determinismE0ES3_S7_PKtNS0_17constant_iteratorIjlEEPtPlSF_S6_NS0_8equal_toItEEEE10hipError_tPvRmT2_T3_mT4_T5_T6_T7_T8_P12ihipStream_tbENKUlT_T0_E_clISt17integral_constantIbLb1EESZ_EEDaSU_SV_EUlSU_E_NS1_11comp_targetILNS1_3genE10ELNS1_11target_archE1200ELNS1_3gpuE4ELNS1_3repE0EEENS1_30default_config_static_selectorELNS0_4arch9wavefront6targetE1EEEvT1_
	.p2align	8
	.type	_ZN7rocprim17ROCPRIM_400000_NS6detail17trampoline_kernelINS0_14default_configENS1_33run_length_encode_config_selectorItjNS0_4plusIjEEEEZZNS1_33reduce_by_key_impl_wrapped_configILNS1_25lookback_scan_determinismE0ES3_S7_PKtNS0_17constant_iteratorIjlEEPtPlSF_S6_NS0_8equal_toItEEEE10hipError_tPvRmT2_T3_mT4_T5_T6_T7_T8_P12ihipStream_tbENKUlT_T0_E_clISt17integral_constantIbLb1EESZ_EEDaSU_SV_EUlSU_E_NS1_11comp_targetILNS1_3genE10ELNS1_11target_archE1200ELNS1_3gpuE4ELNS1_3repE0EEENS1_30default_config_static_selectorELNS0_4arch9wavefront6targetE1EEEvT1_,@function
_ZN7rocprim17ROCPRIM_400000_NS6detail17trampoline_kernelINS0_14default_configENS1_33run_length_encode_config_selectorItjNS0_4plusIjEEEEZZNS1_33reduce_by_key_impl_wrapped_configILNS1_25lookback_scan_determinismE0ES3_S7_PKtNS0_17constant_iteratorIjlEEPtPlSF_S6_NS0_8equal_toItEEEE10hipError_tPvRmT2_T3_mT4_T5_T6_T7_T8_P12ihipStream_tbENKUlT_T0_E_clISt17integral_constantIbLb1EESZ_EEDaSU_SV_EUlSU_E_NS1_11comp_targetILNS1_3genE10ELNS1_11target_archE1200ELNS1_3gpuE4ELNS1_3repE0EEENS1_30default_config_static_selectorELNS0_4arch9wavefront6targetE1EEEvT1_: ; @_ZN7rocprim17ROCPRIM_400000_NS6detail17trampoline_kernelINS0_14default_configENS1_33run_length_encode_config_selectorItjNS0_4plusIjEEEEZZNS1_33reduce_by_key_impl_wrapped_configILNS1_25lookback_scan_determinismE0ES3_S7_PKtNS0_17constant_iteratorIjlEEPtPlSF_S6_NS0_8equal_toItEEEE10hipError_tPvRmT2_T3_mT4_T5_T6_T7_T8_P12ihipStream_tbENKUlT_T0_E_clISt17integral_constantIbLb1EESZ_EEDaSU_SV_EUlSU_E_NS1_11comp_targetILNS1_3genE10ELNS1_11target_archE1200ELNS1_3gpuE4ELNS1_3repE0EEENS1_30default_config_static_selectorELNS0_4arch9wavefront6targetE1EEEvT1_
; %bb.0:
	.section	.rodata,"a",@progbits
	.p2align	6, 0x0
	.amdhsa_kernel _ZN7rocprim17ROCPRIM_400000_NS6detail17trampoline_kernelINS0_14default_configENS1_33run_length_encode_config_selectorItjNS0_4plusIjEEEEZZNS1_33reduce_by_key_impl_wrapped_configILNS1_25lookback_scan_determinismE0ES3_S7_PKtNS0_17constant_iteratorIjlEEPtPlSF_S6_NS0_8equal_toItEEEE10hipError_tPvRmT2_T3_mT4_T5_T6_T7_T8_P12ihipStream_tbENKUlT_T0_E_clISt17integral_constantIbLb1EESZ_EEDaSU_SV_EUlSU_E_NS1_11comp_targetILNS1_3genE10ELNS1_11target_archE1200ELNS1_3gpuE4ELNS1_3repE0EEENS1_30default_config_static_selectorELNS0_4arch9wavefront6targetE1EEEvT1_
		.amdhsa_group_segment_fixed_size 0
		.amdhsa_private_segment_fixed_size 0
		.amdhsa_kernarg_size 128
		.amdhsa_user_sgpr_count 6
		.amdhsa_user_sgpr_private_segment_buffer 1
		.amdhsa_user_sgpr_dispatch_ptr 0
		.amdhsa_user_sgpr_queue_ptr 0
		.amdhsa_user_sgpr_kernarg_segment_ptr 1
		.amdhsa_user_sgpr_dispatch_id 0
		.amdhsa_user_sgpr_flat_scratch_init 0
		.amdhsa_user_sgpr_kernarg_preload_length 0
		.amdhsa_user_sgpr_kernarg_preload_offset 0
		.amdhsa_user_sgpr_private_segment_size 0
		.amdhsa_uses_dynamic_stack 0
		.amdhsa_system_sgpr_private_segment_wavefront_offset 0
		.amdhsa_system_sgpr_workgroup_id_x 1
		.amdhsa_system_sgpr_workgroup_id_y 0
		.amdhsa_system_sgpr_workgroup_id_z 0
		.amdhsa_system_sgpr_workgroup_info 0
		.amdhsa_system_vgpr_workitem_id 0
		.amdhsa_next_free_vgpr 1
		.amdhsa_next_free_sgpr 0
		.amdhsa_accum_offset 4
		.amdhsa_reserve_vcc 0
		.amdhsa_reserve_flat_scratch 0
		.amdhsa_float_round_mode_32 0
		.amdhsa_float_round_mode_16_64 0
		.amdhsa_float_denorm_mode_32 3
		.amdhsa_float_denorm_mode_16_64 3
		.amdhsa_dx10_clamp 1
		.amdhsa_ieee_mode 1
		.amdhsa_fp16_overflow 0
		.amdhsa_tg_split 0
		.amdhsa_exception_fp_ieee_invalid_op 0
		.amdhsa_exception_fp_denorm_src 0
		.amdhsa_exception_fp_ieee_div_zero 0
		.amdhsa_exception_fp_ieee_overflow 0
		.amdhsa_exception_fp_ieee_underflow 0
		.amdhsa_exception_fp_ieee_inexact 0
		.amdhsa_exception_int_div_zero 0
	.end_amdhsa_kernel
	.section	.text._ZN7rocprim17ROCPRIM_400000_NS6detail17trampoline_kernelINS0_14default_configENS1_33run_length_encode_config_selectorItjNS0_4plusIjEEEEZZNS1_33reduce_by_key_impl_wrapped_configILNS1_25lookback_scan_determinismE0ES3_S7_PKtNS0_17constant_iteratorIjlEEPtPlSF_S6_NS0_8equal_toItEEEE10hipError_tPvRmT2_T3_mT4_T5_T6_T7_T8_P12ihipStream_tbENKUlT_T0_E_clISt17integral_constantIbLb1EESZ_EEDaSU_SV_EUlSU_E_NS1_11comp_targetILNS1_3genE10ELNS1_11target_archE1200ELNS1_3gpuE4ELNS1_3repE0EEENS1_30default_config_static_selectorELNS0_4arch9wavefront6targetE1EEEvT1_,"axG",@progbits,_ZN7rocprim17ROCPRIM_400000_NS6detail17trampoline_kernelINS0_14default_configENS1_33run_length_encode_config_selectorItjNS0_4plusIjEEEEZZNS1_33reduce_by_key_impl_wrapped_configILNS1_25lookback_scan_determinismE0ES3_S7_PKtNS0_17constant_iteratorIjlEEPtPlSF_S6_NS0_8equal_toItEEEE10hipError_tPvRmT2_T3_mT4_T5_T6_T7_T8_P12ihipStream_tbENKUlT_T0_E_clISt17integral_constantIbLb1EESZ_EEDaSU_SV_EUlSU_E_NS1_11comp_targetILNS1_3genE10ELNS1_11target_archE1200ELNS1_3gpuE4ELNS1_3repE0EEENS1_30default_config_static_selectorELNS0_4arch9wavefront6targetE1EEEvT1_,comdat
.Lfunc_end802:
	.size	_ZN7rocprim17ROCPRIM_400000_NS6detail17trampoline_kernelINS0_14default_configENS1_33run_length_encode_config_selectorItjNS0_4plusIjEEEEZZNS1_33reduce_by_key_impl_wrapped_configILNS1_25lookback_scan_determinismE0ES3_S7_PKtNS0_17constant_iteratorIjlEEPtPlSF_S6_NS0_8equal_toItEEEE10hipError_tPvRmT2_T3_mT4_T5_T6_T7_T8_P12ihipStream_tbENKUlT_T0_E_clISt17integral_constantIbLb1EESZ_EEDaSU_SV_EUlSU_E_NS1_11comp_targetILNS1_3genE10ELNS1_11target_archE1200ELNS1_3gpuE4ELNS1_3repE0EEENS1_30default_config_static_selectorELNS0_4arch9wavefront6targetE1EEEvT1_, .Lfunc_end802-_ZN7rocprim17ROCPRIM_400000_NS6detail17trampoline_kernelINS0_14default_configENS1_33run_length_encode_config_selectorItjNS0_4plusIjEEEEZZNS1_33reduce_by_key_impl_wrapped_configILNS1_25lookback_scan_determinismE0ES3_S7_PKtNS0_17constant_iteratorIjlEEPtPlSF_S6_NS0_8equal_toItEEEE10hipError_tPvRmT2_T3_mT4_T5_T6_T7_T8_P12ihipStream_tbENKUlT_T0_E_clISt17integral_constantIbLb1EESZ_EEDaSU_SV_EUlSU_E_NS1_11comp_targetILNS1_3genE10ELNS1_11target_archE1200ELNS1_3gpuE4ELNS1_3repE0EEENS1_30default_config_static_selectorELNS0_4arch9wavefront6targetE1EEEvT1_
                                        ; -- End function
	.section	.AMDGPU.csdata,"",@progbits
; Kernel info:
; codeLenInByte = 0
; NumSgprs: 4
; NumVgprs: 0
; NumAgprs: 0
; TotalNumVgprs: 0
; ScratchSize: 0
; MemoryBound: 0
; FloatMode: 240
; IeeeMode: 1
; LDSByteSize: 0 bytes/workgroup (compile time only)
; SGPRBlocks: 0
; VGPRBlocks: 0
; NumSGPRsForWavesPerEU: 4
; NumVGPRsForWavesPerEU: 1
; AccumOffset: 4
; Occupancy: 8
; WaveLimiterHint : 0
; COMPUTE_PGM_RSRC2:SCRATCH_EN: 0
; COMPUTE_PGM_RSRC2:USER_SGPR: 6
; COMPUTE_PGM_RSRC2:TRAP_HANDLER: 0
; COMPUTE_PGM_RSRC2:TGID_X_EN: 1
; COMPUTE_PGM_RSRC2:TGID_Y_EN: 0
; COMPUTE_PGM_RSRC2:TGID_Z_EN: 0
; COMPUTE_PGM_RSRC2:TIDIG_COMP_CNT: 0
; COMPUTE_PGM_RSRC3_GFX90A:ACCUM_OFFSET: 0
; COMPUTE_PGM_RSRC3_GFX90A:TG_SPLIT: 0
	.section	.text._ZN7rocprim17ROCPRIM_400000_NS6detail17trampoline_kernelINS0_14default_configENS1_33run_length_encode_config_selectorItjNS0_4plusIjEEEEZZNS1_33reduce_by_key_impl_wrapped_configILNS1_25lookback_scan_determinismE0ES3_S7_PKtNS0_17constant_iteratorIjlEEPtPlSF_S6_NS0_8equal_toItEEEE10hipError_tPvRmT2_T3_mT4_T5_T6_T7_T8_P12ihipStream_tbENKUlT_T0_E_clISt17integral_constantIbLb1EESZ_EEDaSU_SV_EUlSU_E_NS1_11comp_targetILNS1_3genE9ELNS1_11target_archE1100ELNS1_3gpuE3ELNS1_3repE0EEENS1_30default_config_static_selectorELNS0_4arch9wavefront6targetE1EEEvT1_,"axG",@progbits,_ZN7rocprim17ROCPRIM_400000_NS6detail17trampoline_kernelINS0_14default_configENS1_33run_length_encode_config_selectorItjNS0_4plusIjEEEEZZNS1_33reduce_by_key_impl_wrapped_configILNS1_25lookback_scan_determinismE0ES3_S7_PKtNS0_17constant_iteratorIjlEEPtPlSF_S6_NS0_8equal_toItEEEE10hipError_tPvRmT2_T3_mT4_T5_T6_T7_T8_P12ihipStream_tbENKUlT_T0_E_clISt17integral_constantIbLb1EESZ_EEDaSU_SV_EUlSU_E_NS1_11comp_targetILNS1_3genE9ELNS1_11target_archE1100ELNS1_3gpuE3ELNS1_3repE0EEENS1_30default_config_static_selectorELNS0_4arch9wavefront6targetE1EEEvT1_,comdat
	.protected	_ZN7rocprim17ROCPRIM_400000_NS6detail17trampoline_kernelINS0_14default_configENS1_33run_length_encode_config_selectorItjNS0_4plusIjEEEEZZNS1_33reduce_by_key_impl_wrapped_configILNS1_25lookback_scan_determinismE0ES3_S7_PKtNS0_17constant_iteratorIjlEEPtPlSF_S6_NS0_8equal_toItEEEE10hipError_tPvRmT2_T3_mT4_T5_T6_T7_T8_P12ihipStream_tbENKUlT_T0_E_clISt17integral_constantIbLb1EESZ_EEDaSU_SV_EUlSU_E_NS1_11comp_targetILNS1_3genE9ELNS1_11target_archE1100ELNS1_3gpuE3ELNS1_3repE0EEENS1_30default_config_static_selectorELNS0_4arch9wavefront6targetE1EEEvT1_ ; -- Begin function _ZN7rocprim17ROCPRIM_400000_NS6detail17trampoline_kernelINS0_14default_configENS1_33run_length_encode_config_selectorItjNS0_4plusIjEEEEZZNS1_33reduce_by_key_impl_wrapped_configILNS1_25lookback_scan_determinismE0ES3_S7_PKtNS0_17constant_iteratorIjlEEPtPlSF_S6_NS0_8equal_toItEEEE10hipError_tPvRmT2_T3_mT4_T5_T6_T7_T8_P12ihipStream_tbENKUlT_T0_E_clISt17integral_constantIbLb1EESZ_EEDaSU_SV_EUlSU_E_NS1_11comp_targetILNS1_3genE9ELNS1_11target_archE1100ELNS1_3gpuE3ELNS1_3repE0EEENS1_30default_config_static_selectorELNS0_4arch9wavefront6targetE1EEEvT1_
	.globl	_ZN7rocprim17ROCPRIM_400000_NS6detail17trampoline_kernelINS0_14default_configENS1_33run_length_encode_config_selectorItjNS0_4plusIjEEEEZZNS1_33reduce_by_key_impl_wrapped_configILNS1_25lookback_scan_determinismE0ES3_S7_PKtNS0_17constant_iteratorIjlEEPtPlSF_S6_NS0_8equal_toItEEEE10hipError_tPvRmT2_T3_mT4_T5_T6_T7_T8_P12ihipStream_tbENKUlT_T0_E_clISt17integral_constantIbLb1EESZ_EEDaSU_SV_EUlSU_E_NS1_11comp_targetILNS1_3genE9ELNS1_11target_archE1100ELNS1_3gpuE3ELNS1_3repE0EEENS1_30default_config_static_selectorELNS0_4arch9wavefront6targetE1EEEvT1_
	.p2align	8
	.type	_ZN7rocprim17ROCPRIM_400000_NS6detail17trampoline_kernelINS0_14default_configENS1_33run_length_encode_config_selectorItjNS0_4plusIjEEEEZZNS1_33reduce_by_key_impl_wrapped_configILNS1_25lookback_scan_determinismE0ES3_S7_PKtNS0_17constant_iteratorIjlEEPtPlSF_S6_NS0_8equal_toItEEEE10hipError_tPvRmT2_T3_mT4_T5_T6_T7_T8_P12ihipStream_tbENKUlT_T0_E_clISt17integral_constantIbLb1EESZ_EEDaSU_SV_EUlSU_E_NS1_11comp_targetILNS1_3genE9ELNS1_11target_archE1100ELNS1_3gpuE3ELNS1_3repE0EEENS1_30default_config_static_selectorELNS0_4arch9wavefront6targetE1EEEvT1_,@function
_ZN7rocprim17ROCPRIM_400000_NS6detail17trampoline_kernelINS0_14default_configENS1_33run_length_encode_config_selectorItjNS0_4plusIjEEEEZZNS1_33reduce_by_key_impl_wrapped_configILNS1_25lookback_scan_determinismE0ES3_S7_PKtNS0_17constant_iteratorIjlEEPtPlSF_S6_NS0_8equal_toItEEEE10hipError_tPvRmT2_T3_mT4_T5_T6_T7_T8_P12ihipStream_tbENKUlT_T0_E_clISt17integral_constantIbLb1EESZ_EEDaSU_SV_EUlSU_E_NS1_11comp_targetILNS1_3genE9ELNS1_11target_archE1100ELNS1_3gpuE3ELNS1_3repE0EEENS1_30default_config_static_selectorELNS0_4arch9wavefront6targetE1EEEvT1_: ; @_ZN7rocprim17ROCPRIM_400000_NS6detail17trampoline_kernelINS0_14default_configENS1_33run_length_encode_config_selectorItjNS0_4plusIjEEEEZZNS1_33reduce_by_key_impl_wrapped_configILNS1_25lookback_scan_determinismE0ES3_S7_PKtNS0_17constant_iteratorIjlEEPtPlSF_S6_NS0_8equal_toItEEEE10hipError_tPvRmT2_T3_mT4_T5_T6_T7_T8_P12ihipStream_tbENKUlT_T0_E_clISt17integral_constantIbLb1EESZ_EEDaSU_SV_EUlSU_E_NS1_11comp_targetILNS1_3genE9ELNS1_11target_archE1100ELNS1_3gpuE3ELNS1_3repE0EEENS1_30default_config_static_selectorELNS0_4arch9wavefront6targetE1EEEvT1_
; %bb.0:
	.section	.rodata,"a",@progbits
	.p2align	6, 0x0
	.amdhsa_kernel _ZN7rocprim17ROCPRIM_400000_NS6detail17trampoline_kernelINS0_14default_configENS1_33run_length_encode_config_selectorItjNS0_4plusIjEEEEZZNS1_33reduce_by_key_impl_wrapped_configILNS1_25lookback_scan_determinismE0ES3_S7_PKtNS0_17constant_iteratorIjlEEPtPlSF_S6_NS0_8equal_toItEEEE10hipError_tPvRmT2_T3_mT4_T5_T6_T7_T8_P12ihipStream_tbENKUlT_T0_E_clISt17integral_constantIbLb1EESZ_EEDaSU_SV_EUlSU_E_NS1_11comp_targetILNS1_3genE9ELNS1_11target_archE1100ELNS1_3gpuE3ELNS1_3repE0EEENS1_30default_config_static_selectorELNS0_4arch9wavefront6targetE1EEEvT1_
		.amdhsa_group_segment_fixed_size 0
		.amdhsa_private_segment_fixed_size 0
		.amdhsa_kernarg_size 128
		.amdhsa_user_sgpr_count 6
		.amdhsa_user_sgpr_private_segment_buffer 1
		.amdhsa_user_sgpr_dispatch_ptr 0
		.amdhsa_user_sgpr_queue_ptr 0
		.amdhsa_user_sgpr_kernarg_segment_ptr 1
		.amdhsa_user_sgpr_dispatch_id 0
		.amdhsa_user_sgpr_flat_scratch_init 0
		.amdhsa_user_sgpr_kernarg_preload_length 0
		.amdhsa_user_sgpr_kernarg_preload_offset 0
		.amdhsa_user_sgpr_private_segment_size 0
		.amdhsa_uses_dynamic_stack 0
		.amdhsa_system_sgpr_private_segment_wavefront_offset 0
		.amdhsa_system_sgpr_workgroup_id_x 1
		.amdhsa_system_sgpr_workgroup_id_y 0
		.amdhsa_system_sgpr_workgroup_id_z 0
		.amdhsa_system_sgpr_workgroup_info 0
		.amdhsa_system_vgpr_workitem_id 0
		.amdhsa_next_free_vgpr 1
		.amdhsa_next_free_sgpr 0
		.amdhsa_accum_offset 4
		.amdhsa_reserve_vcc 0
		.amdhsa_reserve_flat_scratch 0
		.amdhsa_float_round_mode_32 0
		.amdhsa_float_round_mode_16_64 0
		.amdhsa_float_denorm_mode_32 3
		.amdhsa_float_denorm_mode_16_64 3
		.amdhsa_dx10_clamp 1
		.amdhsa_ieee_mode 1
		.amdhsa_fp16_overflow 0
		.amdhsa_tg_split 0
		.amdhsa_exception_fp_ieee_invalid_op 0
		.amdhsa_exception_fp_denorm_src 0
		.amdhsa_exception_fp_ieee_div_zero 0
		.amdhsa_exception_fp_ieee_overflow 0
		.amdhsa_exception_fp_ieee_underflow 0
		.amdhsa_exception_fp_ieee_inexact 0
		.amdhsa_exception_int_div_zero 0
	.end_amdhsa_kernel
	.section	.text._ZN7rocprim17ROCPRIM_400000_NS6detail17trampoline_kernelINS0_14default_configENS1_33run_length_encode_config_selectorItjNS0_4plusIjEEEEZZNS1_33reduce_by_key_impl_wrapped_configILNS1_25lookback_scan_determinismE0ES3_S7_PKtNS0_17constant_iteratorIjlEEPtPlSF_S6_NS0_8equal_toItEEEE10hipError_tPvRmT2_T3_mT4_T5_T6_T7_T8_P12ihipStream_tbENKUlT_T0_E_clISt17integral_constantIbLb1EESZ_EEDaSU_SV_EUlSU_E_NS1_11comp_targetILNS1_3genE9ELNS1_11target_archE1100ELNS1_3gpuE3ELNS1_3repE0EEENS1_30default_config_static_selectorELNS0_4arch9wavefront6targetE1EEEvT1_,"axG",@progbits,_ZN7rocprim17ROCPRIM_400000_NS6detail17trampoline_kernelINS0_14default_configENS1_33run_length_encode_config_selectorItjNS0_4plusIjEEEEZZNS1_33reduce_by_key_impl_wrapped_configILNS1_25lookback_scan_determinismE0ES3_S7_PKtNS0_17constant_iteratorIjlEEPtPlSF_S6_NS0_8equal_toItEEEE10hipError_tPvRmT2_T3_mT4_T5_T6_T7_T8_P12ihipStream_tbENKUlT_T0_E_clISt17integral_constantIbLb1EESZ_EEDaSU_SV_EUlSU_E_NS1_11comp_targetILNS1_3genE9ELNS1_11target_archE1100ELNS1_3gpuE3ELNS1_3repE0EEENS1_30default_config_static_selectorELNS0_4arch9wavefront6targetE1EEEvT1_,comdat
.Lfunc_end803:
	.size	_ZN7rocprim17ROCPRIM_400000_NS6detail17trampoline_kernelINS0_14default_configENS1_33run_length_encode_config_selectorItjNS0_4plusIjEEEEZZNS1_33reduce_by_key_impl_wrapped_configILNS1_25lookback_scan_determinismE0ES3_S7_PKtNS0_17constant_iteratorIjlEEPtPlSF_S6_NS0_8equal_toItEEEE10hipError_tPvRmT2_T3_mT4_T5_T6_T7_T8_P12ihipStream_tbENKUlT_T0_E_clISt17integral_constantIbLb1EESZ_EEDaSU_SV_EUlSU_E_NS1_11comp_targetILNS1_3genE9ELNS1_11target_archE1100ELNS1_3gpuE3ELNS1_3repE0EEENS1_30default_config_static_selectorELNS0_4arch9wavefront6targetE1EEEvT1_, .Lfunc_end803-_ZN7rocprim17ROCPRIM_400000_NS6detail17trampoline_kernelINS0_14default_configENS1_33run_length_encode_config_selectorItjNS0_4plusIjEEEEZZNS1_33reduce_by_key_impl_wrapped_configILNS1_25lookback_scan_determinismE0ES3_S7_PKtNS0_17constant_iteratorIjlEEPtPlSF_S6_NS0_8equal_toItEEEE10hipError_tPvRmT2_T3_mT4_T5_T6_T7_T8_P12ihipStream_tbENKUlT_T0_E_clISt17integral_constantIbLb1EESZ_EEDaSU_SV_EUlSU_E_NS1_11comp_targetILNS1_3genE9ELNS1_11target_archE1100ELNS1_3gpuE3ELNS1_3repE0EEENS1_30default_config_static_selectorELNS0_4arch9wavefront6targetE1EEEvT1_
                                        ; -- End function
	.section	.AMDGPU.csdata,"",@progbits
; Kernel info:
; codeLenInByte = 0
; NumSgprs: 4
; NumVgprs: 0
; NumAgprs: 0
; TotalNumVgprs: 0
; ScratchSize: 0
; MemoryBound: 0
; FloatMode: 240
; IeeeMode: 1
; LDSByteSize: 0 bytes/workgroup (compile time only)
; SGPRBlocks: 0
; VGPRBlocks: 0
; NumSGPRsForWavesPerEU: 4
; NumVGPRsForWavesPerEU: 1
; AccumOffset: 4
; Occupancy: 8
; WaveLimiterHint : 0
; COMPUTE_PGM_RSRC2:SCRATCH_EN: 0
; COMPUTE_PGM_RSRC2:USER_SGPR: 6
; COMPUTE_PGM_RSRC2:TRAP_HANDLER: 0
; COMPUTE_PGM_RSRC2:TGID_X_EN: 1
; COMPUTE_PGM_RSRC2:TGID_Y_EN: 0
; COMPUTE_PGM_RSRC2:TGID_Z_EN: 0
; COMPUTE_PGM_RSRC2:TIDIG_COMP_CNT: 0
; COMPUTE_PGM_RSRC3_GFX90A:ACCUM_OFFSET: 0
; COMPUTE_PGM_RSRC3_GFX90A:TG_SPLIT: 0
	.section	.text._ZN7rocprim17ROCPRIM_400000_NS6detail17trampoline_kernelINS0_14default_configENS1_33run_length_encode_config_selectorItjNS0_4plusIjEEEEZZNS1_33reduce_by_key_impl_wrapped_configILNS1_25lookback_scan_determinismE0ES3_S7_PKtNS0_17constant_iteratorIjlEEPtPlSF_S6_NS0_8equal_toItEEEE10hipError_tPvRmT2_T3_mT4_T5_T6_T7_T8_P12ihipStream_tbENKUlT_T0_E_clISt17integral_constantIbLb1EESZ_EEDaSU_SV_EUlSU_E_NS1_11comp_targetILNS1_3genE8ELNS1_11target_archE1030ELNS1_3gpuE2ELNS1_3repE0EEENS1_30default_config_static_selectorELNS0_4arch9wavefront6targetE1EEEvT1_,"axG",@progbits,_ZN7rocprim17ROCPRIM_400000_NS6detail17trampoline_kernelINS0_14default_configENS1_33run_length_encode_config_selectorItjNS0_4plusIjEEEEZZNS1_33reduce_by_key_impl_wrapped_configILNS1_25lookback_scan_determinismE0ES3_S7_PKtNS0_17constant_iteratorIjlEEPtPlSF_S6_NS0_8equal_toItEEEE10hipError_tPvRmT2_T3_mT4_T5_T6_T7_T8_P12ihipStream_tbENKUlT_T0_E_clISt17integral_constantIbLb1EESZ_EEDaSU_SV_EUlSU_E_NS1_11comp_targetILNS1_3genE8ELNS1_11target_archE1030ELNS1_3gpuE2ELNS1_3repE0EEENS1_30default_config_static_selectorELNS0_4arch9wavefront6targetE1EEEvT1_,comdat
	.protected	_ZN7rocprim17ROCPRIM_400000_NS6detail17trampoline_kernelINS0_14default_configENS1_33run_length_encode_config_selectorItjNS0_4plusIjEEEEZZNS1_33reduce_by_key_impl_wrapped_configILNS1_25lookback_scan_determinismE0ES3_S7_PKtNS0_17constant_iteratorIjlEEPtPlSF_S6_NS0_8equal_toItEEEE10hipError_tPvRmT2_T3_mT4_T5_T6_T7_T8_P12ihipStream_tbENKUlT_T0_E_clISt17integral_constantIbLb1EESZ_EEDaSU_SV_EUlSU_E_NS1_11comp_targetILNS1_3genE8ELNS1_11target_archE1030ELNS1_3gpuE2ELNS1_3repE0EEENS1_30default_config_static_selectorELNS0_4arch9wavefront6targetE1EEEvT1_ ; -- Begin function _ZN7rocprim17ROCPRIM_400000_NS6detail17trampoline_kernelINS0_14default_configENS1_33run_length_encode_config_selectorItjNS0_4plusIjEEEEZZNS1_33reduce_by_key_impl_wrapped_configILNS1_25lookback_scan_determinismE0ES3_S7_PKtNS0_17constant_iteratorIjlEEPtPlSF_S6_NS0_8equal_toItEEEE10hipError_tPvRmT2_T3_mT4_T5_T6_T7_T8_P12ihipStream_tbENKUlT_T0_E_clISt17integral_constantIbLb1EESZ_EEDaSU_SV_EUlSU_E_NS1_11comp_targetILNS1_3genE8ELNS1_11target_archE1030ELNS1_3gpuE2ELNS1_3repE0EEENS1_30default_config_static_selectorELNS0_4arch9wavefront6targetE1EEEvT1_
	.globl	_ZN7rocprim17ROCPRIM_400000_NS6detail17trampoline_kernelINS0_14default_configENS1_33run_length_encode_config_selectorItjNS0_4plusIjEEEEZZNS1_33reduce_by_key_impl_wrapped_configILNS1_25lookback_scan_determinismE0ES3_S7_PKtNS0_17constant_iteratorIjlEEPtPlSF_S6_NS0_8equal_toItEEEE10hipError_tPvRmT2_T3_mT4_T5_T6_T7_T8_P12ihipStream_tbENKUlT_T0_E_clISt17integral_constantIbLb1EESZ_EEDaSU_SV_EUlSU_E_NS1_11comp_targetILNS1_3genE8ELNS1_11target_archE1030ELNS1_3gpuE2ELNS1_3repE0EEENS1_30default_config_static_selectorELNS0_4arch9wavefront6targetE1EEEvT1_
	.p2align	8
	.type	_ZN7rocprim17ROCPRIM_400000_NS6detail17trampoline_kernelINS0_14default_configENS1_33run_length_encode_config_selectorItjNS0_4plusIjEEEEZZNS1_33reduce_by_key_impl_wrapped_configILNS1_25lookback_scan_determinismE0ES3_S7_PKtNS0_17constant_iteratorIjlEEPtPlSF_S6_NS0_8equal_toItEEEE10hipError_tPvRmT2_T3_mT4_T5_T6_T7_T8_P12ihipStream_tbENKUlT_T0_E_clISt17integral_constantIbLb1EESZ_EEDaSU_SV_EUlSU_E_NS1_11comp_targetILNS1_3genE8ELNS1_11target_archE1030ELNS1_3gpuE2ELNS1_3repE0EEENS1_30default_config_static_selectorELNS0_4arch9wavefront6targetE1EEEvT1_,@function
_ZN7rocprim17ROCPRIM_400000_NS6detail17trampoline_kernelINS0_14default_configENS1_33run_length_encode_config_selectorItjNS0_4plusIjEEEEZZNS1_33reduce_by_key_impl_wrapped_configILNS1_25lookback_scan_determinismE0ES3_S7_PKtNS0_17constant_iteratorIjlEEPtPlSF_S6_NS0_8equal_toItEEEE10hipError_tPvRmT2_T3_mT4_T5_T6_T7_T8_P12ihipStream_tbENKUlT_T0_E_clISt17integral_constantIbLb1EESZ_EEDaSU_SV_EUlSU_E_NS1_11comp_targetILNS1_3genE8ELNS1_11target_archE1030ELNS1_3gpuE2ELNS1_3repE0EEENS1_30default_config_static_selectorELNS0_4arch9wavefront6targetE1EEEvT1_: ; @_ZN7rocprim17ROCPRIM_400000_NS6detail17trampoline_kernelINS0_14default_configENS1_33run_length_encode_config_selectorItjNS0_4plusIjEEEEZZNS1_33reduce_by_key_impl_wrapped_configILNS1_25lookback_scan_determinismE0ES3_S7_PKtNS0_17constant_iteratorIjlEEPtPlSF_S6_NS0_8equal_toItEEEE10hipError_tPvRmT2_T3_mT4_T5_T6_T7_T8_P12ihipStream_tbENKUlT_T0_E_clISt17integral_constantIbLb1EESZ_EEDaSU_SV_EUlSU_E_NS1_11comp_targetILNS1_3genE8ELNS1_11target_archE1030ELNS1_3gpuE2ELNS1_3repE0EEENS1_30default_config_static_selectorELNS0_4arch9wavefront6targetE1EEEvT1_
; %bb.0:
	.section	.rodata,"a",@progbits
	.p2align	6, 0x0
	.amdhsa_kernel _ZN7rocprim17ROCPRIM_400000_NS6detail17trampoline_kernelINS0_14default_configENS1_33run_length_encode_config_selectorItjNS0_4plusIjEEEEZZNS1_33reduce_by_key_impl_wrapped_configILNS1_25lookback_scan_determinismE0ES3_S7_PKtNS0_17constant_iteratorIjlEEPtPlSF_S6_NS0_8equal_toItEEEE10hipError_tPvRmT2_T3_mT4_T5_T6_T7_T8_P12ihipStream_tbENKUlT_T0_E_clISt17integral_constantIbLb1EESZ_EEDaSU_SV_EUlSU_E_NS1_11comp_targetILNS1_3genE8ELNS1_11target_archE1030ELNS1_3gpuE2ELNS1_3repE0EEENS1_30default_config_static_selectorELNS0_4arch9wavefront6targetE1EEEvT1_
		.amdhsa_group_segment_fixed_size 0
		.amdhsa_private_segment_fixed_size 0
		.amdhsa_kernarg_size 128
		.amdhsa_user_sgpr_count 6
		.amdhsa_user_sgpr_private_segment_buffer 1
		.amdhsa_user_sgpr_dispatch_ptr 0
		.amdhsa_user_sgpr_queue_ptr 0
		.amdhsa_user_sgpr_kernarg_segment_ptr 1
		.amdhsa_user_sgpr_dispatch_id 0
		.amdhsa_user_sgpr_flat_scratch_init 0
		.amdhsa_user_sgpr_kernarg_preload_length 0
		.amdhsa_user_sgpr_kernarg_preload_offset 0
		.amdhsa_user_sgpr_private_segment_size 0
		.amdhsa_uses_dynamic_stack 0
		.amdhsa_system_sgpr_private_segment_wavefront_offset 0
		.amdhsa_system_sgpr_workgroup_id_x 1
		.amdhsa_system_sgpr_workgroup_id_y 0
		.amdhsa_system_sgpr_workgroup_id_z 0
		.amdhsa_system_sgpr_workgroup_info 0
		.amdhsa_system_vgpr_workitem_id 0
		.amdhsa_next_free_vgpr 1
		.amdhsa_next_free_sgpr 0
		.amdhsa_accum_offset 4
		.amdhsa_reserve_vcc 0
		.amdhsa_reserve_flat_scratch 0
		.amdhsa_float_round_mode_32 0
		.amdhsa_float_round_mode_16_64 0
		.amdhsa_float_denorm_mode_32 3
		.amdhsa_float_denorm_mode_16_64 3
		.amdhsa_dx10_clamp 1
		.amdhsa_ieee_mode 1
		.amdhsa_fp16_overflow 0
		.amdhsa_tg_split 0
		.amdhsa_exception_fp_ieee_invalid_op 0
		.amdhsa_exception_fp_denorm_src 0
		.amdhsa_exception_fp_ieee_div_zero 0
		.amdhsa_exception_fp_ieee_overflow 0
		.amdhsa_exception_fp_ieee_underflow 0
		.amdhsa_exception_fp_ieee_inexact 0
		.amdhsa_exception_int_div_zero 0
	.end_amdhsa_kernel
	.section	.text._ZN7rocprim17ROCPRIM_400000_NS6detail17trampoline_kernelINS0_14default_configENS1_33run_length_encode_config_selectorItjNS0_4plusIjEEEEZZNS1_33reduce_by_key_impl_wrapped_configILNS1_25lookback_scan_determinismE0ES3_S7_PKtNS0_17constant_iteratorIjlEEPtPlSF_S6_NS0_8equal_toItEEEE10hipError_tPvRmT2_T3_mT4_T5_T6_T7_T8_P12ihipStream_tbENKUlT_T0_E_clISt17integral_constantIbLb1EESZ_EEDaSU_SV_EUlSU_E_NS1_11comp_targetILNS1_3genE8ELNS1_11target_archE1030ELNS1_3gpuE2ELNS1_3repE0EEENS1_30default_config_static_selectorELNS0_4arch9wavefront6targetE1EEEvT1_,"axG",@progbits,_ZN7rocprim17ROCPRIM_400000_NS6detail17trampoline_kernelINS0_14default_configENS1_33run_length_encode_config_selectorItjNS0_4plusIjEEEEZZNS1_33reduce_by_key_impl_wrapped_configILNS1_25lookback_scan_determinismE0ES3_S7_PKtNS0_17constant_iteratorIjlEEPtPlSF_S6_NS0_8equal_toItEEEE10hipError_tPvRmT2_T3_mT4_T5_T6_T7_T8_P12ihipStream_tbENKUlT_T0_E_clISt17integral_constantIbLb1EESZ_EEDaSU_SV_EUlSU_E_NS1_11comp_targetILNS1_3genE8ELNS1_11target_archE1030ELNS1_3gpuE2ELNS1_3repE0EEENS1_30default_config_static_selectorELNS0_4arch9wavefront6targetE1EEEvT1_,comdat
.Lfunc_end804:
	.size	_ZN7rocprim17ROCPRIM_400000_NS6detail17trampoline_kernelINS0_14default_configENS1_33run_length_encode_config_selectorItjNS0_4plusIjEEEEZZNS1_33reduce_by_key_impl_wrapped_configILNS1_25lookback_scan_determinismE0ES3_S7_PKtNS0_17constant_iteratorIjlEEPtPlSF_S6_NS0_8equal_toItEEEE10hipError_tPvRmT2_T3_mT4_T5_T6_T7_T8_P12ihipStream_tbENKUlT_T0_E_clISt17integral_constantIbLb1EESZ_EEDaSU_SV_EUlSU_E_NS1_11comp_targetILNS1_3genE8ELNS1_11target_archE1030ELNS1_3gpuE2ELNS1_3repE0EEENS1_30default_config_static_selectorELNS0_4arch9wavefront6targetE1EEEvT1_, .Lfunc_end804-_ZN7rocprim17ROCPRIM_400000_NS6detail17trampoline_kernelINS0_14default_configENS1_33run_length_encode_config_selectorItjNS0_4plusIjEEEEZZNS1_33reduce_by_key_impl_wrapped_configILNS1_25lookback_scan_determinismE0ES3_S7_PKtNS0_17constant_iteratorIjlEEPtPlSF_S6_NS0_8equal_toItEEEE10hipError_tPvRmT2_T3_mT4_T5_T6_T7_T8_P12ihipStream_tbENKUlT_T0_E_clISt17integral_constantIbLb1EESZ_EEDaSU_SV_EUlSU_E_NS1_11comp_targetILNS1_3genE8ELNS1_11target_archE1030ELNS1_3gpuE2ELNS1_3repE0EEENS1_30default_config_static_selectorELNS0_4arch9wavefront6targetE1EEEvT1_
                                        ; -- End function
	.section	.AMDGPU.csdata,"",@progbits
; Kernel info:
; codeLenInByte = 0
; NumSgprs: 4
; NumVgprs: 0
; NumAgprs: 0
; TotalNumVgprs: 0
; ScratchSize: 0
; MemoryBound: 0
; FloatMode: 240
; IeeeMode: 1
; LDSByteSize: 0 bytes/workgroup (compile time only)
; SGPRBlocks: 0
; VGPRBlocks: 0
; NumSGPRsForWavesPerEU: 4
; NumVGPRsForWavesPerEU: 1
; AccumOffset: 4
; Occupancy: 8
; WaveLimiterHint : 0
; COMPUTE_PGM_RSRC2:SCRATCH_EN: 0
; COMPUTE_PGM_RSRC2:USER_SGPR: 6
; COMPUTE_PGM_RSRC2:TRAP_HANDLER: 0
; COMPUTE_PGM_RSRC2:TGID_X_EN: 1
; COMPUTE_PGM_RSRC2:TGID_Y_EN: 0
; COMPUTE_PGM_RSRC2:TGID_Z_EN: 0
; COMPUTE_PGM_RSRC2:TIDIG_COMP_CNT: 0
; COMPUTE_PGM_RSRC3_GFX90A:ACCUM_OFFSET: 0
; COMPUTE_PGM_RSRC3_GFX90A:TG_SPLIT: 0
	.section	.text._ZN7rocprim17ROCPRIM_400000_NS6detail17trampoline_kernelINS0_14default_configENS1_33run_length_encode_config_selectorItjNS0_4plusIjEEEEZZNS1_33reduce_by_key_impl_wrapped_configILNS1_25lookback_scan_determinismE0ES3_S7_PKtNS0_17constant_iteratorIjlEEPtPlSF_S6_NS0_8equal_toItEEEE10hipError_tPvRmT2_T3_mT4_T5_T6_T7_T8_P12ihipStream_tbENKUlT_T0_E_clISt17integral_constantIbLb1EESY_IbLb0EEEEDaSU_SV_EUlSU_E_NS1_11comp_targetILNS1_3genE0ELNS1_11target_archE4294967295ELNS1_3gpuE0ELNS1_3repE0EEENS1_30default_config_static_selectorELNS0_4arch9wavefront6targetE1EEEvT1_,"axG",@progbits,_ZN7rocprim17ROCPRIM_400000_NS6detail17trampoline_kernelINS0_14default_configENS1_33run_length_encode_config_selectorItjNS0_4plusIjEEEEZZNS1_33reduce_by_key_impl_wrapped_configILNS1_25lookback_scan_determinismE0ES3_S7_PKtNS0_17constant_iteratorIjlEEPtPlSF_S6_NS0_8equal_toItEEEE10hipError_tPvRmT2_T3_mT4_T5_T6_T7_T8_P12ihipStream_tbENKUlT_T0_E_clISt17integral_constantIbLb1EESY_IbLb0EEEEDaSU_SV_EUlSU_E_NS1_11comp_targetILNS1_3genE0ELNS1_11target_archE4294967295ELNS1_3gpuE0ELNS1_3repE0EEENS1_30default_config_static_selectorELNS0_4arch9wavefront6targetE1EEEvT1_,comdat
	.protected	_ZN7rocprim17ROCPRIM_400000_NS6detail17trampoline_kernelINS0_14default_configENS1_33run_length_encode_config_selectorItjNS0_4plusIjEEEEZZNS1_33reduce_by_key_impl_wrapped_configILNS1_25lookback_scan_determinismE0ES3_S7_PKtNS0_17constant_iteratorIjlEEPtPlSF_S6_NS0_8equal_toItEEEE10hipError_tPvRmT2_T3_mT4_T5_T6_T7_T8_P12ihipStream_tbENKUlT_T0_E_clISt17integral_constantIbLb1EESY_IbLb0EEEEDaSU_SV_EUlSU_E_NS1_11comp_targetILNS1_3genE0ELNS1_11target_archE4294967295ELNS1_3gpuE0ELNS1_3repE0EEENS1_30default_config_static_selectorELNS0_4arch9wavefront6targetE1EEEvT1_ ; -- Begin function _ZN7rocprim17ROCPRIM_400000_NS6detail17trampoline_kernelINS0_14default_configENS1_33run_length_encode_config_selectorItjNS0_4plusIjEEEEZZNS1_33reduce_by_key_impl_wrapped_configILNS1_25lookback_scan_determinismE0ES3_S7_PKtNS0_17constant_iteratorIjlEEPtPlSF_S6_NS0_8equal_toItEEEE10hipError_tPvRmT2_T3_mT4_T5_T6_T7_T8_P12ihipStream_tbENKUlT_T0_E_clISt17integral_constantIbLb1EESY_IbLb0EEEEDaSU_SV_EUlSU_E_NS1_11comp_targetILNS1_3genE0ELNS1_11target_archE4294967295ELNS1_3gpuE0ELNS1_3repE0EEENS1_30default_config_static_selectorELNS0_4arch9wavefront6targetE1EEEvT1_
	.globl	_ZN7rocprim17ROCPRIM_400000_NS6detail17trampoline_kernelINS0_14default_configENS1_33run_length_encode_config_selectorItjNS0_4plusIjEEEEZZNS1_33reduce_by_key_impl_wrapped_configILNS1_25lookback_scan_determinismE0ES3_S7_PKtNS0_17constant_iteratorIjlEEPtPlSF_S6_NS0_8equal_toItEEEE10hipError_tPvRmT2_T3_mT4_T5_T6_T7_T8_P12ihipStream_tbENKUlT_T0_E_clISt17integral_constantIbLb1EESY_IbLb0EEEEDaSU_SV_EUlSU_E_NS1_11comp_targetILNS1_3genE0ELNS1_11target_archE4294967295ELNS1_3gpuE0ELNS1_3repE0EEENS1_30default_config_static_selectorELNS0_4arch9wavefront6targetE1EEEvT1_
	.p2align	8
	.type	_ZN7rocprim17ROCPRIM_400000_NS6detail17trampoline_kernelINS0_14default_configENS1_33run_length_encode_config_selectorItjNS0_4plusIjEEEEZZNS1_33reduce_by_key_impl_wrapped_configILNS1_25lookback_scan_determinismE0ES3_S7_PKtNS0_17constant_iteratorIjlEEPtPlSF_S6_NS0_8equal_toItEEEE10hipError_tPvRmT2_T3_mT4_T5_T6_T7_T8_P12ihipStream_tbENKUlT_T0_E_clISt17integral_constantIbLb1EESY_IbLb0EEEEDaSU_SV_EUlSU_E_NS1_11comp_targetILNS1_3genE0ELNS1_11target_archE4294967295ELNS1_3gpuE0ELNS1_3repE0EEENS1_30default_config_static_selectorELNS0_4arch9wavefront6targetE1EEEvT1_,@function
_ZN7rocprim17ROCPRIM_400000_NS6detail17trampoline_kernelINS0_14default_configENS1_33run_length_encode_config_selectorItjNS0_4plusIjEEEEZZNS1_33reduce_by_key_impl_wrapped_configILNS1_25lookback_scan_determinismE0ES3_S7_PKtNS0_17constant_iteratorIjlEEPtPlSF_S6_NS0_8equal_toItEEEE10hipError_tPvRmT2_T3_mT4_T5_T6_T7_T8_P12ihipStream_tbENKUlT_T0_E_clISt17integral_constantIbLb1EESY_IbLb0EEEEDaSU_SV_EUlSU_E_NS1_11comp_targetILNS1_3genE0ELNS1_11target_archE4294967295ELNS1_3gpuE0ELNS1_3repE0EEENS1_30default_config_static_selectorELNS0_4arch9wavefront6targetE1EEEvT1_: ; @_ZN7rocprim17ROCPRIM_400000_NS6detail17trampoline_kernelINS0_14default_configENS1_33run_length_encode_config_selectorItjNS0_4plusIjEEEEZZNS1_33reduce_by_key_impl_wrapped_configILNS1_25lookback_scan_determinismE0ES3_S7_PKtNS0_17constant_iteratorIjlEEPtPlSF_S6_NS0_8equal_toItEEEE10hipError_tPvRmT2_T3_mT4_T5_T6_T7_T8_P12ihipStream_tbENKUlT_T0_E_clISt17integral_constantIbLb1EESY_IbLb0EEEEDaSU_SV_EUlSU_E_NS1_11comp_targetILNS1_3genE0ELNS1_11target_archE4294967295ELNS1_3gpuE0ELNS1_3repE0EEENS1_30default_config_static_selectorELNS0_4arch9wavefront6targetE1EEEvT1_
; %bb.0:
	.section	.rodata,"a",@progbits
	.p2align	6, 0x0
	.amdhsa_kernel _ZN7rocprim17ROCPRIM_400000_NS6detail17trampoline_kernelINS0_14default_configENS1_33run_length_encode_config_selectorItjNS0_4plusIjEEEEZZNS1_33reduce_by_key_impl_wrapped_configILNS1_25lookback_scan_determinismE0ES3_S7_PKtNS0_17constant_iteratorIjlEEPtPlSF_S6_NS0_8equal_toItEEEE10hipError_tPvRmT2_T3_mT4_T5_T6_T7_T8_P12ihipStream_tbENKUlT_T0_E_clISt17integral_constantIbLb1EESY_IbLb0EEEEDaSU_SV_EUlSU_E_NS1_11comp_targetILNS1_3genE0ELNS1_11target_archE4294967295ELNS1_3gpuE0ELNS1_3repE0EEENS1_30default_config_static_selectorELNS0_4arch9wavefront6targetE1EEEvT1_
		.amdhsa_group_segment_fixed_size 0
		.amdhsa_private_segment_fixed_size 0
		.amdhsa_kernarg_size 128
		.amdhsa_user_sgpr_count 6
		.amdhsa_user_sgpr_private_segment_buffer 1
		.amdhsa_user_sgpr_dispatch_ptr 0
		.amdhsa_user_sgpr_queue_ptr 0
		.amdhsa_user_sgpr_kernarg_segment_ptr 1
		.amdhsa_user_sgpr_dispatch_id 0
		.amdhsa_user_sgpr_flat_scratch_init 0
		.amdhsa_user_sgpr_kernarg_preload_length 0
		.amdhsa_user_sgpr_kernarg_preload_offset 0
		.amdhsa_user_sgpr_private_segment_size 0
		.amdhsa_uses_dynamic_stack 0
		.amdhsa_system_sgpr_private_segment_wavefront_offset 0
		.amdhsa_system_sgpr_workgroup_id_x 1
		.amdhsa_system_sgpr_workgroup_id_y 0
		.amdhsa_system_sgpr_workgroup_id_z 0
		.amdhsa_system_sgpr_workgroup_info 0
		.amdhsa_system_vgpr_workitem_id 0
		.amdhsa_next_free_vgpr 1
		.amdhsa_next_free_sgpr 0
		.amdhsa_accum_offset 4
		.amdhsa_reserve_vcc 0
		.amdhsa_reserve_flat_scratch 0
		.amdhsa_float_round_mode_32 0
		.amdhsa_float_round_mode_16_64 0
		.amdhsa_float_denorm_mode_32 3
		.amdhsa_float_denorm_mode_16_64 3
		.amdhsa_dx10_clamp 1
		.amdhsa_ieee_mode 1
		.amdhsa_fp16_overflow 0
		.amdhsa_tg_split 0
		.amdhsa_exception_fp_ieee_invalid_op 0
		.amdhsa_exception_fp_denorm_src 0
		.amdhsa_exception_fp_ieee_div_zero 0
		.amdhsa_exception_fp_ieee_overflow 0
		.amdhsa_exception_fp_ieee_underflow 0
		.amdhsa_exception_fp_ieee_inexact 0
		.amdhsa_exception_int_div_zero 0
	.end_amdhsa_kernel
	.section	.text._ZN7rocprim17ROCPRIM_400000_NS6detail17trampoline_kernelINS0_14default_configENS1_33run_length_encode_config_selectorItjNS0_4plusIjEEEEZZNS1_33reduce_by_key_impl_wrapped_configILNS1_25lookback_scan_determinismE0ES3_S7_PKtNS0_17constant_iteratorIjlEEPtPlSF_S6_NS0_8equal_toItEEEE10hipError_tPvRmT2_T3_mT4_T5_T6_T7_T8_P12ihipStream_tbENKUlT_T0_E_clISt17integral_constantIbLb1EESY_IbLb0EEEEDaSU_SV_EUlSU_E_NS1_11comp_targetILNS1_3genE0ELNS1_11target_archE4294967295ELNS1_3gpuE0ELNS1_3repE0EEENS1_30default_config_static_selectorELNS0_4arch9wavefront6targetE1EEEvT1_,"axG",@progbits,_ZN7rocprim17ROCPRIM_400000_NS6detail17trampoline_kernelINS0_14default_configENS1_33run_length_encode_config_selectorItjNS0_4plusIjEEEEZZNS1_33reduce_by_key_impl_wrapped_configILNS1_25lookback_scan_determinismE0ES3_S7_PKtNS0_17constant_iteratorIjlEEPtPlSF_S6_NS0_8equal_toItEEEE10hipError_tPvRmT2_T3_mT4_T5_T6_T7_T8_P12ihipStream_tbENKUlT_T0_E_clISt17integral_constantIbLb1EESY_IbLb0EEEEDaSU_SV_EUlSU_E_NS1_11comp_targetILNS1_3genE0ELNS1_11target_archE4294967295ELNS1_3gpuE0ELNS1_3repE0EEENS1_30default_config_static_selectorELNS0_4arch9wavefront6targetE1EEEvT1_,comdat
.Lfunc_end805:
	.size	_ZN7rocprim17ROCPRIM_400000_NS6detail17trampoline_kernelINS0_14default_configENS1_33run_length_encode_config_selectorItjNS0_4plusIjEEEEZZNS1_33reduce_by_key_impl_wrapped_configILNS1_25lookback_scan_determinismE0ES3_S7_PKtNS0_17constant_iteratorIjlEEPtPlSF_S6_NS0_8equal_toItEEEE10hipError_tPvRmT2_T3_mT4_T5_T6_T7_T8_P12ihipStream_tbENKUlT_T0_E_clISt17integral_constantIbLb1EESY_IbLb0EEEEDaSU_SV_EUlSU_E_NS1_11comp_targetILNS1_3genE0ELNS1_11target_archE4294967295ELNS1_3gpuE0ELNS1_3repE0EEENS1_30default_config_static_selectorELNS0_4arch9wavefront6targetE1EEEvT1_, .Lfunc_end805-_ZN7rocprim17ROCPRIM_400000_NS6detail17trampoline_kernelINS0_14default_configENS1_33run_length_encode_config_selectorItjNS0_4plusIjEEEEZZNS1_33reduce_by_key_impl_wrapped_configILNS1_25lookback_scan_determinismE0ES3_S7_PKtNS0_17constant_iteratorIjlEEPtPlSF_S6_NS0_8equal_toItEEEE10hipError_tPvRmT2_T3_mT4_T5_T6_T7_T8_P12ihipStream_tbENKUlT_T0_E_clISt17integral_constantIbLb1EESY_IbLb0EEEEDaSU_SV_EUlSU_E_NS1_11comp_targetILNS1_3genE0ELNS1_11target_archE4294967295ELNS1_3gpuE0ELNS1_3repE0EEENS1_30default_config_static_selectorELNS0_4arch9wavefront6targetE1EEEvT1_
                                        ; -- End function
	.section	.AMDGPU.csdata,"",@progbits
; Kernel info:
; codeLenInByte = 0
; NumSgprs: 4
; NumVgprs: 0
; NumAgprs: 0
; TotalNumVgprs: 0
; ScratchSize: 0
; MemoryBound: 0
; FloatMode: 240
; IeeeMode: 1
; LDSByteSize: 0 bytes/workgroup (compile time only)
; SGPRBlocks: 0
; VGPRBlocks: 0
; NumSGPRsForWavesPerEU: 4
; NumVGPRsForWavesPerEU: 1
; AccumOffset: 4
; Occupancy: 8
; WaveLimiterHint : 0
; COMPUTE_PGM_RSRC2:SCRATCH_EN: 0
; COMPUTE_PGM_RSRC2:USER_SGPR: 6
; COMPUTE_PGM_RSRC2:TRAP_HANDLER: 0
; COMPUTE_PGM_RSRC2:TGID_X_EN: 1
; COMPUTE_PGM_RSRC2:TGID_Y_EN: 0
; COMPUTE_PGM_RSRC2:TGID_Z_EN: 0
; COMPUTE_PGM_RSRC2:TIDIG_COMP_CNT: 0
; COMPUTE_PGM_RSRC3_GFX90A:ACCUM_OFFSET: 0
; COMPUTE_PGM_RSRC3_GFX90A:TG_SPLIT: 0
	.section	.text._ZN7rocprim17ROCPRIM_400000_NS6detail17trampoline_kernelINS0_14default_configENS1_33run_length_encode_config_selectorItjNS0_4plusIjEEEEZZNS1_33reduce_by_key_impl_wrapped_configILNS1_25lookback_scan_determinismE0ES3_S7_PKtNS0_17constant_iteratorIjlEEPtPlSF_S6_NS0_8equal_toItEEEE10hipError_tPvRmT2_T3_mT4_T5_T6_T7_T8_P12ihipStream_tbENKUlT_T0_E_clISt17integral_constantIbLb1EESY_IbLb0EEEEDaSU_SV_EUlSU_E_NS1_11comp_targetILNS1_3genE5ELNS1_11target_archE942ELNS1_3gpuE9ELNS1_3repE0EEENS1_30default_config_static_selectorELNS0_4arch9wavefront6targetE1EEEvT1_,"axG",@progbits,_ZN7rocprim17ROCPRIM_400000_NS6detail17trampoline_kernelINS0_14default_configENS1_33run_length_encode_config_selectorItjNS0_4plusIjEEEEZZNS1_33reduce_by_key_impl_wrapped_configILNS1_25lookback_scan_determinismE0ES3_S7_PKtNS0_17constant_iteratorIjlEEPtPlSF_S6_NS0_8equal_toItEEEE10hipError_tPvRmT2_T3_mT4_T5_T6_T7_T8_P12ihipStream_tbENKUlT_T0_E_clISt17integral_constantIbLb1EESY_IbLb0EEEEDaSU_SV_EUlSU_E_NS1_11comp_targetILNS1_3genE5ELNS1_11target_archE942ELNS1_3gpuE9ELNS1_3repE0EEENS1_30default_config_static_selectorELNS0_4arch9wavefront6targetE1EEEvT1_,comdat
	.protected	_ZN7rocprim17ROCPRIM_400000_NS6detail17trampoline_kernelINS0_14default_configENS1_33run_length_encode_config_selectorItjNS0_4plusIjEEEEZZNS1_33reduce_by_key_impl_wrapped_configILNS1_25lookback_scan_determinismE0ES3_S7_PKtNS0_17constant_iteratorIjlEEPtPlSF_S6_NS0_8equal_toItEEEE10hipError_tPvRmT2_T3_mT4_T5_T6_T7_T8_P12ihipStream_tbENKUlT_T0_E_clISt17integral_constantIbLb1EESY_IbLb0EEEEDaSU_SV_EUlSU_E_NS1_11comp_targetILNS1_3genE5ELNS1_11target_archE942ELNS1_3gpuE9ELNS1_3repE0EEENS1_30default_config_static_selectorELNS0_4arch9wavefront6targetE1EEEvT1_ ; -- Begin function _ZN7rocprim17ROCPRIM_400000_NS6detail17trampoline_kernelINS0_14default_configENS1_33run_length_encode_config_selectorItjNS0_4plusIjEEEEZZNS1_33reduce_by_key_impl_wrapped_configILNS1_25lookback_scan_determinismE0ES3_S7_PKtNS0_17constant_iteratorIjlEEPtPlSF_S6_NS0_8equal_toItEEEE10hipError_tPvRmT2_T3_mT4_T5_T6_T7_T8_P12ihipStream_tbENKUlT_T0_E_clISt17integral_constantIbLb1EESY_IbLb0EEEEDaSU_SV_EUlSU_E_NS1_11comp_targetILNS1_3genE5ELNS1_11target_archE942ELNS1_3gpuE9ELNS1_3repE0EEENS1_30default_config_static_selectorELNS0_4arch9wavefront6targetE1EEEvT1_
	.globl	_ZN7rocprim17ROCPRIM_400000_NS6detail17trampoline_kernelINS0_14default_configENS1_33run_length_encode_config_selectorItjNS0_4plusIjEEEEZZNS1_33reduce_by_key_impl_wrapped_configILNS1_25lookback_scan_determinismE0ES3_S7_PKtNS0_17constant_iteratorIjlEEPtPlSF_S6_NS0_8equal_toItEEEE10hipError_tPvRmT2_T3_mT4_T5_T6_T7_T8_P12ihipStream_tbENKUlT_T0_E_clISt17integral_constantIbLb1EESY_IbLb0EEEEDaSU_SV_EUlSU_E_NS1_11comp_targetILNS1_3genE5ELNS1_11target_archE942ELNS1_3gpuE9ELNS1_3repE0EEENS1_30default_config_static_selectorELNS0_4arch9wavefront6targetE1EEEvT1_
	.p2align	8
	.type	_ZN7rocprim17ROCPRIM_400000_NS6detail17trampoline_kernelINS0_14default_configENS1_33run_length_encode_config_selectorItjNS0_4plusIjEEEEZZNS1_33reduce_by_key_impl_wrapped_configILNS1_25lookback_scan_determinismE0ES3_S7_PKtNS0_17constant_iteratorIjlEEPtPlSF_S6_NS0_8equal_toItEEEE10hipError_tPvRmT2_T3_mT4_T5_T6_T7_T8_P12ihipStream_tbENKUlT_T0_E_clISt17integral_constantIbLb1EESY_IbLb0EEEEDaSU_SV_EUlSU_E_NS1_11comp_targetILNS1_3genE5ELNS1_11target_archE942ELNS1_3gpuE9ELNS1_3repE0EEENS1_30default_config_static_selectorELNS0_4arch9wavefront6targetE1EEEvT1_,@function
_ZN7rocprim17ROCPRIM_400000_NS6detail17trampoline_kernelINS0_14default_configENS1_33run_length_encode_config_selectorItjNS0_4plusIjEEEEZZNS1_33reduce_by_key_impl_wrapped_configILNS1_25lookback_scan_determinismE0ES3_S7_PKtNS0_17constant_iteratorIjlEEPtPlSF_S6_NS0_8equal_toItEEEE10hipError_tPvRmT2_T3_mT4_T5_T6_T7_T8_P12ihipStream_tbENKUlT_T0_E_clISt17integral_constantIbLb1EESY_IbLb0EEEEDaSU_SV_EUlSU_E_NS1_11comp_targetILNS1_3genE5ELNS1_11target_archE942ELNS1_3gpuE9ELNS1_3repE0EEENS1_30default_config_static_selectorELNS0_4arch9wavefront6targetE1EEEvT1_: ; @_ZN7rocprim17ROCPRIM_400000_NS6detail17trampoline_kernelINS0_14default_configENS1_33run_length_encode_config_selectorItjNS0_4plusIjEEEEZZNS1_33reduce_by_key_impl_wrapped_configILNS1_25lookback_scan_determinismE0ES3_S7_PKtNS0_17constant_iteratorIjlEEPtPlSF_S6_NS0_8equal_toItEEEE10hipError_tPvRmT2_T3_mT4_T5_T6_T7_T8_P12ihipStream_tbENKUlT_T0_E_clISt17integral_constantIbLb1EESY_IbLb0EEEEDaSU_SV_EUlSU_E_NS1_11comp_targetILNS1_3genE5ELNS1_11target_archE942ELNS1_3gpuE9ELNS1_3repE0EEENS1_30default_config_static_selectorELNS0_4arch9wavefront6targetE1EEEvT1_
; %bb.0:
	.section	.rodata,"a",@progbits
	.p2align	6, 0x0
	.amdhsa_kernel _ZN7rocprim17ROCPRIM_400000_NS6detail17trampoline_kernelINS0_14default_configENS1_33run_length_encode_config_selectorItjNS0_4plusIjEEEEZZNS1_33reduce_by_key_impl_wrapped_configILNS1_25lookback_scan_determinismE0ES3_S7_PKtNS0_17constant_iteratorIjlEEPtPlSF_S6_NS0_8equal_toItEEEE10hipError_tPvRmT2_T3_mT4_T5_T6_T7_T8_P12ihipStream_tbENKUlT_T0_E_clISt17integral_constantIbLb1EESY_IbLb0EEEEDaSU_SV_EUlSU_E_NS1_11comp_targetILNS1_3genE5ELNS1_11target_archE942ELNS1_3gpuE9ELNS1_3repE0EEENS1_30default_config_static_selectorELNS0_4arch9wavefront6targetE1EEEvT1_
		.amdhsa_group_segment_fixed_size 0
		.amdhsa_private_segment_fixed_size 0
		.amdhsa_kernarg_size 128
		.amdhsa_user_sgpr_count 6
		.amdhsa_user_sgpr_private_segment_buffer 1
		.amdhsa_user_sgpr_dispatch_ptr 0
		.amdhsa_user_sgpr_queue_ptr 0
		.amdhsa_user_sgpr_kernarg_segment_ptr 1
		.amdhsa_user_sgpr_dispatch_id 0
		.amdhsa_user_sgpr_flat_scratch_init 0
		.amdhsa_user_sgpr_kernarg_preload_length 0
		.amdhsa_user_sgpr_kernarg_preload_offset 0
		.amdhsa_user_sgpr_private_segment_size 0
		.amdhsa_uses_dynamic_stack 0
		.amdhsa_system_sgpr_private_segment_wavefront_offset 0
		.amdhsa_system_sgpr_workgroup_id_x 1
		.amdhsa_system_sgpr_workgroup_id_y 0
		.amdhsa_system_sgpr_workgroup_id_z 0
		.amdhsa_system_sgpr_workgroup_info 0
		.amdhsa_system_vgpr_workitem_id 0
		.amdhsa_next_free_vgpr 1
		.amdhsa_next_free_sgpr 0
		.amdhsa_accum_offset 4
		.amdhsa_reserve_vcc 0
		.amdhsa_reserve_flat_scratch 0
		.amdhsa_float_round_mode_32 0
		.amdhsa_float_round_mode_16_64 0
		.amdhsa_float_denorm_mode_32 3
		.amdhsa_float_denorm_mode_16_64 3
		.amdhsa_dx10_clamp 1
		.amdhsa_ieee_mode 1
		.amdhsa_fp16_overflow 0
		.amdhsa_tg_split 0
		.amdhsa_exception_fp_ieee_invalid_op 0
		.amdhsa_exception_fp_denorm_src 0
		.amdhsa_exception_fp_ieee_div_zero 0
		.amdhsa_exception_fp_ieee_overflow 0
		.amdhsa_exception_fp_ieee_underflow 0
		.amdhsa_exception_fp_ieee_inexact 0
		.amdhsa_exception_int_div_zero 0
	.end_amdhsa_kernel
	.section	.text._ZN7rocprim17ROCPRIM_400000_NS6detail17trampoline_kernelINS0_14default_configENS1_33run_length_encode_config_selectorItjNS0_4plusIjEEEEZZNS1_33reduce_by_key_impl_wrapped_configILNS1_25lookback_scan_determinismE0ES3_S7_PKtNS0_17constant_iteratorIjlEEPtPlSF_S6_NS0_8equal_toItEEEE10hipError_tPvRmT2_T3_mT4_T5_T6_T7_T8_P12ihipStream_tbENKUlT_T0_E_clISt17integral_constantIbLb1EESY_IbLb0EEEEDaSU_SV_EUlSU_E_NS1_11comp_targetILNS1_3genE5ELNS1_11target_archE942ELNS1_3gpuE9ELNS1_3repE0EEENS1_30default_config_static_selectorELNS0_4arch9wavefront6targetE1EEEvT1_,"axG",@progbits,_ZN7rocprim17ROCPRIM_400000_NS6detail17trampoline_kernelINS0_14default_configENS1_33run_length_encode_config_selectorItjNS0_4plusIjEEEEZZNS1_33reduce_by_key_impl_wrapped_configILNS1_25lookback_scan_determinismE0ES3_S7_PKtNS0_17constant_iteratorIjlEEPtPlSF_S6_NS0_8equal_toItEEEE10hipError_tPvRmT2_T3_mT4_T5_T6_T7_T8_P12ihipStream_tbENKUlT_T0_E_clISt17integral_constantIbLb1EESY_IbLb0EEEEDaSU_SV_EUlSU_E_NS1_11comp_targetILNS1_3genE5ELNS1_11target_archE942ELNS1_3gpuE9ELNS1_3repE0EEENS1_30default_config_static_selectorELNS0_4arch9wavefront6targetE1EEEvT1_,comdat
.Lfunc_end806:
	.size	_ZN7rocprim17ROCPRIM_400000_NS6detail17trampoline_kernelINS0_14default_configENS1_33run_length_encode_config_selectorItjNS0_4plusIjEEEEZZNS1_33reduce_by_key_impl_wrapped_configILNS1_25lookback_scan_determinismE0ES3_S7_PKtNS0_17constant_iteratorIjlEEPtPlSF_S6_NS0_8equal_toItEEEE10hipError_tPvRmT2_T3_mT4_T5_T6_T7_T8_P12ihipStream_tbENKUlT_T0_E_clISt17integral_constantIbLb1EESY_IbLb0EEEEDaSU_SV_EUlSU_E_NS1_11comp_targetILNS1_3genE5ELNS1_11target_archE942ELNS1_3gpuE9ELNS1_3repE0EEENS1_30default_config_static_selectorELNS0_4arch9wavefront6targetE1EEEvT1_, .Lfunc_end806-_ZN7rocprim17ROCPRIM_400000_NS6detail17trampoline_kernelINS0_14default_configENS1_33run_length_encode_config_selectorItjNS0_4plusIjEEEEZZNS1_33reduce_by_key_impl_wrapped_configILNS1_25lookback_scan_determinismE0ES3_S7_PKtNS0_17constant_iteratorIjlEEPtPlSF_S6_NS0_8equal_toItEEEE10hipError_tPvRmT2_T3_mT4_T5_T6_T7_T8_P12ihipStream_tbENKUlT_T0_E_clISt17integral_constantIbLb1EESY_IbLb0EEEEDaSU_SV_EUlSU_E_NS1_11comp_targetILNS1_3genE5ELNS1_11target_archE942ELNS1_3gpuE9ELNS1_3repE0EEENS1_30default_config_static_selectorELNS0_4arch9wavefront6targetE1EEEvT1_
                                        ; -- End function
	.section	.AMDGPU.csdata,"",@progbits
; Kernel info:
; codeLenInByte = 0
; NumSgprs: 4
; NumVgprs: 0
; NumAgprs: 0
; TotalNumVgprs: 0
; ScratchSize: 0
; MemoryBound: 0
; FloatMode: 240
; IeeeMode: 1
; LDSByteSize: 0 bytes/workgroup (compile time only)
; SGPRBlocks: 0
; VGPRBlocks: 0
; NumSGPRsForWavesPerEU: 4
; NumVGPRsForWavesPerEU: 1
; AccumOffset: 4
; Occupancy: 8
; WaveLimiterHint : 0
; COMPUTE_PGM_RSRC2:SCRATCH_EN: 0
; COMPUTE_PGM_RSRC2:USER_SGPR: 6
; COMPUTE_PGM_RSRC2:TRAP_HANDLER: 0
; COMPUTE_PGM_RSRC2:TGID_X_EN: 1
; COMPUTE_PGM_RSRC2:TGID_Y_EN: 0
; COMPUTE_PGM_RSRC2:TGID_Z_EN: 0
; COMPUTE_PGM_RSRC2:TIDIG_COMP_CNT: 0
; COMPUTE_PGM_RSRC3_GFX90A:ACCUM_OFFSET: 0
; COMPUTE_PGM_RSRC3_GFX90A:TG_SPLIT: 0
	.section	.text._ZN7rocprim17ROCPRIM_400000_NS6detail17trampoline_kernelINS0_14default_configENS1_33run_length_encode_config_selectorItjNS0_4plusIjEEEEZZNS1_33reduce_by_key_impl_wrapped_configILNS1_25lookback_scan_determinismE0ES3_S7_PKtNS0_17constant_iteratorIjlEEPtPlSF_S6_NS0_8equal_toItEEEE10hipError_tPvRmT2_T3_mT4_T5_T6_T7_T8_P12ihipStream_tbENKUlT_T0_E_clISt17integral_constantIbLb1EESY_IbLb0EEEEDaSU_SV_EUlSU_E_NS1_11comp_targetILNS1_3genE4ELNS1_11target_archE910ELNS1_3gpuE8ELNS1_3repE0EEENS1_30default_config_static_selectorELNS0_4arch9wavefront6targetE1EEEvT1_,"axG",@progbits,_ZN7rocprim17ROCPRIM_400000_NS6detail17trampoline_kernelINS0_14default_configENS1_33run_length_encode_config_selectorItjNS0_4plusIjEEEEZZNS1_33reduce_by_key_impl_wrapped_configILNS1_25lookback_scan_determinismE0ES3_S7_PKtNS0_17constant_iteratorIjlEEPtPlSF_S6_NS0_8equal_toItEEEE10hipError_tPvRmT2_T3_mT4_T5_T6_T7_T8_P12ihipStream_tbENKUlT_T0_E_clISt17integral_constantIbLb1EESY_IbLb0EEEEDaSU_SV_EUlSU_E_NS1_11comp_targetILNS1_3genE4ELNS1_11target_archE910ELNS1_3gpuE8ELNS1_3repE0EEENS1_30default_config_static_selectorELNS0_4arch9wavefront6targetE1EEEvT1_,comdat
	.protected	_ZN7rocprim17ROCPRIM_400000_NS6detail17trampoline_kernelINS0_14default_configENS1_33run_length_encode_config_selectorItjNS0_4plusIjEEEEZZNS1_33reduce_by_key_impl_wrapped_configILNS1_25lookback_scan_determinismE0ES3_S7_PKtNS0_17constant_iteratorIjlEEPtPlSF_S6_NS0_8equal_toItEEEE10hipError_tPvRmT2_T3_mT4_T5_T6_T7_T8_P12ihipStream_tbENKUlT_T0_E_clISt17integral_constantIbLb1EESY_IbLb0EEEEDaSU_SV_EUlSU_E_NS1_11comp_targetILNS1_3genE4ELNS1_11target_archE910ELNS1_3gpuE8ELNS1_3repE0EEENS1_30default_config_static_selectorELNS0_4arch9wavefront6targetE1EEEvT1_ ; -- Begin function _ZN7rocprim17ROCPRIM_400000_NS6detail17trampoline_kernelINS0_14default_configENS1_33run_length_encode_config_selectorItjNS0_4plusIjEEEEZZNS1_33reduce_by_key_impl_wrapped_configILNS1_25lookback_scan_determinismE0ES3_S7_PKtNS0_17constant_iteratorIjlEEPtPlSF_S6_NS0_8equal_toItEEEE10hipError_tPvRmT2_T3_mT4_T5_T6_T7_T8_P12ihipStream_tbENKUlT_T0_E_clISt17integral_constantIbLb1EESY_IbLb0EEEEDaSU_SV_EUlSU_E_NS1_11comp_targetILNS1_3genE4ELNS1_11target_archE910ELNS1_3gpuE8ELNS1_3repE0EEENS1_30default_config_static_selectorELNS0_4arch9wavefront6targetE1EEEvT1_
	.globl	_ZN7rocprim17ROCPRIM_400000_NS6detail17trampoline_kernelINS0_14default_configENS1_33run_length_encode_config_selectorItjNS0_4plusIjEEEEZZNS1_33reduce_by_key_impl_wrapped_configILNS1_25lookback_scan_determinismE0ES3_S7_PKtNS0_17constant_iteratorIjlEEPtPlSF_S6_NS0_8equal_toItEEEE10hipError_tPvRmT2_T3_mT4_T5_T6_T7_T8_P12ihipStream_tbENKUlT_T0_E_clISt17integral_constantIbLb1EESY_IbLb0EEEEDaSU_SV_EUlSU_E_NS1_11comp_targetILNS1_3genE4ELNS1_11target_archE910ELNS1_3gpuE8ELNS1_3repE0EEENS1_30default_config_static_selectorELNS0_4arch9wavefront6targetE1EEEvT1_
	.p2align	8
	.type	_ZN7rocprim17ROCPRIM_400000_NS6detail17trampoline_kernelINS0_14default_configENS1_33run_length_encode_config_selectorItjNS0_4plusIjEEEEZZNS1_33reduce_by_key_impl_wrapped_configILNS1_25lookback_scan_determinismE0ES3_S7_PKtNS0_17constant_iteratorIjlEEPtPlSF_S6_NS0_8equal_toItEEEE10hipError_tPvRmT2_T3_mT4_T5_T6_T7_T8_P12ihipStream_tbENKUlT_T0_E_clISt17integral_constantIbLb1EESY_IbLb0EEEEDaSU_SV_EUlSU_E_NS1_11comp_targetILNS1_3genE4ELNS1_11target_archE910ELNS1_3gpuE8ELNS1_3repE0EEENS1_30default_config_static_selectorELNS0_4arch9wavefront6targetE1EEEvT1_,@function
_ZN7rocprim17ROCPRIM_400000_NS6detail17trampoline_kernelINS0_14default_configENS1_33run_length_encode_config_selectorItjNS0_4plusIjEEEEZZNS1_33reduce_by_key_impl_wrapped_configILNS1_25lookback_scan_determinismE0ES3_S7_PKtNS0_17constant_iteratorIjlEEPtPlSF_S6_NS0_8equal_toItEEEE10hipError_tPvRmT2_T3_mT4_T5_T6_T7_T8_P12ihipStream_tbENKUlT_T0_E_clISt17integral_constantIbLb1EESY_IbLb0EEEEDaSU_SV_EUlSU_E_NS1_11comp_targetILNS1_3genE4ELNS1_11target_archE910ELNS1_3gpuE8ELNS1_3repE0EEENS1_30default_config_static_selectorELNS0_4arch9wavefront6targetE1EEEvT1_: ; @_ZN7rocprim17ROCPRIM_400000_NS6detail17trampoline_kernelINS0_14default_configENS1_33run_length_encode_config_selectorItjNS0_4plusIjEEEEZZNS1_33reduce_by_key_impl_wrapped_configILNS1_25lookback_scan_determinismE0ES3_S7_PKtNS0_17constant_iteratorIjlEEPtPlSF_S6_NS0_8equal_toItEEEE10hipError_tPvRmT2_T3_mT4_T5_T6_T7_T8_P12ihipStream_tbENKUlT_T0_E_clISt17integral_constantIbLb1EESY_IbLb0EEEEDaSU_SV_EUlSU_E_NS1_11comp_targetILNS1_3genE4ELNS1_11target_archE910ELNS1_3gpuE8ELNS1_3repE0EEENS1_30default_config_static_selectorELNS0_4arch9wavefront6targetE1EEEvT1_
; %bb.0:
	s_load_dwordx8 s[36:43], s[4:5], 0x40
	s_load_dwordx4 s[0:3], s[4:5], 0x0
	s_load_dword s7, s[4:5], 0x10
	s_load_dwordx4 s[28:31], s[4:5], 0x60
	s_mov_b64 s[12:13], -1
	s_waitcnt lgkmcnt(0)
	s_mul_i32 s8, s40, s39
	s_mul_hi_u32 s9, s40, s38
	s_add_i32 s8, s9, s8
	s_mul_i32 s9, s41, s38
	s_add_i32 s9, s8, s9
	s_lshl_b64 s[2:3], s[2:3], 1
	s_add_u32 s2, s0, s2
	s_addc_u32 s3, s1, s3
	s_mul_i32 s0, s6, 0xa80
	s_mov_b32 s1, 0
	s_lshl_b64 s[0:1], s[0:1], 1
	s_add_u32 s2, s2, s0
	s_mul_i32 s8, s40, s38
	s_addc_u32 s3, s3, s1
	s_add_u32 s8, s8, s6
	s_addc_u32 s9, s9, 0
	s_add_u32 s10, s42, -1
	s_addc_u32 s11, s43, -1
	s_cmp_eq_u64 s[8:9], s[10:11]
	s_cselect_b64 s[34:35], -1, 0
	s_cmp_lg_u64 s[8:9], s[10:11]
	s_cselect_b64 s[0:1], -1, 0
	s_mul_i32 s33, s10, 0xfffff580
	s_and_b64 vcc, exec, s[34:35]
	s_cbranch_vccnz .LBB807_2
; %bb.1:
	v_lshlrev_b32_e32 v1, 1, v0
	v_mov_b32_e32 v2, s3
	v_add_co_u32_e32 v3, vcc, s2, v1
	v_addc_co_u32_e32 v4, vcc, 0, v2, vcc
	v_add_co_u32_e32 v2, vcc, 0x1000, v3
	global_load_ushort v5, v1, s[2:3]
	global_load_ushort v6, v1, s[2:3] offset:384
	global_load_ushort v7, v1, s[2:3] offset:768
	global_load_ushort v8, v1, s[2:3] offset:1152
	global_load_ushort v9, v1, s[2:3] offset:1536
	global_load_ushort v10, v1, s[2:3] offset:1920
	global_load_ushort v11, v1, s[2:3] offset:2304
	global_load_ushort v12, v1, s[2:3] offset:2688
	v_addc_co_u32_e32 v3, vcc, 0, v4, vcc
	global_load_ushort v4, v1, s[2:3] offset:3072
	global_load_ushort v13, v1, s[2:3] offset:3456
	;; [unrolled: 1-line block ×3, first 2 shown]
	global_load_ushort v15, v[2:3], off offset:128
	global_load_ushort v16, v[2:3], off offset:512
	;; [unrolled: 1-line block ×3, first 2 shown]
	v_mad_u32_u24 v2, v0, 26, v1
	s_mov_b64 s[10:11], -1
	s_waitcnt vmcnt(13)
	ds_write_b16 v1, v5
	s_waitcnt vmcnt(12)
	ds_write_b16 v1, v6 offset:384
	s_waitcnt vmcnt(11)
	ds_write_b16 v1, v7 offset:768
	;; [unrolled: 2-line block ×13, first 2 shown]
	s_waitcnt lgkmcnt(0)
	s_barrier
	ds_read2_b32 v[12:13], v2 offset1:1
	ds_read2_b32 v[10:11], v2 offset0:2 offset1:3
	ds_read2_b32 v[8:9], v2 offset0:4 offset1:5
	ds_read_b32 v1, v2 offset:24
	s_add_i32 s33, s33, s28
	s_cbranch_execz .LBB807_3
	s_branch .LBB807_32
.LBB807_2:
	s_mov_b64 s[10:11], 0
                                        ; implicit-def: $vgpr12
                                        ; implicit-def: $vgpr10
                                        ; implicit-def: $vgpr8
                                        ; implicit-def: $vgpr1
	s_add_i32 s33, s33, s28
	s_andn2_b64 vcc, exec, s[12:13]
	s_cbranch_vccnz .LBB807_32
.LBB807_3:
	v_cmp_gt_u32_e32 vcc, s33, v0
                                        ; implicit-def: $vgpr1
	s_and_saveexec_b64 s[10:11], vcc
	s_cbranch_execz .LBB807_5
; %bb.4:
	s_waitcnt lgkmcnt(0)
	v_lshlrev_b32_e32 v1, 1, v0
	global_load_ushort v1, v1, s[2:3]
.LBB807_5:
	s_or_b64 exec, exec, s[10:11]
	v_add_u32_e32 v2, 0xc0, v0
	v_cmp_gt_u32_e32 vcc, s33, v2
                                        ; implicit-def: $vgpr2
	s_and_saveexec_b64 s[10:11], vcc
	s_cbranch_execz .LBB807_7
; %bb.6:
	v_lshlrev_b32_e32 v2, 1, v0
	global_load_ushort v2, v2, s[2:3] offset:384
.LBB807_7:
	s_or_b64 exec, exec, s[10:11]
	v_add_u32_e32 v3, 0x180, v0
	v_cmp_gt_u32_e32 vcc, s33, v3
                                        ; implicit-def: $vgpr3
	s_and_saveexec_b64 s[10:11], vcc
	s_cbranch_execz .LBB807_9
; %bb.8:
	v_lshlrev_b32_e32 v3, 1, v0
	global_load_ushort v3, v3, s[2:3] offset:768
.LBB807_9:
	s_or_b64 exec, exec, s[10:11]
	v_add_u32_e32 v4, 0x240, v0
	v_cmp_gt_u32_e32 vcc, s33, v4
                                        ; implicit-def: $vgpr4
	s_and_saveexec_b64 s[10:11], vcc
	s_cbranch_execz .LBB807_11
; %bb.10:
	v_lshlrev_b32_e32 v4, 1, v0
	global_load_ushort v4, v4, s[2:3] offset:1152
.LBB807_11:
	s_or_b64 exec, exec, s[10:11]
	v_or_b32_e32 v5, 0x300, v0
	v_cmp_gt_u32_e32 vcc, s33, v5
                                        ; implicit-def: $vgpr5
	s_and_saveexec_b64 s[10:11], vcc
	s_cbranch_execz .LBB807_13
; %bb.12:
	v_lshlrev_b32_e32 v5, 1, v0
	global_load_ushort v5, v5, s[2:3] offset:1536
.LBB807_13:
	s_or_b64 exec, exec, s[10:11]
	v_add_u32_e32 v6, 0x3c0, v0
	v_cmp_gt_u32_e32 vcc, s33, v6
                                        ; implicit-def: $vgpr6
	s_and_saveexec_b64 s[10:11], vcc
	s_cbranch_execz .LBB807_15
; %bb.14:
	v_lshlrev_b32_e32 v6, 1, v0
	global_load_ushort v6, v6, s[2:3] offset:1920
.LBB807_15:
	s_or_b64 exec, exec, s[10:11]
	v_add_u32_e32 v7, 0x480, v0
	v_cmp_gt_u32_e32 vcc, s33, v7
                                        ; implicit-def: $vgpr7
	s_and_saveexec_b64 s[10:11], vcc
	s_cbranch_execz .LBB807_17
; %bb.16:
	v_lshlrev_b32_e32 v7, 1, v0
	global_load_ushort v7, v7, s[2:3] offset:2304
.LBB807_17:
	s_or_b64 exec, exec, s[10:11]
	s_waitcnt lgkmcnt(1)
	v_add_u32_e32 v8, 0x540, v0
	v_cmp_gt_u32_e32 vcc, s33, v8
                                        ; implicit-def: $vgpr8
	s_and_saveexec_b64 s[10:11], vcc
	s_cbranch_execz .LBB807_19
; %bb.18:
	v_lshlrev_b32_e32 v8, 1, v0
	global_load_ushort v8, v8, s[2:3] offset:2688
.LBB807_19:
	s_or_b64 exec, exec, s[10:11]
	v_or_b32_e32 v9, 0x600, v0
	v_cmp_gt_u32_e32 vcc, s33, v9
                                        ; implicit-def: $vgpr9
	s_and_saveexec_b64 s[10:11], vcc
	s_cbranch_execz .LBB807_21
; %bb.20:
	v_lshlrev_b32_e32 v9, 1, v0
	global_load_ushort v9, v9, s[2:3] offset:3072
.LBB807_21:
	s_or_b64 exec, exec, s[10:11]
	v_add_u32_e32 v10, 0x6c0, v0
	v_cmp_gt_u32_e32 vcc, s33, v10
                                        ; implicit-def: $vgpr10
	s_and_saveexec_b64 s[10:11], vcc
	s_cbranch_execz .LBB807_23
; %bb.22:
	v_lshlrev_b32_e32 v10, 1, v0
	global_load_ushort v10, v10, s[2:3] offset:3456
.LBB807_23:
	s_or_b64 exec, exec, s[10:11]
	v_add_u32_e32 v11, 0x780, v0
	v_cmp_gt_u32_e32 vcc, s33, v11
                                        ; implicit-def: $vgpr11
	s_and_saveexec_b64 s[10:11], vcc
	s_cbranch_execz .LBB807_25
; %bb.24:
	v_lshlrev_b32_e32 v11, 1, v0
	global_load_ushort v11, v11, s[2:3] offset:3840
.LBB807_25:
	s_or_b64 exec, exec, s[10:11]
	v_add_u32_e32 v13, 0x840, v0
	v_cmp_gt_u32_e32 vcc, s33, v13
                                        ; implicit-def: $vgpr12
	s_and_saveexec_b64 s[10:11], vcc
	s_cbranch_execz .LBB807_27
; %bb.26:
	v_lshlrev_b32_e32 v12, 1, v13
	global_load_ushort v12, v12, s[2:3]
.LBB807_27:
	s_or_b64 exec, exec, s[10:11]
	v_or_b32_e32 v14, 0x900, v0
	v_cmp_gt_u32_e32 vcc, s33, v14
                                        ; implicit-def: $vgpr13
	s_and_saveexec_b64 s[10:11], vcc
	s_cbranch_execz .LBB807_29
; %bb.28:
	v_lshlrev_b32_e32 v13, 1, v14
	global_load_ushort v13, v13, s[2:3]
.LBB807_29:
	s_or_b64 exec, exec, s[10:11]
	v_add_u32_e32 v15, 0x9c0, v0
	v_cmp_gt_u32_e32 vcc, s33, v15
                                        ; implicit-def: $vgpr14
	s_and_saveexec_b64 s[10:11], vcc
	s_cbranch_execz .LBB807_31
; %bb.30:
	v_lshlrev_b32_e32 v14, 1, v15
	global_load_ushort v14, v14, s[2:3]
.LBB807_31:
	s_or_b64 exec, exec, s[10:11]
	v_lshlrev_b32_e32 v15, 1, v0
	s_waitcnt vmcnt(0) lgkmcnt(0)
	ds_write_b16 v15, v1
	ds_write_b16 v15, v2 offset:384
	ds_write_b16 v15, v3 offset:768
	;; [unrolled: 1-line block ×13, first 2 shown]
	v_mad_u32_u24 v1, v0, 26, v15
	s_waitcnt lgkmcnt(0)
	s_barrier
	ds_read2_b32 v[12:13], v1 offset1:1
	ds_read2_b32 v[10:11], v1 offset0:2 offset1:3
	ds_read2_b32 v[8:9], v1 offset0:4 offset1:5
	ds_read_b32 v1, v1 offset:24
	v_mad_u32_u24 v2, v0, 14, 13
	v_cmp_gt_u32_e64 s[10:11], s33, v2
.LBB807_32:
	v_mov_b32_e32 v42, s7
                                        ; implicit-def: $vgpr43
	s_and_saveexec_b64 s[12:13], s[10:11]
; %bb.33:
	v_mov_b32_e32 v43, s7
; %bb.34:
	s_or_b64 exec, exec, s[12:13]
	s_load_dwordx2 s[48:49], s[4:5], 0x70
	s_cmp_eq_u64 s[8:9], 0
	s_cselect_b64 s[44:45], -1, 0
	s_cmp_lg_u64 s[8:9], 0
	s_mov_b64 s[10:11], 0
	s_cselect_b64 s[12:13], -1, 0
	s_and_b64 vcc, exec, s[0:1]
	s_waitcnt lgkmcnt(0)
	s_barrier
	s_cbranch_vccz .LBB807_40
; %bb.35:
	s_and_b64 vcc, exec, s[12:13]
	s_cbranch_vccz .LBB807_41
; %bb.36:
	v_mov_b32_e32 v2, 0
	global_load_ushort v2, v2, s[2:3] offset:-2
	v_lshrrev_b32_e32 v4, 16, v1
	v_lshlrev_b32_e32 v3, 1, v0
	v_cmp_ne_u16_e32 vcc, v1, v4
	v_cmp_ne_u16_sdwa s[10:11], v9, v1 src0_sel:WORD_1 src1_sel:DWORD
	v_cmp_ne_u16_sdwa s[14:15], v9, v9 src0_sel:DWORD src1_sel:WORD_1
	v_cmp_ne_u16_sdwa s[16:17], v8, v9 src0_sel:WORD_1 src1_sel:DWORD
	v_cmp_ne_u16_sdwa s[18:19], v8, v8 src0_sel:DWORD src1_sel:WORD_1
	;; [unrolled: 2-line block ×6, first 2 shown]
	v_cmp_ne_u32_e64 s[0:1], 0, v0
	ds_write_b16 v3, v4
	s_waitcnt lgkmcnt(0)
	s_barrier
	s_and_saveexec_b64 s[52:53], s[0:1]
	s_cbranch_execz .LBB807_38
; %bb.37:
	s_waitcnt vmcnt(0)
	v_add_u32_e32 v2, -2, v3
	ds_read_u16 v2, v2
.LBB807_38:
	s_or_b64 exec, exec, s[52:53]
	v_cndmask_b32_e64 v44, 0, 1, vcc
	v_cndmask_b32_e64 v45, 0, 1, s[10:11]
	v_cndmask_b32_e64 v46, 0, 1, s[14:15]
	;; [unrolled: 1-line block ×12, first 2 shown]
	s_waitcnt vmcnt(0) lgkmcnt(0)
	v_cmp_ne_u16_e64 s[0:1], v2, v12
	s_mov_b64 s[10:11], -1
.LBB807_39:
                                        ; implicit-def: $sgpr7
	s_branch .LBB807_53
.LBB807_40:
                                        ; implicit-def: $sgpr0_sgpr1
                                        ; implicit-def: $vgpr44
                                        ; implicit-def: $vgpr45
                                        ; implicit-def: $vgpr46
                                        ; implicit-def: $vgpr47
                                        ; implicit-def: $vgpr48
                                        ; implicit-def: $vgpr49
                                        ; implicit-def: $vgpr50
                                        ; implicit-def: $vgpr51
                                        ; implicit-def: $vgpr52
                                        ; implicit-def: $vgpr53
                                        ; implicit-def: $vgpr54
                                        ; implicit-def: $vgpr55
                                        ; implicit-def: $vgpr56
                                        ; implicit-def: $sgpr7
	s_cbranch_execnz .LBB807_45
	s_branch .LBB807_53
.LBB807_41:
                                        ; implicit-def: $sgpr0_sgpr1
                                        ; implicit-def: $vgpr44
                                        ; implicit-def: $vgpr45
                                        ; implicit-def: $vgpr46
                                        ; implicit-def: $vgpr47
                                        ; implicit-def: $vgpr48
                                        ; implicit-def: $vgpr49
                                        ; implicit-def: $vgpr50
                                        ; implicit-def: $vgpr51
                                        ; implicit-def: $vgpr52
                                        ; implicit-def: $vgpr53
                                        ; implicit-def: $vgpr54
                                        ; implicit-def: $vgpr55
                                        ; implicit-def: $vgpr56
	s_cbranch_execz .LBB807_39
; %bb.42:
	v_cmp_ne_u16_sdwa s[0:1], v9, v1 src0_sel:WORD_1 src1_sel:DWORD
	v_cndmask_b32_e64 v45, 0, 1, s[0:1]
	v_cmp_ne_u16_sdwa s[0:1], v9, v9 src0_sel:DWORD src1_sel:WORD_1
	v_cndmask_b32_e64 v46, 0, 1, s[0:1]
	v_cmp_ne_u16_sdwa s[0:1], v8, v9 src0_sel:WORD_1 src1_sel:DWORD
	v_cndmask_b32_e64 v47, 0, 1, s[0:1]
	v_cmp_ne_u16_sdwa s[0:1], v8, v8 src0_sel:DWORD src1_sel:WORD_1
	v_cndmask_b32_e64 v48, 0, 1, s[0:1]
	;; [unrolled: 4-line block ×4, first 2 shown]
	v_cmp_ne_u16_sdwa s[0:1], v13, v10 src0_sel:WORD_1 src1_sel:DWORD
	v_cndmask_b32_e64 v53, 0, 1, s[0:1]
	v_cmp_ne_u16_sdwa s[0:1], v13, v13 src0_sel:DWORD src1_sel:WORD_1
	v_lshrrev_b32_e32 v3, 16, v1
	v_cndmask_b32_e64 v54, 0, 1, s[0:1]
	v_cmp_ne_u16_sdwa s[0:1], v12, v13 src0_sel:WORD_1 src1_sel:DWORD
	v_cmp_ne_u16_e32 vcc, v1, v3
	v_cndmask_b32_e64 v55, 0, 1, s[0:1]
	v_cmp_ne_u16_sdwa s[0:1], v12, v12 src0_sel:DWORD src1_sel:WORD_1
	s_mov_b32 s7, 1
	v_lshlrev_b32_e32 v2, 1, v0
	v_cndmask_b32_e64 v44, 0, 1, vcc
	v_cndmask_b32_e64 v56, 0, 1, s[0:1]
	v_cmp_ne_u32_e32 vcc, 0, v0
	ds_write_b16 v2, v3
	s_waitcnt lgkmcnt(0)
	s_barrier
	s_waitcnt lgkmcnt(0)
                                        ; implicit-def: $sgpr0_sgpr1
	s_and_saveexec_b64 s[14:15], vcc
	s_xor_b64 s[14:15], exec, s[14:15]
	s_cbranch_execz .LBB807_44
; %bb.43:
	v_add_u32_e32 v2, -2, v2
	ds_read_u16 v2, v2
	s_or_b64 s[10:11], s[10:11], exec
	s_waitcnt lgkmcnt(0)
	v_cmp_ne_u16_e32 vcc, v2, v12
	s_and_b64 s[0:1], vcc, exec
.LBB807_44:
	s_or_b64 exec, exec, s[14:15]
	s_branch .LBB807_53
.LBB807_45:
	s_mul_hi_u32 s1, s8, 0xfffff580
	s_mul_i32 s0, s9, 0xfffff580
	s_sub_i32 s1, s1, s8
	s_add_i32 s1, s1, s0
	s_mul_i32 s0, s8, 0xfffff580
	s_add_u32 s8, s0, s28
	s_addc_u32 s9, s1, s29
	s_and_b64 vcc, exec, s[12:13]
	s_cbranch_vccz .LBB807_50
; %bb.46:
	v_mov_b32_e32 v3, 0
	global_load_ushort v6, v3, s[2:3] offset:-2
	v_lshrrev_b32_e32 v7, 16, v1
	v_mad_u32_u24 v2, v0, 14, 13
	v_cmp_gt_u64_e32 vcc, s[8:9], v[2:3]
	v_cmp_ne_u16_e64 s[0:1], v1, v7
	v_mad_u32_u24 v2, v0, 14, 12
	s_and_b64 s[0:1], vcc, s[0:1]
	v_cmp_gt_u64_e32 vcc, s[8:9], v[2:3]
	v_cmp_ne_u16_sdwa s[2:3], v9, v1 src0_sel:WORD_1 src1_sel:DWORD
	v_mad_u32_u24 v2, v0, 14, 11
	s_and_b64 s[2:3], vcc, s[2:3]
	v_cmp_gt_u64_e32 vcc, s[8:9], v[2:3]
	v_cmp_ne_u16_sdwa s[10:11], v9, v9 src0_sel:DWORD src1_sel:WORD_1
	v_mad_u32_u24 v2, v0, 14, 10
	s_and_b64 s[10:11], vcc, s[10:11]
	v_cmp_gt_u64_e32 vcc, s[8:9], v[2:3]
	v_cmp_ne_u16_sdwa s[12:13], v8, v9 src0_sel:WORD_1 src1_sel:DWORD
	v_mad_u32_u24 v2, v0, 14, 9
	s_and_b64 s[12:13], vcc, s[12:13]
	v_cmp_gt_u64_e32 vcc, s[8:9], v[2:3]
	v_cmp_ne_u16_sdwa s[14:15], v8, v8 src0_sel:DWORD src1_sel:WORD_1
	;; [unrolled: 8-line block ×4, first 2 shown]
	v_mad_u32_u24 v2, v0, 14, 4
	s_and_b64 s[22:23], vcc, s[22:23]
	v_cmp_gt_u64_e32 vcc, s[8:9], v[2:3]
	v_cmp_ne_u16_sdwa s[24:25], v13, v10 src0_sel:WORD_1 src1_sel:DWORD
	v_mad_u32_u24 v2, v0, 14, 3
	v_mul_u32_u24_e32 v4, 14, v0
	s_and_b64 s[24:25], vcc, s[24:25]
	v_cmp_gt_u64_e32 vcc, s[8:9], v[2:3]
	v_cmp_ne_u16_sdwa s[26:27], v13, v13 src0_sel:DWORD src1_sel:WORD_1
	v_mad_u32_u24 v2, v0, 14, 2
	s_and_b64 s[26:27], vcc, s[26:27]
	v_cmp_gt_u64_e32 vcc, s[8:9], v[2:3]
	v_cmp_ne_u16_sdwa s[28:29], v12, v13 src0_sel:WORD_1 src1_sel:DWORD
	v_or_b32_e32 v2, 1, v4
	s_and_b64 s[28:29], vcc, s[28:29]
	v_cmp_gt_u64_e32 vcc, s[8:9], v[2:3]
	v_cmp_ne_u16_sdwa s[40:41], v12, v12 src0_sel:DWORD src1_sel:WORD_1
	v_lshlrev_b32_e32 v5, 1, v0
	s_and_b64 s[40:41], vcc, s[40:41]
	v_cmp_ne_u32_e32 vcc, 0, v0
	ds_write_b16 v5, v7
	s_waitcnt lgkmcnt(0)
	s_barrier
	s_and_saveexec_b64 s[42:43], vcc
	s_cbranch_execz .LBB807_48
; %bb.47:
	v_add_u32_e32 v2, -2, v5
	s_waitcnt vmcnt(0)
	ds_read_u16 v6, v2
.LBB807_48:
	s_or_b64 exec, exec, s[42:43]
	v_mov_b32_e32 v5, v3
	v_cndmask_b32_e64 v44, 0, 1, s[0:1]
	v_cmp_gt_u64_e32 vcc, s[8:9], v[4:5]
	s_waitcnt vmcnt(0) lgkmcnt(0)
	v_cmp_ne_u16_e64 s[0:1], v6, v12
	v_cndmask_b32_e64 v45, 0, 1, s[2:3]
	v_cndmask_b32_e64 v46, 0, 1, s[10:11]
	;; [unrolled: 1-line block ×12, first 2 shown]
	s_and_b64 s[0:1], vcc, s[0:1]
	s_mov_b64 s[10:11], -1
.LBB807_49:
                                        ; implicit-def: $sgpr7
	v_mov_b32_e32 v57, s7
	s_and_saveexec_b64 s[2:3], s[10:11]
	s_cbranch_execnz .LBB807_54
	s_branch .LBB807_55
.LBB807_50:
                                        ; implicit-def: $sgpr0_sgpr1
                                        ; implicit-def: $vgpr44
                                        ; implicit-def: $vgpr45
                                        ; implicit-def: $vgpr46
                                        ; implicit-def: $vgpr47
                                        ; implicit-def: $vgpr48
                                        ; implicit-def: $vgpr49
                                        ; implicit-def: $vgpr50
                                        ; implicit-def: $vgpr51
                                        ; implicit-def: $vgpr52
                                        ; implicit-def: $vgpr53
                                        ; implicit-def: $vgpr54
                                        ; implicit-def: $vgpr55
                                        ; implicit-def: $vgpr56
	s_cbranch_execz .LBB807_49
; %bb.51:
	v_lshrrev_b32_e32 v6, 16, v1
	v_mad_u32_u24 v4, v0, 14, 13
	v_mov_b32_e32 v5, 0
	v_cmp_gt_u64_e32 vcc, s[8:9], v[4:5]
	v_cmp_ne_u16_e64 s[0:1], v1, v6
	s_and_b64 s[0:1], vcc, s[0:1]
	v_mad_u32_u24 v4, v0, 14, 12
	v_cndmask_b32_e64 v44, 0, 1, s[0:1]
	v_cmp_gt_u64_e32 vcc, s[8:9], v[4:5]
	v_cmp_ne_u16_sdwa s[0:1], v9, v1 src0_sel:WORD_1 src1_sel:DWORD
	s_and_b64 s[0:1], vcc, s[0:1]
	v_mad_u32_u24 v4, v0, 14, 11
	v_cndmask_b32_e64 v45, 0, 1, s[0:1]
	v_cmp_gt_u64_e32 vcc, s[8:9], v[4:5]
	v_cmp_ne_u16_sdwa s[0:1], v9, v9 src0_sel:DWORD src1_sel:WORD_1
	s_and_b64 s[0:1], vcc, s[0:1]
	v_mad_u32_u24 v4, v0, 14, 10
	v_cndmask_b32_e64 v46, 0, 1, s[0:1]
	v_cmp_gt_u64_e32 vcc, s[8:9], v[4:5]
	v_cmp_ne_u16_sdwa s[0:1], v8, v9 src0_sel:WORD_1 src1_sel:DWORD
	s_and_b64 s[0:1], vcc, s[0:1]
	v_mad_u32_u24 v4, v0, 14, 9
	v_cndmask_b32_e64 v47, 0, 1, s[0:1]
	v_cmp_gt_u64_e32 vcc, s[8:9], v[4:5]
	v_cmp_ne_u16_sdwa s[0:1], v8, v8 src0_sel:DWORD src1_sel:WORD_1
	;; [unrolled: 10-line block ×5, first 2 shown]
	s_and_b64 s[0:1], vcc, s[0:1]
	v_mad_u32_u24 v4, v0, 14, 2
	v_mul_u32_u24_e32 v2, 14, v0
	v_cndmask_b32_e64 v54, 0, 1, s[0:1]
	v_cmp_gt_u64_e32 vcc, s[8:9], v[4:5]
	v_cmp_ne_u16_sdwa s[0:1], v12, v13 src0_sel:WORD_1 src1_sel:DWORD
	s_and_b64 s[0:1], vcc, s[0:1]
	v_or_b32_e32 v4, 1, v2
	v_cndmask_b32_e64 v55, 0, 1, s[0:1]
	v_cmp_gt_u64_e32 vcc, s[8:9], v[4:5]
	v_cmp_ne_u16_sdwa s[0:1], v12, v12 src0_sel:DWORD src1_sel:WORD_1
	s_and_b64 s[0:1], vcc, s[0:1]
	s_mov_b32 s7, 1
	v_lshlrev_b32_e32 v3, 1, v0
	v_cndmask_b32_e64 v56, 0, 1, s[0:1]
	v_cmp_ne_u32_e32 vcc, 0, v0
	ds_write_b16 v3, v6
	s_waitcnt lgkmcnt(0)
	s_barrier
	s_waitcnt lgkmcnt(0)
                                        ; implicit-def: $sgpr0_sgpr1
	s_and_saveexec_b64 s[2:3], vcc
	s_cbranch_execz .LBB807_138
; %bb.52:
	v_add_u32_e32 v3, -2, v3
	ds_read_u16 v4, v3
	v_mov_b32_e32 v3, v5
	v_cmp_gt_u64_e32 vcc, s[8:9], v[2:3]
	s_or_b64 s[10:11], s[10:11], exec
	s_waitcnt lgkmcnt(0)
	v_cmp_ne_u16_e64 s[0:1], v4, v12
	s_and_b64 s[0:1], vcc, s[0:1]
	s_and_b64 s[0:1], s[0:1], exec
	s_or_b64 exec, exec, s[2:3]
.LBB807_53:
	v_mov_b32_e32 v57, s7
	s_and_saveexec_b64 s[2:3], s[10:11]
.LBB807_54:
	v_cndmask_b32_e64 v57, 0, 1, s[0:1]
.LBB807_55:
	s_or_b64 exec, exec, s[2:3]
	s_load_dwordx4 s[40:43], s[4:5], 0x20
	s_load_dwordx2 s[46:47], s[4:5], 0x30
	s_cmp_eq_u64 s[38:39], 0
	v_add_u32_e32 v2, v56, v57
	s_cselect_b64 s[38:39], -1, 0
	s_cmp_lg_u32 s6, 0
	v_cmp_eq_u32_e64 s[22:23], 0, v56
	v_cmp_eq_u32_e64 s[20:21], 0, v55
	v_add3_u32 v60, v2, v55, v54
	v_cmp_eq_u32_e64 s[18:19], 0, v54
	v_cmp_eq_u32_e64 s[16:17], 0, v53
	;; [unrolled: 1-line block ×10, first 2 shown]
	v_cmp_eq_u32_e32 vcc, 0, v44
	v_mbcnt_lo_u32_b32 v59, -1, 0
	v_lshrrev_b32_e32 v58, 6, v0
	s_cbranch_scc0 .LBB807_86
; %bb.56:
	v_cndmask_b32_e64 v2, 0, v42, s[22:23]
	v_add_u32_e32 v2, v2, v42
	v_cndmask_b32_e64 v2, 0, v2, s[20:21]
	v_add_u32_e32 v2, v2, v42
	;; [unrolled: 2-line block ×10, first 2 shown]
	v_cndmask_b32_e64 v2, 0, v2, s[2:3]
	v_add3_u32 v3, v60, v53, v52
	v_add_u32_e32 v2, v2, v42
	v_add3_u32 v3, v3, v51, v50
	v_cndmask_b32_e64 v2, 0, v2, s[0:1]
	v_add3_u32 v3, v3, v49, v48
	v_add_u32_e32 v2, v2, v42
	v_add3_u32 v3, v3, v47, v46
	v_cndmask_b32_e32 v2, 0, v2, vcc
	v_add3_u32 v3, v3, v45, v44
	v_add_u32_e32 v2, v2, v43
	v_mbcnt_hi_u32_b32 v17, -1, v59
	v_and_b32_e32 v4, 15, v17
	v_mov_b32_dpp v6, v2 row_shr:1 row_mask:0xf bank_mask:0xf
	v_cmp_eq_u32_e32 vcc, 0, v3
	v_mov_b32_dpp v5, v3 row_shr:1 row_mask:0xf bank_mask:0xf
	v_cndmask_b32_e32 v6, 0, v6, vcc
	v_cmp_eq_u32_e32 vcc, 0, v4
	v_cndmask_b32_e64 v5, v5, 0, vcc
	v_add_u32_e32 v3, v5, v3
	v_cndmask_b32_e64 v5, v6, 0, vcc
	v_add_u32_e32 v2, v5, v2
	v_cmp_eq_u32_e32 vcc, 0, v3
	v_mov_b32_dpp v5, v3 row_shr:2 row_mask:0xf bank_mask:0xf
	v_cmp_lt_u32_e64 s[24:25], 1, v4
	v_mov_b32_dpp v6, v2 row_shr:2 row_mask:0xf bank_mask:0xf
	v_cndmask_b32_e64 v5, 0, v5, s[24:25]
	s_and_b64 vcc, s[24:25], vcc
	v_cndmask_b32_e32 v6, 0, v6, vcc
	v_add_u32_e32 v3, v3, v5
	v_add_u32_e32 v2, v6, v2
	v_cmp_eq_u32_e32 vcc, 0, v3
	v_mov_b32_dpp v5, v3 row_shr:4 row_mask:0xf bank_mask:0xf
	v_cmp_lt_u32_e64 s[24:25], 3, v4
	v_mov_b32_dpp v6, v2 row_shr:4 row_mask:0xf bank_mask:0xf
	v_cndmask_b32_e64 v5, 0, v5, s[24:25]
	s_and_b64 vcc, s[24:25], vcc
	v_cndmask_b32_e32 v6, 0, v6, vcc
	v_add_u32_e32 v3, v5, v3
	v_add_u32_e32 v2, v2, v6
	v_cmp_eq_u32_e32 vcc, 0, v3
	v_cmp_lt_u32_e64 s[24:25], 7, v4
	v_mov_b32_dpp v5, v3 row_shr:8 row_mask:0xf bank_mask:0xf
	v_mov_b32_dpp v6, v2 row_shr:8 row_mask:0xf bank_mask:0xf
	s_and_b64 vcc, s[24:25], vcc
	v_cndmask_b32_e64 v4, 0, v5, s[24:25]
	v_cndmask_b32_e32 v5, 0, v6, vcc
	v_add_u32_e32 v2, v5, v2
	v_add_u32_e32 v3, v4, v3
	v_bfe_i32 v6, v17, 4, 1
	v_mov_b32_dpp v5, v2 row_bcast:15 row_mask:0xf bank_mask:0xf
	v_mov_b32_dpp v4, v3 row_bcast:15 row_mask:0xf bank_mask:0xf
	v_cmp_eq_u32_e32 vcc, 0, v3
	v_cndmask_b32_e32 v5, 0, v5, vcc
	v_and_b32_e32 v4, v6, v4
	v_add_u32_e32 v3, v4, v3
	v_and_b32_e32 v4, v6, v5
	v_add_u32_e32 v4, v4, v2
	v_mov_b32_dpp v2, v3 row_bcast:31 row_mask:0xf bank_mask:0xf
	v_cmp_eq_u32_e32 vcc, 0, v3
	v_cmp_lt_u32_e64 s[24:25], 31, v17
	v_mov_b32_dpp v5, v4 row_bcast:31 row_mask:0xf bank_mask:0xf
	v_cndmask_b32_e64 v2, 0, v2, s[24:25]
	s_and_b64 vcc, s[24:25], vcc
	v_add_u32_e32 v2, v2, v3
	v_cndmask_b32_e32 v3, 0, v5, vcc
	v_add_u32_e32 v3, v3, v4
	v_and_b32_e32 v4, 0xc0, v0
	v_min_u32_e32 v4, 0x80, v4
	v_or_b32_e32 v4, 63, v4
	v_cmp_eq_u32_e32 vcc, v4, v0
	v_lshlrev_b32_e32 v4, 3, v58
	s_and_saveexec_b64 s[24:25], vcc
	s_cbranch_execz .LBB807_58
; %bb.57:
	ds_write_b64 v4, v[2:3] offset:784
.LBB807_58:
	s_or_b64 exec, exec, s[24:25]
	v_cmp_gt_u32_e32 vcc, 3, v0
	s_waitcnt lgkmcnt(0)
	s_barrier
	s_and_saveexec_b64 s[28:29], vcc
	s_cbranch_execz .LBB807_60
; %bb.59:
	v_lshlrev_b32_e32 v5, 3, v0
	ds_read_b64 v[6:7], v5 offset:784
	v_and_b32_e32 v14, 3, v17
	v_cmp_lt_u32_e64 s[24:25], 1, v14
	s_waitcnt lgkmcnt(0)
	v_mov_b32_dpp v16, v7 row_shr:1 row_mask:0xf bank_mask:0xf
	v_cmp_eq_u32_e32 vcc, 0, v6
	v_mov_b32_dpp v15, v6 row_shr:1 row_mask:0xf bank_mask:0xf
	v_cndmask_b32_e32 v16, 0, v16, vcc
	v_cmp_eq_u32_e32 vcc, 0, v14
	v_cndmask_b32_e64 v15, v15, 0, vcc
	v_add_u32_e32 v6, v15, v6
	v_cndmask_b32_e64 v15, v16, 0, vcc
	v_add_u32_e32 v7, v15, v7
	v_cmp_eq_u32_e32 vcc, 0, v6
	v_mov_b32_dpp v15, v6 row_shr:2 row_mask:0xf bank_mask:0xf
	v_mov_b32_dpp v16, v7 row_shr:2 row_mask:0xf bank_mask:0xf
	v_cndmask_b32_e64 v14, 0, v15, s[24:25]
	s_and_b64 vcc, s[24:25], vcc
	v_add_u32_e32 v6, v14, v6
	v_cndmask_b32_e32 v14, 0, v16, vcc
	v_add_u32_e32 v7, v14, v7
	ds_write_b64 v5, v[6:7] offset:784
.LBB807_60:
	s_or_b64 exec, exec, s[28:29]
	v_cmp_gt_u32_e32 vcc, 64, v0
	v_cmp_lt_u32_e64 s[24:25], 63, v0
	v_mov_b32_e32 v14, 0
	v_mov_b32_e32 v15, 0
	s_waitcnt lgkmcnt(0)
	s_barrier
	s_and_saveexec_b64 s[28:29], s[24:25]
	s_cbranch_execz .LBB807_62
; %bb.61:
	ds_read_b64 v[14:15], v4 offset:776
	v_cmp_eq_u32_e64 s[24:25], 0, v2
	s_waitcnt lgkmcnt(0)
	v_add_u32_e32 v4, v14, v2
	v_cndmask_b32_e64 v2, 0, v15, s[24:25]
	v_add_u32_e32 v3, v2, v3
	v_mov_b32_e32 v2, v4
.LBB807_62:
	s_or_b64 exec, exec, s[28:29]
	v_add_u32_e32 v4, -1, v17
	v_and_b32_e32 v5, 64, v17
	v_cmp_lt_i32_e64 s[24:25], v4, v5
	v_cndmask_b32_e64 v4, v4, v17, s[24:25]
	v_lshlrev_b32_e32 v4, 2, v4
	ds_bpermute_b32 v22, v4, v2
	ds_bpermute_b32 v23, v4, v3
	v_cmp_eq_u32_e64 s[24:25], 0, v17
	s_and_saveexec_b64 s[50:51], vcc
	s_cbranch_execz .LBB807_85
; %bb.63:
	v_mov_b32_e32 v7, 0
	ds_read_b64 v[2:3], v7 offset:800
	s_waitcnt lgkmcnt(0)
	v_readfirstlane_b32 s7, v2
	v_readfirstlane_b32 s54, v3
	s_and_saveexec_b64 s[28:29], s[24:25]
	s_cbranch_execz .LBB807_65
; %bb.64:
	s_add_i32 s52, s6, 64
	s_mov_b32 s53, 0
	s_lshl_b64 s[56:57], s[52:53], 4
	s_add_u32 s56, s36, s56
	s_addc_u32 s57, s37, s57
	s_and_b32 s59, s54, 0xff000000
	s_mov_b32 s58, s53
	s_and_b32 s61, s54, 0xff0000
	s_mov_b32 s60, s53
	s_or_b64 s[58:59], s[60:61], s[58:59]
	s_and_b32 s61, s54, 0xff00
	s_or_b64 s[58:59], s[58:59], s[60:61]
	s_and_b32 s61, s54, 0xff
	s_or_b64 s[52:53], s[58:59], s[60:61]
	v_mov_b32_e32 v4, s7
	v_mov_b32_e32 v5, s53
	;; [unrolled: 1-line block ×3, first 2 shown]
	v_pk_mov_b32 v[2:3], s[56:57], s[56:57] op_sel:[0,1]
	;;#ASMSTART
	global_store_dwordx4 v[2:3], v[4:7] off	
s_waitcnt vmcnt(0)
	;;#ASMEND
.LBB807_65:
	s_or_b64 exec, exec, s[28:29]
	v_xad_u32 v16, v17, -1, s6
	v_add_u32_e32 v6, 64, v16
	v_lshlrev_b64 v[2:3], 4, v[6:7]
	v_mov_b32_e32 v4, s37
	v_add_co_u32_e32 v18, vcc, s36, v2
	v_addc_co_u32_e32 v19, vcc, v4, v3, vcc
	;;#ASMSTART
	global_load_dwordx4 v[2:5], v[18:19] off glc	
s_waitcnt vmcnt(0)
	;;#ASMEND
	v_and_b32_e32 v5, 0xff, v3
	v_and_b32_e32 v6, 0xff00, v3
	v_or3_b32 v5, 0, v5, v6
	v_or3_b32 v2, v2, 0, 0
	v_and_b32_e32 v6, 0xff000000, v3
	v_and_b32_e32 v3, 0xff0000, v3
	v_or3_b32 v3, v5, v3, v6
	v_or3_b32 v2, v2, 0, 0
	v_cmp_eq_u16_sdwa s[52:53], v4, v7 src0_sel:BYTE_0 src1_sel:DWORD
	s_and_saveexec_b64 s[28:29], s[52:53]
	s_cbranch_execz .LBB807_71
; %bb.66:
	s_mov_b32 s55, 1
	s_mov_b64 s[52:53], 0
	v_mov_b32_e32 v6, 0
.LBB807_67:                             ; =>This Loop Header: Depth=1
                                        ;     Child Loop BB807_68 Depth 2
	s_max_u32 s56, s55, 1
.LBB807_68:                             ;   Parent Loop BB807_67 Depth=1
                                        ; =>  This Inner Loop Header: Depth=2
	s_add_i32 s56, s56, -1
	s_cmp_eq_u32 s56, 0
	s_sleep 1
	s_cbranch_scc0 .LBB807_68
; %bb.69:                               ;   in Loop: Header=BB807_67 Depth=1
	s_cmp_lt_u32 s55, 32
	s_cselect_b64 s[56:57], -1, 0
	s_cmp_lg_u64 s[56:57], 0
	s_addc_u32 s55, s55, 0
	;;#ASMSTART
	global_load_dwordx4 v[2:5], v[18:19] off glc	
s_waitcnt vmcnt(0)
	;;#ASMEND
	v_cmp_ne_u16_sdwa s[56:57], v4, v6 src0_sel:BYTE_0 src1_sel:DWORD
	s_or_b64 s[52:53], s[56:57], s[52:53]
	s_andn2_b64 exec, exec, s[52:53]
	s_cbranch_execnz .LBB807_67
; %bb.70:
	s_or_b64 exec, exec, s[52:53]
.LBB807_71:
	s_or_b64 exec, exec, s[28:29]
	v_mov_b32_e32 v24, 2
	v_cmp_eq_u16_sdwa s[28:29], v4, v24 src0_sel:BYTE_0 src1_sel:DWORD
	v_lshlrev_b64 v[18:19], v17, -1
	v_and_b32_e32 v5, s29, v19
	v_and_b32_e32 v25, 63, v17
	v_or_b32_e32 v5, 0x80000000, v5
	v_cmp_ne_u32_e32 vcc, 63, v25
	v_and_b32_e32 v6, s28, v18
	v_ffbl_b32_e32 v5, v5
	v_addc_co_u32_e32 v7, vcc, 0, v17, vcc
	v_add_u32_e32 v5, 32, v5
	v_ffbl_b32_e32 v6, v6
	v_lshlrev_b32_e32 v26, 2, v7
	v_min_u32_e32 v5, v6, v5
	ds_bpermute_b32 v6, v26, v3
	v_cmp_eq_u32_e32 vcc, 0, v2
	v_cmp_lt_u32_e64 s[28:29], v25, v5
	ds_bpermute_b32 v7, v26, v2
	s_and_b64 vcc, s[28:29], vcc
	s_waitcnt lgkmcnt(1)
	v_cndmask_b32_e32 v6, 0, v6, vcc
	v_cmp_gt_u32_e32 vcc, 62, v25
	v_add_u32_e32 v3, v6, v3
	v_cndmask_b32_e64 v6, 0, 1, vcc
	v_lshlrev_b32_e32 v6, 1, v6
	v_add_lshl_u32 v27, v6, v17, 2
	s_waitcnt lgkmcnt(0)
	v_cndmask_b32_e64 v7, 0, v7, s[28:29]
	ds_bpermute_b32 v6, v27, v3
	v_add_u32_e32 v2, v7, v2
	ds_bpermute_b32 v7, v27, v2
	v_add_u32_e32 v28, 2, v25
	v_cmp_eq_u32_e32 vcc, 0, v2
	s_waitcnt lgkmcnt(1)
	v_cndmask_b32_e32 v6, 0, v6, vcc
	v_cmp_gt_u32_e32 vcc, v28, v5
	v_cndmask_b32_e64 v6, v6, 0, vcc
	v_add_u32_e32 v3, v6, v3
	s_waitcnt lgkmcnt(0)
	v_cndmask_b32_e64 v6, v7, 0, vcc
	v_cmp_gt_u32_e32 vcc, 60, v25
	v_cndmask_b32_e64 v7, 0, 1, vcc
	v_lshlrev_b32_e32 v7, 2, v7
	v_add_lshl_u32 v29, v7, v17, 2
	ds_bpermute_b32 v7, v29, v3
	v_add_u32_e32 v2, v2, v6
	ds_bpermute_b32 v6, v29, v2
	v_add_u32_e32 v30, 4, v25
	v_cmp_eq_u32_e32 vcc, 0, v2
	s_waitcnt lgkmcnt(1)
	v_cndmask_b32_e32 v7, 0, v7, vcc
	v_cmp_gt_u32_e32 vcc, v30, v5
	v_cndmask_b32_e64 v7, v7, 0, vcc
	s_waitcnt lgkmcnt(0)
	v_cndmask_b32_e64 v6, v6, 0, vcc
	v_cmp_gt_u32_e32 vcc, 56, v25
	v_add_u32_e32 v3, v3, v7
	v_cndmask_b32_e64 v7, 0, 1, vcc
	v_lshlrev_b32_e32 v7, 3, v7
	v_add_lshl_u32 v31, v7, v17, 2
	ds_bpermute_b32 v7, v31, v3
	v_add_u32_e32 v2, v2, v6
	ds_bpermute_b32 v6, v31, v2
	v_add_u32_e32 v32, 8, v25
	v_cmp_eq_u32_e32 vcc, 0, v2
	s_waitcnt lgkmcnt(1)
	v_cndmask_b32_e32 v7, 0, v7, vcc
	v_cmp_gt_u32_e32 vcc, v32, v5
	v_cndmask_b32_e64 v7, v7, 0, vcc
	s_waitcnt lgkmcnt(0)
	v_cndmask_b32_e64 v6, v6, 0, vcc
	v_cmp_gt_u32_e32 vcc, 48, v25
	v_add_u32_e32 v3, v3, v7
	;; [unrolled: 16-line block ×3, first 2 shown]
	v_cndmask_b32_e64 v7, 0, 1, vcc
	v_lshlrev_b32_e32 v7, 5, v7
	v_add_lshl_u32 v35, v7, v17, 2
	ds_bpermute_b32 v7, v35, v3
	v_add_u32_e32 v2, v2, v6
	ds_bpermute_b32 v6, v35, v2
	v_add_u32_e32 v36, 32, v25
	v_cmp_eq_u32_e32 vcc, 0, v2
	s_waitcnt lgkmcnt(1)
	v_cndmask_b32_e32 v7, 0, v7, vcc
	v_cmp_gt_u32_e32 vcc, v36, v5
	v_cndmask_b32_e64 v5, v7, 0, vcc
	v_add_u32_e32 v3, v5, v3
	s_waitcnt lgkmcnt(0)
	v_cndmask_b32_e64 v5, v6, 0, vcc
	v_add_u32_e32 v2, v5, v2
	v_mov_b32_e32 v17, 0
	s_branch .LBB807_73
.LBB807_72:                             ;   in Loop: Header=BB807_73 Depth=1
	s_or_b64 exec, exec, s[28:29]
	v_cmp_eq_u16_sdwa s[28:29], v4, v24 src0_sel:BYTE_0 src1_sel:DWORD
	v_and_b32_e32 v5, s29, v19
	v_or_b32_e32 v5, 0x80000000, v5
	v_and_b32_e32 v20, s28, v18
	v_ffbl_b32_e32 v5, v5
	v_add_u32_e32 v5, 32, v5
	v_ffbl_b32_e32 v20, v20
	v_min_u32_e32 v5, v20, v5
	ds_bpermute_b32 v20, v26, v3
	v_cmp_eq_u32_e32 vcc, 0, v2
	v_cmp_lt_u32_e64 s[28:29], v25, v5
	ds_bpermute_b32 v21, v26, v2
	s_and_b64 vcc, s[28:29], vcc
	s_waitcnt lgkmcnt(1)
	v_cndmask_b32_e32 v20, 0, v20, vcc
	v_add_u32_e32 v3, v20, v3
	ds_bpermute_b32 v20, v27, v3
	s_waitcnt lgkmcnt(1)
	v_cndmask_b32_e64 v21, 0, v21, s[28:29]
	v_add_u32_e32 v2, v21, v2
	v_cmp_eq_u32_e32 vcc, 0, v2
	ds_bpermute_b32 v21, v27, v2
	s_waitcnt lgkmcnt(1)
	v_cndmask_b32_e32 v20, 0, v20, vcc
	v_cmp_gt_u32_e32 vcc, v28, v5
	v_cndmask_b32_e64 v20, v20, 0, vcc
	v_add_u32_e32 v3, v20, v3
	ds_bpermute_b32 v20, v29, v3
	s_waitcnt lgkmcnt(1)
	v_cndmask_b32_e64 v21, v21, 0, vcc
	v_add_u32_e32 v2, v2, v21
	v_cmp_eq_u32_e32 vcc, 0, v2
	ds_bpermute_b32 v21, v29, v2
	s_waitcnt lgkmcnt(1)
	v_cndmask_b32_e32 v20, 0, v20, vcc
	v_cmp_gt_u32_e32 vcc, v30, v5
	v_cndmask_b32_e64 v20, v20, 0, vcc
	v_add_u32_e32 v3, v3, v20
	ds_bpermute_b32 v20, v31, v3
	s_waitcnt lgkmcnt(1)
	v_cndmask_b32_e64 v21, v21, 0, vcc
	v_add_u32_e32 v2, v2, v21
	ds_bpermute_b32 v21, v31, v2
	v_cmp_eq_u32_e32 vcc, 0, v2
	s_waitcnt lgkmcnt(1)
	v_cndmask_b32_e32 v20, 0, v20, vcc
	v_cmp_gt_u32_e32 vcc, v32, v5
	v_cndmask_b32_e64 v20, v20, 0, vcc
	v_add_u32_e32 v3, v3, v20
	ds_bpermute_b32 v20, v33, v3
	s_waitcnt lgkmcnt(1)
	v_cndmask_b32_e64 v21, v21, 0, vcc
	v_add_u32_e32 v2, v2, v21
	ds_bpermute_b32 v21, v33, v2
	v_cmp_eq_u32_e32 vcc, 0, v2
	;; [unrolled: 11-line block ×3, first 2 shown]
	s_waitcnt lgkmcnt(1)
	v_cndmask_b32_e32 v20, 0, v20, vcc
	v_cmp_gt_u32_e32 vcc, v36, v5
	v_cndmask_b32_e64 v5, v20, 0, vcc
	v_add_u32_e32 v3, v5, v3
	s_waitcnt lgkmcnt(0)
	v_cndmask_b32_e64 v5, v21, 0, vcc
	v_cmp_eq_u32_e32 vcc, 0, v6
	v_cndmask_b32_e32 v3, 0, v3, vcc
	v_subrev_u32_e32 v16, 64, v16
	v_add3_u32 v2, v2, v6, v5
	v_add_u32_e32 v3, v3, v7
.LBB807_73:                             ; =>This Loop Header: Depth=1
                                        ;     Child Loop BB807_76 Depth 2
                                        ;       Child Loop BB807_77 Depth 3
	v_cmp_ne_u16_sdwa s[28:29], v4, v24 src0_sel:BYTE_0 src1_sel:DWORD
	v_mov_b32_e32 v7, v3
	v_cndmask_b32_e64 v3, 0, 1, s[28:29]
	;;#ASMSTART
	;;#ASMEND
	v_cmp_ne_u32_e32 vcc, 0, v3
	s_cmp_lg_u64 vcc, exec
	v_mov_b32_e32 v6, v2
	s_cbranch_scc1 .LBB807_80
; %bb.74:                               ;   in Loop: Header=BB807_73 Depth=1
	v_lshlrev_b64 v[2:3], 4, v[16:17]
	v_mov_b32_e32 v4, s37
	v_add_co_u32_e32 v20, vcc, s36, v2
	v_addc_co_u32_e32 v21, vcc, v4, v3, vcc
	;;#ASMSTART
	global_load_dwordx4 v[2:5], v[20:21] off glc	
s_waitcnt vmcnt(0)
	;;#ASMEND
	v_and_b32_e32 v5, 0xff, v3
	v_and_b32_e32 v37, 0xff00, v3
	v_or3_b32 v5, 0, v5, v37
	v_or3_b32 v2, v2, 0, 0
	v_and_b32_e32 v37, 0xff000000, v3
	v_and_b32_e32 v3, 0xff0000, v3
	v_or3_b32 v3, v5, v3, v37
	v_or3_b32 v2, v2, 0, 0
	v_cmp_eq_u16_sdwa s[52:53], v4, v17 src0_sel:BYTE_0 src1_sel:DWORD
	s_and_saveexec_b64 s[28:29], s[52:53]
	s_cbranch_execz .LBB807_72
; %bb.75:                               ;   in Loop: Header=BB807_73 Depth=1
	s_mov_b32 s55, 1
	s_mov_b64 s[52:53], 0
.LBB807_76:                             ;   Parent Loop BB807_73 Depth=1
                                        ; =>  This Loop Header: Depth=2
                                        ;       Child Loop BB807_77 Depth 3
	s_max_u32 s56, s55, 1
.LBB807_77:                             ;   Parent Loop BB807_73 Depth=1
                                        ;     Parent Loop BB807_76 Depth=2
                                        ; =>    This Inner Loop Header: Depth=3
	s_add_i32 s56, s56, -1
	s_cmp_eq_u32 s56, 0
	s_sleep 1
	s_cbranch_scc0 .LBB807_77
; %bb.78:                               ;   in Loop: Header=BB807_76 Depth=2
	s_cmp_lt_u32 s55, 32
	s_cselect_b64 s[56:57], -1, 0
	s_cmp_lg_u64 s[56:57], 0
	s_addc_u32 s55, s55, 0
	;;#ASMSTART
	global_load_dwordx4 v[2:5], v[20:21] off glc	
s_waitcnt vmcnt(0)
	;;#ASMEND
	v_cmp_ne_u16_sdwa s[56:57], v4, v17 src0_sel:BYTE_0 src1_sel:DWORD
	s_or_b64 s[52:53], s[56:57], s[52:53]
	s_andn2_b64 exec, exec, s[52:53]
	s_cbranch_execnz .LBB807_76
; %bb.79:                               ;   in Loop: Header=BB807_73 Depth=1
	s_or_b64 exec, exec, s[52:53]
	s_branch .LBB807_72
.LBB807_80:                             ;   in Loop: Header=BB807_73 Depth=1
                                        ; implicit-def: $vgpr3
                                        ; implicit-def: $vgpr2
                                        ; implicit-def: $vgpr4
	s_cbranch_execz .LBB807_73
; %bb.81:
	s_and_saveexec_b64 s[28:29], s[24:25]
	s_cbranch_execz .LBB807_83
; %bb.82:
	s_cmp_eq_u32 s7, 0
	s_cselect_b64 vcc, -1, 0
	s_mov_b32 s53, 0
	v_cndmask_b32_e32 v2, 0, v7, vcc
	s_add_i32 s52, s6, 64
	v_add_u32_e32 v2, s54, v2
	s_lshl_b64 s[52:53], s[52:53], 4
	s_add_u32 s52, s36, s52
	v_and_b32_e32 v3, 0xff000000, v2
	v_and_b32_e32 v4, 0xff0000, v2
	s_addc_u32 s53, s37, s53
	v_or_b32_e32 v3, v4, v3
	v_and_b32_e32 v4, 0xff00, v2
	v_and_b32_e32 v2, 0xff, v2
	v_add_u32_e32 v16, s7, v6
	v_mov_b32_e32 v19, 0
	v_or3_b32 v17, v3, v4, v2
	v_mov_b32_e32 v18, 2
	v_pk_mov_b32 v[2:3], s[52:53], s[52:53] op_sel:[0,1]
	;;#ASMSTART
	global_store_dwordx4 v[2:3], v[16:19] off	
s_waitcnt vmcnt(0)
	;;#ASMEND
	v_mov_b32_e32 v4, s7
	v_mov_b32_e32 v5, s54
	ds_write_b128 v19, v[4:7] offset:768
.LBB807_83:
	s_or_b64 exec, exec, s[28:29]
	v_cmp_eq_u32_e32 vcc, 0, v0
	s_and_b64 exec, exec, vcc
	s_cbranch_execz .LBB807_85
; %bb.84:
	v_mov_b32_e32 v2, 0
	ds_write_b64 v2, v[6:7] offset:800
.LBB807_85:
	s_or_b64 exec, exec, s[50:51]
	v_mov_b32_e32 v4, 0
	s_waitcnt lgkmcnt(0)
	s_barrier
	ds_read_b64 v[2:3], v4 offset:800
	v_cndmask_b32_e64 v6, v22, v14, s[24:25]
	v_cmp_eq_u32_e32 vcc, 0, v6
	v_cndmask_b32_e64 v5, v23, v15, s[24:25]
	s_waitcnt lgkmcnt(0)
	v_cndmask_b32_e32 v7, 0, v3, vcc
	v_add_u32_e32 v5, v7, v5
	v_cmp_eq_u32_e32 vcc, 0, v0
	v_cndmask_b32_e32 v41, v5, v3, vcc
	v_cndmask_b32_e64 v3, v6, 0, vcc
	v_cmp_eq_u32_e32 vcc, 0, v57
	v_add_u32_e32 v40, v2, v3
	v_cndmask_b32_e32 v2, 0, v41, vcc
	v_add_u32_e32 v39, v2, v42
	v_cndmask_b32_e64 v2, 0, v39, s[22:23]
	v_add_u32_e32 v37, v2, v42
	v_cndmask_b32_e64 v2, 0, v37, s[20:21]
	;; [unrolled: 2-line block ×7, first 2 shown]
	v_add_u32_e32 v25, v2, v42
	v_add_u32_e32 v38, v40, v57
	v_cndmask_b32_e64 v2, 0, v25, s[8:9]
	v_add_u32_e32 v36, v38, v56
	v_add_u32_e32 v23, v2, v42
	v_add_u32_e32 v34, v36, v55
	v_cndmask_b32_e64 v2, 0, v23, s[26:27]
	v_add_u32_e32 v32, v34, v54
	;; [unrolled: 4-line block ×3, first 2 shown]
	v_add_u32_e32 v19, v2, v42
	s_barrier
	ds_read_b128 v[2:5], v4 offset:768
	v_add_u32_e32 v26, v28, v51
	v_add_u32_e32 v24, v26, v50
	;; [unrolled: 1-line block ×4, first 2 shown]
	v_cndmask_b32_e64 v6, 0, v19, s[2:3]
	v_add_u32_e32 v18, v20, v47
	v_add_u32_e32 v15, v6, v42
	s_waitcnt lgkmcnt(0)
	v_cmp_eq_u32_e32 vcc, 0, v2
	v_add_u32_e32 v14, v18, v46
	v_cndmask_b32_e64 v6, 0, v15, s[0:1]
	v_cndmask_b32_e32 v5, 0, v5, vcc
	v_add_u32_e32 v16, v14, v45
	v_add_u32_e32 v17, v6, v42
	;; [unrolled: 1-line block ×3, first 2 shown]
	s_branch .LBB807_98
.LBB807_86:
                                        ; implicit-def: $vgpr2
                                        ; implicit-def: $vgpr6
                                        ; implicit-def: $vgpr16_vgpr17
                                        ; implicit-def: $vgpr14_vgpr15
                                        ; implicit-def: $vgpr18_vgpr19
                                        ; implicit-def: $vgpr20_vgpr21
                                        ; implicit-def: $vgpr40_vgpr41
                                        ; implicit-def: $vgpr38_vgpr39
                                        ; implicit-def: $vgpr36_vgpr37
                                        ; implicit-def: $vgpr34_vgpr35
                                        ; implicit-def: $vgpr32_vgpr33
                                        ; implicit-def: $vgpr30_vgpr31
                                        ; implicit-def: $vgpr28_vgpr29
                                        ; implicit-def: $vgpr26_vgpr27
                                        ; implicit-def: $vgpr24_vgpr25
                                        ; implicit-def: $vgpr22_vgpr23
	s_cbranch_execz .LBB807_98
; %bb.87:
	s_and_b64 s[0:1], s[38:39], exec
	s_cselect_b32 s1, 0, s49
	s_cselect_b32 s0, 0, s48
	s_cmp_eq_u64 s[0:1], 0
	v_mov_b32_e32 v6, v42
	s_cbranch_scc1 .LBB807_89
; %bb.88:
	v_mov_b32_e32 v2, 0
	global_load_dword v6, v2, s[0:1]
.LBB807_89:
	v_cmp_eq_u32_e64 s[0:1], 0, v56
	v_cndmask_b32_e64 v2, 0, v42, s[0:1]
	v_add_u32_e32 v2, v2, v42
	v_cmp_eq_u32_e64 s[2:3], 0, v55
	v_cndmask_b32_e64 v2, 0, v2, s[2:3]
	v_add_u32_e32 v2, v2, v42
	;; [unrolled: 3-line block ×10, first 2 shown]
	v_cmp_eq_u32_e64 s[20:21], 0, v46
	v_cndmask_b32_e64 v2, 0, v2, s[20:21]
	v_add3_u32 v3, v60, v53, v52
	v_add_u32_e32 v2, v2, v42
	v_cmp_eq_u32_e32 vcc, 0, v45
	v_add3_u32 v3, v3, v51, v50
	v_cndmask_b32_e32 v2, 0, v2, vcc
	v_add3_u32 v3, v3, v49, v48
	v_add_u32_e32 v2, v2, v42
	v_cmp_eq_u32_e64 s[22:23], 0, v44
	v_add3_u32 v3, v3, v47, v46
	v_cndmask_b32_e64 v2, 0, v2, s[22:23]
	v_add3_u32 v3, v3, v45, v44
	v_add_u32_e32 v2, v2, v43
	v_mbcnt_hi_u32_b32 v7, -1, v59
	v_and_b32_e32 v4, 15, v7
	v_mov_b32_dpp v14, v2 row_shr:1 row_mask:0xf bank_mask:0xf
	v_cmp_eq_u32_e64 s[22:23], 0, v3
	v_mov_b32_dpp v5, v3 row_shr:1 row_mask:0xf bank_mask:0xf
	v_cndmask_b32_e64 v14, 0, v14, s[22:23]
	v_cmp_eq_u32_e64 s[22:23], 0, v4
	v_cndmask_b32_e64 v5, v5, 0, s[22:23]
	v_add_u32_e32 v3, v5, v3
	v_cndmask_b32_e64 v5, v14, 0, s[22:23]
	v_add_u32_e32 v2, v5, v2
	v_cmp_eq_u32_e64 s[22:23], 0, v3
	v_mov_b32_dpp v5, v3 row_shr:2 row_mask:0xf bank_mask:0xf
	v_cmp_lt_u32_e64 s[24:25], 1, v4
	v_mov_b32_dpp v14, v2 row_shr:2 row_mask:0xf bank_mask:0xf
	v_cndmask_b32_e64 v5, 0, v5, s[24:25]
	s_and_b64 s[22:23], s[24:25], s[22:23]
	v_cndmask_b32_e64 v14, 0, v14, s[22:23]
	v_add_u32_e32 v3, v3, v5
	v_add_u32_e32 v2, v14, v2
	v_cmp_eq_u32_e64 s[22:23], 0, v3
	v_mov_b32_dpp v5, v3 row_shr:4 row_mask:0xf bank_mask:0xf
	v_cmp_lt_u32_e64 s[24:25], 3, v4
	v_mov_b32_dpp v14, v2 row_shr:4 row_mask:0xf bank_mask:0xf
	v_cndmask_b32_e64 v5, 0, v5, s[24:25]
	s_and_b64 s[22:23], s[24:25], s[22:23]
	v_cndmask_b32_e64 v14, 0, v14, s[22:23]
	v_add_u32_e32 v3, v5, v3
	v_add_u32_e32 v2, v2, v14
	v_cmp_eq_u32_e64 s[22:23], 0, v3
	v_cmp_lt_u32_e64 s[24:25], 7, v4
	v_mov_b32_dpp v5, v3 row_shr:8 row_mask:0xf bank_mask:0xf
	v_mov_b32_dpp v14, v2 row_shr:8 row_mask:0xf bank_mask:0xf
	s_and_b64 s[22:23], s[24:25], s[22:23]
	v_cndmask_b32_e64 v4, 0, v5, s[24:25]
	v_cndmask_b32_e64 v5, 0, v14, s[22:23]
	v_add_u32_e32 v2, v5, v2
	v_add_u32_e32 v3, v4, v3
	v_bfe_i32 v14, v7, 4, 1
	v_mov_b32_dpp v5, v2 row_bcast:15 row_mask:0xf bank_mask:0xf
	v_mov_b32_dpp v4, v3 row_bcast:15 row_mask:0xf bank_mask:0xf
	v_cmp_eq_u32_e64 s[22:23], 0, v3
	v_cndmask_b32_e64 v5, 0, v5, s[22:23]
	v_and_b32_e32 v4, v14, v4
	v_add_u32_e32 v3, v4, v3
	v_and_b32_e32 v4, v14, v5
	v_add_u32_e32 v4, v4, v2
	v_mov_b32_dpp v2, v3 row_bcast:31 row_mask:0xf bank_mask:0xf
	v_cmp_eq_u32_e64 s[22:23], 0, v3
	v_cmp_lt_u32_e64 s[24:25], 31, v7
	v_mov_b32_dpp v5, v4 row_bcast:31 row_mask:0xf bank_mask:0xf
	v_cndmask_b32_e64 v2, 0, v2, s[24:25]
	s_and_b64 s[22:23], s[24:25], s[22:23]
	v_add_u32_e32 v2, v2, v3
	v_cndmask_b32_e64 v3, 0, v5, s[22:23]
	v_add_u32_e32 v3, v3, v4
	v_and_b32_e32 v4, 0xc0, v0
	v_min_u32_e32 v4, 0x80, v4
	v_or_b32_e32 v4, 63, v4
	v_cmp_eq_u32_e64 s[22:23], v4, v0
	s_and_saveexec_b64 s[24:25], s[22:23]
	s_cbranch_execz .LBB807_91
; %bb.90:
	v_lshlrev_b32_e32 v4, 3, v58
	ds_write_b64 v4, v[2:3] offset:784
.LBB807_91:
	s_or_b64 exec, exec, s[24:25]
	v_cmp_gt_u32_e64 s[22:23], 3, v0
	s_waitcnt lgkmcnt(0)
	s_barrier
	s_and_saveexec_b64 s[26:27], s[22:23]
	s_cbranch_execz .LBB807_93
; %bb.92:
	v_lshlrev_b32_e32 v14, 3, v0
	ds_read_b64 v[4:5], v14 offset:784
	v_and_b32_e32 v15, 3, v7
	v_cmp_lt_u32_e64 s[24:25], 1, v15
	s_waitcnt lgkmcnt(0)
	v_mov_b32_dpp v17, v5 row_shr:1 row_mask:0xf bank_mask:0xf
	v_cmp_eq_u32_e64 s[22:23], 0, v4
	v_mov_b32_dpp v16, v4 row_shr:1 row_mask:0xf bank_mask:0xf
	v_cndmask_b32_e64 v17, 0, v17, s[22:23]
	v_cmp_eq_u32_e64 s[22:23], 0, v15
	v_cndmask_b32_e64 v16, v16, 0, s[22:23]
	v_add_u32_e32 v4, v16, v4
	v_cndmask_b32_e64 v16, v17, 0, s[22:23]
	v_add_u32_e32 v5, v16, v5
	v_cmp_eq_u32_e64 s[22:23], 0, v4
	v_mov_b32_dpp v16, v4 row_shr:2 row_mask:0xf bank_mask:0xf
	v_mov_b32_dpp v17, v5 row_shr:2 row_mask:0xf bank_mask:0xf
	v_cndmask_b32_e64 v15, 0, v16, s[24:25]
	s_and_b64 s[22:23], s[24:25], s[22:23]
	v_add_u32_e32 v4, v15, v4
	v_cndmask_b32_e64 v15, 0, v17, s[22:23]
	v_add_u32_e32 v5, v15, v5
	ds_write_b64 v14, v[4:5] offset:784
.LBB807_93:
	s_or_b64 exec, exec, s[26:27]
	v_cmp_lt_u32_e64 s[22:23], 63, v0
	v_mov_b32_e32 v15, 0
	v_mov_b32_e32 v4, 0
	s_waitcnt vmcnt(0)
	v_mov_b32_e32 v5, v6
	s_waitcnt lgkmcnt(0)
	s_barrier
	s_and_saveexec_b64 s[24:25], s[22:23]
	s_cbranch_execz .LBB807_95
; %bb.94:
	v_lshlrev_b32_e32 v4, 3, v58
	ds_read_b64 v[4:5], v4 offset:776
	s_waitcnt lgkmcnt(0)
	v_cmp_eq_u32_e64 s[22:23], 0, v4
	v_cndmask_b32_e64 v14, 0, v6, s[22:23]
	v_add_u32_e32 v5, v14, v5
.LBB807_95:
	s_or_b64 exec, exec, s[24:25]
	v_cmp_eq_u32_e64 s[22:23], 0, v2
	v_add_u32_e32 v14, v4, v2
	v_cndmask_b32_e64 v2, 0, v5, s[22:23]
	v_add_u32_e32 v2, v2, v3
	v_add_u32_e32 v3, -1, v7
	v_and_b32_e32 v16, 64, v7
	v_cmp_lt_i32_e64 s[22:23], v3, v16
	v_cndmask_b32_e64 v3, v3, v7, s[22:23]
	v_lshlrev_b32_e32 v3, 2, v3
	ds_bpermute_b32 v14, v3, v14
	ds_bpermute_b32 v2, v3, v2
	v_cmp_eq_u32_e64 s[22:23], 0, v7
	v_cmp_eq_u32_e64 s[24:25], 0, v57
	s_waitcnt lgkmcnt(1)
	v_cndmask_b32_e64 v3, v14, v4, s[22:23]
	s_waitcnt lgkmcnt(0)
	v_cndmask_b32_e64 v2, v2, v5, s[22:23]
	v_cmp_eq_u32_e64 s[22:23], 0, v0
	v_cndmask_b32_e64 v41, v2, v6, s[22:23]
	v_cndmask_b32_e64 v2, 0, v41, s[24:25]
	v_add_u32_e32 v39, v2, v42
	v_cndmask_b32_e64 v2, 0, v39, s[0:1]
	v_add_u32_e32 v37, v2, v42
	;; [unrolled: 2-line block ×7, first 2 shown]
	v_cndmask_b32_e64 v2, 0, v27, s[12:13]
	v_cndmask_b32_e64 v40, v3, 0, s[22:23]
	v_add_u32_e32 v25, v2, v42
	v_add_u32_e32 v38, v40, v57
	v_cndmask_b32_e64 v2, 0, v25, s[14:15]
	v_add_u32_e32 v36, v38, v56
	v_add_u32_e32 v23, v2, v42
	v_add_u32_e32 v34, v36, v55
	v_cndmask_b32_e64 v2, 0, v23, s[16:17]
	v_add_u32_e32 v32, v34, v54
	;; [unrolled: 4-line block ×3, first 2 shown]
	v_add_u32_e32 v19, v2, v42
	ds_read_b64 v[2:3], v15 offset:800
	v_add_u32_e32 v26, v28, v51
	v_add_u32_e32 v24, v26, v50
	;; [unrolled: 1-line block ×3, first 2 shown]
	v_cndmask_b32_e64 v4, 0, v19, s[20:21]
	v_add_u32_e32 v20, v22, v48
	v_add_u32_e32 v15, v4, v42
	;; [unrolled: 1-line block ×3, first 2 shown]
	v_cndmask_b32_e32 v4, 0, v15, vcc
	s_waitcnt lgkmcnt(0)
	v_cmp_eq_u32_e32 vcc, 0, v2
	v_add_u32_e32 v14, v18, v46
	v_add_u32_e32 v17, v4, v42
	v_cndmask_b32_e32 v4, 0, v6, vcc
	v_add_u32_e32 v16, v14, v45
	v_add_u32_e32 v6, v4, v3
	s_and_saveexec_b64 s[0:1], s[22:23]
	s_cbranch_execz .LBB807_97
; %bb.96:
	s_add_u32 s2, s36, 0x400
	v_and_b32_e32 v3, 0xff000000, v6
	v_and_b32_e32 v4, 0xff0000, v6
	s_addc_u32 s3, s37, 0
	v_or_b32_e32 v3, v4, v3
	v_and_b32_e32 v4, 0xff00, v6
	v_and_b32_e32 v7, 0xff, v6
	v_mov_b32_e32 v5, 0
	v_or3_b32 v3, v3, v4, v7
	v_mov_b32_e32 v4, 2
	v_pk_mov_b32 v[42:43], s[2:3], s[2:3] op_sel:[0,1]
	;;#ASMSTART
	global_store_dwordx4 v[42:43], v[2:5] off	
s_waitcnt vmcnt(0)
	;;#ASMEND
.LBB807_97:
	s_or_b64 exec, exec, s[0:1]
	v_mov_b32_e32 v4, 0
.LBB807_98:
	s_and_b64 s[0:1], s[38:39], exec
	s_cselect_b32 s1, 0, s31
	s_cselect_b32 s0, 0, s30
	s_cmp_eq_u64 s[0:1], 0
	v_pk_mov_b32 v[42:43], 0, 0
	s_waitcnt lgkmcnt(0)
	s_barrier
	s_cbranch_scc1 .LBB807_100
; %bb.99:
	v_mov_b32_e32 v3, 0
	global_load_dwordx2 v[42:43], v3, s[0:1]
.LBB807_100:
	s_waitcnt vmcnt(0)
	v_lshlrev_b64 v[58:59], 1, v[42:43]
	v_mov_b32_e32 v3, s41
	v_add_co_u32_e32 v7, vcc, s40, v58
	v_mov_b32_e32 v5, 0
	v_addc_co_u32_e32 v60, vcc, v3, v59, vcc
	v_lshlrev_b64 v[58:59], 1, v[4:5]
	v_add_co_u32_e32 v3, vcc, v7, v58
	v_addc_co_u32_e32 v7, vcc, v60, v59, vcc
	v_cmp_eq_u32_e32 vcc, 0, v57
	v_cndmask_b32_e64 v58, 1, 2, vcc
	v_cmp_eq_u32_e32 vcc, 0, v56
	v_cndmask_b32_e64 v59, 1, 2, vcc
	v_cmp_eq_u32_e32 vcc, 0, v55
	v_and_b32_e32 v58, v59, v58
	v_cndmask_b32_e64 v59, 1, 2, vcc
	v_cmp_eq_u32_e32 vcc, 0, v54
	v_and_b32_e32 v58, v58, v59
	;; [unrolled: 3-line block ×12, first 2 shown]
	v_cndmask_b32_e64 v59, 1, 2, vcc
	s_movk_i32 s28, 0xc0
	v_and_b32_e32 v58, v58, v59
	v_cmp_gt_u32_e32 vcc, s28, v2
	v_cmp_ne_u32_e64 s[26:27], 0, v57
	v_cmp_ne_u32_e64 s[24:25], 0, v56
	;; [unrolled: 1-line block ×14, first 2 shown]
	s_mov_b64 s[30:31], -1
	v_cmp_gt_i16_e64 s[28:29], 2, v58
	s_cbranch_vccz .LBB807_107
; %bb.101:
	s_and_saveexec_b64 s[30:31], s[28:29]
	s_cbranch_execz .LBB807_106
; %bb.102:
	v_cmp_ne_u16_e32 vcc, 1, v58
	s_mov_b64 s[36:37], 0
	s_and_saveexec_b64 s[28:29], vcc
	s_xor_b64 s[28:29], exec, s[28:29]
	s_cbranch_execnz .LBB807_139
; %bb.103:
	s_andn2_saveexec_b64 s[28:29], s[28:29]
	s_cbranch_execnz .LBB807_154
.LBB807_104:
	s_or_b64 exec, exec, s[28:29]
	s_and_b64 exec, exec, s[36:37]
	s_cbranch_execz .LBB807_106
.LBB807_105:
	v_sub_u32_e32 v60, v16, v4
	v_mov_b32_e32 v61, 0
	v_lshlrev_b64 v[60:61], 1, v[60:61]
	v_add_co_u32_e32 v60, vcc, v3, v60
	v_addc_co_u32_e32 v61, vcc, v7, v61, vcc
	global_store_short_d16_hi v[60:61], v1, off
.LBB807_106:
	s_or_b64 exec, exec, s[30:31]
	s_mov_b64 s[30:31], 0
.LBB807_107:
	s_and_b64 vcc, exec, s[30:31]
	s_cbranch_vccz .LBB807_117
; %bb.108:
	v_cmp_gt_i16_e32 vcc, 2, v58
	s_and_saveexec_b64 s[28:29], vcc
	s_cbranch_execz .LBB807_113
; %bb.109:
	v_cmp_ne_u16_e32 vcc, 1, v58
	s_mov_b64 s[36:37], 0
	s_and_saveexec_b64 s[30:31], vcc
	s_xor_b64 s[30:31], exec, s[30:31]
	s_cbranch_execnz .LBB807_155
; %bb.110:
	s_andn2_saveexec_b64 s[0:1], s[30:31]
	s_cbranch_execnz .LBB807_170
.LBB807_111:
	s_or_b64 exec, exec, s[0:1]
	s_and_b64 exec, exec, s[36:37]
	s_cbranch_execz .LBB807_113
.LBB807_112:
	v_sub_u32_e32 v8, v16, v4
	v_lshlrev_b32_e32 v8, 1, v8
	ds_write_b16_d16_hi v8, v1
.LBB807_113:
	s_or_b64 exec, exec, s[28:29]
	v_cmp_lt_u32_e32 vcc, v0, v2
	s_waitcnt lgkmcnt(0)
	s_barrier
	s_and_saveexec_b64 s[0:1], vcc
	s_cbranch_execz .LBB807_116
; %bb.114:
	v_lshlrev_b32_e32 v1, 1, v0
	s_mov_b64 s[2:3], 0
	v_mov_b32_e32 v9, 0
	v_mov_b32_e32 v8, v0
.LBB807_115:                            ; =>This Inner Loop Header: Depth=1
	ds_read_u16 v12, v1
	v_lshlrev_b64 v[10:11], 1, v[8:9]
	v_add_co_u32_e32 v10, vcc, v3, v10
	v_add_u32_e32 v8, 0xc0, v8
	v_addc_co_u32_e32 v11, vcc, v7, v11, vcc
	v_cmp_ge_u32_e32 vcc, v8, v2
	v_add_u32_e32 v1, 0x180, v1
	s_or_b64 s[2:3], vcc, s[2:3]
	s_waitcnt lgkmcnt(0)
	global_store_short v[10:11], v12, off
	s_andn2_b64 exec, exec, s[2:3]
	s_cbranch_execnz .LBB807_115
.LBB807_116:
	s_or_b64 exec, exec, s[0:1]
.LBB807_117:
	s_cmpk_lg_i32 s33, 0xa80
	s_cselect_b64 s[0:1], -1, 0
	v_cndmask_b32_e64 v11, 0, 1, s[44:45]
	s_and_b64 s[0:1], s[34:35], s[0:1]
	v_cmp_eq_u32_e32 vcc, 0, v0
	v_sub_u32_e32 v1, v2, v11
	v_cndmask_b32_e64 v3, 0, 1, s[0:1]
	s_and_b64 s[0:1], vcc, s[44:45]
	v_add_u32_e32 v1, v1, v3
	v_cndmask_b32_e64 v3, v57, 0, s[0:1]
	s_lshr_b32 s0, s33, 1
	s_mul_hi_u32 s0, s0, 0x92492493
	s_lshr_b32 s0, s0, 2
	v_mad_i32_i24 v7, v0, -14, s33
	v_cmp_eq_u32_e32 vcc, s0, v0
	v_cmp_ne_u32_e64 s[0:1], 0, v7
	v_cndmask_b32_e64 v8, 1, v3, s[0:1]
	v_cmp_ne_u32_e64 s[0:1], 1, v7
	v_cndmask_b32_e64 v9, 1, v56, s[0:1]
	;; [unrolled: 2-line block ×13, first 2 shown]
	v_cmp_ne_u32_e64 s[0:1], 13, v7
	s_and_b64 vcc, s[34:35], vcc
	v_cndmask_b32_e64 v7, 1, v44, s[0:1]
	v_cndmask_b32_e32 v13, v53, v13, vcc
	v_cndmask_b32_e32 v12, v54, v12, vcc
	;; [unrolled: 1-line block ×5, first 2 shown]
	v_lshlrev_b64 v[8:9], 3, v[42:43]
	v_cndmask_b32_e32 v44, v44, v7, vcc
	v_cndmask_b32_e32 v45, v45, v64, vcc
	;; [unrolled: 1-line block ×9, first 2 shown]
	v_mov_b32_e32 v3, s43
	v_add_co_u32_e32 v7, vcc, s42, v8
	v_addc_co_u32_e32 v3, vcc, v3, v9, vcc
	v_lshlrev_b64 v[8:9], 3, v[4:5]
	v_add_co_u32_e32 v5, vcc, v7, v8
	v_addc_co_u32_e32 v10, vcc, v3, v9, vcc
	v_lshlrev_b32_e32 v3, 3, v11
	v_add_co_u32_e32 v3, vcc, v3, v5
	v_addc_co_u32_e32 v7, vcc, 0, v10, vcc
	v_add_co_u32_e32 v3, vcc, -8, v3
	v_addc_co_u32_e32 v7, vcc, -1, v7, vcc
	v_cmp_eq_u32_e32 vcc, 0, v55
	v_cndmask_b32_e64 v9, 1, 2, vcc
	v_cmp_eq_u32_e32 vcc, 0, v54
	v_add_u32_e32 v8, v4, v11
	v_cndmask_b32_e64 v11, 1, 2, vcc
	v_cmp_eq_u32_e32 vcc, 0, v53
	v_and_b32_e32 v9, v11, v9
	v_cndmask_b32_e64 v11, 1, 2, vcc
	v_cmp_eq_u32_e32 vcc, 0, v12
	v_and_b32_e32 v9, v9, v11
	;; [unrolled: 3-line block ×12, first 2 shown]
	v_cndmask_b32_e64 v11, 1, 2, vcc
	s_movk_i32 s28, 0xc0
	v_and_b32_e32 v9, v9, v11
	v_cmp_gt_u32_e32 vcc, s28, v1
	v_cmp_ne_u32_e64 s[26:27], 0, v55
	v_cmp_ne_u32_e64 s[24:25], 0, v54
	;; [unrolled: 1-line block ×14, first 2 shown]
	s_mov_b64 s[30:31], -1
	v_cmp_gt_i16_e64 s[28:29], 2, v9
	s_barrier
	s_cbranch_vccz .LBB807_124
; %bb.118:
	s_and_saveexec_b64 s[30:31], s[28:29]
	s_cbranch_execz .LBB807_123
; %bb.119:
	v_cmp_ne_u16_e32 vcc, 1, v9
	s_mov_b64 s[36:37], 0
	s_and_saveexec_b64 s[28:29], vcc
	s_xor_b64 s[28:29], exec, s[28:29]
	s_cbranch_execnz .LBB807_171
; %bb.120:
	s_andn2_saveexec_b64 s[28:29], s[28:29]
	s_cbranch_execnz .LBB807_186
.LBB807_121:
	s_or_b64 exec, exec, s[28:29]
	s_and_b64 exec, exec, s[36:37]
	s_cbranch_execz .LBB807_123
.LBB807_122:
	v_mov_b32_e32 v13, 0
	v_sub_u32_e32 v44, v16, v8
	v_mov_b32_e32 v45, v13
	v_lshlrev_b64 v[44:45], 3, v[44:45]
	v_add_co_u32_e32 v44, vcc, v3, v44
	v_mov_b32_e32 v12, v17
	v_addc_co_u32_e32 v45, vcc, v7, v45, vcc
	global_store_dwordx2 v[44:45], v[12:13], off
.LBB807_123:
	s_or_b64 exec, exec, s[30:31]
	s_mov_b64 s[30:31], 0
.LBB807_124:
	s_and_b64 vcc, exec, s[30:31]
	s_cbranch_vccz .LBB807_134
; %bb.125:
	v_cmp_gt_i16_e32 vcc, 2, v9
	s_and_saveexec_b64 s[28:29], vcc
	s_cbranch_execz .LBB807_130
; %bb.126:
	v_cmp_ne_u16_e32 vcc, 1, v9
	s_mov_b64 s[36:37], 0
	s_and_saveexec_b64 s[30:31], vcc
	s_xor_b64 s[30:31], exec, s[30:31]
	s_cbranch_execnz .LBB807_187
; %bb.127:
	s_andn2_saveexec_b64 s[0:1], s[30:31]
	s_cbranch_execnz .LBB807_202
.LBB807_128:
	s_or_b64 exec, exec, s[0:1]
	s_and_b64 exec, exec, s[36:37]
	s_cbranch_execz .LBB807_130
.LBB807_129:
	v_sub_u32_e32 v8, v16, v8
	v_lshlrev_b32_e32 v8, 2, v8
	ds_write_b32 v8, v17
.LBB807_130:
	s_or_b64 exec, exec, s[28:29]
	v_cmp_lt_u32_e32 vcc, v0, v1
	s_waitcnt lgkmcnt(0)
	s_barrier
	s_and_saveexec_b64 s[0:1], vcc
	s_cbranch_execz .LBB807_133
; %bb.131:
	v_lshlrev_b32_e32 v11, 2, v0
	s_mov_b64 s[2:3], 0
	v_mov_b32_e32 v9, 0
	v_mov_b32_e32 v8, v0
.LBB807_132:                            ; =>This Inner Loop Header: Depth=1
	ds_read_b32 v12, v11
	v_lshlrev_b64 v[14:15], 3, v[8:9]
	v_add_co_u32_e32 v14, vcc, v3, v14
	v_add_u32_e32 v8, 0xc0, v8
	v_addc_co_u32_e32 v15, vcc, v7, v15, vcc
	v_cmp_ge_u32_e32 vcc, v8, v1
	v_mov_b32_e32 v13, v9
	v_add_u32_e32 v11, 0x300, v11
	s_or_b64 s[2:3], vcc, s[2:3]
	s_waitcnt lgkmcnt(0)
	global_store_dwordx2 v[14:15], v[12:13], off
	s_andn2_b64 exec, exec, s[2:3]
	s_cbranch_execnz .LBB807_132
.LBB807_133:
	s_or_b64 exec, exec, s[0:1]
.LBB807_134:
	s_movk_i32 s0, 0xbf
	v_cmp_eq_u32_e32 vcc, s0, v0
	s_and_b64 s[0:1], vcc, s[34:35]
	s_and_saveexec_b64 s[2:3], s[0:1]
	s_cbranch_execz .LBB807_137
; %bb.135:
	v_add_co_u32_e32 v0, vcc, v2, v4
	v_addc_co_u32_e64 v1, s[0:1], 0, 0, vcc
	v_add_co_u32_e32 v0, vcc, v0, v42
	v_mov_b32_e32 v3, 0
	v_addc_co_u32_e32 v1, vcc, v1, v43, vcc
	s_cmpk_lg_i32 s33, 0xa80
	global_store_dwordx2 v3, v[0:1], s[46:47]
	s_cbranch_scc1 .LBB807_137
; %bb.136:
	v_lshlrev_b64 v[0:1], 3, v[2:3]
	v_add_co_u32_e32 v0, vcc, v5, v0
	v_mov_b32_e32 v7, v3
	v_addc_co_u32_e32 v1, vcc, v10, v1, vcc
	global_store_dwordx2 v[0:1], v[6:7], off offset:-8
.LBB807_137:
	s_endpgm
.LBB807_138:
	s_or_b64 exec, exec, s[2:3]
	v_mov_b32_e32 v57, s7
	s_and_saveexec_b64 s[2:3], s[10:11]
	s_cbranch_execnz .LBB807_54
	s_branch .LBB807_55
.LBB807_139:
	s_and_saveexec_b64 s[36:37], s[26:27]
	s_cbranch_execnz .LBB807_203
; %bb.140:
	s_or_b64 exec, exec, s[36:37]
	s_and_saveexec_b64 s[36:37], s[24:25]
	s_cbranch_execnz .LBB807_204
.LBB807_141:
	s_or_b64 exec, exec, s[36:37]
	s_and_saveexec_b64 s[36:37], s[22:23]
	s_cbranch_execnz .LBB807_205
.LBB807_142:
	s_or_b64 exec, exec, s[36:37]
	s_and_saveexec_b64 s[36:37], s[20:21]
	s_cbranch_execnz .LBB807_206
.LBB807_143:
	s_or_b64 exec, exec, s[36:37]
	s_and_saveexec_b64 s[36:37], s[18:19]
	s_cbranch_execnz .LBB807_207
.LBB807_144:
	s_or_b64 exec, exec, s[36:37]
	s_and_saveexec_b64 s[36:37], s[16:17]
	s_cbranch_execnz .LBB807_208
.LBB807_145:
	s_or_b64 exec, exec, s[36:37]
	s_and_saveexec_b64 s[36:37], s[14:15]
	s_cbranch_execnz .LBB807_209
.LBB807_146:
	s_or_b64 exec, exec, s[36:37]
	s_and_saveexec_b64 s[36:37], s[12:13]
	s_cbranch_execnz .LBB807_210
.LBB807_147:
	s_or_b64 exec, exec, s[36:37]
	s_and_saveexec_b64 s[36:37], s[10:11]
	s_cbranch_execnz .LBB807_211
.LBB807_148:
	s_or_b64 exec, exec, s[36:37]
	s_and_saveexec_b64 s[36:37], s[8:9]
	s_cbranch_execnz .LBB807_212
.LBB807_149:
	s_or_b64 exec, exec, s[36:37]
	s_and_saveexec_b64 s[36:37], s[6:7]
	s_cbranch_execnz .LBB807_213
.LBB807_150:
	s_or_b64 exec, exec, s[36:37]
	s_and_saveexec_b64 s[36:37], s[4:5]
	s_cbranch_execnz .LBB807_214
.LBB807_151:
	s_or_b64 exec, exec, s[36:37]
	s_and_saveexec_b64 s[36:37], s[2:3]
	s_cbranch_execz .LBB807_153
.LBB807_152:
	v_sub_u32_e32 v60, v14, v4
	v_mov_b32_e32 v61, 0
	v_lshlrev_b64 v[60:61], 1, v[60:61]
	v_add_co_u32_e32 v60, vcc, v3, v60
	v_addc_co_u32_e32 v61, vcc, v7, v61, vcc
	global_store_short v[60:61], v1, off
.LBB807_153:
	s_or_b64 exec, exec, s[36:37]
	s_and_b64 s[36:37], s[0:1], exec
	s_andn2_saveexec_b64 s[28:29], s[28:29]
	s_cbranch_execz .LBB807_104
.LBB807_154:
	v_sub_u32_e32 v60, v40, v4
	v_mov_b32_e32 v61, 0
	v_lshlrev_b64 v[62:63], 1, v[60:61]
	v_add_co_u32_e32 v62, vcc, v3, v62
	v_addc_co_u32_e32 v63, vcc, v7, v63, vcc
	v_sub_u32_e32 v60, v38, v4
	global_store_short v[62:63], v12, off
	v_lshlrev_b64 v[62:63], 1, v[60:61]
	v_add_co_u32_e32 v62, vcc, v3, v62
	v_addc_co_u32_e32 v63, vcc, v7, v63, vcc
	v_sub_u32_e32 v60, v36, v4
	global_store_short_d16_hi v[62:63], v12, off
	v_lshlrev_b64 v[62:63], 1, v[60:61]
	v_add_co_u32_e32 v62, vcc, v3, v62
	v_addc_co_u32_e32 v63, vcc, v7, v63, vcc
	v_sub_u32_e32 v60, v34, v4
	global_store_short v[62:63], v13, off
	v_lshlrev_b64 v[62:63], 1, v[60:61]
	v_add_co_u32_e32 v62, vcc, v3, v62
	v_addc_co_u32_e32 v63, vcc, v7, v63, vcc
	v_sub_u32_e32 v60, v32, v4
	global_store_short_d16_hi v[62:63], v13, off
	;; [unrolled: 10-line block ×5, first 2 shown]
	v_lshlrev_b64 v[62:63], 1, v[60:61]
	v_add_co_u32_e32 v62, vcc, v3, v62
	v_addc_co_u32_e32 v63, vcc, v7, v63, vcc
	v_sub_u32_e32 v60, v18, v4
	global_store_short v[62:63], v9, off
	v_lshlrev_b64 v[62:63], 1, v[60:61]
	v_add_co_u32_e32 v62, vcc, v3, v62
	v_sub_u32_e32 v60, v14, v4
	v_addc_co_u32_e32 v63, vcc, v7, v63, vcc
	v_lshlrev_b64 v[60:61], 1, v[60:61]
	v_add_co_u32_e32 v60, vcc, v3, v60
	v_addc_co_u32_e32 v61, vcc, v7, v61, vcc
	s_or_b64 s[36:37], s[36:37], exec
	global_store_short_d16_hi v[62:63], v9, off
	global_store_short v[60:61], v1, off
	s_or_b64 exec, exec, s[28:29]
	s_and_b64 exec, exec, s[36:37]
	s_cbranch_execnz .LBB807_105
	s_branch .LBB807_106
.LBB807_155:
	s_and_saveexec_b64 s[36:37], s[26:27]
	s_cbranch_execnz .LBB807_215
; %bb.156:
	s_or_b64 exec, exec, s[36:37]
	s_and_saveexec_b64 s[26:27], s[24:25]
	s_cbranch_execnz .LBB807_216
.LBB807_157:
	s_or_b64 exec, exec, s[26:27]
	s_and_saveexec_b64 s[24:25], s[22:23]
	s_cbranch_execnz .LBB807_217
.LBB807_158:
	s_or_b64 exec, exec, s[24:25]
	s_and_saveexec_b64 s[22:23], s[20:21]
	s_cbranch_execnz .LBB807_218
.LBB807_159:
	s_or_b64 exec, exec, s[22:23]
	s_and_saveexec_b64 s[20:21], s[18:19]
	s_cbranch_execnz .LBB807_219
.LBB807_160:
	s_or_b64 exec, exec, s[20:21]
	s_and_saveexec_b64 s[18:19], s[16:17]
	s_cbranch_execnz .LBB807_220
.LBB807_161:
	s_or_b64 exec, exec, s[18:19]
	s_and_saveexec_b64 s[16:17], s[14:15]
	s_cbranch_execnz .LBB807_221
.LBB807_162:
	s_or_b64 exec, exec, s[16:17]
	s_and_saveexec_b64 s[14:15], s[12:13]
	s_cbranch_execnz .LBB807_222
.LBB807_163:
	s_or_b64 exec, exec, s[14:15]
	s_and_saveexec_b64 s[12:13], s[10:11]
	s_cbranch_execnz .LBB807_223
.LBB807_164:
	s_or_b64 exec, exec, s[12:13]
	s_and_saveexec_b64 s[10:11], s[8:9]
	s_cbranch_execnz .LBB807_224
.LBB807_165:
	s_or_b64 exec, exec, s[10:11]
	s_and_saveexec_b64 s[8:9], s[6:7]
	s_cbranch_execnz .LBB807_225
.LBB807_166:
	s_or_b64 exec, exec, s[8:9]
	s_and_saveexec_b64 s[6:7], s[4:5]
	s_cbranch_execnz .LBB807_226
.LBB807_167:
	s_or_b64 exec, exec, s[6:7]
	s_and_saveexec_b64 s[4:5], s[2:3]
	s_cbranch_execz .LBB807_169
.LBB807_168:
	v_sub_u32_e32 v8, v14, v4
	v_lshlrev_b32_e32 v8, 1, v8
	ds_write_b16 v8, v1
.LBB807_169:
	s_or_b64 exec, exec, s[4:5]
	s_and_b64 s[36:37], s[0:1], exec
                                        ; implicit-def: $vgpr12
                                        ; implicit-def: $vgpr10
                                        ; implicit-def: $vgpr8
	s_andn2_saveexec_b64 s[0:1], s[30:31]
	s_cbranch_execz .LBB807_111
.LBB807_170:
	v_sub_u32_e32 v58, v40, v4
	v_lshlrev_b32_e32 v58, 1, v58
	ds_write_b16 v58, v12
	v_sub_u32_e32 v58, v38, v4
	v_lshlrev_b32_e32 v58, 1, v58
	ds_write_b16_d16_hi v58, v12
	v_sub_u32_e32 v12, v36, v4
	v_lshlrev_b32_e32 v12, 1, v12
	ds_write_b16 v12, v13
	v_sub_u32_e32 v12, v34, v4
	v_lshlrev_b32_e32 v12, 1, v12
	ds_write_b16_d16_hi v12, v13
	;; [unrolled: 6-line block ×6, first 2 shown]
	v_sub_u32_e32 v8, v14, v4
	v_lshlrev_b32_e32 v8, 1, v8
	s_or_b64 s[36:37], s[36:37], exec
	ds_write_b16 v8, v1
	s_or_b64 exec, exec, s[0:1]
	s_and_b64 exec, exec, s[36:37]
	s_cbranch_execnz .LBB807_112
	s_branch .LBB807_113
.LBB807_171:
	s_and_saveexec_b64 s[36:37], s[26:27]
	s_cbranch_execnz .LBB807_227
; %bb.172:
	s_or_b64 exec, exec, s[36:37]
	s_and_saveexec_b64 s[36:37], s[24:25]
	s_cbranch_execnz .LBB807_228
.LBB807_173:
	s_or_b64 exec, exec, s[36:37]
	s_and_saveexec_b64 s[36:37], s[22:23]
	s_cbranch_execnz .LBB807_229
.LBB807_174:
	s_or_b64 exec, exec, s[36:37]
	s_and_saveexec_b64 s[36:37], s[20:21]
	s_cbranch_execnz .LBB807_230
.LBB807_175:
	s_or_b64 exec, exec, s[36:37]
	s_and_saveexec_b64 s[36:37], s[18:19]
	s_cbranch_execnz .LBB807_231
.LBB807_176:
	s_or_b64 exec, exec, s[36:37]
	s_and_saveexec_b64 s[36:37], s[16:17]
	s_cbranch_execnz .LBB807_232
.LBB807_177:
	s_or_b64 exec, exec, s[36:37]
	s_and_saveexec_b64 s[36:37], s[14:15]
	s_cbranch_execnz .LBB807_233
.LBB807_178:
	s_or_b64 exec, exec, s[36:37]
	s_and_saveexec_b64 s[36:37], s[12:13]
	s_cbranch_execnz .LBB807_234
.LBB807_179:
	s_or_b64 exec, exec, s[36:37]
	s_and_saveexec_b64 s[36:37], s[10:11]
	s_cbranch_execnz .LBB807_235
.LBB807_180:
	s_or_b64 exec, exec, s[36:37]
	s_and_saveexec_b64 s[36:37], s[8:9]
	s_cbranch_execnz .LBB807_236
.LBB807_181:
	s_or_b64 exec, exec, s[36:37]
	s_and_saveexec_b64 s[36:37], s[6:7]
	s_cbranch_execnz .LBB807_237
.LBB807_182:
	s_or_b64 exec, exec, s[36:37]
	s_and_saveexec_b64 s[36:37], s[4:5]
	s_cbranch_execnz .LBB807_238
.LBB807_183:
	s_or_b64 exec, exec, s[36:37]
	s_and_saveexec_b64 s[36:37], s[2:3]
	s_cbranch_execz .LBB807_185
.LBB807_184:
	v_sub_u32_e32 v12, v14, v8
	v_mov_b32_e32 v13, 0
	v_lshlrev_b64 v[44:45], 3, v[12:13]
	v_add_co_u32_e32 v44, vcc, v3, v44
	v_addc_co_u32_e32 v45, vcc, v7, v45, vcc
	v_mov_b32_e32 v12, v15
	global_store_dwordx2 v[44:45], v[12:13], off
.LBB807_185:
	s_or_b64 exec, exec, s[36:37]
	s_and_b64 s[36:37], s[0:1], exec
	s_andn2_saveexec_b64 s[28:29], s[28:29]
	s_cbranch_execz .LBB807_121
.LBB807_186:
	v_mov_b32_e32 v13, 0
	v_sub_u32_e32 v44, v40, v8
	v_mov_b32_e32 v45, v13
	v_lshlrev_b64 v[44:45], 3, v[44:45]
	v_add_co_u32_e32 v44, vcc, v3, v44
	v_mov_b32_e32 v12, v41
	v_addc_co_u32_e32 v45, vcc, v7, v45, vcc
	global_store_dwordx2 v[44:45], v[12:13], off
	v_sub_u32_e32 v44, v38, v8
	v_mov_b32_e32 v45, v13
	v_lshlrev_b64 v[44:45], 3, v[44:45]
	v_add_co_u32_e32 v44, vcc, v3, v44
	v_mov_b32_e32 v12, v39
	v_addc_co_u32_e32 v45, vcc, v7, v45, vcc
	global_store_dwordx2 v[44:45], v[12:13], off
	;; [unrolled: 7-line block ×12, first 2 shown]
	v_sub_u32_e32 v44, v14, v8
	v_mov_b32_e32 v45, v13
	v_lshlrev_b64 v[44:45], 3, v[44:45]
	v_add_co_u32_e32 v44, vcc, v3, v44
	v_mov_b32_e32 v12, v15
	v_addc_co_u32_e32 v45, vcc, v7, v45, vcc
	s_or_b64 s[36:37], s[36:37], exec
	global_store_dwordx2 v[44:45], v[12:13], off
	s_or_b64 exec, exec, s[28:29]
	s_and_b64 exec, exec, s[36:37]
	s_cbranch_execnz .LBB807_122
	s_branch .LBB807_123
.LBB807_187:
	s_and_saveexec_b64 s[36:37], s[26:27]
	s_cbranch_execnz .LBB807_239
; %bb.188:
	s_or_b64 exec, exec, s[36:37]
	s_and_saveexec_b64 s[26:27], s[24:25]
	s_cbranch_execnz .LBB807_240
.LBB807_189:
	s_or_b64 exec, exec, s[26:27]
	s_and_saveexec_b64 s[24:25], s[22:23]
	s_cbranch_execnz .LBB807_241
.LBB807_190:
	s_or_b64 exec, exec, s[24:25]
	s_and_saveexec_b64 s[22:23], s[20:21]
	s_cbranch_execnz .LBB807_242
.LBB807_191:
	s_or_b64 exec, exec, s[22:23]
	s_and_saveexec_b64 s[20:21], s[18:19]
	s_cbranch_execnz .LBB807_243
.LBB807_192:
	s_or_b64 exec, exec, s[20:21]
	s_and_saveexec_b64 s[18:19], s[16:17]
	s_cbranch_execnz .LBB807_244
.LBB807_193:
	s_or_b64 exec, exec, s[18:19]
	s_and_saveexec_b64 s[16:17], s[14:15]
	s_cbranch_execnz .LBB807_245
.LBB807_194:
	s_or_b64 exec, exec, s[16:17]
	s_and_saveexec_b64 s[14:15], s[12:13]
	s_cbranch_execnz .LBB807_246
.LBB807_195:
	s_or_b64 exec, exec, s[14:15]
	s_and_saveexec_b64 s[12:13], s[10:11]
	s_cbranch_execnz .LBB807_247
.LBB807_196:
	s_or_b64 exec, exec, s[12:13]
	s_and_saveexec_b64 s[10:11], s[8:9]
	s_cbranch_execnz .LBB807_248
.LBB807_197:
	s_or_b64 exec, exec, s[10:11]
	s_and_saveexec_b64 s[8:9], s[6:7]
	s_cbranch_execnz .LBB807_249
.LBB807_198:
	s_or_b64 exec, exec, s[8:9]
	s_and_saveexec_b64 s[6:7], s[4:5]
	s_cbranch_execnz .LBB807_250
.LBB807_199:
	s_or_b64 exec, exec, s[6:7]
	s_and_saveexec_b64 s[4:5], s[2:3]
	s_cbranch_execz .LBB807_201
.LBB807_200:
	v_sub_u32_e32 v9, v14, v8
	v_lshlrev_b32_e32 v9, 2, v9
	ds_write_b32 v9, v15
.LBB807_201:
	s_or_b64 exec, exec, s[4:5]
	s_and_b64 s[36:37], s[0:1], exec
                                        ; implicit-def: $vgpr14_vgpr15
                                        ; implicit-def: $vgpr18_vgpr19
                                        ; implicit-def: $vgpr20_vgpr21
                                        ; implicit-def: $vgpr40_vgpr41
                                        ; implicit-def: $vgpr38_vgpr39
                                        ; implicit-def: $vgpr36_vgpr37
                                        ; implicit-def: $vgpr34_vgpr35
                                        ; implicit-def: $vgpr32_vgpr33
                                        ; implicit-def: $vgpr30_vgpr31
                                        ; implicit-def: $vgpr28_vgpr29
                                        ; implicit-def: $vgpr26_vgpr27
                                        ; implicit-def: $vgpr24_vgpr25
                                        ; implicit-def: $vgpr22_vgpr23
	s_andn2_saveexec_b64 s[0:1], s[30:31]
	s_cbranch_execz .LBB807_128
.LBB807_202:
	v_sub_u32_e32 v9, v40, v8
	v_lshlrev_b32_e32 v9, 2, v9
	ds_write_b32 v9, v41
	v_sub_u32_e32 v9, v38, v8
	v_lshlrev_b32_e32 v9, 2, v9
	ds_write_b32 v9, v39
	;; [unrolled: 3-line block ×12, first 2 shown]
	v_sub_u32_e32 v9, v14, v8
	v_lshlrev_b32_e32 v9, 2, v9
	s_or_b64 s[36:37], s[36:37], exec
	ds_write_b32 v9, v15
	s_or_b64 exec, exec, s[0:1]
	s_and_b64 exec, exec, s[36:37]
	s_cbranch_execnz .LBB807_129
	s_branch .LBB807_130
.LBB807_203:
	v_sub_u32_e32 v60, v40, v4
	v_mov_b32_e32 v61, 0
	v_lshlrev_b64 v[60:61], 1, v[60:61]
	v_add_co_u32_e32 v60, vcc, v3, v60
	v_addc_co_u32_e32 v61, vcc, v7, v61, vcc
	global_store_short v[60:61], v12, off
	s_or_b64 exec, exec, s[36:37]
	s_and_saveexec_b64 s[36:37], s[24:25]
	s_cbranch_execz .LBB807_141
.LBB807_204:
	v_sub_u32_e32 v60, v38, v4
	v_mov_b32_e32 v61, 0
	v_lshlrev_b64 v[60:61], 1, v[60:61]
	v_add_co_u32_e32 v60, vcc, v3, v60
	v_addc_co_u32_e32 v61, vcc, v7, v61, vcc
	global_store_short_d16_hi v[60:61], v12, off
	s_or_b64 exec, exec, s[36:37]
	s_and_saveexec_b64 s[36:37], s[22:23]
	s_cbranch_execz .LBB807_142
.LBB807_205:
	v_sub_u32_e32 v60, v36, v4
	v_mov_b32_e32 v61, 0
	v_lshlrev_b64 v[60:61], 1, v[60:61]
	v_add_co_u32_e32 v60, vcc, v3, v60
	v_addc_co_u32_e32 v61, vcc, v7, v61, vcc
	global_store_short v[60:61], v13, off
	s_or_b64 exec, exec, s[36:37]
	s_and_saveexec_b64 s[36:37], s[20:21]
	s_cbranch_execz .LBB807_143
.LBB807_206:
	v_sub_u32_e32 v60, v34, v4
	v_mov_b32_e32 v61, 0
	v_lshlrev_b64 v[60:61], 1, v[60:61]
	v_add_co_u32_e32 v60, vcc, v3, v60
	v_addc_co_u32_e32 v61, vcc, v7, v61, vcc
	global_store_short_d16_hi v[60:61], v13, off
	s_or_b64 exec, exec, s[36:37]
	s_and_saveexec_b64 s[36:37], s[18:19]
	s_cbranch_execz .LBB807_144
.LBB807_207:
	v_sub_u32_e32 v60, v32, v4
	v_mov_b32_e32 v61, 0
	v_lshlrev_b64 v[60:61], 1, v[60:61]
	v_add_co_u32_e32 v60, vcc, v3, v60
	v_addc_co_u32_e32 v61, vcc, v7, v61, vcc
	global_store_short v[60:61], v10, off
	s_or_b64 exec, exec, s[36:37]
	s_and_saveexec_b64 s[36:37], s[16:17]
	s_cbranch_execz .LBB807_145
.LBB807_208:
	v_sub_u32_e32 v60, v30, v4
	v_mov_b32_e32 v61, 0
	v_lshlrev_b64 v[60:61], 1, v[60:61]
	v_add_co_u32_e32 v60, vcc, v3, v60
	v_addc_co_u32_e32 v61, vcc, v7, v61, vcc
	global_store_short_d16_hi v[60:61], v10, off
	s_or_b64 exec, exec, s[36:37]
	s_and_saveexec_b64 s[36:37], s[14:15]
	s_cbranch_execz .LBB807_146
.LBB807_209:
	v_sub_u32_e32 v60, v28, v4
	v_mov_b32_e32 v61, 0
	v_lshlrev_b64 v[60:61], 1, v[60:61]
	v_add_co_u32_e32 v60, vcc, v3, v60
	v_addc_co_u32_e32 v61, vcc, v7, v61, vcc
	global_store_short v[60:61], v11, off
	s_or_b64 exec, exec, s[36:37]
	s_and_saveexec_b64 s[36:37], s[12:13]
	s_cbranch_execz .LBB807_147
.LBB807_210:
	v_sub_u32_e32 v60, v26, v4
	v_mov_b32_e32 v61, 0
	v_lshlrev_b64 v[60:61], 1, v[60:61]
	v_add_co_u32_e32 v60, vcc, v3, v60
	v_addc_co_u32_e32 v61, vcc, v7, v61, vcc
	global_store_short_d16_hi v[60:61], v11, off
	s_or_b64 exec, exec, s[36:37]
	s_and_saveexec_b64 s[36:37], s[10:11]
	s_cbranch_execz .LBB807_148
.LBB807_211:
	v_sub_u32_e32 v60, v24, v4
	v_mov_b32_e32 v61, 0
	v_lshlrev_b64 v[60:61], 1, v[60:61]
	v_add_co_u32_e32 v60, vcc, v3, v60
	v_addc_co_u32_e32 v61, vcc, v7, v61, vcc
	global_store_short v[60:61], v8, off
	s_or_b64 exec, exec, s[36:37]
	s_and_saveexec_b64 s[36:37], s[8:9]
	s_cbranch_execz .LBB807_149
.LBB807_212:
	v_sub_u32_e32 v60, v22, v4
	v_mov_b32_e32 v61, 0
	v_lshlrev_b64 v[60:61], 1, v[60:61]
	v_add_co_u32_e32 v60, vcc, v3, v60
	v_addc_co_u32_e32 v61, vcc, v7, v61, vcc
	global_store_short_d16_hi v[60:61], v8, off
	s_or_b64 exec, exec, s[36:37]
	s_and_saveexec_b64 s[36:37], s[6:7]
	s_cbranch_execz .LBB807_150
.LBB807_213:
	v_sub_u32_e32 v60, v20, v4
	v_mov_b32_e32 v61, 0
	v_lshlrev_b64 v[60:61], 1, v[60:61]
	v_add_co_u32_e32 v60, vcc, v3, v60
	v_addc_co_u32_e32 v61, vcc, v7, v61, vcc
	global_store_short v[60:61], v9, off
	s_or_b64 exec, exec, s[36:37]
	s_and_saveexec_b64 s[36:37], s[4:5]
	s_cbranch_execz .LBB807_151
.LBB807_214:
	v_sub_u32_e32 v60, v18, v4
	v_mov_b32_e32 v61, 0
	v_lshlrev_b64 v[60:61], 1, v[60:61]
	v_add_co_u32_e32 v60, vcc, v3, v60
	v_addc_co_u32_e32 v61, vcc, v7, v61, vcc
	global_store_short_d16_hi v[60:61], v9, off
	s_or_b64 exec, exec, s[36:37]
	s_and_saveexec_b64 s[36:37], s[2:3]
	s_cbranch_execnz .LBB807_152
	s_branch .LBB807_153
.LBB807_215:
	v_sub_u32_e32 v58, v40, v4
	v_lshlrev_b32_e32 v58, 1, v58
	ds_write_b16 v58, v12
	s_or_b64 exec, exec, s[36:37]
	s_and_saveexec_b64 s[26:27], s[24:25]
	s_cbranch_execz .LBB807_157
.LBB807_216:
	v_sub_u32_e32 v58, v38, v4
	v_lshlrev_b32_e32 v58, 1, v58
	ds_write_b16_d16_hi v58, v12
	s_or_b64 exec, exec, s[26:27]
	s_and_saveexec_b64 s[24:25], s[22:23]
	s_cbranch_execz .LBB807_158
.LBB807_217:
	v_sub_u32_e32 v12, v36, v4
	v_lshlrev_b32_e32 v12, 1, v12
	ds_write_b16 v12, v13
	s_or_b64 exec, exec, s[24:25]
	s_and_saveexec_b64 s[22:23], s[20:21]
	s_cbranch_execz .LBB807_159
.LBB807_218:
	v_sub_u32_e32 v12, v34, v4
	v_lshlrev_b32_e32 v12, 1, v12
	ds_write_b16_d16_hi v12, v13
	s_or_b64 exec, exec, s[22:23]
	s_and_saveexec_b64 s[20:21], s[18:19]
	s_cbranch_execz .LBB807_160
.LBB807_219:
	v_sub_u32_e32 v12, v32, v4
	v_lshlrev_b32_e32 v12, 1, v12
	ds_write_b16 v12, v10
	s_or_b64 exec, exec, s[20:21]
	s_and_saveexec_b64 s[18:19], s[16:17]
	s_cbranch_execz .LBB807_161
.LBB807_220:
	v_sub_u32_e32 v12, v30, v4
	v_lshlrev_b32_e32 v12, 1, v12
	ds_write_b16_d16_hi v12, v10
	s_or_b64 exec, exec, s[18:19]
	s_and_saveexec_b64 s[16:17], s[14:15]
	s_cbranch_execz .LBB807_162
.LBB807_221:
	v_sub_u32_e32 v10, v28, v4
	v_lshlrev_b32_e32 v10, 1, v10
	ds_write_b16 v10, v11
	s_or_b64 exec, exec, s[16:17]
	s_and_saveexec_b64 s[14:15], s[12:13]
	s_cbranch_execz .LBB807_163
.LBB807_222:
	v_sub_u32_e32 v10, v26, v4
	v_lshlrev_b32_e32 v10, 1, v10
	ds_write_b16_d16_hi v10, v11
	s_or_b64 exec, exec, s[14:15]
	s_and_saveexec_b64 s[12:13], s[10:11]
	s_cbranch_execz .LBB807_164
.LBB807_223:
	v_sub_u32_e32 v10, v24, v4
	v_lshlrev_b32_e32 v10, 1, v10
	ds_write_b16 v10, v8
	s_or_b64 exec, exec, s[12:13]
	s_and_saveexec_b64 s[10:11], s[8:9]
	s_cbranch_execz .LBB807_165
.LBB807_224:
	v_sub_u32_e32 v10, v22, v4
	v_lshlrev_b32_e32 v10, 1, v10
	ds_write_b16_d16_hi v10, v8
	s_or_b64 exec, exec, s[10:11]
	s_and_saveexec_b64 s[8:9], s[6:7]
	s_cbranch_execz .LBB807_166
.LBB807_225:
	v_sub_u32_e32 v8, v20, v4
	v_lshlrev_b32_e32 v8, 1, v8
	ds_write_b16 v8, v9
	s_or_b64 exec, exec, s[8:9]
	s_and_saveexec_b64 s[6:7], s[4:5]
	s_cbranch_execz .LBB807_167
.LBB807_226:
	v_sub_u32_e32 v8, v18, v4
	v_lshlrev_b32_e32 v8, 1, v8
	ds_write_b16_d16_hi v8, v9
	s_or_b64 exec, exec, s[6:7]
	s_and_saveexec_b64 s[4:5], s[2:3]
	s_cbranch_execnz .LBB807_168
	s_branch .LBB807_169
.LBB807_227:
	v_sub_u32_e32 v12, v40, v8
	v_mov_b32_e32 v13, 0
	v_lshlrev_b64 v[44:45], 3, v[12:13]
	v_add_co_u32_e32 v44, vcc, v3, v44
	v_addc_co_u32_e32 v45, vcc, v7, v45, vcc
	v_mov_b32_e32 v12, v41
	global_store_dwordx2 v[44:45], v[12:13], off
	s_or_b64 exec, exec, s[36:37]
	s_and_saveexec_b64 s[36:37], s[24:25]
	s_cbranch_execz .LBB807_173
.LBB807_228:
	v_sub_u32_e32 v12, v38, v8
	v_mov_b32_e32 v13, 0
	v_lshlrev_b64 v[44:45], 3, v[12:13]
	v_add_co_u32_e32 v44, vcc, v3, v44
	v_addc_co_u32_e32 v45, vcc, v7, v45, vcc
	v_mov_b32_e32 v12, v39
	global_store_dwordx2 v[44:45], v[12:13], off
	s_or_b64 exec, exec, s[36:37]
	s_and_saveexec_b64 s[36:37], s[22:23]
	s_cbranch_execz .LBB807_174
.LBB807_229:
	v_sub_u32_e32 v12, v36, v8
	v_mov_b32_e32 v13, 0
	v_lshlrev_b64 v[44:45], 3, v[12:13]
	v_add_co_u32_e32 v44, vcc, v3, v44
	v_addc_co_u32_e32 v45, vcc, v7, v45, vcc
	v_mov_b32_e32 v12, v37
	global_store_dwordx2 v[44:45], v[12:13], off
	s_or_b64 exec, exec, s[36:37]
	s_and_saveexec_b64 s[36:37], s[20:21]
	s_cbranch_execz .LBB807_175
.LBB807_230:
	v_sub_u32_e32 v12, v34, v8
	v_mov_b32_e32 v13, 0
	v_lshlrev_b64 v[44:45], 3, v[12:13]
	v_add_co_u32_e32 v44, vcc, v3, v44
	v_addc_co_u32_e32 v45, vcc, v7, v45, vcc
	v_mov_b32_e32 v12, v35
	global_store_dwordx2 v[44:45], v[12:13], off
	s_or_b64 exec, exec, s[36:37]
	s_and_saveexec_b64 s[36:37], s[18:19]
	s_cbranch_execz .LBB807_176
.LBB807_231:
	v_sub_u32_e32 v12, v32, v8
	v_mov_b32_e32 v13, 0
	v_lshlrev_b64 v[44:45], 3, v[12:13]
	v_add_co_u32_e32 v44, vcc, v3, v44
	v_addc_co_u32_e32 v45, vcc, v7, v45, vcc
	v_mov_b32_e32 v12, v33
	global_store_dwordx2 v[44:45], v[12:13], off
	s_or_b64 exec, exec, s[36:37]
	s_and_saveexec_b64 s[36:37], s[16:17]
	s_cbranch_execz .LBB807_177
.LBB807_232:
	v_sub_u32_e32 v12, v30, v8
	v_mov_b32_e32 v13, 0
	v_lshlrev_b64 v[44:45], 3, v[12:13]
	v_add_co_u32_e32 v44, vcc, v3, v44
	v_addc_co_u32_e32 v45, vcc, v7, v45, vcc
	v_mov_b32_e32 v12, v31
	global_store_dwordx2 v[44:45], v[12:13], off
	s_or_b64 exec, exec, s[36:37]
	s_and_saveexec_b64 s[36:37], s[14:15]
	s_cbranch_execz .LBB807_178
.LBB807_233:
	v_sub_u32_e32 v12, v28, v8
	v_mov_b32_e32 v13, 0
	v_lshlrev_b64 v[44:45], 3, v[12:13]
	v_add_co_u32_e32 v44, vcc, v3, v44
	v_addc_co_u32_e32 v45, vcc, v7, v45, vcc
	v_mov_b32_e32 v12, v29
	global_store_dwordx2 v[44:45], v[12:13], off
	s_or_b64 exec, exec, s[36:37]
	s_and_saveexec_b64 s[36:37], s[12:13]
	s_cbranch_execz .LBB807_179
.LBB807_234:
	v_sub_u32_e32 v12, v26, v8
	v_mov_b32_e32 v13, 0
	v_lshlrev_b64 v[44:45], 3, v[12:13]
	v_add_co_u32_e32 v44, vcc, v3, v44
	v_addc_co_u32_e32 v45, vcc, v7, v45, vcc
	v_mov_b32_e32 v12, v27
	global_store_dwordx2 v[44:45], v[12:13], off
	s_or_b64 exec, exec, s[36:37]
	s_and_saveexec_b64 s[36:37], s[10:11]
	s_cbranch_execz .LBB807_180
.LBB807_235:
	v_sub_u32_e32 v12, v24, v8
	v_mov_b32_e32 v13, 0
	v_lshlrev_b64 v[44:45], 3, v[12:13]
	v_add_co_u32_e32 v44, vcc, v3, v44
	v_addc_co_u32_e32 v45, vcc, v7, v45, vcc
	v_mov_b32_e32 v12, v25
	global_store_dwordx2 v[44:45], v[12:13], off
	s_or_b64 exec, exec, s[36:37]
	s_and_saveexec_b64 s[36:37], s[8:9]
	s_cbranch_execz .LBB807_181
.LBB807_236:
	v_sub_u32_e32 v12, v22, v8
	v_mov_b32_e32 v13, 0
	v_lshlrev_b64 v[44:45], 3, v[12:13]
	v_add_co_u32_e32 v44, vcc, v3, v44
	v_addc_co_u32_e32 v45, vcc, v7, v45, vcc
	v_mov_b32_e32 v12, v23
	global_store_dwordx2 v[44:45], v[12:13], off
	s_or_b64 exec, exec, s[36:37]
	s_and_saveexec_b64 s[36:37], s[6:7]
	s_cbranch_execz .LBB807_182
.LBB807_237:
	v_sub_u32_e32 v12, v20, v8
	v_mov_b32_e32 v13, 0
	v_lshlrev_b64 v[44:45], 3, v[12:13]
	v_add_co_u32_e32 v44, vcc, v3, v44
	v_addc_co_u32_e32 v45, vcc, v7, v45, vcc
	v_mov_b32_e32 v12, v21
	global_store_dwordx2 v[44:45], v[12:13], off
	s_or_b64 exec, exec, s[36:37]
	s_and_saveexec_b64 s[36:37], s[4:5]
	s_cbranch_execz .LBB807_183
.LBB807_238:
	v_sub_u32_e32 v12, v18, v8
	v_mov_b32_e32 v13, 0
	v_lshlrev_b64 v[44:45], 3, v[12:13]
	v_add_co_u32_e32 v44, vcc, v3, v44
	v_addc_co_u32_e32 v45, vcc, v7, v45, vcc
	v_mov_b32_e32 v12, v19
	global_store_dwordx2 v[44:45], v[12:13], off
	s_or_b64 exec, exec, s[36:37]
	s_and_saveexec_b64 s[36:37], s[2:3]
	s_cbranch_execnz .LBB807_184
	s_branch .LBB807_185
.LBB807_239:
	v_sub_u32_e32 v9, v40, v8
	v_lshlrev_b32_e32 v9, 2, v9
	ds_write_b32 v9, v41
	s_or_b64 exec, exec, s[36:37]
	s_and_saveexec_b64 s[26:27], s[24:25]
	s_cbranch_execz .LBB807_189
.LBB807_240:
	v_sub_u32_e32 v9, v38, v8
	v_lshlrev_b32_e32 v9, 2, v9
	ds_write_b32 v9, v39
	s_or_b64 exec, exec, s[26:27]
	s_and_saveexec_b64 s[24:25], s[22:23]
	s_cbranch_execz .LBB807_190
.LBB807_241:
	v_sub_u32_e32 v9, v36, v8
	v_lshlrev_b32_e32 v9, 2, v9
	ds_write_b32 v9, v37
	s_or_b64 exec, exec, s[24:25]
	s_and_saveexec_b64 s[22:23], s[20:21]
	s_cbranch_execz .LBB807_191
.LBB807_242:
	v_sub_u32_e32 v9, v34, v8
	v_lshlrev_b32_e32 v9, 2, v9
	ds_write_b32 v9, v35
	s_or_b64 exec, exec, s[22:23]
	s_and_saveexec_b64 s[20:21], s[18:19]
	s_cbranch_execz .LBB807_192
.LBB807_243:
	v_sub_u32_e32 v9, v32, v8
	v_lshlrev_b32_e32 v9, 2, v9
	ds_write_b32 v9, v33
	s_or_b64 exec, exec, s[20:21]
	s_and_saveexec_b64 s[18:19], s[16:17]
	s_cbranch_execz .LBB807_193
.LBB807_244:
	v_sub_u32_e32 v9, v30, v8
	v_lshlrev_b32_e32 v9, 2, v9
	ds_write_b32 v9, v31
	s_or_b64 exec, exec, s[18:19]
	s_and_saveexec_b64 s[16:17], s[14:15]
	s_cbranch_execz .LBB807_194
.LBB807_245:
	v_sub_u32_e32 v9, v28, v8
	v_lshlrev_b32_e32 v9, 2, v9
	ds_write_b32 v9, v29
	s_or_b64 exec, exec, s[16:17]
	s_and_saveexec_b64 s[14:15], s[12:13]
	s_cbranch_execz .LBB807_195
.LBB807_246:
	v_sub_u32_e32 v9, v26, v8
	v_lshlrev_b32_e32 v9, 2, v9
	ds_write_b32 v9, v27
	s_or_b64 exec, exec, s[14:15]
	s_and_saveexec_b64 s[12:13], s[10:11]
	s_cbranch_execz .LBB807_196
.LBB807_247:
	v_sub_u32_e32 v9, v24, v8
	v_lshlrev_b32_e32 v9, 2, v9
	ds_write_b32 v9, v25
	s_or_b64 exec, exec, s[12:13]
	s_and_saveexec_b64 s[10:11], s[8:9]
	s_cbranch_execz .LBB807_197
.LBB807_248:
	v_sub_u32_e32 v9, v22, v8
	v_lshlrev_b32_e32 v9, 2, v9
	ds_write_b32 v9, v23
	s_or_b64 exec, exec, s[10:11]
	s_and_saveexec_b64 s[8:9], s[6:7]
	s_cbranch_execz .LBB807_198
.LBB807_249:
	v_sub_u32_e32 v9, v20, v8
	v_lshlrev_b32_e32 v9, 2, v9
	ds_write_b32 v9, v21
	s_or_b64 exec, exec, s[8:9]
	s_and_saveexec_b64 s[6:7], s[4:5]
	s_cbranch_execz .LBB807_199
.LBB807_250:
	v_sub_u32_e32 v9, v18, v8
	v_lshlrev_b32_e32 v9, 2, v9
	ds_write_b32 v9, v19
	s_or_b64 exec, exec, s[6:7]
	s_and_saveexec_b64 s[4:5], s[2:3]
	s_cbranch_execnz .LBB807_200
	s_branch .LBB807_201
	.section	.rodata,"a",@progbits
	.p2align	6, 0x0
	.amdhsa_kernel _ZN7rocprim17ROCPRIM_400000_NS6detail17trampoline_kernelINS0_14default_configENS1_33run_length_encode_config_selectorItjNS0_4plusIjEEEEZZNS1_33reduce_by_key_impl_wrapped_configILNS1_25lookback_scan_determinismE0ES3_S7_PKtNS0_17constant_iteratorIjlEEPtPlSF_S6_NS0_8equal_toItEEEE10hipError_tPvRmT2_T3_mT4_T5_T6_T7_T8_P12ihipStream_tbENKUlT_T0_E_clISt17integral_constantIbLb1EESY_IbLb0EEEEDaSU_SV_EUlSU_E_NS1_11comp_targetILNS1_3genE4ELNS1_11target_archE910ELNS1_3gpuE8ELNS1_3repE0EEENS1_30default_config_static_selectorELNS0_4arch9wavefront6targetE1EEEvT1_
		.amdhsa_group_segment_fixed_size 10752
		.amdhsa_private_segment_fixed_size 0
		.amdhsa_kernarg_size 128
		.amdhsa_user_sgpr_count 6
		.amdhsa_user_sgpr_private_segment_buffer 1
		.amdhsa_user_sgpr_dispatch_ptr 0
		.amdhsa_user_sgpr_queue_ptr 0
		.amdhsa_user_sgpr_kernarg_segment_ptr 1
		.amdhsa_user_sgpr_dispatch_id 0
		.amdhsa_user_sgpr_flat_scratch_init 0
		.amdhsa_user_sgpr_kernarg_preload_length 0
		.amdhsa_user_sgpr_kernarg_preload_offset 0
		.amdhsa_user_sgpr_private_segment_size 0
		.amdhsa_uses_dynamic_stack 0
		.amdhsa_system_sgpr_private_segment_wavefront_offset 0
		.amdhsa_system_sgpr_workgroup_id_x 1
		.amdhsa_system_sgpr_workgroup_id_y 0
		.amdhsa_system_sgpr_workgroup_id_z 0
		.amdhsa_system_sgpr_workgroup_info 0
		.amdhsa_system_vgpr_workitem_id 0
		.amdhsa_next_free_vgpr 65
		.amdhsa_next_free_sgpr 62
		.amdhsa_accum_offset 68
		.amdhsa_reserve_vcc 1
		.amdhsa_reserve_flat_scratch 0
		.amdhsa_float_round_mode_32 0
		.amdhsa_float_round_mode_16_64 0
		.amdhsa_float_denorm_mode_32 3
		.amdhsa_float_denorm_mode_16_64 3
		.amdhsa_dx10_clamp 1
		.amdhsa_ieee_mode 1
		.amdhsa_fp16_overflow 0
		.amdhsa_tg_split 0
		.amdhsa_exception_fp_ieee_invalid_op 0
		.amdhsa_exception_fp_denorm_src 0
		.amdhsa_exception_fp_ieee_div_zero 0
		.amdhsa_exception_fp_ieee_overflow 0
		.amdhsa_exception_fp_ieee_underflow 0
		.amdhsa_exception_fp_ieee_inexact 0
		.amdhsa_exception_int_div_zero 0
	.end_amdhsa_kernel
	.section	.text._ZN7rocprim17ROCPRIM_400000_NS6detail17trampoline_kernelINS0_14default_configENS1_33run_length_encode_config_selectorItjNS0_4plusIjEEEEZZNS1_33reduce_by_key_impl_wrapped_configILNS1_25lookback_scan_determinismE0ES3_S7_PKtNS0_17constant_iteratorIjlEEPtPlSF_S6_NS0_8equal_toItEEEE10hipError_tPvRmT2_T3_mT4_T5_T6_T7_T8_P12ihipStream_tbENKUlT_T0_E_clISt17integral_constantIbLb1EESY_IbLb0EEEEDaSU_SV_EUlSU_E_NS1_11comp_targetILNS1_3genE4ELNS1_11target_archE910ELNS1_3gpuE8ELNS1_3repE0EEENS1_30default_config_static_selectorELNS0_4arch9wavefront6targetE1EEEvT1_,"axG",@progbits,_ZN7rocprim17ROCPRIM_400000_NS6detail17trampoline_kernelINS0_14default_configENS1_33run_length_encode_config_selectorItjNS0_4plusIjEEEEZZNS1_33reduce_by_key_impl_wrapped_configILNS1_25lookback_scan_determinismE0ES3_S7_PKtNS0_17constant_iteratorIjlEEPtPlSF_S6_NS0_8equal_toItEEEE10hipError_tPvRmT2_T3_mT4_T5_T6_T7_T8_P12ihipStream_tbENKUlT_T0_E_clISt17integral_constantIbLb1EESY_IbLb0EEEEDaSU_SV_EUlSU_E_NS1_11comp_targetILNS1_3genE4ELNS1_11target_archE910ELNS1_3gpuE8ELNS1_3repE0EEENS1_30default_config_static_selectorELNS0_4arch9wavefront6targetE1EEEvT1_,comdat
.Lfunc_end807:
	.size	_ZN7rocprim17ROCPRIM_400000_NS6detail17trampoline_kernelINS0_14default_configENS1_33run_length_encode_config_selectorItjNS0_4plusIjEEEEZZNS1_33reduce_by_key_impl_wrapped_configILNS1_25lookback_scan_determinismE0ES3_S7_PKtNS0_17constant_iteratorIjlEEPtPlSF_S6_NS0_8equal_toItEEEE10hipError_tPvRmT2_T3_mT4_T5_T6_T7_T8_P12ihipStream_tbENKUlT_T0_E_clISt17integral_constantIbLb1EESY_IbLb0EEEEDaSU_SV_EUlSU_E_NS1_11comp_targetILNS1_3genE4ELNS1_11target_archE910ELNS1_3gpuE8ELNS1_3repE0EEENS1_30default_config_static_selectorELNS0_4arch9wavefront6targetE1EEEvT1_, .Lfunc_end807-_ZN7rocprim17ROCPRIM_400000_NS6detail17trampoline_kernelINS0_14default_configENS1_33run_length_encode_config_selectorItjNS0_4plusIjEEEEZZNS1_33reduce_by_key_impl_wrapped_configILNS1_25lookback_scan_determinismE0ES3_S7_PKtNS0_17constant_iteratorIjlEEPtPlSF_S6_NS0_8equal_toItEEEE10hipError_tPvRmT2_T3_mT4_T5_T6_T7_T8_P12ihipStream_tbENKUlT_T0_E_clISt17integral_constantIbLb1EESY_IbLb0EEEEDaSU_SV_EUlSU_E_NS1_11comp_targetILNS1_3genE4ELNS1_11target_archE910ELNS1_3gpuE8ELNS1_3repE0EEENS1_30default_config_static_selectorELNS0_4arch9wavefront6targetE1EEEvT1_
                                        ; -- End function
	.section	.AMDGPU.csdata,"",@progbits
; Kernel info:
; codeLenInByte = 13392
; NumSgprs: 66
; NumVgprs: 65
; NumAgprs: 0
; TotalNumVgprs: 65
; ScratchSize: 0
; MemoryBound: 0
; FloatMode: 240
; IeeeMode: 1
; LDSByteSize: 10752 bytes/workgroup (compile time only)
; SGPRBlocks: 8
; VGPRBlocks: 8
; NumSGPRsForWavesPerEU: 66
; NumVGPRsForWavesPerEU: 65
; AccumOffset: 68
; Occupancy: 5
; WaveLimiterHint : 1
; COMPUTE_PGM_RSRC2:SCRATCH_EN: 0
; COMPUTE_PGM_RSRC2:USER_SGPR: 6
; COMPUTE_PGM_RSRC2:TRAP_HANDLER: 0
; COMPUTE_PGM_RSRC2:TGID_X_EN: 1
; COMPUTE_PGM_RSRC2:TGID_Y_EN: 0
; COMPUTE_PGM_RSRC2:TGID_Z_EN: 0
; COMPUTE_PGM_RSRC2:TIDIG_COMP_CNT: 0
; COMPUTE_PGM_RSRC3_GFX90A:ACCUM_OFFSET: 16
; COMPUTE_PGM_RSRC3_GFX90A:TG_SPLIT: 0
	.section	.text._ZN7rocprim17ROCPRIM_400000_NS6detail17trampoline_kernelINS0_14default_configENS1_33run_length_encode_config_selectorItjNS0_4plusIjEEEEZZNS1_33reduce_by_key_impl_wrapped_configILNS1_25lookback_scan_determinismE0ES3_S7_PKtNS0_17constant_iteratorIjlEEPtPlSF_S6_NS0_8equal_toItEEEE10hipError_tPvRmT2_T3_mT4_T5_T6_T7_T8_P12ihipStream_tbENKUlT_T0_E_clISt17integral_constantIbLb1EESY_IbLb0EEEEDaSU_SV_EUlSU_E_NS1_11comp_targetILNS1_3genE3ELNS1_11target_archE908ELNS1_3gpuE7ELNS1_3repE0EEENS1_30default_config_static_selectorELNS0_4arch9wavefront6targetE1EEEvT1_,"axG",@progbits,_ZN7rocprim17ROCPRIM_400000_NS6detail17trampoline_kernelINS0_14default_configENS1_33run_length_encode_config_selectorItjNS0_4plusIjEEEEZZNS1_33reduce_by_key_impl_wrapped_configILNS1_25lookback_scan_determinismE0ES3_S7_PKtNS0_17constant_iteratorIjlEEPtPlSF_S6_NS0_8equal_toItEEEE10hipError_tPvRmT2_T3_mT4_T5_T6_T7_T8_P12ihipStream_tbENKUlT_T0_E_clISt17integral_constantIbLb1EESY_IbLb0EEEEDaSU_SV_EUlSU_E_NS1_11comp_targetILNS1_3genE3ELNS1_11target_archE908ELNS1_3gpuE7ELNS1_3repE0EEENS1_30default_config_static_selectorELNS0_4arch9wavefront6targetE1EEEvT1_,comdat
	.protected	_ZN7rocprim17ROCPRIM_400000_NS6detail17trampoline_kernelINS0_14default_configENS1_33run_length_encode_config_selectorItjNS0_4plusIjEEEEZZNS1_33reduce_by_key_impl_wrapped_configILNS1_25lookback_scan_determinismE0ES3_S7_PKtNS0_17constant_iteratorIjlEEPtPlSF_S6_NS0_8equal_toItEEEE10hipError_tPvRmT2_T3_mT4_T5_T6_T7_T8_P12ihipStream_tbENKUlT_T0_E_clISt17integral_constantIbLb1EESY_IbLb0EEEEDaSU_SV_EUlSU_E_NS1_11comp_targetILNS1_3genE3ELNS1_11target_archE908ELNS1_3gpuE7ELNS1_3repE0EEENS1_30default_config_static_selectorELNS0_4arch9wavefront6targetE1EEEvT1_ ; -- Begin function _ZN7rocprim17ROCPRIM_400000_NS6detail17trampoline_kernelINS0_14default_configENS1_33run_length_encode_config_selectorItjNS0_4plusIjEEEEZZNS1_33reduce_by_key_impl_wrapped_configILNS1_25lookback_scan_determinismE0ES3_S7_PKtNS0_17constant_iteratorIjlEEPtPlSF_S6_NS0_8equal_toItEEEE10hipError_tPvRmT2_T3_mT4_T5_T6_T7_T8_P12ihipStream_tbENKUlT_T0_E_clISt17integral_constantIbLb1EESY_IbLb0EEEEDaSU_SV_EUlSU_E_NS1_11comp_targetILNS1_3genE3ELNS1_11target_archE908ELNS1_3gpuE7ELNS1_3repE0EEENS1_30default_config_static_selectorELNS0_4arch9wavefront6targetE1EEEvT1_
	.globl	_ZN7rocprim17ROCPRIM_400000_NS6detail17trampoline_kernelINS0_14default_configENS1_33run_length_encode_config_selectorItjNS0_4plusIjEEEEZZNS1_33reduce_by_key_impl_wrapped_configILNS1_25lookback_scan_determinismE0ES3_S7_PKtNS0_17constant_iteratorIjlEEPtPlSF_S6_NS0_8equal_toItEEEE10hipError_tPvRmT2_T3_mT4_T5_T6_T7_T8_P12ihipStream_tbENKUlT_T0_E_clISt17integral_constantIbLb1EESY_IbLb0EEEEDaSU_SV_EUlSU_E_NS1_11comp_targetILNS1_3genE3ELNS1_11target_archE908ELNS1_3gpuE7ELNS1_3repE0EEENS1_30default_config_static_selectorELNS0_4arch9wavefront6targetE1EEEvT1_
	.p2align	8
	.type	_ZN7rocprim17ROCPRIM_400000_NS6detail17trampoline_kernelINS0_14default_configENS1_33run_length_encode_config_selectorItjNS0_4plusIjEEEEZZNS1_33reduce_by_key_impl_wrapped_configILNS1_25lookback_scan_determinismE0ES3_S7_PKtNS0_17constant_iteratorIjlEEPtPlSF_S6_NS0_8equal_toItEEEE10hipError_tPvRmT2_T3_mT4_T5_T6_T7_T8_P12ihipStream_tbENKUlT_T0_E_clISt17integral_constantIbLb1EESY_IbLb0EEEEDaSU_SV_EUlSU_E_NS1_11comp_targetILNS1_3genE3ELNS1_11target_archE908ELNS1_3gpuE7ELNS1_3repE0EEENS1_30default_config_static_selectorELNS0_4arch9wavefront6targetE1EEEvT1_,@function
_ZN7rocprim17ROCPRIM_400000_NS6detail17trampoline_kernelINS0_14default_configENS1_33run_length_encode_config_selectorItjNS0_4plusIjEEEEZZNS1_33reduce_by_key_impl_wrapped_configILNS1_25lookback_scan_determinismE0ES3_S7_PKtNS0_17constant_iteratorIjlEEPtPlSF_S6_NS0_8equal_toItEEEE10hipError_tPvRmT2_T3_mT4_T5_T6_T7_T8_P12ihipStream_tbENKUlT_T0_E_clISt17integral_constantIbLb1EESY_IbLb0EEEEDaSU_SV_EUlSU_E_NS1_11comp_targetILNS1_3genE3ELNS1_11target_archE908ELNS1_3gpuE7ELNS1_3repE0EEENS1_30default_config_static_selectorELNS0_4arch9wavefront6targetE1EEEvT1_: ; @_ZN7rocprim17ROCPRIM_400000_NS6detail17trampoline_kernelINS0_14default_configENS1_33run_length_encode_config_selectorItjNS0_4plusIjEEEEZZNS1_33reduce_by_key_impl_wrapped_configILNS1_25lookback_scan_determinismE0ES3_S7_PKtNS0_17constant_iteratorIjlEEPtPlSF_S6_NS0_8equal_toItEEEE10hipError_tPvRmT2_T3_mT4_T5_T6_T7_T8_P12ihipStream_tbENKUlT_T0_E_clISt17integral_constantIbLb1EESY_IbLb0EEEEDaSU_SV_EUlSU_E_NS1_11comp_targetILNS1_3genE3ELNS1_11target_archE908ELNS1_3gpuE7ELNS1_3repE0EEENS1_30default_config_static_selectorELNS0_4arch9wavefront6targetE1EEEvT1_
; %bb.0:
	.section	.rodata,"a",@progbits
	.p2align	6, 0x0
	.amdhsa_kernel _ZN7rocprim17ROCPRIM_400000_NS6detail17trampoline_kernelINS0_14default_configENS1_33run_length_encode_config_selectorItjNS0_4plusIjEEEEZZNS1_33reduce_by_key_impl_wrapped_configILNS1_25lookback_scan_determinismE0ES3_S7_PKtNS0_17constant_iteratorIjlEEPtPlSF_S6_NS0_8equal_toItEEEE10hipError_tPvRmT2_T3_mT4_T5_T6_T7_T8_P12ihipStream_tbENKUlT_T0_E_clISt17integral_constantIbLb1EESY_IbLb0EEEEDaSU_SV_EUlSU_E_NS1_11comp_targetILNS1_3genE3ELNS1_11target_archE908ELNS1_3gpuE7ELNS1_3repE0EEENS1_30default_config_static_selectorELNS0_4arch9wavefront6targetE1EEEvT1_
		.amdhsa_group_segment_fixed_size 0
		.amdhsa_private_segment_fixed_size 0
		.amdhsa_kernarg_size 128
		.amdhsa_user_sgpr_count 6
		.amdhsa_user_sgpr_private_segment_buffer 1
		.amdhsa_user_sgpr_dispatch_ptr 0
		.amdhsa_user_sgpr_queue_ptr 0
		.amdhsa_user_sgpr_kernarg_segment_ptr 1
		.amdhsa_user_sgpr_dispatch_id 0
		.amdhsa_user_sgpr_flat_scratch_init 0
		.amdhsa_user_sgpr_kernarg_preload_length 0
		.amdhsa_user_sgpr_kernarg_preload_offset 0
		.amdhsa_user_sgpr_private_segment_size 0
		.amdhsa_uses_dynamic_stack 0
		.amdhsa_system_sgpr_private_segment_wavefront_offset 0
		.amdhsa_system_sgpr_workgroup_id_x 1
		.amdhsa_system_sgpr_workgroup_id_y 0
		.amdhsa_system_sgpr_workgroup_id_z 0
		.amdhsa_system_sgpr_workgroup_info 0
		.amdhsa_system_vgpr_workitem_id 0
		.amdhsa_next_free_vgpr 1
		.amdhsa_next_free_sgpr 0
		.amdhsa_accum_offset 4
		.amdhsa_reserve_vcc 0
		.amdhsa_reserve_flat_scratch 0
		.amdhsa_float_round_mode_32 0
		.amdhsa_float_round_mode_16_64 0
		.amdhsa_float_denorm_mode_32 3
		.amdhsa_float_denorm_mode_16_64 3
		.amdhsa_dx10_clamp 1
		.amdhsa_ieee_mode 1
		.amdhsa_fp16_overflow 0
		.amdhsa_tg_split 0
		.amdhsa_exception_fp_ieee_invalid_op 0
		.amdhsa_exception_fp_denorm_src 0
		.amdhsa_exception_fp_ieee_div_zero 0
		.amdhsa_exception_fp_ieee_overflow 0
		.amdhsa_exception_fp_ieee_underflow 0
		.amdhsa_exception_fp_ieee_inexact 0
		.amdhsa_exception_int_div_zero 0
	.end_amdhsa_kernel
	.section	.text._ZN7rocprim17ROCPRIM_400000_NS6detail17trampoline_kernelINS0_14default_configENS1_33run_length_encode_config_selectorItjNS0_4plusIjEEEEZZNS1_33reduce_by_key_impl_wrapped_configILNS1_25lookback_scan_determinismE0ES3_S7_PKtNS0_17constant_iteratorIjlEEPtPlSF_S6_NS0_8equal_toItEEEE10hipError_tPvRmT2_T3_mT4_T5_T6_T7_T8_P12ihipStream_tbENKUlT_T0_E_clISt17integral_constantIbLb1EESY_IbLb0EEEEDaSU_SV_EUlSU_E_NS1_11comp_targetILNS1_3genE3ELNS1_11target_archE908ELNS1_3gpuE7ELNS1_3repE0EEENS1_30default_config_static_selectorELNS0_4arch9wavefront6targetE1EEEvT1_,"axG",@progbits,_ZN7rocprim17ROCPRIM_400000_NS6detail17trampoline_kernelINS0_14default_configENS1_33run_length_encode_config_selectorItjNS0_4plusIjEEEEZZNS1_33reduce_by_key_impl_wrapped_configILNS1_25lookback_scan_determinismE0ES3_S7_PKtNS0_17constant_iteratorIjlEEPtPlSF_S6_NS0_8equal_toItEEEE10hipError_tPvRmT2_T3_mT4_T5_T6_T7_T8_P12ihipStream_tbENKUlT_T0_E_clISt17integral_constantIbLb1EESY_IbLb0EEEEDaSU_SV_EUlSU_E_NS1_11comp_targetILNS1_3genE3ELNS1_11target_archE908ELNS1_3gpuE7ELNS1_3repE0EEENS1_30default_config_static_selectorELNS0_4arch9wavefront6targetE1EEEvT1_,comdat
.Lfunc_end808:
	.size	_ZN7rocprim17ROCPRIM_400000_NS6detail17trampoline_kernelINS0_14default_configENS1_33run_length_encode_config_selectorItjNS0_4plusIjEEEEZZNS1_33reduce_by_key_impl_wrapped_configILNS1_25lookback_scan_determinismE0ES3_S7_PKtNS0_17constant_iteratorIjlEEPtPlSF_S6_NS0_8equal_toItEEEE10hipError_tPvRmT2_T3_mT4_T5_T6_T7_T8_P12ihipStream_tbENKUlT_T0_E_clISt17integral_constantIbLb1EESY_IbLb0EEEEDaSU_SV_EUlSU_E_NS1_11comp_targetILNS1_3genE3ELNS1_11target_archE908ELNS1_3gpuE7ELNS1_3repE0EEENS1_30default_config_static_selectorELNS0_4arch9wavefront6targetE1EEEvT1_, .Lfunc_end808-_ZN7rocprim17ROCPRIM_400000_NS6detail17trampoline_kernelINS0_14default_configENS1_33run_length_encode_config_selectorItjNS0_4plusIjEEEEZZNS1_33reduce_by_key_impl_wrapped_configILNS1_25lookback_scan_determinismE0ES3_S7_PKtNS0_17constant_iteratorIjlEEPtPlSF_S6_NS0_8equal_toItEEEE10hipError_tPvRmT2_T3_mT4_T5_T6_T7_T8_P12ihipStream_tbENKUlT_T0_E_clISt17integral_constantIbLb1EESY_IbLb0EEEEDaSU_SV_EUlSU_E_NS1_11comp_targetILNS1_3genE3ELNS1_11target_archE908ELNS1_3gpuE7ELNS1_3repE0EEENS1_30default_config_static_selectorELNS0_4arch9wavefront6targetE1EEEvT1_
                                        ; -- End function
	.section	.AMDGPU.csdata,"",@progbits
; Kernel info:
; codeLenInByte = 0
; NumSgprs: 4
; NumVgprs: 0
; NumAgprs: 0
; TotalNumVgprs: 0
; ScratchSize: 0
; MemoryBound: 0
; FloatMode: 240
; IeeeMode: 1
; LDSByteSize: 0 bytes/workgroup (compile time only)
; SGPRBlocks: 0
; VGPRBlocks: 0
; NumSGPRsForWavesPerEU: 4
; NumVGPRsForWavesPerEU: 1
; AccumOffset: 4
; Occupancy: 8
; WaveLimiterHint : 0
; COMPUTE_PGM_RSRC2:SCRATCH_EN: 0
; COMPUTE_PGM_RSRC2:USER_SGPR: 6
; COMPUTE_PGM_RSRC2:TRAP_HANDLER: 0
; COMPUTE_PGM_RSRC2:TGID_X_EN: 1
; COMPUTE_PGM_RSRC2:TGID_Y_EN: 0
; COMPUTE_PGM_RSRC2:TGID_Z_EN: 0
; COMPUTE_PGM_RSRC2:TIDIG_COMP_CNT: 0
; COMPUTE_PGM_RSRC3_GFX90A:ACCUM_OFFSET: 0
; COMPUTE_PGM_RSRC3_GFX90A:TG_SPLIT: 0
	.section	.text._ZN7rocprim17ROCPRIM_400000_NS6detail17trampoline_kernelINS0_14default_configENS1_33run_length_encode_config_selectorItjNS0_4plusIjEEEEZZNS1_33reduce_by_key_impl_wrapped_configILNS1_25lookback_scan_determinismE0ES3_S7_PKtNS0_17constant_iteratorIjlEEPtPlSF_S6_NS0_8equal_toItEEEE10hipError_tPvRmT2_T3_mT4_T5_T6_T7_T8_P12ihipStream_tbENKUlT_T0_E_clISt17integral_constantIbLb1EESY_IbLb0EEEEDaSU_SV_EUlSU_E_NS1_11comp_targetILNS1_3genE2ELNS1_11target_archE906ELNS1_3gpuE6ELNS1_3repE0EEENS1_30default_config_static_selectorELNS0_4arch9wavefront6targetE1EEEvT1_,"axG",@progbits,_ZN7rocprim17ROCPRIM_400000_NS6detail17trampoline_kernelINS0_14default_configENS1_33run_length_encode_config_selectorItjNS0_4plusIjEEEEZZNS1_33reduce_by_key_impl_wrapped_configILNS1_25lookback_scan_determinismE0ES3_S7_PKtNS0_17constant_iteratorIjlEEPtPlSF_S6_NS0_8equal_toItEEEE10hipError_tPvRmT2_T3_mT4_T5_T6_T7_T8_P12ihipStream_tbENKUlT_T0_E_clISt17integral_constantIbLb1EESY_IbLb0EEEEDaSU_SV_EUlSU_E_NS1_11comp_targetILNS1_3genE2ELNS1_11target_archE906ELNS1_3gpuE6ELNS1_3repE0EEENS1_30default_config_static_selectorELNS0_4arch9wavefront6targetE1EEEvT1_,comdat
	.protected	_ZN7rocprim17ROCPRIM_400000_NS6detail17trampoline_kernelINS0_14default_configENS1_33run_length_encode_config_selectorItjNS0_4plusIjEEEEZZNS1_33reduce_by_key_impl_wrapped_configILNS1_25lookback_scan_determinismE0ES3_S7_PKtNS0_17constant_iteratorIjlEEPtPlSF_S6_NS0_8equal_toItEEEE10hipError_tPvRmT2_T3_mT4_T5_T6_T7_T8_P12ihipStream_tbENKUlT_T0_E_clISt17integral_constantIbLb1EESY_IbLb0EEEEDaSU_SV_EUlSU_E_NS1_11comp_targetILNS1_3genE2ELNS1_11target_archE906ELNS1_3gpuE6ELNS1_3repE0EEENS1_30default_config_static_selectorELNS0_4arch9wavefront6targetE1EEEvT1_ ; -- Begin function _ZN7rocprim17ROCPRIM_400000_NS6detail17trampoline_kernelINS0_14default_configENS1_33run_length_encode_config_selectorItjNS0_4plusIjEEEEZZNS1_33reduce_by_key_impl_wrapped_configILNS1_25lookback_scan_determinismE0ES3_S7_PKtNS0_17constant_iteratorIjlEEPtPlSF_S6_NS0_8equal_toItEEEE10hipError_tPvRmT2_T3_mT4_T5_T6_T7_T8_P12ihipStream_tbENKUlT_T0_E_clISt17integral_constantIbLb1EESY_IbLb0EEEEDaSU_SV_EUlSU_E_NS1_11comp_targetILNS1_3genE2ELNS1_11target_archE906ELNS1_3gpuE6ELNS1_3repE0EEENS1_30default_config_static_selectorELNS0_4arch9wavefront6targetE1EEEvT1_
	.globl	_ZN7rocprim17ROCPRIM_400000_NS6detail17trampoline_kernelINS0_14default_configENS1_33run_length_encode_config_selectorItjNS0_4plusIjEEEEZZNS1_33reduce_by_key_impl_wrapped_configILNS1_25lookback_scan_determinismE0ES3_S7_PKtNS0_17constant_iteratorIjlEEPtPlSF_S6_NS0_8equal_toItEEEE10hipError_tPvRmT2_T3_mT4_T5_T6_T7_T8_P12ihipStream_tbENKUlT_T0_E_clISt17integral_constantIbLb1EESY_IbLb0EEEEDaSU_SV_EUlSU_E_NS1_11comp_targetILNS1_3genE2ELNS1_11target_archE906ELNS1_3gpuE6ELNS1_3repE0EEENS1_30default_config_static_selectorELNS0_4arch9wavefront6targetE1EEEvT1_
	.p2align	8
	.type	_ZN7rocprim17ROCPRIM_400000_NS6detail17trampoline_kernelINS0_14default_configENS1_33run_length_encode_config_selectorItjNS0_4plusIjEEEEZZNS1_33reduce_by_key_impl_wrapped_configILNS1_25lookback_scan_determinismE0ES3_S7_PKtNS0_17constant_iteratorIjlEEPtPlSF_S6_NS0_8equal_toItEEEE10hipError_tPvRmT2_T3_mT4_T5_T6_T7_T8_P12ihipStream_tbENKUlT_T0_E_clISt17integral_constantIbLb1EESY_IbLb0EEEEDaSU_SV_EUlSU_E_NS1_11comp_targetILNS1_3genE2ELNS1_11target_archE906ELNS1_3gpuE6ELNS1_3repE0EEENS1_30default_config_static_selectorELNS0_4arch9wavefront6targetE1EEEvT1_,@function
_ZN7rocprim17ROCPRIM_400000_NS6detail17trampoline_kernelINS0_14default_configENS1_33run_length_encode_config_selectorItjNS0_4plusIjEEEEZZNS1_33reduce_by_key_impl_wrapped_configILNS1_25lookback_scan_determinismE0ES3_S7_PKtNS0_17constant_iteratorIjlEEPtPlSF_S6_NS0_8equal_toItEEEE10hipError_tPvRmT2_T3_mT4_T5_T6_T7_T8_P12ihipStream_tbENKUlT_T0_E_clISt17integral_constantIbLb1EESY_IbLb0EEEEDaSU_SV_EUlSU_E_NS1_11comp_targetILNS1_3genE2ELNS1_11target_archE906ELNS1_3gpuE6ELNS1_3repE0EEENS1_30default_config_static_selectorELNS0_4arch9wavefront6targetE1EEEvT1_: ; @_ZN7rocprim17ROCPRIM_400000_NS6detail17trampoline_kernelINS0_14default_configENS1_33run_length_encode_config_selectorItjNS0_4plusIjEEEEZZNS1_33reduce_by_key_impl_wrapped_configILNS1_25lookback_scan_determinismE0ES3_S7_PKtNS0_17constant_iteratorIjlEEPtPlSF_S6_NS0_8equal_toItEEEE10hipError_tPvRmT2_T3_mT4_T5_T6_T7_T8_P12ihipStream_tbENKUlT_T0_E_clISt17integral_constantIbLb1EESY_IbLb0EEEEDaSU_SV_EUlSU_E_NS1_11comp_targetILNS1_3genE2ELNS1_11target_archE906ELNS1_3gpuE6ELNS1_3repE0EEENS1_30default_config_static_selectorELNS0_4arch9wavefront6targetE1EEEvT1_
; %bb.0:
	.section	.rodata,"a",@progbits
	.p2align	6, 0x0
	.amdhsa_kernel _ZN7rocprim17ROCPRIM_400000_NS6detail17trampoline_kernelINS0_14default_configENS1_33run_length_encode_config_selectorItjNS0_4plusIjEEEEZZNS1_33reduce_by_key_impl_wrapped_configILNS1_25lookback_scan_determinismE0ES3_S7_PKtNS0_17constant_iteratorIjlEEPtPlSF_S6_NS0_8equal_toItEEEE10hipError_tPvRmT2_T3_mT4_T5_T6_T7_T8_P12ihipStream_tbENKUlT_T0_E_clISt17integral_constantIbLb1EESY_IbLb0EEEEDaSU_SV_EUlSU_E_NS1_11comp_targetILNS1_3genE2ELNS1_11target_archE906ELNS1_3gpuE6ELNS1_3repE0EEENS1_30default_config_static_selectorELNS0_4arch9wavefront6targetE1EEEvT1_
		.amdhsa_group_segment_fixed_size 0
		.amdhsa_private_segment_fixed_size 0
		.amdhsa_kernarg_size 128
		.amdhsa_user_sgpr_count 6
		.amdhsa_user_sgpr_private_segment_buffer 1
		.amdhsa_user_sgpr_dispatch_ptr 0
		.amdhsa_user_sgpr_queue_ptr 0
		.amdhsa_user_sgpr_kernarg_segment_ptr 1
		.amdhsa_user_sgpr_dispatch_id 0
		.amdhsa_user_sgpr_flat_scratch_init 0
		.amdhsa_user_sgpr_kernarg_preload_length 0
		.amdhsa_user_sgpr_kernarg_preload_offset 0
		.amdhsa_user_sgpr_private_segment_size 0
		.amdhsa_uses_dynamic_stack 0
		.amdhsa_system_sgpr_private_segment_wavefront_offset 0
		.amdhsa_system_sgpr_workgroup_id_x 1
		.amdhsa_system_sgpr_workgroup_id_y 0
		.amdhsa_system_sgpr_workgroup_id_z 0
		.amdhsa_system_sgpr_workgroup_info 0
		.amdhsa_system_vgpr_workitem_id 0
		.amdhsa_next_free_vgpr 1
		.amdhsa_next_free_sgpr 0
		.amdhsa_accum_offset 4
		.amdhsa_reserve_vcc 0
		.amdhsa_reserve_flat_scratch 0
		.amdhsa_float_round_mode_32 0
		.amdhsa_float_round_mode_16_64 0
		.amdhsa_float_denorm_mode_32 3
		.amdhsa_float_denorm_mode_16_64 3
		.amdhsa_dx10_clamp 1
		.amdhsa_ieee_mode 1
		.amdhsa_fp16_overflow 0
		.amdhsa_tg_split 0
		.amdhsa_exception_fp_ieee_invalid_op 0
		.amdhsa_exception_fp_denorm_src 0
		.amdhsa_exception_fp_ieee_div_zero 0
		.amdhsa_exception_fp_ieee_overflow 0
		.amdhsa_exception_fp_ieee_underflow 0
		.amdhsa_exception_fp_ieee_inexact 0
		.amdhsa_exception_int_div_zero 0
	.end_amdhsa_kernel
	.section	.text._ZN7rocprim17ROCPRIM_400000_NS6detail17trampoline_kernelINS0_14default_configENS1_33run_length_encode_config_selectorItjNS0_4plusIjEEEEZZNS1_33reduce_by_key_impl_wrapped_configILNS1_25lookback_scan_determinismE0ES3_S7_PKtNS0_17constant_iteratorIjlEEPtPlSF_S6_NS0_8equal_toItEEEE10hipError_tPvRmT2_T3_mT4_T5_T6_T7_T8_P12ihipStream_tbENKUlT_T0_E_clISt17integral_constantIbLb1EESY_IbLb0EEEEDaSU_SV_EUlSU_E_NS1_11comp_targetILNS1_3genE2ELNS1_11target_archE906ELNS1_3gpuE6ELNS1_3repE0EEENS1_30default_config_static_selectorELNS0_4arch9wavefront6targetE1EEEvT1_,"axG",@progbits,_ZN7rocprim17ROCPRIM_400000_NS6detail17trampoline_kernelINS0_14default_configENS1_33run_length_encode_config_selectorItjNS0_4plusIjEEEEZZNS1_33reduce_by_key_impl_wrapped_configILNS1_25lookback_scan_determinismE0ES3_S7_PKtNS0_17constant_iteratorIjlEEPtPlSF_S6_NS0_8equal_toItEEEE10hipError_tPvRmT2_T3_mT4_T5_T6_T7_T8_P12ihipStream_tbENKUlT_T0_E_clISt17integral_constantIbLb1EESY_IbLb0EEEEDaSU_SV_EUlSU_E_NS1_11comp_targetILNS1_3genE2ELNS1_11target_archE906ELNS1_3gpuE6ELNS1_3repE0EEENS1_30default_config_static_selectorELNS0_4arch9wavefront6targetE1EEEvT1_,comdat
.Lfunc_end809:
	.size	_ZN7rocprim17ROCPRIM_400000_NS6detail17trampoline_kernelINS0_14default_configENS1_33run_length_encode_config_selectorItjNS0_4plusIjEEEEZZNS1_33reduce_by_key_impl_wrapped_configILNS1_25lookback_scan_determinismE0ES3_S7_PKtNS0_17constant_iteratorIjlEEPtPlSF_S6_NS0_8equal_toItEEEE10hipError_tPvRmT2_T3_mT4_T5_T6_T7_T8_P12ihipStream_tbENKUlT_T0_E_clISt17integral_constantIbLb1EESY_IbLb0EEEEDaSU_SV_EUlSU_E_NS1_11comp_targetILNS1_3genE2ELNS1_11target_archE906ELNS1_3gpuE6ELNS1_3repE0EEENS1_30default_config_static_selectorELNS0_4arch9wavefront6targetE1EEEvT1_, .Lfunc_end809-_ZN7rocprim17ROCPRIM_400000_NS6detail17trampoline_kernelINS0_14default_configENS1_33run_length_encode_config_selectorItjNS0_4plusIjEEEEZZNS1_33reduce_by_key_impl_wrapped_configILNS1_25lookback_scan_determinismE0ES3_S7_PKtNS0_17constant_iteratorIjlEEPtPlSF_S6_NS0_8equal_toItEEEE10hipError_tPvRmT2_T3_mT4_T5_T6_T7_T8_P12ihipStream_tbENKUlT_T0_E_clISt17integral_constantIbLb1EESY_IbLb0EEEEDaSU_SV_EUlSU_E_NS1_11comp_targetILNS1_3genE2ELNS1_11target_archE906ELNS1_3gpuE6ELNS1_3repE0EEENS1_30default_config_static_selectorELNS0_4arch9wavefront6targetE1EEEvT1_
                                        ; -- End function
	.section	.AMDGPU.csdata,"",@progbits
; Kernel info:
; codeLenInByte = 0
; NumSgprs: 4
; NumVgprs: 0
; NumAgprs: 0
; TotalNumVgprs: 0
; ScratchSize: 0
; MemoryBound: 0
; FloatMode: 240
; IeeeMode: 1
; LDSByteSize: 0 bytes/workgroup (compile time only)
; SGPRBlocks: 0
; VGPRBlocks: 0
; NumSGPRsForWavesPerEU: 4
; NumVGPRsForWavesPerEU: 1
; AccumOffset: 4
; Occupancy: 8
; WaveLimiterHint : 0
; COMPUTE_PGM_RSRC2:SCRATCH_EN: 0
; COMPUTE_PGM_RSRC2:USER_SGPR: 6
; COMPUTE_PGM_RSRC2:TRAP_HANDLER: 0
; COMPUTE_PGM_RSRC2:TGID_X_EN: 1
; COMPUTE_PGM_RSRC2:TGID_Y_EN: 0
; COMPUTE_PGM_RSRC2:TGID_Z_EN: 0
; COMPUTE_PGM_RSRC2:TIDIG_COMP_CNT: 0
; COMPUTE_PGM_RSRC3_GFX90A:ACCUM_OFFSET: 0
; COMPUTE_PGM_RSRC3_GFX90A:TG_SPLIT: 0
	.section	.text._ZN7rocprim17ROCPRIM_400000_NS6detail17trampoline_kernelINS0_14default_configENS1_33run_length_encode_config_selectorItjNS0_4plusIjEEEEZZNS1_33reduce_by_key_impl_wrapped_configILNS1_25lookback_scan_determinismE0ES3_S7_PKtNS0_17constant_iteratorIjlEEPtPlSF_S6_NS0_8equal_toItEEEE10hipError_tPvRmT2_T3_mT4_T5_T6_T7_T8_P12ihipStream_tbENKUlT_T0_E_clISt17integral_constantIbLb1EESY_IbLb0EEEEDaSU_SV_EUlSU_E_NS1_11comp_targetILNS1_3genE10ELNS1_11target_archE1201ELNS1_3gpuE5ELNS1_3repE0EEENS1_30default_config_static_selectorELNS0_4arch9wavefront6targetE1EEEvT1_,"axG",@progbits,_ZN7rocprim17ROCPRIM_400000_NS6detail17trampoline_kernelINS0_14default_configENS1_33run_length_encode_config_selectorItjNS0_4plusIjEEEEZZNS1_33reduce_by_key_impl_wrapped_configILNS1_25lookback_scan_determinismE0ES3_S7_PKtNS0_17constant_iteratorIjlEEPtPlSF_S6_NS0_8equal_toItEEEE10hipError_tPvRmT2_T3_mT4_T5_T6_T7_T8_P12ihipStream_tbENKUlT_T0_E_clISt17integral_constantIbLb1EESY_IbLb0EEEEDaSU_SV_EUlSU_E_NS1_11comp_targetILNS1_3genE10ELNS1_11target_archE1201ELNS1_3gpuE5ELNS1_3repE0EEENS1_30default_config_static_selectorELNS0_4arch9wavefront6targetE1EEEvT1_,comdat
	.protected	_ZN7rocprim17ROCPRIM_400000_NS6detail17trampoline_kernelINS0_14default_configENS1_33run_length_encode_config_selectorItjNS0_4plusIjEEEEZZNS1_33reduce_by_key_impl_wrapped_configILNS1_25lookback_scan_determinismE0ES3_S7_PKtNS0_17constant_iteratorIjlEEPtPlSF_S6_NS0_8equal_toItEEEE10hipError_tPvRmT2_T3_mT4_T5_T6_T7_T8_P12ihipStream_tbENKUlT_T0_E_clISt17integral_constantIbLb1EESY_IbLb0EEEEDaSU_SV_EUlSU_E_NS1_11comp_targetILNS1_3genE10ELNS1_11target_archE1201ELNS1_3gpuE5ELNS1_3repE0EEENS1_30default_config_static_selectorELNS0_4arch9wavefront6targetE1EEEvT1_ ; -- Begin function _ZN7rocprim17ROCPRIM_400000_NS6detail17trampoline_kernelINS0_14default_configENS1_33run_length_encode_config_selectorItjNS0_4plusIjEEEEZZNS1_33reduce_by_key_impl_wrapped_configILNS1_25lookback_scan_determinismE0ES3_S7_PKtNS0_17constant_iteratorIjlEEPtPlSF_S6_NS0_8equal_toItEEEE10hipError_tPvRmT2_T3_mT4_T5_T6_T7_T8_P12ihipStream_tbENKUlT_T0_E_clISt17integral_constantIbLb1EESY_IbLb0EEEEDaSU_SV_EUlSU_E_NS1_11comp_targetILNS1_3genE10ELNS1_11target_archE1201ELNS1_3gpuE5ELNS1_3repE0EEENS1_30default_config_static_selectorELNS0_4arch9wavefront6targetE1EEEvT1_
	.globl	_ZN7rocprim17ROCPRIM_400000_NS6detail17trampoline_kernelINS0_14default_configENS1_33run_length_encode_config_selectorItjNS0_4plusIjEEEEZZNS1_33reduce_by_key_impl_wrapped_configILNS1_25lookback_scan_determinismE0ES3_S7_PKtNS0_17constant_iteratorIjlEEPtPlSF_S6_NS0_8equal_toItEEEE10hipError_tPvRmT2_T3_mT4_T5_T6_T7_T8_P12ihipStream_tbENKUlT_T0_E_clISt17integral_constantIbLb1EESY_IbLb0EEEEDaSU_SV_EUlSU_E_NS1_11comp_targetILNS1_3genE10ELNS1_11target_archE1201ELNS1_3gpuE5ELNS1_3repE0EEENS1_30default_config_static_selectorELNS0_4arch9wavefront6targetE1EEEvT1_
	.p2align	8
	.type	_ZN7rocprim17ROCPRIM_400000_NS6detail17trampoline_kernelINS0_14default_configENS1_33run_length_encode_config_selectorItjNS0_4plusIjEEEEZZNS1_33reduce_by_key_impl_wrapped_configILNS1_25lookback_scan_determinismE0ES3_S7_PKtNS0_17constant_iteratorIjlEEPtPlSF_S6_NS0_8equal_toItEEEE10hipError_tPvRmT2_T3_mT4_T5_T6_T7_T8_P12ihipStream_tbENKUlT_T0_E_clISt17integral_constantIbLb1EESY_IbLb0EEEEDaSU_SV_EUlSU_E_NS1_11comp_targetILNS1_3genE10ELNS1_11target_archE1201ELNS1_3gpuE5ELNS1_3repE0EEENS1_30default_config_static_selectorELNS0_4arch9wavefront6targetE1EEEvT1_,@function
_ZN7rocprim17ROCPRIM_400000_NS6detail17trampoline_kernelINS0_14default_configENS1_33run_length_encode_config_selectorItjNS0_4plusIjEEEEZZNS1_33reduce_by_key_impl_wrapped_configILNS1_25lookback_scan_determinismE0ES3_S7_PKtNS0_17constant_iteratorIjlEEPtPlSF_S6_NS0_8equal_toItEEEE10hipError_tPvRmT2_T3_mT4_T5_T6_T7_T8_P12ihipStream_tbENKUlT_T0_E_clISt17integral_constantIbLb1EESY_IbLb0EEEEDaSU_SV_EUlSU_E_NS1_11comp_targetILNS1_3genE10ELNS1_11target_archE1201ELNS1_3gpuE5ELNS1_3repE0EEENS1_30default_config_static_selectorELNS0_4arch9wavefront6targetE1EEEvT1_: ; @_ZN7rocprim17ROCPRIM_400000_NS6detail17trampoline_kernelINS0_14default_configENS1_33run_length_encode_config_selectorItjNS0_4plusIjEEEEZZNS1_33reduce_by_key_impl_wrapped_configILNS1_25lookback_scan_determinismE0ES3_S7_PKtNS0_17constant_iteratorIjlEEPtPlSF_S6_NS0_8equal_toItEEEE10hipError_tPvRmT2_T3_mT4_T5_T6_T7_T8_P12ihipStream_tbENKUlT_T0_E_clISt17integral_constantIbLb1EESY_IbLb0EEEEDaSU_SV_EUlSU_E_NS1_11comp_targetILNS1_3genE10ELNS1_11target_archE1201ELNS1_3gpuE5ELNS1_3repE0EEENS1_30default_config_static_selectorELNS0_4arch9wavefront6targetE1EEEvT1_
; %bb.0:
	.section	.rodata,"a",@progbits
	.p2align	6, 0x0
	.amdhsa_kernel _ZN7rocprim17ROCPRIM_400000_NS6detail17trampoline_kernelINS0_14default_configENS1_33run_length_encode_config_selectorItjNS0_4plusIjEEEEZZNS1_33reduce_by_key_impl_wrapped_configILNS1_25lookback_scan_determinismE0ES3_S7_PKtNS0_17constant_iteratorIjlEEPtPlSF_S6_NS0_8equal_toItEEEE10hipError_tPvRmT2_T3_mT4_T5_T6_T7_T8_P12ihipStream_tbENKUlT_T0_E_clISt17integral_constantIbLb1EESY_IbLb0EEEEDaSU_SV_EUlSU_E_NS1_11comp_targetILNS1_3genE10ELNS1_11target_archE1201ELNS1_3gpuE5ELNS1_3repE0EEENS1_30default_config_static_selectorELNS0_4arch9wavefront6targetE1EEEvT1_
		.amdhsa_group_segment_fixed_size 0
		.amdhsa_private_segment_fixed_size 0
		.amdhsa_kernarg_size 128
		.amdhsa_user_sgpr_count 6
		.amdhsa_user_sgpr_private_segment_buffer 1
		.amdhsa_user_sgpr_dispatch_ptr 0
		.amdhsa_user_sgpr_queue_ptr 0
		.amdhsa_user_sgpr_kernarg_segment_ptr 1
		.amdhsa_user_sgpr_dispatch_id 0
		.amdhsa_user_sgpr_flat_scratch_init 0
		.amdhsa_user_sgpr_kernarg_preload_length 0
		.amdhsa_user_sgpr_kernarg_preload_offset 0
		.amdhsa_user_sgpr_private_segment_size 0
		.amdhsa_uses_dynamic_stack 0
		.amdhsa_system_sgpr_private_segment_wavefront_offset 0
		.amdhsa_system_sgpr_workgroup_id_x 1
		.amdhsa_system_sgpr_workgroup_id_y 0
		.amdhsa_system_sgpr_workgroup_id_z 0
		.amdhsa_system_sgpr_workgroup_info 0
		.amdhsa_system_vgpr_workitem_id 0
		.amdhsa_next_free_vgpr 1
		.amdhsa_next_free_sgpr 0
		.amdhsa_accum_offset 4
		.amdhsa_reserve_vcc 0
		.amdhsa_reserve_flat_scratch 0
		.amdhsa_float_round_mode_32 0
		.amdhsa_float_round_mode_16_64 0
		.amdhsa_float_denorm_mode_32 3
		.amdhsa_float_denorm_mode_16_64 3
		.amdhsa_dx10_clamp 1
		.amdhsa_ieee_mode 1
		.amdhsa_fp16_overflow 0
		.amdhsa_tg_split 0
		.amdhsa_exception_fp_ieee_invalid_op 0
		.amdhsa_exception_fp_denorm_src 0
		.amdhsa_exception_fp_ieee_div_zero 0
		.amdhsa_exception_fp_ieee_overflow 0
		.amdhsa_exception_fp_ieee_underflow 0
		.amdhsa_exception_fp_ieee_inexact 0
		.amdhsa_exception_int_div_zero 0
	.end_amdhsa_kernel
	.section	.text._ZN7rocprim17ROCPRIM_400000_NS6detail17trampoline_kernelINS0_14default_configENS1_33run_length_encode_config_selectorItjNS0_4plusIjEEEEZZNS1_33reduce_by_key_impl_wrapped_configILNS1_25lookback_scan_determinismE0ES3_S7_PKtNS0_17constant_iteratorIjlEEPtPlSF_S6_NS0_8equal_toItEEEE10hipError_tPvRmT2_T3_mT4_T5_T6_T7_T8_P12ihipStream_tbENKUlT_T0_E_clISt17integral_constantIbLb1EESY_IbLb0EEEEDaSU_SV_EUlSU_E_NS1_11comp_targetILNS1_3genE10ELNS1_11target_archE1201ELNS1_3gpuE5ELNS1_3repE0EEENS1_30default_config_static_selectorELNS0_4arch9wavefront6targetE1EEEvT1_,"axG",@progbits,_ZN7rocprim17ROCPRIM_400000_NS6detail17trampoline_kernelINS0_14default_configENS1_33run_length_encode_config_selectorItjNS0_4plusIjEEEEZZNS1_33reduce_by_key_impl_wrapped_configILNS1_25lookback_scan_determinismE0ES3_S7_PKtNS0_17constant_iteratorIjlEEPtPlSF_S6_NS0_8equal_toItEEEE10hipError_tPvRmT2_T3_mT4_T5_T6_T7_T8_P12ihipStream_tbENKUlT_T0_E_clISt17integral_constantIbLb1EESY_IbLb0EEEEDaSU_SV_EUlSU_E_NS1_11comp_targetILNS1_3genE10ELNS1_11target_archE1201ELNS1_3gpuE5ELNS1_3repE0EEENS1_30default_config_static_selectorELNS0_4arch9wavefront6targetE1EEEvT1_,comdat
.Lfunc_end810:
	.size	_ZN7rocprim17ROCPRIM_400000_NS6detail17trampoline_kernelINS0_14default_configENS1_33run_length_encode_config_selectorItjNS0_4plusIjEEEEZZNS1_33reduce_by_key_impl_wrapped_configILNS1_25lookback_scan_determinismE0ES3_S7_PKtNS0_17constant_iteratorIjlEEPtPlSF_S6_NS0_8equal_toItEEEE10hipError_tPvRmT2_T3_mT4_T5_T6_T7_T8_P12ihipStream_tbENKUlT_T0_E_clISt17integral_constantIbLb1EESY_IbLb0EEEEDaSU_SV_EUlSU_E_NS1_11comp_targetILNS1_3genE10ELNS1_11target_archE1201ELNS1_3gpuE5ELNS1_3repE0EEENS1_30default_config_static_selectorELNS0_4arch9wavefront6targetE1EEEvT1_, .Lfunc_end810-_ZN7rocprim17ROCPRIM_400000_NS6detail17trampoline_kernelINS0_14default_configENS1_33run_length_encode_config_selectorItjNS0_4plusIjEEEEZZNS1_33reduce_by_key_impl_wrapped_configILNS1_25lookback_scan_determinismE0ES3_S7_PKtNS0_17constant_iteratorIjlEEPtPlSF_S6_NS0_8equal_toItEEEE10hipError_tPvRmT2_T3_mT4_T5_T6_T7_T8_P12ihipStream_tbENKUlT_T0_E_clISt17integral_constantIbLb1EESY_IbLb0EEEEDaSU_SV_EUlSU_E_NS1_11comp_targetILNS1_3genE10ELNS1_11target_archE1201ELNS1_3gpuE5ELNS1_3repE0EEENS1_30default_config_static_selectorELNS0_4arch9wavefront6targetE1EEEvT1_
                                        ; -- End function
	.section	.AMDGPU.csdata,"",@progbits
; Kernel info:
; codeLenInByte = 0
; NumSgprs: 4
; NumVgprs: 0
; NumAgprs: 0
; TotalNumVgprs: 0
; ScratchSize: 0
; MemoryBound: 0
; FloatMode: 240
; IeeeMode: 1
; LDSByteSize: 0 bytes/workgroup (compile time only)
; SGPRBlocks: 0
; VGPRBlocks: 0
; NumSGPRsForWavesPerEU: 4
; NumVGPRsForWavesPerEU: 1
; AccumOffset: 4
; Occupancy: 8
; WaveLimiterHint : 0
; COMPUTE_PGM_RSRC2:SCRATCH_EN: 0
; COMPUTE_PGM_RSRC2:USER_SGPR: 6
; COMPUTE_PGM_RSRC2:TRAP_HANDLER: 0
; COMPUTE_PGM_RSRC2:TGID_X_EN: 1
; COMPUTE_PGM_RSRC2:TGID_Y_EN: 0
; COMPUTE_PGM_RSRC2:TGID_Z_EN: 0
; COMPUTE_PGM_RSRC2:TIDIG_COMP_CNT: 0
; COMPUTE_PGM_RSRC3_GFX90A:ACCUM_OFFSET: 0
; COMPUTE_PGM_RSRC3_GFX90A:TG_SPLIT: 0
	.section	.text._ZN7rocprim17ROCPRIM_400000_NS6detail17trampoline_kernelINS0_14default_configENS1_33run_length_encode_config_selectorItjNS0_4plusIjEEEEZZNS1_33reduce_by_key_impl_wrapped_configILNS1_25lookback_scan_determinismE0ES3_S7_PKtNS0_17constant_iteratorIjlEEPtPlSF_S6_NS0_8equal_toItEEEE10hipError_tPvRmT2_T3_mT4_T5_T6_T7_T8_P12ihipStream_tbENKUlT_T0_E_clISt17integral_constantIbLb1EESY_IbLb0EEEEDaSU_SV_EUlSU_E_NS1_11comp_targetILNS1_3genE10ELNS1_11target_archE1200ELNS1_3gpuE4ELNS1_3repE0EEENS1_30default_config_static_selectorELNS0_4arch9wavefront6targetE1EEEvT1_,"axG",@progbits,_ZN7rocprim17ROCPRIM_400000_NS6detail17trampoline_kernelINS0_14default_configENS1_33run_length_encode_config_selectorItjNS0_4plusIjEEEEZZNS1_33reduce_by_key_impl_wrapped_configILNS1_25lookback_scan_determinismE0ES3_S7_PKtNS0_17constant_iteratorIjlEEPtPlSF_S6_NS0_8equal_toItEEEE10hipError_tPvRmT2_T3_mT4_T5_T6_T7_T8_P12ihipStream_tbENKUlT_T0_E_clISt17integral_constantIbLb1EESY_IbLb0EEEEDaSU_SV_EUlSU_E_NS1_11comp_targetILNS1_3genE10ELNS1_11target_archE1200ELNS1_3gpuE4ELNS1_3repE0EEENS1_30default_config_static_selectorELNS0_4arch9wavefront6targetE1EEEvT1_,comdat
	.protected	_ZN7rocprim17ROCPRIM_400000_NS6detail17trampoline_kernelINS0_14default_configENS1_33run_length_encode_config_selectorItjNS0_4plusIjEEEEZZNS1_33reduce_by_key_impl_wrapped_configILNS1_25lookback_scan_determinismE0ES3_S7_PKtNS0_17constant_iteratorIjlEEPtPlSF_S6_NS0_8equal_toItEEEE10hipError_tPvRmT2_T3_mT4_T5_T6_T7_T8_P12ihipStream_tbENKUlT_T0_E_clISt17integral_constantIbLb1EESY_IbLb0EEEEDaSU_SV_EUlSU_E_NS1_11comp_targetILNS1_3genE10ELNS1_11target_archE1200ELNS1_3gpuE4ELNS1_3repE0EEENS1_30default_config_static_selectorELNS0_4arch9wavefront6targetE1EEEvT1_ ; -- Begin function _ZN7rocprim17ROCPRIM_400000_NS6detail17trampoline_kernelINS0_14default_configENS1_33run_length_encode_config_selectorItjNS0_4plusIjEEEEZZNS1_33reduce_by_key_impl_wrapped_configILNS1_25lookback_scan_determinismE0ES3_S7_PKtNS0_17constant_iteratorIjlEEPtPlSF_S6_NS0_8equal_toItEEEE10hipError_tPvRmT2_T3_mT4_T5_T6_T7_T8_P12ihipStream_tbENKUlT_T0_E_clISt17integral_constantIbLb1EESY_IbLb0EEEEDaSU_SV_EUlSU_E_NS1_11comp_targetILNS1_3genE10ELNS1_11target_archE1200ELNS1_3gpuE4ELNS1_3repE0EEENS1_30default_config_static_selectorELNS0_4arch9wavefront6targetE1EEEvT1_
	.globl	_ZN7rocprim17ROCPRIM_400000_NS6detail17trampoline_kernelINS0_14default_configENS1_33run_length_encode_config_selectorItjNS0_4plusIjEEEEZZNS1_33reduce_by_key_impl_wrapped_configILNS1_25lookback_scan_determinismE0ES3_S7_PKtNS0_17constant_iteratorIjlEEPtPlSF_S6_NS0_8equal_toItEEEE10hipError_tPvRmT2_T3_mT4_T5_T6_T7_T8_P12ihipStream_tbENKUlT_T0_E_clISt17integral_constantIbLb1EESY_IbLb0EEEEDaSU_SV_EUlSU_E_NS1_11comp_targetILNS1_3genE10ELNS1_11target_archE1200ELNS1_3gpuE4ELNS1_3repE0EEENS1_30default_config_static_selectorELNS0_4arch9wavefront6targetE1EEEvT1_
	.p2align	8
	.type	_ZN7rocprim17ROCPRIM_400000_NS6detail17trampoline_kernelINS0_14default_configENS1_33run_length_encode_config_selectorItjNS0_4plusIjEEEEZZNS1_33reduce_by_key_impl_wrapped_configILNS1_25lookback_scan_determinismE0ES3_S7_PKtNS0_17constant_iteratorIjlEEPtPlSF_S6_NS0_8equal_toItEEEE10hipError_tPvRmT2_T3_mT4_T5_T6_T7_T8_P12ihipStream_tbENKUlT_T0_E_clISt17integral_constantIbLb1EESY_IbLb0EEEEDaSU_SV_EUlSU_E_NS1_11comp_targetILNS1_3genE10ELNS1_11target_archE1200ELNS1_3gpuE4ELNS1_3repE0EEENS1_30default_config_static_selectorELNS0_4arch9wavefront6targetE1EEEvT1_,@function
_ZN7rocprim17ROCPRIM_400000_NS6detail17trampoline_kernelINS0_14default_configENS1_33run_length_encode_config_selectorItjNS0_4plusIjEEEEZZNS1_33reduce_by_key_impl_wrapped_configILNS1_25lookback_scan_determinismE0ES3_S7_PKtNS0_17constant_iteratorIjlEEPtPlSF_S6_NS0_8equal_toItEEEE10hipError_tPvRmT2_T3_mT4_T5_T6_T7_T8_P12ihipStream_tbENKUlT_T0_E_clISt17integral_constantIbLb1EESY_IbLb0EEEEDaSU_SV_EUlSU_E_NS1_11comp_targetILNS1_3genE10ELNS1_11target_archE1200ELNS1_3gpuE4ELNS1_3repE0EEENS1_30default_config_static_selectorELNS0_4arch9wavefront6targetE1EEEvT1_: ; @_ZN7rocprim17ROCPRIM_400000_NS6detail17trampoline_kernelINS0_14default_configENS1_33run_length_encode_config_selectorItjNS0_4plusIjEEEEZZNS1_33reduce_by_key_impl_wrapped_configILNS1_25lookback_scan_determinismE0ES3_S7_PKtNS0_17constant_iteratorIjlEEPtPlSF_S6_NS0_8equal_toItEEEE10hipError_tPvRmT2_T3_mT4_T5_T6_T7_T8_P12ihipStream_tbENKUlT_T0_E_clISt17integral_constantIbLb1EESY_IbLb0EEEEDaSU_SV_EUlSU_E_NS1_11comp_targetILNS1_3genE10ELNS1_11target_archE1200ELNS1_3gpuE4ELNS1_3repE0EEENS1_30default_config_static_selectorELNS0_4arch9wavefront6targetE1EEEvT1_
; %bb.0:
	.section	.rodata,"a",@progbits
	.p2align	6, 0x0
	.amdhsa_kernel _ZN7rocprim17ROCPRIM_400000_NS6detail17trampoline_kernelINS0_14default_configENS1_33run_length_encode_config_selectorItjNS0_4plusIjEEEEZZNS1_33reduce_by_key_impl_wrapped_configILNS1_25lookback_scan_determinismE0ES3_S7_PKtNS0_17constant_iteratorIjlEEPtPlSF_S6_NS0_8equal_toItEEEE10hipError_tPvRmT2_T3_mT4_T5_T6_T7_T8_P12ihipStream_tbENKUlT_T0_E_clISt17integral_constantIbLb1EESY_IbLb0EEEEDaSU_SV_EUlSU_E_NS1_11comp_targetILNS1_3genE10ELNS1_11target_archE1200ELNS1_3gpuE4ELNS1_3repE0EEENS1_30default_config_static_selectorELNS0_4arch9wavefront6targetE1EEEvT1_
		.amdhsa_group_segment_fixed_size 0
		.amdhsa_private_segment_fixed_size 0
		.amdhsa_kernarg_size 128
		.amdhsa_user_sgpr_count 6
		.amdhsa_user_sgpr_private_segment_buffer 1
		.amdhsa_user_sgpr_dispatch_ptr 0
		.amdhsa_user_sgpr_queue_ptr 0
		.amdhsa_user_sgpr_kernarg_segment_ptr 1
		.amdhsa_user_sgpr_dispatch_id 0
		.amdhsa_user_sgpr_flat_scratch_init 0
		.amdhsa_user_sgpr_kernarg_preload_length 0
		.amdhsa_user_sgpr_kernarg_preload_offset 0
		.amdhsa_user_sgpr_private_segment_size 0
		.amdhsa_uses_dynamic_stack 0
		.amdhsa_system_sgpr_private_segment_wavefront_offset 0
		.amdhsa_system_sgpr_workgroup_id_x 1
		.amdhsa_system_sgpr_workgroup_id_y 0
		.amdhsa_system_sgpr_workgroup_id_z 0
		.amdhsa_system_sgpr_workgroup_info 0
		.amdhsa_system_vgpr_workitem_id 0
		.amdhsa_next_free_vgpr 1
		.amdhsa_next_free_sgpr 0
		.amdhsa_accum_offset 4
		.amdhsa_reserve_vcc 0
		.amdhsa_reserve_flat_scratch 0
		.amdhsa_float_round_mode_32 0
		.amdhsa_float_round_mode_16_64 0
		.amdhsa_float_denorm_mode_32 3
		.amdhsa_float_denorm_mode_16_64 3
		.amdhsa_dx10_clamp 1
		.amdhsa_ieee_mode 1
		.amdhsa_fp16_overflow 0
		.amdhsa_tg_split 0
		.amdhsa_exception_fp_ieee_invalid_op 0
		.amdhsa_exception_fp_denorm_src 0
		.amdhsa_exception_fp_ieee_div_zero 0
		.amdhsa_exception_fp_ieee_overflow 0
		.amdhsa_exception_fp_ieee_underflow 0
		.amdhsa_exception_fp_ieee_inexact 0
		.amdhsa_exception_int_div_zero 0
	.end_amdhsa_kernel
	.section	.text._ZN7rocprim17ROCPRIM_400000_NS6detail17trampoline_kernelINS0_14default_configENS1_33run_length_encode_config_selectorItjNS0_4plusIjEEEEZZNS1_33reduce_by_key_impl_wrapped_configILNS1_25lookback_scan_determinismE0ES3_S7_PKtNS0_17constant_iteratorIjlEEPtPlSF_S6_NS0_8equal_toItEEEE10hipError_tPvRmT2_T3_mT4_T5_T6_T7_T8_P12ihipStream_tbENKUlT_T0_E_clISt17integral_constantIbLb1EESY_IbLb0EEEEDaSU_SV_EUlSU_E_NS1_11comp_targetILNS1_3genE10ELNS1_11target_archE1200ELNS1_3gpuE4ELNS1_3repE0EEENS1_30default_config_static_selectorELNS0_4arch9wavefront6targetE1EEEvT1_,"axG",@progbits,_ZN7rocprim17ROCPRIM_400000_NS6detail17trampoline_kernelINS0_14default_configENS1_33run_length_encode_config_selectorItjNS0_4plusIjEEEEZZNS1_33reduce_by_key_impl_wrapped_configILNS1_25lookback_scan_determinismE0ES3_S7_PKtNS0_17constant_iteratorIjlEEPtPlSF_S6_NS0_8equal_toItEEEE10hipError_tPvRmT2_T3_mT4_T5_T6_T7_T8_P12ihipStream_tbENKUlT_T0_E_clISt17integral_constantIbLb1EESY_IbLb0EEEEDaSU_SV_EUlSU_E_NS1_11comp_targetILNS1_3genE10ELNS1_11target_archE1200ELNS1_3gpuE4ELNS1_3repE0EEENS1_30default_config_static_selectorELNS0_4arch9wavefront6targetE1EEEvT1_,comdat
.Lfunc_end811:
	.size	_ZN7rocprim17ROCPRIM_400000_NS6detail17trampoline_kernelINS0_14default_configENS1_33run_length_encode_config_selectorItjNS0_4plusIjEEEEZZNS1_33reduce_by_key_impl_wrapped_configILNS1_25lookback_scan_determinismE0ES3_S7_PKtNS0_17constant_iteratorIjlEEPtPlSF_S6_NS0_8equal_toItEEEE10hipError_tPvRmT2_T3_mT4_T5_T6_T7_T8_P12ihipStream_tbENKUlT_T0_E_clISt17integral_constantIbLb1EESY_IbLb0EEEEDaSU_SV_EUlSU_E_NS1_11comp_targetILNS1_3genE10ELNS1_11target_archE1200ELNS1_3gpuE4ELNS1_3repE0EEENS1_30default_config_static_selectorELNS0_4arch9wavefront6targetE1EEEvT1_, .Lfunc_end811-_ZN7rocprim17ROCPRIM_400000_NS6detail17trampoline_kernelINS0_14default_configENS1_33run_length_encode_config_selectorItjNS0_4plusIjEEEEZZNS1_33reduce_by_key_impl_wrapped_configILNS1_25lookback_scan_determinismE0ES3_S7_PKtNS0_17constant_iteratorIjlEEPtPlSF_S6_NS0_8equal_toItEEEE10hipError_tPvRmT2_T3_mT4_T5_T6_T7_T8_P12ihipStream_tbENKUlT_T0_E_clISt17integral_constantIbLb1EESY_IbLb0EEEEDaSU_SV_EUlSU_E_NS1_11comp_targetILNS1_3genE10ELNS1_11target_archE1200ELNS1_3gpuE4ELNS1_3repE0EEENS1_30default_config_static_selectorELNS0_4arch9wavefront6targetE1EEEvT1_
                                        ; -- End function
	.section	.AMDGPU.csdata,"",@progbits
; Kernel info:
; codeLenInByte = 0
; NumSgprs: 4
; NumVgprs: 0
; NumAgprs: 0
; TotalNumVgprs: 0
; ScratchSize: 0
; MemoryBound: 0
; FloatMode: 240
; IeeeMode: 1
; LDSByteSize: 0 bytes/workgroup (compile time only)
; SGPRBlocks: 0
; VGPRBlocks: 0
; NumSGPRsForWavesPerEU: 4
; NumVGPRsForWavesPerEU: 1
; AccumOffset: 4
; Occupancy: 8
; WaveLimiterHint : 0
; COMPUTE_PGM_RSRC2:SCRATCH_EN: 0
; COMPUTE_PGM_RSRC2:USER_SGPR: 6
; COMPUTE_PGM_RSRC2:TRAP_HANDLER: 0
; COMPUTE_PGM_RSRC2:TGID_X_EN: 1
; COMPUTE_PGM_RSRC2:TGID_Y_EN: 0
; COMPUTE_PGM_RSRC2:TGID_Z_EN: 0
; COMPUTE_PGM_RSRC2:TIDIG_COMP_CNT: 0
; COMPUTE_PGM_RSRC3_GFX90A:ACCUM_OFFSET: 0
; COMPUTE_PGM_RSRC3_GFX90A:TG_SPLIT: 0
	.section	.text._ZN7rocprim17ROCPRIM_400000_NS6detail17trampoline_kernelINS0_14default_configENS1_33run_length_encode_config_selectorItjNS0_4plusIjEEEEZZNS1_33reduce_by_key_impl_wrapped_configILNS1_25lookback_scan_determinismE0ES3_S7_PKtNS0_17constant_iteratorIjlEEPtPlSF_S6_NS0_8equal_toItEEEE10hipError_tPvRmT2_T3_mT4_T5_T6_T7_T8_P12ihipStream_tbENKUlT_T0_E_clISt17integral_constantIbLb1EESY_IbLb0EEEEDaSU_SV_EUlSU_E_NS1_11comp_targetILNS1_3genE9ELNS1_11target_archE1100ELNS1_3gpuE3ELNS1_3repE0EEENS1_30default_config_static_selectorELNS0_4arch9wavefront6targetE1EEEvT1_,"axG",@progbits,_ZN7rocprim17ROCPRIM_400000_NS6detail17trampoline_kernelINS0_14default_configENS1_33run_length_encode_config_selectorItjNS0_4plusIjEEEEZZNS1_33reduce_by_key_impl_wrapped_configILNS1_25lookback_scan_determinismE0ES3_S7_PKtNS0_17constant_iteratorIjlEEPtPlSF_S6_NS0_8equal_toItEEEE10hipError_tPvRmT2_T3_mT4_T5_T6_T7_T8_P12ihipStream_tbENKUlT_T0_E_clISt17integral_constantIbLb1EESY_IbLb0EEEEDaSU_SV_EUlSU_E_NS1_11comp_targetILNS1_3genE9ELNS1_11target_archE1100ELNS1_3gpuE3ELNS1_3repE0EEENS1_30default_config_static_selectorELNS0_4arch9wavefront6targetE1EEEvT1_,comdat
	.protected	_ZN7rocprim17ROCPRIM_400000_NS6detail17trampoline_kernelINS0_14default_configENS1_33run_length_encode_config_selectorItjNS0_4plusIjEEEEZZNS1_33reduce_by_key_impl_wrapped_configILNS1_25lookback_scan_determinismE0ES3_S7_PKtNS0_17constant_iteratorIjlEEPtPlSF_S6_NS0_8equal_toItEEEE10hipError_tPvRmT2_T3_mT4_T5_T6_T7_T8_P12ihipStream_tbENKUlT_T0_E_clISt17integral_constantIbLb1EESY_IbLb0EEEEDaSU_SV_EUlSU_E_NS1_11comp_targetILNS1_3genE9ELNS1_11target_archE1100ELNS1_3gpuE3ELNS1_3repE0EEENS1_30default_config_static_selectorELNS0_4arch9wavefront6targetE1EEEvT1_ ; -- Begin function _ZN7rocprim17ROCPRIM_400000_NS6detail17trampoline_kernelINS0_14default_configENS1_33run_length_encode_config_selectorItjNS0_4plusIjEEEEZZNS1_33reduce_by_key_impl_wrapped_configILNS1_25lookback_scan_determinismE0ES3_S7_PKtNS0_17constant_iteratorIjlEEPtPlSF_S6_NS0_8equal_toItEEEE10hipError_tPvRmT2_T3_mT4_T5_T6_T7_T8_P12ihipStream_tbENKUlT_T0_E_clISt17integral_constantIbLb1EESY_IbLb0EEEEDaSU_SV_EUlSU_E_NS1_11comp_targetILNS1_3genE9ELNS1_11target_archE1100ELNS1_3gpuE3ELNS1_3repE0EEENS1_30default_config_static_selectorELNS0_4arch9wavefront6targetE1EEEvT1_
	.globl	_ZN7rocprim17ROCPRIM_400000_NS6detail17trampoline_kernelINS0_14default_configENS1_33run_length_encode_config_selectorItjNS0_4plusIjEEEEZZNS1_33reduce_by_key_impl_wrapped_configILNS1_25lookback_scan_determinismE0ES3_S7_PKtNS0_17constant_iteratorIjlEEPtPlSF_S6_NS0_8equal_toItEEEE10hipError_tPvRmT2_T3_mT4_T5_T6_T7_T8_P12ihipStream_tbENKUlT_T0_E_clISt17integral_constantIbLb1EESY_IbLb0EEEEDaSU_SV_EUlSU_E_NS1_11comp_targetILNS1_3genE9ELNS1_11target_archE1100ELNS1_3gpuE3ELNS1_3repE0EEENS1_30default_config_static_selectorELNS0_4arch9wavefront6targetE1EEEvT1_
	.p2align	8
	.type	_ZN7rocprim17ROCPRIM_400000_NS6detail17trampoline_kernelINS0_14default_configENS1_33run_length_encode_config_selectorItjNS0_4plusIjEEEEZZNS1_33reduce_by_key_impl_wrapped_configILNS1_25lookback_scan_determinismE0ES3_S7_PKtNS0_17constant_iteratorIjlEEPtPlSF_S6_NS0_8equal_toItEEEE10hipError_tPvRmT2_T3_mT4_T5_T6_T7_T8_P12ihipStream_tbENKUlT_T0_E_clISt17integral_constantIbLb1EESY_IbLb0EEEEDaSU_SV_EUlSU_E_NS1_11comp_targetILNS1_3genE9ELNS1_11target_archE1100ELNS1_3gpuE3ELNS1_3repE0EEENS1_30default_config_static_selectorELNS0_4arch9wavefront6targetE1EEEvT1_,@function
_ZN7rocprim17ROCPRIM_400000_NS6detail17trampoline_kernelINS0_14default_configENS1_33run_length_encode_config_selectorItjNS0_4plusIjEEEEZZNS1_33reduce_by_key_impl_wrapped_configILNS1_25lookback_scan_determinismE0ES3_S7_PKtNS0_17constant_iteratorIjlEEPtPlSF_S6_NS0_8equal_toItEEEE10hipError_tPvRmT2_T3_mT4_T5_T6_T7_T8_P12ihipStream_tbENKUlT_T0_E_clISt17integral_constantIbLb1EESY_IbLb0EEEEDaSU_SV_EUlSU_E_NS1_11comp_targetILNS1_3genE9ELNS1_11target_archE1100ELNS1_3gpuE3ELNS1_3repE0EEENS1_30default_config_static_selectorELNS0_4arch9wavefront6targetE1EEEvT1_: ; @_ZN7rocprim17ROCPRIM_400000_NS6detail17trampoline_kernelINS0_14default_configENS1_33run_length_encode_config_selectorItjNS0_4plusIjEEEEZZNS1_33reduce_by_key_impl_wrapped_configILNS1_25lookback_scan_determinismE0ES3_S7_PKtNS0_17constant_iteratorIjlEEPtPlSF_S6_NS0_8equal_toItEEEE10hipError_tPvRmT2_T3_mT4_T5_T6_T7_T8_P12ihipStream_tbENKUlT_T0_E_clISt17integral_constantIbLb1EESY_IbLb0EEEEDaSU_SV_EUlSU_E_NS1_11comp_targetILNS1_3genE9ELNS1_11target_archE1100ELNS1_3gpuE3ELNS1_3repE0EEENS1_30default_config_static_selectorELNS0_4arch9wavefront6targetE1EEEvT1_
; %bb.0:
	.section	.rodata,"a",@progbits
	.p2align	6, 0x0
	.amdhsa_kernel _ZN7rocprim17ROCPRIM_400000_NS6detail17trampoline_kernelINS0_14default_configENS1_33run_length_encode_config_selectorItjNS0_4plusIjEEEEZZNS1_33reduce_by_key_impl_wrapped_configILNS1_25lookback_scan_determinismE0ES3_S7_PKtNS0_17constant_iteratorIjlEEPtPlSF_S6_NS0_8equal_toItEEEE10hipError_tPvRmT2_T3_mT4_T5_T6_T7_T8_P12ihipStream_tbENKUlT_T0_E_clISt17integral_constantIbLb1EESY_IbLb0EEEEDaSU_SV_EUlSU_E_NS1_11comp_targetILNS1_3genE9ELNS1_11target_archE1100ELNS1_3gpuE3ELNS1_3repE0EEENS1_30default_config_static_selectorELNS0_4arch9wavefront6targetE1EEEvT1_
		.amdhsa_group_segment_fixed_size 0
		.amdhsa_private_segment_fixed_size 0
		.amdhsa_kernarg_size 128
		.amdhsa_user_sgpr_count 6
		.amdhsa_user_sgpr_private_segment_buffer 1
		.amdhsa_user_sgpr_dispatch_ptr 0
		.amdhsa_user_sgpr_queue_ptr 0
		.amdhsa_user_sgpr_kernarg_segment_ptr 1
		.amdhsa_user_sgpr_dispatch_id 0
		.amdhsa_user_sgpr_flat_scratch_init 0
		.amdhsa_user_sgpr_kernarg_preload_length 0
		.amdhsa_user_sgpr_kernarg_preload_offset 0
		.amdhsa_user_sgpr_private_segment_size 0
		.amdhsa_uses_dynamic_stack 0
		.amdhsa_system_sgpr_private_segment_wavefront_offset 0
		.amdhsa_system_sgpr_workgroup_id_x 1
		.amdhsa_system_sgpr_workgroup_id_y 0
		.amdhsa_system_sgpr_workgroup_id_z 0
		.amdhsa_system_sgpr_workgroup_info 0
		.amdhsa_system_vgpr_workitem_id 0
		.amdhsa_next_free_vgpr 1
		.amdhsa_next_free_sgpr 0
		.amdhsa_accum_offset 4
		.amdhsa_reserve_vcc 0
		.amdhsa_reserve_flat_scratch 0
		.amdhsa_float_round_mode_32 0
		.amdhsa_float_round_mode_16_64 0
		.amdhsa_float_denorm_mode_32 3
		.amdhsa_float_denorm_mode_16_64 3
		.amdhsa_dx10_clamp 1
		.amdhsa_ieee_mode 1
		.amdhsa_fp16_overflow 0
		.amdhsa_tg_split 0
		.amdhsa_exception_fp_ieee_invalid_op 0
		.amdhsa_exception_fp_denorm_src 0
		.amdhsa_exception_fp_ieee_div_zero 0
		.amdhsa_exception_fp_ieee_overflow 0
		.amdhsa_exception_fp_ieee_underflow 0
		.amdhsa_exception_fp_ieee_inexact 0
		.amdhsa_exception_int_div_zero 0
	.end_amdhsa_kernel
	.section	.text._ZN7rocprim17ROCPRIM_400000_NS6detail17trampoline_kernelINS0_14default_configENS1_33run_length_encode_config_selectorItjNS0_4plusIjEEEEZZNS1_33reduce_by_key_impl_wrapped_configILNS1_25lookback_scan_determinismE0ES3_S7_PKtNS0_17constant_iteratorIjlEEPtPlSF_S6_NS0_8equal_toItEEEE10hipError_tPvRmT2_T3_mT4_T5_T6_T7_T8_P12ihipStream_tbENKUlT_T0_E_clISt17integral_constantIbLb1EESY_IbLb0EEEEDaSU_SV_EUlSU_E_NS1_11comp_targetILNS1_3genE9ELNS1_11target_archE1100ELNS1_3gpuE3ELNS1_3repE0EEENS1_30default_config_static_selectorELNS0_4arch9wavefront6targetE1EEEvT1_,"axG",@progbits,_ZN7rocprim17ROCPRIM_400000_NS6detail17trampoline_kernelINS0_14default_configENS1_33run_length_encode_config_selectorItjNS0_4plusIjEEEEZZNS1_33reduce_by_key_impl_wrapped_configILNS1_25lookback_scan_determinismE0ES3_S7_PKtNS0_17constant_iteratorIjlEEPtPlSF_S6_NS0_8equal_toItEEEE10hipError_tPvRmT2_T3_mT4_T5_T6_T7_T8_P12ihipStream_tbENKUlT_T0_E_clISt17integral_constantIbLb1EESY_IbLb0EEEEDaSU_SV_EUlSU_E_NS1_11comp_targetILNS1_3genE9ELNS1_11target_archE1100ELNS1_3gpuE3ELNS1_3repE0EEENS1_30default_config_static_selectorELNS0_4arch9wavefront6targetE1EEEvT1_,comdat
.Lfunc_end812:
	.size	_ZN7rocprim17ROCPRIM_400000_NS6detail17trampoline_kernelINS0_14default_configENS1_33run_length_encode_config_selectorItjNS0_4plusIjEEEEZZNS1_33reduce_by_key_impl_wrapped_configILNS1_25lookback_scan_determinismE0ES3_S7_PKtNS0_17constant_iteratorIjlEEPtPlSF_S6_NS0_8equal_toItEEEE10hipError_tPvRmT2_T3_mT4_T5_T6_T7_T8_P12ihipStream_tbENKUlT_T0_E_clISt17integral_constantIbLb1EESY_IbLb0EEEEDaSU_SV_EUlSU_E_NS1_11comp_targetILNS1_3genE9ELNS1_11target_archE1100ELNS1_3gpuE3ELNS1_3repE0EEENS1_30default_config_static_selectorELNS0_4arch9wavefront6targetE1EEEvT1_, .Lfunc_end812-_ZN7rocprim17ROCPRIM_400000_NS6detail17trampoline_kernelINS0_14default_configENS1_33run_length_encode_config_selectorItjNS0_4plusIjEEEEZZNS1_33reduce_by_key_impl_wrapped_configILNS1_25lookback_scan_determinismE0ES3_S7_PKtNS0_17constant_iteratorIjlEEPtPlSF_S6_NS0_8equal_toItEEEE10hipError_tPvRmT2_T3_mT4_T5_T6_T7_T8_P12ihipStream_tbENKUlT_T0_E_clISt17integral_constantIbLb1EESY_IbLb0EEEEDaSU_SV_EUlSU_E_NS1_11comp_targetILNS1_3genE9ELNS1_11target_archE1100ELNS1_3gpuE3ELNS1_3repE0EEENS1_30default_config_static_selectorELNS0_4arch9wavefront6targetE1EEEvT1_
                                        ; -- End function
	.section	.AMDGPU.csdata,"",@progbits
; Kernel info:
; codeLenInByte = 0
; NumSgprs: 4
; NumVgprs: 0
; NumAgprs: 0
; TotalNumVgprs: 0
; ScratchSize: 0
; MemoryBound: 0
; FloatMode: 240
; IeeeMode: 1
; LDSByteSize: 0 bytes/workgroup (compile time only)
; SGPRBlocks: 0
; VGPRBlocks: 0
; NumSGPRsForWavesPerEU: 4
; NumVGPRsForWavesPerEU: 1
; AccumOffset: 4
; Occupancy: 8
; WaveLimiterHint : 0
; COMPUTE_PGM_RSRC2:SCRATCH_EN: 0
; COMPUTE_PGM_RSRC2:USER_SGPR: 6
; COMPUTE_PGM_RSRC2:TRAP_HANDLER: 0
; COMPUTE_PGM_RSRC2:TGID_X_EN: 1
; COMPUTE_PGM_RSRC2:TGID_Y_EN: 0
; COMPUTE_PGM_RSRC2:TGID_Z_EN: 0
; COMPUTE_PGM_RSRC2:TIDIG_COMP_CNT: 0
; COMPUTE_PGM_RSRC3_GFX90A:ACCUM_OFFSET: 0
; COMPUTE_PGM_RSRC3_GFX90A:TG_SPLIT: 0
	.section	.text._ZN7rocprim17ROCPRIM_400000_NS6detail17trampoline_kernelINS0_14default_configENS1_33run_length_encode_config_selectorItjNS0_4plusIjEEEEZZNS1_33reduce_by_key_impl_wrapped_configILNS1_25lookback_scan_determinismE0ES3_S7_PKtNS0_17constant_iteratorIjlEEPtPlSF_S6_NS0_8equal_toItEEEE10hipError_tPvRmT2_T3_mT4_T5_T6_T7_T8_P12ihipStream_tbENKUlT_T0_E_clISt17integral_constantIbLb1EESY_IbLb0EEEEDaSU_SV_EUlSU_E_NS1_11comp_targetILNS1_3genE8ELNS1_11target_archE1030ELNS1_3gpuE2ELNS1_3repE0EEENS1_30default_config_static_selectorELNS0_4arch9wavefront6targetE1EEEvT1_,"axG",@progbits,_ZN7rocprim17ROCPRIM_400000_NS6detail17trampoline_kernelINS0_14default_configENS1_33run_length_encode_config_selectorItjNS0_4plusIjEEEEZZNS1_33reduce_by_key_impl_wrapped_configILNS1_25lookback_scan_determinismE0ES3_S7_PKtNS0_17constant_iteratorIjlEEPtPlSF_S6_NS0_8equal_toItEEEE10hipError_tPvRmT2_T3_mT4_T5_T6_T7_T8_P12ihipStream_tbENKUlT_T0_E_clISt17integral_constantIbLb1EESY_IbLb0EEEEDaSU_SV_EUlSU_E_NS1_11comp_targetILNS1_3genE8ELNS1_11target_archE1030ELNS1_3gpuE2ELNS1_3repE0EEENS1_30default_config_static_selectorELNS0_4arch9wavefront6targetE1EEEvT1_,comdat
	.protected	_ZN7rocprim17ROCPRIM_400000_NS6detail17trampoline_kernelINS0_14default_configENS1_33run_length_encode_config_selectorItjNS0_4plusIjEEEEZZNS1_33reduce_by_key_impl_wrapped_configILNS1_25lookback_scan_determinismE0ES3_S7_PKtNS0_17constant_iteratorIjlEEPtPlSF_S6_NS0_8equal_toItEEEE10hipError_tPvRmT2_T3_mT4_T5_T6_T7_T8_P12ihipStream_tbENKUlT_T0_E_clISt17integral_constantIbLb1EESY_IbLb0EEEEDaSU_SV_EUlSU_E_NS1_11comp_targetILNS1_3genE8ELNS1_11target_archE1030ELNS1_3gpuE2ELNS1_3repE0EEENS1_30default_config_static_selectorELNS0_4arch9wavefront6targetE1EEEvT1_ ; -- Begin function _ZN7rocprim17ROCPRIM_400000_NS6detail17trampoline_kernelINS0_14default_configENS1_33run_length_encode_config_selectorItjNS0_4plusIjEEEEZZNS1_33reduce_by_key_impl_wrapped_configILNS1_25lookback_scan_determinismE0ES3_S7_PKtNS0_17constant_iteratorIjlEEPtPlSF_S6_NS0_8equal_toItEEEE10hipError_tPvRmT2_T3_mT4_T5_T6_T7_T8_P12ihipStream_tbENKUlT_T0_E_clISt17integral_constantIbLb1EESY_IbLb0EEEEDaSU_SV_EUlSU_E_NS1_11comp_targetILNS1_3genE8ELNS1_11target_archE1030ELNS1_3gpuE2ELNS1_3repE0EEENS1_30default_config_static_selectorELNS0_4arch9wavefront6targetE1EEEvT1_
	.globl	_ZN7rocprim17ROCPRIM_400000_NS6detail17trampoline_kernelINS0_14default_configENS1_33run_length_encode_config_selectorItjNS0_4plusIjEEEEZZNS1_33reduce_by_key_impl_wrapped_configILNS1_25lookback_scan_determinismE0ES3_S7_PKtNS0_17constant_iteratorIjlEEPtPlSF_S6_NS0_8equal_toItEEEE10hipError_tPvRmT2_T3_mT4_T5_T6_T7_T8_P12ihipStream_tbENKUlT_T0_E_clISt17integral_constantIbLb1EESY_IbLb0EEEEDaSU_SV_EUlSU_E_NS1_11comp_targetILNS1_3genE8ELNS1_11target_archE1030ELNS1_3gpuE2ELNS1_3repE0EEENS1_30default_config_static_selectorELNS0_4arch9wavefront6targetE1EEEvT1_
	.p2align	8
	.type	_ZN7rocprim17ROCPRIM_400000_NS6detail17trampoline_kernelINS0_14default_configENS1_33run_length_encode_config_selectorItjNS0_4plusIjEEEEZZNS1_33reduce_by_key_impl_wrapped_configILNS1_25lookback_scan_determinismE0ES3_S7_PKtNS0_17constant_iteratorIjlEEPtPlSF_S6_NS0_8equal_toItEEEE10hipError_tPvRmT2_T3_mT4_T5_T6_T7_T8_P12ihipStream_tbENKUlT_T0_E_clISt17integral_constantIbLb1EESY_IbLb0EEEEDaSU_SV_EUlSU_E_NS1_11comp_targetILNS1_3genE8ELNS1_11target_archE1030ELNS1_3gpuE2ELNS1_3repE0EEENS1_30default_config_static_selectorELNS0_4arch9wavefront6targetE1EEEvT1_,@function
_ZN7rocprim17ROCPRIM_400000_NS6detail17trampoline_kernelINS0_14default_configENS1_33run_length_encode_config_selectorItjNS0_4plusIjEEEEZZNS1_33reduce_by_key_impl_wrapped_configILNS1_25lookback_scan_determinismE0ES3_S7_PKtNS0_17constant_iteratorIjlEEPtPlSF_S6_NS0_8equal_toItEEEE10hipError_tPvRmT2_T3_mT4_T5_T6_T7_T8_P12ihipStream_tbENKUlT_T0_E_clISt17integral_constantIbLb1EESY_IbLb0EEEEDaSU_SV_EUlSU_E_NS1_11comp_targetILNS1_3genE8ELNS1_11target_archE1030ELNS1_3gpuE2ELNS1_3repE0EEENS1_30default_config_static_selectorELNS0_4arch9wavefront6targetE1EEEvT1_: ; @_ZN7rocprim17ROCPRIM_400000_NS6detail17trampoline_kernelINS0_14default_configENS1_33run_length_encode_config_selectorItjNS0_4plusIjEEEEZZNS1_33reduce_by_key_impl_wrapped_configILNS1_25lookback_scan_determinismE0ES3_S7_PKtNS0_17constant_iteratorIjlEEPtPlSF_S6_NS0_8equal_toItEEEE10hipError_tPvRmT2_T3_mT4_T5_T6_T7_T8_P12ihipStream_tbENKUlT_T0_E_clISt17integral_constantIbLb1EESY_IbLb0EEEEDaSU_SV_EUlSU_E_NS1_11comp_targetILNS1_3genE8ELNS1_11target_archE1030ELNS1_3gpuE2ELNS1_3repE0EEENS1_30default_config_static_selectorELNS0_4arch9wavefront6targetE1EEEvT1_
; %bb.0:
	.section	.rodata,"a",@progbits
	.p2align	6, 0x0
	.amdhsa_kernel _ZN7rocprim17ROCPRIM_400000_NS6detail17trampoline_kernelINS0_14default_configENS1_33run_length_encode_config_selectorItjNS0_4plusIjEEEEZZNS1_33reduce_by_key_impl_wrapped_configILNS1_25lookback_scan_determinismE0ES3_S7_PKtNS0_17constant_iteratorIjlEEPtPlSF_S6_NS0_8equal_toItEEEE10hipError_tPvRmT2_T3_mT4_T5_T6_T7_T8_P12ihipStream_tbENKUlT_T0_E_clISt17integral_constantIbLb1EESY_IbLb0EEEEDaSU_SV_EUlSU_E_NS1_11comp_targetILNS1_3genE8ELNS1_11target_archE1030ELNS1_3gpuE2ELNS1_3repE0EEENS1_30default_config_static_selectorELNS0_4arch9wavefront6targetE1EEEvT1_
		.amdhsa_group_segment_fixed_size 0
		.amdhsa_private_segment_fixed_size 0
		.amdhsa_kernarg_size 128
		.amdhsa_user_sgpr_count 6
		.amdhsa_user_sgpr_private_segment_buffer 1
		.amdhsa_user_sgpr_dispatch_ptr 0
		.amdhsa_user_sgpr_queue_ptr 0
		.amdhsa_user_sgpr_kernarg_segment_ptr 1
		.amdhsa_user_sgpr_dispatch_id 0
		.amdhsa_user_sgpr_flat_scratch_init 0
		.amdhsa_user_sgpr_kernarg_preload_length 0
		.amdhsa_user_sgpr_kernarg_preload_offset 0
		.amdhsa_user_sgpr_private_segment_size 0
		.amdhsa_uses_dynamic_stack 0
		.amdhsa_system_sgpr_private_segment_wavefront_offset 0
		.amdhsa_system_sgpr_workgroup_id_x 1
		.amdhsa_system_sgpr_workgroup_id_y 0
		.amdhsa_system_sgpr_workgroup_id_z 0
		.amdhsa_system_sgpr_workgroup_info 0
		.amdhsa_system_vgpr_workitem_id 0
		.amdhsa_next_free_vgpr 1
		.amdhsa_next_free_sgpr 0
		.amdhsa_accum_offset 4
		.amdhsa_reserve_vcc 0
		.amdhsa_reserve_flat_scratch 0
		.amdhsa_float_round_mode_32 0
		.amdhsa_float_round_mode_16_64 0
		.amdhsa_float_denorm_mode_32 3
		.amdhsa_float_denorm_mode_16_64 3
		.amdhsa_dx10_clamp 1
		.amdhsa_ieee_mode 1
		.amdhsa_fp16_overflow 0
		.amdhsa_tg_split 0
		.amdhsa_exception_fp_ieee_invalid_op 0
		.amdhsa_exception_fp_denorm_src 0
		.amdhsa_exception_fp_ieee_div_zero 0
		.amdhsa_exception_fp_ieee_overflow 0
		.amdhsa_exception_fp_ieee_underflow 0
		.amdhsa_exception_fp_ieee_inexact 0
		.amdhsa_exception_int_div_zero 0
	.end_amdhsa_kernel
	.section	.text._ZN7rocprim17ROCPRIM_400000_NS6detail17trampoline_kernelINS0_14default_configENS1_33run_length_encode_config_selectorItjNS0_4plusIjEEEEZZNS1_33reduce_by_key_impl_wrapped_configILNS1_25lookback_scan_determinismE0ES3_S7_PKtNS0_17constant_iteratorIjlEEPtPlSF_S6_NS0_8equal_toItEEEE10hipError_tPvRmT2_T3_mT4_T5_T6_T7_T8_P12ihipStream_tbENKUlT_T0_E_clISt17integral_constantIbLb1EESY_IbLb0EEEEDaSU_SV_EUlSU_E_NS1_11comp_targetILNS1_3genE8ELNS1_11target_archE1030ELNS1_3gpuE2ELNS1_3repE0EEENS1_30default_config_static_selectorELNS0_4arch9wavefront6targetE1EEEvT1_,"axG",@progbits,_ZN7rocprim17ROCPRIM_400000_NS6detail17trampoline_kernelINS0_14default_configENS1_33run_length_encode_config_selectorItjNS0_4plusIjEEEEZZNS1_33reduce_by_key_impl_wrapped_configILNS1_25lookback_scan_determinismE0ES3_S7_PKtNS0_17constant_iteratorIjlEEPtPlSF_S6_NS0_8equal_toItEEEE10hipError_tPvRmT2_T3_mT4_T5_T6_T7_T8_P12ihipStream_tbENKUlT_T0_E_clISt17integral_constantIbLb1EESY_IbLb0EEEEDaSU_SV_EUlSU_E_NS1_11comp_targetILNS1_3genE8ELNS1_11target_archE1030ELNS1_3gpuE2ELNS1_3repE0EEENS1_30default_config_static_selectorELNS0_4arch9wavefront6targetE1EEEvT1_,comdat
.Lfunc_end813:
	.size	_ZN7rocprim17ROCPRIM_400000_NS6detail17trampoline_kernelINS0_14default_configENS1_33run_length_encode_config_selectorItjNS0_4plusIjEEEEZZNS1_33reduce_by_key_impl_wrapped_configILNS1_25lookback_scan_determinismE0ES3_S7_PKtNS0_17constant_iteratorIjlEEPtPlSF_S6_NS0_8equal_toItEEEE10hipError_tPvRmT2_T3_mT4_T5_T6_T7_T8_P12ihipStream_tbENKUlT_T0_E_clISt17integral_constantIbLb1EESY_IbLb0EEEEDaSU_SV_EUlSU_E_NS1_11comp_targetILNS1_3genE8ELNS1_11target_archE1030ELNS1_3gpuE2ELNS1_3repE0EEENS1_30default_config_static_selectorELNS0_4arch9wavefront6targetE1EEEvT1_, .Lfunc_end813-_ZN7rocprim17ROCPRIM_400000_NS6detail17trampoline_kernelINS0_14default_configENS1_33run_length_encode_config_selectorItjNS0_4plusIjEEEEZZNS1_33reduce_by_key_impl_wrapped_configILNS1_25lookback_scan_determinismE0ES3_S7_PKtNS0_17constant_iteratorIjlEEPtPlSF_S6_NS0_8equal_toItEEEE10hipError_tPvRmT2_T3_mT4_T5_T6_T7_T8_P12ihipStream_tbENKUlT_T0_E_clISt17integral_constantIbLb1EESY_IbLb0EEEEDaSU_SV_EUlSU_E_NS1_11comp_targetILNS1_3genE8ELNS1_11target_archE1030ELNS1_3gpuE2ELNS1_3repE0EEENS1_30default_config_static_selectorELNS0_4arch9wavefront6targetE1EEEvT1_
                                        ; -- End function
	.section	.AMDGPU.csdata,"",@progbits
; Kernel info:
; codeLenInByte = 0
; NumSgprs: 4
; NumVgprs: 0
; NumAgprs: 0
; TotalNumVgprs: 0
; ScratchSize: 0
; MemoryBound: 0
; FloatMode: 240
; IeeeMode: 1
; LDSByteSize: 0 bytes/workgroup (compile time only)
; SGPRBlocks: 0
; VGPRBlocks: 0
; NumSGPRsForWavesPerEU: 4
; NumVGPRsForWavesPerEU: 1
; AccumOffset: 4
; Occupancy: 8
; WaveLimiterHint : 0
; COMPUTE_PGM_RSRC2:SCRATCH_EN: 0
; COMPUTE_PGM_RSRC2:USER_SGPR: 6
; COMPUTE_PGM_RSRC2:TRAP_HANDLER: 0
; COMPUTE_PGM_RSRC2:TGID_X_EN: 1
; COMPUTE_PGM_RSRC2:TGID_Y_EN: 0
; COMPUTE_PGM_RSRC2:TGID_Z_EN: 0
; COMPUTE_PGM_RSRC2:TIDIG_COMP_CNT: 0
; COMPUTE_PGM_RSRC3_GFX90A:ACCUM_OFFSET: 0
; COMPUTE_PGM_RSRC3_GFX90A:TG_SPLIT: 0
	.section	.text._ZN7rocprim17ROCPRIM_400000_NS6detail17trampoline_kernelINS0_14default_configENS1_33run_length_encode_config_selectorItjNS0_4plusIjEEEEZZNS1_33reduce_by_key_impl_wrapped_configILNS1_25lookback_scan_determinismE0ES3_S7_PKtNS0_17constant_iteratorIjlEEPtPlSF_S6_NS0_8equal_toItEEEE10hipError_tPvRmT2_T3_mT4_T5_T6_T7_T8_P12ihipStream_tbENKUlT_T0_E_clISt17integral_constantIbLb0EESY_IbLb1EEEEDaSU_SV_EUlSU_E_NS1_11comp_targetILNS1_3genE0ELNS1_11target_archE4294967295ELNS1_3gpuE0ELNS1_3repE0EEENS1_30default_config_static_selectorELNS0_4arch9wavefront6targetE1EEEvT1_,"axG",@progbits,_ZN7rocprim17ROCPRIM_400000_NS6detail17trampoline_kernelINS0_14default_configENS1_33run_length_encode_config_selectorItjNS0_4plusIjEEEEZZNS1_33reduce_by_key_impl_wrapped_configILNS1_25lookback_scan_determinismE0ES3_S7_PKtNS0_17constant_iteratorIjlEEPtPlSF_S6_NS0_8equal_toItEEEE10hipError_tPvRmT2_T3_mT4_T5_T6_T7_T8_P12ihipStream_tbENKUlT_T0_E_clISt17integral_constantIbLb0EESY_IbLb1EEEEDaSU_SV_EUlSU_E_NS1_11comp_targetILNS1_3genE0ELNS1_11target_archE4294967295ELNS1_3gpuE0ELNS1_3repE0EEENS1_30default_config_static_selectorELNS0_4arch9wavefront6targetE1EEEvT1_,comdat
	.protected	_ZN7rocprim17ROCPRIM_400000_NS6detail17trampoline_kernelINS0_14default_configENS1_33run_length_encode_config_selectorItjNS0_4plusIjEEEEZZNS1_33reduce_by_key_impl_wrapped_configILNS1_25lookback_scan_determinismE0ES3_S7_PKtNS0_17constant_iteratorIjlEEPtPlSF_S6_NS0_8equal_toItEEEE10hipError_tPvRmT2_T3_mT4_T5_T6_T7_T8_P12ihipStream_tbENKUlT_T0_E_clISt17integral_constantIbLb0EESY_IbLb1EEEEDaSU_SV_EUlSU_E_NS1_11comp_targetILNS1_3genE0ELNS1_11target_archE4294967295ELNS1_3gpuE0ELNS1_3repE0EEENS1_30default_config_static_selectorELNS0_4arch9wavefront6targetE1EEEvT1_ ; -- Begin function _ZN7rocprim17ROCPRIM_400000_NS6detail17trampoline_kernelINS0_14default_configENS1_33run_length_encode_config_selectorItjNS0_4plusIjEEEEZZNS1_33reduce_by_key_impl_wrapped_configILNS1_25lookback_scan_determinismE0ES3_S7_PKtNS0_17constant_iteratorIjlEEPtPlSF_S6_NS0_8equal_toItEEEE10hipError_tPvRmT2_T3_mT4_T5_T6_T7_T8_P12ihipStream_tbENKUlT_T0_E_clISt17integral_constantIbLb0EESY_IbLb1EEEEDaSU_SV_EUlSU_E_NS1_11comp_targetILNS1_3genE0ELNS1_11target_archE4294967295ELNS1_3gpuE0ELNS1_3repE0EEENS1_30default_config_static_selectorELNS0_4arch9wavefront6targetE1EEEvT1_
	.globl	_ZN7rocprim17ROCPRIM_400000_NS6detail17trampoline_kernelINS0_14default_configENS1_33run_length_encode_config_selectorItjNS0_4plusIjEEEEZZNS1_33reduce_by_key_impl_wrapped_configILNS1_25lookback_scan_determinismE0ES3_S7_PKtNS0_17constant_iteratorIjlEEPtPlSF_S6_NS0_8equal_toItEEEE10hipError_tPvRmT2_T3_mT4_T5_T6_T7_T8_P12ihipStream_tbENKUlT_T0_E_clISt17integral_constantIbLb0EESY_IbLb1EEEEDaSU_SV_EUlSU_E_NS1_11comp_targetILNS1_3genE0ELNS1_11target_archE4294967295ELNS1_3gpuE0ELNS1_3repE0EEENS1_30default_config_static_selectorELNS0_4arch9wavefront6targetE1EEEvT1_
	.p2align	8
	.type	_ZN7rocprim17ROCPRIM_400000_NS6detail17trampoline_kernelINS0_14default_configENS1_33run_length_encode_config_selectorItjNS0_4plusIjEEEEZZNS1_33reduce_by_key_impl_wrapped_configILNS1_25lookback_scan_determinismE0ES3_S7_PKtNS0_17constant_iteratorIjlEEPtPlSF_S6_NS0_8equal_toItEEEE10hipError_tPvRmT2_T3_mT4_T5_T6_T7_T8_P12ihipStream_tbENKUlT_T0_E_clISt17integral_constantIbLb0EESY_IbLb1EEEEDaSU_SV_EUlSU_E_NS1_11comp_targetILNS1_3genE0ELNS1_11target_archE4294967295ELNS1_3gpuE0ELNS1_3repE0EEENS1_30default_config_static_selectorELNS0_4arch9wavefront6targetE1EEEvT1_,@function
_ZN7rocprim17ROCPRIM_400000_NS6detail17trampoline_kernelINS0_14default_configENS1_33run_length_encode_config_selectorItjNS0_4plusIjEEEEZZNS1_33reduce_by_key_impl_wrapped_configILNS1_25lookback_scan_determinismE0ES3_S7_PKtNS0_17constant_iteratorIjlEEPtPlSF_S6_NS0_8equal_toItEEEE10hipError_tPvRmT2_T3_mT4_T5_T6_T7_T8_P12ihipStream_tbENKUlT_T0_E_clISt17integral_constantIbLb0EESY_IbLb1EEEEDaSU_SV_EUlSU_E_NS1_11comp_targetILNS1_3genE0ELNS1_11target_archE4294967295ELNS1_3gpuE0ELNS1_3repE0EEENS1_30default_config_static_selectorELNS0_4arch9wavefront6targetE1EEEvT1_: ; @_ZN7rocprim17ROCPRIM_400000_NS6detail17trampoline_kernelINS0_14default_configENS1_33run_length_encode_config_selectorItjNS0_4plusIjEEEEZZNS1_33reduce_by_key_impl_wrapped_configILNS1_25lookback_scan_determinismE0ES3_S7_PKtNS0_17constant_iteratorIjlEEPtPlSF_S6_NS0_8equal_toItEEEE10hipError_tPvRmT2_T3_mT4_T5_T6_T7_T8_P12ihipStream_tbENKUlT_T0_E_clISt17integral_constantIbLb0EESY_IbLb1EEEEDaSU_SV_EUlSU_E_NS1_11comp_targetILNS1_3genE0ELNS1_11target_archE4294967295ELNS1_3gpuE0ELNS1_3repE0EEENS1_30default_config_static_selectorELNS0_4arch9wavefront6targetE1EEEvT1_
; %bb.0:
	.section	.rodata,"a",@progbits
	.p2align	6, 0x0
	.amdhsa_kernel _ZN7rocprim17ROCPRIM_400000_NS6detail17trampoline_kernelINS0_14default_configENS1_33run_length_encode_config_selectorItjNS0_4plusIjEEEEZZNS1_33reduce_by_key_impl_wrapped_configILNS1_25lookback_scan_determinismE0ES3_S7_PKtNS0_17constant_iteratorIjlEEPtPlSF_S6_NS0_8equal_toItEEEE10hipError_tPvRmT2_T3_mT4_T5_T6_T7_T8_P12ihipStream_tbENKUlT_T0_E_clISt17integral_constantIbLb0EESY_IbLb1EEEEDaSU_SV_EUlSU_E_NS1_11comp_targetILNS1_3genE0ELNS1_11target_archE4294967295ELNS1_3gpuE0ELNS1_3repE0EEENS1_30default_config_static_selectorELNS0_4arch9wavefront6targetE1EEEvT1_
		.amdhsa_group_segment_fixed_size 0
		.amdhsa_private_segment_fixed_size 0
		.amdhsa_kernarg_size 128
		.amdhsa_user_sgpr_count 6
		.amdhsa_user_sgpr_private_segment_buffer 1
		.amdhsa_user_sgpr_dispatch_ptr 0
		.amdhsa_user_sgpr_queue_ptr 0
		.amdhsa_user_sgpr_kernarg_segment_ptr 1
		.amdhsa_user_sgpr_dispatch_id 0
		.amdhsa_user_sgpr_flat_scratch_init 0
		.amdhsa_user_sgpr_kernarg_preload_length 0
		.amdhsa_user_sgpr_kernarg_preload_offset 0
		.amdhsa_user_sgpr_private_segment_size 0
		.amdhsa_uses_dynamic_stack 0
		.amdhsa_system_sgpr_private_segment_wavefront_offset 0
		.amdhsa_system_sgpr_workgroup_id_x 1
		.amdhsa_system_sgpr_workgroup_id_y 0
		.amdhsa_system_sgpr_workgroup_id_z 0
		.amdhsa_system_sgpr_workgroup_info 0
		.amdhsa_system_vgpr_workitem_id 0
		.amdhsa_next_free_vgpr 1
		.amdhsa_next_free_sgpr 0
		.amdhsa_accum_offset 4
		.amdhsa_reserve_vcc 0
		.amdhsa_reserve_flat_scratch 0
		.amdhsa_float_round_mode_32 0
		.amdhsa_float_round_mode_16_64 0
		.amdhsa_float_denorm_mode_32 3
		.amdhsa_float_denorm_mode_16_64 3
		.amdhsa_dx10_clamp 1
		.amdhsa_ieee_mode 1
		.amdhsa_fp16_overflow 0
		.amdhsa_tg_split 0
		.amdhsa_exception_fp_ieee_invalid_op 0
		.amdhsa_exception_fp_denorm_src 0
		.amdhsa_exception_fp_ieee_div_zero 0
		.amdhsa_exception_fp_ieee_overflow 0
		.amdhsa_exception_fp_ieee_underflow 0
		.amdhsa_exception_fp_ieee_inexact 0
		.amdhsa_exception_int_div_zero 0
	.end_amdhsa_kernel
	.section	.text._ZN7rocprim17ROCPRIM_400000_NS6detail17trampoline_kernelINS0_14default_configENS1_33run_length_encode_config_selectorItjNS0_4plusIjEEEEZZNS1_33reduce_by_key_impl_wrapped_configILNS1_25lookback_scan_determinismE0ES3_S7_PKtNS0_17constant_iteratorIjlEEPtPlSF_S6_NS0_8equal_toItEEEE10hipError_tPvRmT2_T3_mT4_T5_T6_T7_T8_P12ihipStream_tbENKUlT_T0_E_clISt17integral_constantIbLb0EESY_IbLb1EEEEDaSU_SV_EUlSU_E_NS1_11comp_targetILNS1_3genE0ELNS1_11target_archE4294967295ELNS1_3gpuE0ELNS1_3repE0EEENS1_30default_config_static_selectorELNS0_4arch9wavefront6targetE1EEEvT1_,"axG",@progbits,_ZN7rocprim17ROCPRIM_400000_NS6detail17trampoline_kernelINS0_14default_configENS1_33run_length_encode_config_selectorItjNS0_4plusIjEEEEZZNS1_33reduce_by_key_impl_wrapped_configILNS1_25lookback_scan_determinismE0ES3_S7_PKtNS0_17constant_iteratorIjlEEPtPlSF_S6_NS0_8equal_toItEEEE10hipError_tPvRmT2_T3_mT4_T5_T6_T7_T8_P12ihipStream_tbENKUlT_T0_E_clISt17integral_constantIbLb0EESY_IbLb1EEEEDaSU_SV_EUlSU_E_NS1_11comp_targetILNS1_3genE0ELNS1_11target_archE4294967295ELNS1_3gpuE0ELNS1_3repE0EEENS1_30default_config_static_selectorELNS0_4arch9wavefront6targetE1EEEvT1_,comdat
.Lfunc_end814:
	.size	_ZN7rocprim17ROCPRIM_400000_NS6detail17trampoline_kernelINS0_14default_configENS1_33run_length_encode_config_selectorItjNS0_4plusIjEEEEZZNS1_33reduce_by_key_impl_wrapped_configILNS1_25lookback_scan_determinismE0ES3_S7_PKtNS0_17constant_iteratorIjlEEPtPlSF_S6_NS0_8equal_toItEEEE10hipError_tPvRmT2_T3_mT4_T5_T6_T7_T8_P12ihipStream_tbENKUlT_T0_E_clISt17integral_constantIbLb0EESY_IbLb1EEEEDaSU_SV_EUlSU_E_NS1_11comp_targetILNS1_3genE0ELNS1_11target_archE4294967295ELNS1_3gpuE0ELNS1_3repE0EEENS1_30default_config_static_selectorELNS0_4arch9wavefront6targetE1EEEvT1_, .Lfunc_end814-_ZN7rocprim17ROCPRIM_400000_NS6detail17trampoline_kernelINS0_14default_configENS1_33run_length_encode_config_selectorItjNS0_4plusIjEEEEZZNS1_33reduce_by_key_impl_wrapped_configILNS1_25lookback_scan_determinismE0ES3_S7_PKtNS0_17constant_iteratorIjlEEPtPlSF_S6_NS0_8equal_toItEEEE10hipError_tPvRmT2_T3_mT4_T5_T6_T7_T8_P12ihipStream_tbENKUlT_T0_E_clISt17integral_constantIbLb0EESY_IbLb1EEEEDaSU_SV_EUlSU_E_NS1_11comp_targetILNS1_3genE0ELNS1_11target_archE4294967295ELNS1_3gpuE0ELNS1_3repE0EEENS1_30default_config_static_selectorELNS0_4arch9wavefront6targetE1EEEvT1_
                                        ; -- End function
	.section	.AMDGPU.csdata,"",@progbits
; Kernel info:
; codeLenInByte = 0
; NumSgprs: 4
; NumVgprs: 0
; NumAgprs: 0
; TotalNumVgprs: 0
; ScratchSize: 0
; MemoryBound: 0
; FloatMode: 240
; IeeeMode: 1
; LDSByteSize: 0 bytes/workgroup (compile time only)
; SGPRBlocks: 0
; VGPRBlocks: 0
; NumSGPRsForWavesPerEU: 4
; NumVGPRsForWavesPerEU: 1
; AccumOffset: 4
; Occupancy: 8
; WaveLimiterHint : 0
; COMPUTE_PGM_RSRC2:SCRATCH_EN: 0
; COMPUTE_PGM_RSRC2:USER_SGPR: 6
; COMPUTE_PGM_RSRC2:TRAP_HANDLER: 0
; COMPUTE_PGM_RSRC2:TGID_X_EN: 1
; COMPUTE_PGM_RSRC2:TGID_Y_EN: 0
; COMPUTE_PGM_RSRC2:TGID_Z_EN: 0
; COMPUTE_PGM_RSRC2:TIDIG_COMP_CNT: 0
; COMPUTE_PGM_RSRC3_GFX90A:ACCUM_OFFSET: 0
; COMPUTE_PGM_RSRC3_GFX90A:TG_SPLIT: 0
	.section	.text._ZN7rocprim17ROCPRIM_400000_NS6detail17trampoline_kernelINS0_14default_configENS1_33run_length_encode_config_selectorItjNS0_4plusIjEEEEZZNS1_33reduce_by_key_impl_wrapped_configILNS1_25lookback_scan_determinismE0ES3_S7_PKtNS0_17constant_iteratorIjlEEPtPlSF_S6_NS0_8equal_toItEEEE10hipError_tPvRmT2_T3_mT4_T5_T6_T7_T8_P12ihipStream_tbENKUlT_T0_E_clISt17integral_constantIbLb0EESY_IbLb1EEEEDaSU_SV_EUlSU_E_NS1_11comp_targetILNS1_3genE5ELNS1_11target_archE942ELNS1_3gpuE9ELNS1_3repE0EEENS1_30default_config_static_selectorELNS0_4arch9wavefront6targetE1EEEvT1_,"axG",@progbits,_ZN7rocprim17ROCPRIM_400000_NS6detail17trampoline_kernelINS0_14default_configENS1_33run_length_encode_config_selectorItjNS0_4plusIjEEEEZZNS1_33reduce_by_key_impl_wrapped_configILNS1_25lookback_scan_determinismE0ES3_S7_PKtNS0_17constant_iteratorIjlEEPtPlSF_S6_NS0_8equal_toItEEEE10hipError_tPvRmT2_T3_mT4_T5_T6_T7_T8_P12ihipStream_tbENKUlT_T0_E_clISt17integral_constantIbLb0EESY_IbLb1EEEEDaSU_SV_EUlSU_E_NS1_11comp_targetILNS1_3genE5ELNS1_11target_archE942ELNS1_3gpuE9ELNS1_3repE0EEENS1_30default_config_static_selectorELNS0_4arch9wavefront6targetE1EEEvT1_,comdat
	.protected	_ZN7rocprim17ROCPRIM_400000_NS6detail17trampoline_kernelINS0_14default_configENS1_33run_length_encode_config_selectorItjNS0_4plusIjEEEEZZNS1_33reduce_by_key_impl_wrapped_configILNS1_25lookback_scan_determinismE0ES3_S7_PKtNS0_17constant_iteratorIjlEEPtPlSF_S6_NS0_8equal_toItEEEE10hipError_tPvRmT2_T3_mT4_T5_T6_T7_T8_P12ihipStream_tbENKUlT_T0_E_clISt17integral_constantIbLb0EESY_IbLb1EEEEDaSU_SV_EUlSU_E_NS1_11comp_targetILNS1_3genE5ELNS1_11target_archE942ELNS1_3gpuE9ELNS1_3repE0EEENS1_30default_config_static_selectorELNS0_4arch9wavefront6targetE1EEEvT1_ ; -- Begin function _ZN7rocprim17ROCPRIM_400000_NS6detail17trampoline_kernelINS0_14default_configENS1_33run_length_encode_config_selectorItjNS0_4plusIjEEEEZZNS1_33reduce_by_key_impl_wrapped_configILNS1_25lookback_scan_determinismE0ES3_S7_PKtNS0_17constant_iteratorIjlEEPtPlSF_S6_NS0_8equal_toItEEEE10hipError_tPvRmT2_T3_mT4_T5_T6_T7_T8_P12ihipStream_tbENKUlT_T0_E_clISt17integral_constantIbLb0EESY_IbLb1EEEEDaSU_SV_EUlSU_E_NS1_11comp_targetILNS1_3genE5ELNS1_11target_archE942ELNS1_3gpuE9ELNS1_3repE0EEENS1_30default_config_static_selectorELNS0_4arch9wavefront6targetE1EEEvT1_
	.globl	_ZN7rocprim17ROCPRIM_400000_NS6detail17trampoline_kernelINS0_14default_configENS1_33run_length_encode_config_selectorItjNS0_4plusIjEEEEZZNS1_33reduce_by_key_impl_wrapped_configILNS1_25lookback_scan_determinismE0ES3_S7_PKtNS0_17constant_iteratorIjlEEPtPlSF_S6_NS0_8equal_toItEEEE10hipError_tPvRmT2_T3_mT4_T5_T6_T7_T8_P12ihipStream_tbENKUlT_T0_E_clISt17integral_constantIbLb0EESY_IbLb1EEEEDaSU_SV_EUlSU_E_NS1_11comp_targetILNS1_3genE5ELNS1_11target_archE942ELNS1_3gpuE9ELNS1_3repE0EEENS1_30default_config_static_selectorELNS0_4arch9wavefront6targetE1EEEvT1_
	.p2align	8
	.type	_ZN7rocprim17ROCPRIM_400000_NS6detail17trampoline_kernelINS0_14default_configENS1_33run_length_encode_config_selectorItjNS0_4plusIjEEEEZZNS1_33reduce_by_key_impl_wrapped_configILNS1_25lookback_scan_determinismE0ES3_S7_PKtNS0_17constant_iteratorIjlEEPtPlSF_S6_NS0_8equal_toItEEEE10hipError_tPvRmT2_T3_mT4_T5_T6_T7_T8_P12ihipStream_tbENKUlT_T0_E_clISt17integral_constantIbLb0EESY_IbLb1EEEEDaSU_SV_EUlSU_E_NS1_11comp_targetILNS1_3genE5ELNS1_11target_archE942ELNS1_3gpuE9ELNS1_3repE0EEENS1_30default_config_static_selectorELNS0_4arch9wavefront6targetE1EEEvT1_,@function
_ZN7rocprim17ROCPRIM_400000_NS6detail17trampoline_kernelINS0_14default_configENS1_33run_length_encode_config_selectorItjNS0_4plusIjEEEEZZNS1_33reduce_by_key_impl_wrapped_configILNS1_25lookback_scan_determinismE0ES3_S7_PKtNS0_17constant_iteratorIjlEEPtPlSF_S6_NS0_8equal_toItEEEE10hipError_tPvRmT2_T3_mT4_T5_T6_T7_T8_P12ihipStream_tbENKUlT_T0_E_clISt17integral_constantIbLb0EESY_IbLb1EEEEDaSU_SV_EUlSU_E_NS1_11comp_targetILNS1_3genE5ELNS1_11target_archE942ELNS1_3gpuE9ELNS1_3repE0EEENS1_30default_config_static_selectorELNS0_4arch9wavefront6targetE1EEEvT1_: ; @_ZN7rocprim17ROCPRIM_400000_NS6detail17trampoline_kernelINS0_14default_configENS1_33run_length_encode_config_selectorItjNS0_4plusIjEEEEZZNS1_33reduce_by_key_impl_wrapped_configILNS1_25lookback_scan_determinismE0ES3_S7_PKtNS0_17constant_iteratorIjlEEPtPlSF_S6_NS0_8equal_toItEEEE10hipError_tPvRmT2_T3_mT4_T5_T6_T7_T8_P12ihipStream_tbENKUlT_T0_E_clISt17integral_constantIbLb0EESY_IbLb1EEEEDaSU_SV_EUlSU_E_NS1_11comp_targetILNS1_3genE5ELNS1_11target_archE942ELNS1_3gpuE9ELNS1_3repE0EEENS1_30default_config_static_selectorELNS0_4arch9wavefront6targetE1EEEvT1_
; %bb.0:
	.section	.rodata,"a",@progbits
	.p2align	6, 0x0
	.amdhsa_kernel _ZN7rocprim17ROCPRIM_400000_NS6detail17trampoline_kernelINS0_14default_configENS1_33run_length_encode_config_selectorItjNS0_4plusIjEEEEZZNS1_33reduce_by_key_impl_wrapped_configILNS1_25lookback_scan_determinismE0ES3_S7_PKtNS0_17constant_iteratorIjlEEPtPlSF_S6_NS0_8equal_toItEEEE10hipError_tPvRmT2_T3_mT4_T5_T6_T7_T8_P12ihipStream_tbENKUlT_T0_E_clISt17integral_constantIbLb0EESY_IbLb1EEEEDaSU_SV_EUlSU_E_NS1_11comp_targetILNS1_3genE5ELNS1_11target_archE942ELNS1_3gpuE9ELNS1_3repE0EEENS1_30default_config_static_selectorELNS0_4arch9wavefront6targetE1EEEvT1_
		.amdhsa_group_segment_fixed_size 0
		.amdhsa_private_segment_fixed_size 0
		.amdhsa_kernarg_size 128
		.amdhsa_user_sgpr_count 6
		.amdhsa_user_sgpr_private_segment_buffer 1
		.amdhsa_user_sgpr_dispatch_ptr 0
		.amdhsa_user_sgpr_queue_ptr 0
		.amdhsa_user_sgpr_kernarg_segment_ptr 1
		.amdhsa_user_sgpr_dispatch_id 0
		.amdhsa_user_sgpr_flat_scratch_init 0
		.amdhsa_user_sgpr_kernarg_preload_length 0
		.amdhsa_user_sgpr_kernarg_preload_offset 0
		.amdhsa_user_sgpr_private_segment_size 0
		.amdhsa_uses_dynamic_stack 0
		.amdhsa_system_sgpr_private_segment_wavefront_offset 0
		.amdhsa_system_sgpr_workgroup_id_x 1
		.amdhsa_system_sgpr_workgroup_id_y 0
		.amdhsa_system_sgpr_workgroup_id_z 0
		.amdhsa_system_sgpr_workgroup_info 0
		.amdhsa_system_vgpr_workitem_id 0
		.amdhsa_next_free_vgpr 1
		.amdhsa_next_free_sgpr 0
		.amdhsa_accum_offset 4
		.amdhsa_reserve_vcc 0
		.amdhsa_reserve_flat_scratch 0
		.amdhsa_float_round_mode_32 0
		.amdhsa_float_round_mode_16_64 0
		.amdhsa_float_denorm_mode_32 3
		.amdhsa_float_denorm_mode_16_64 3
		.amdhsa_dx10_clamp 1
		.amdhsa_ieee_mode 1
		.amdhsa_fp16_overflow 0
		.amdhsa_tg_split 0
		.amdhsa_exception_fp_ieee_invalid_op 0
		.amdhsa_exception_fp_denorm_src 0
		.amdhsa_exception_fp_ieee_div_zero 0
		.amdhsa_exception_fp_ieee_overflow 0
		.amdhsa_exception_fp_ieee_underflow 0
		.amdhsa_exception_fp_ieee_inexact 0
		.amdhsa_exception_int_div_zero 0
	.end_amdhsa_kernel
	.section	.text._ZN7rocprim17ROCPRIM_400000_NS6detail17trampoline_kernelINS0_14default_configENS1_33run_length_encode_config_selectorItjNS0_4plusIjEEEEZZNS1_33reduce_by_key_impl_wrapped_configILNS1_25lookback_scan_determinismE0ES3_S7_PKtNS0_17constant_iteratorIjlEEPtPlSF_S6_NS0_8equal_toItEEEE10hipError_tPvRmT2_T3_mT4_T5_T6_T7_T8_P12ihipStream_tbENKUlT_T0_E_clISt17integral_constantIbLb0EESY_IbLb1EEEEDaSU_SV_EUlSU_E_NS1_11comp_targetILNS1_3genE5ELNS1_11target_archE942ELNS1_3gpuE9ELNS1_3repE0EEENS1_30default_config_static_selectorELNS0_4arch9wavefront6targetE1EEEvT1_,"axG",@progbits,_ZN7rocprim17ROCPRIM_400000_NS6detail17trampoline_kernelINS0_14default_configENS1_33run_length_encode_config_selectorItjNS0_4plusIjEEEEZZNS1_33reduce_by_key_impl_wrapped_configILNS1_25lookback_scan_determinismE0ES3_S7_PKtNS0_17constant_iteratorIjlEEPtPlSF_S6_NS0_8equal_toItEEEE10hipError_tPvRmT2_T3_mT4_T5_T6_T7_T8_P12ihipStream_tbENKUlT_T0_E_clISt17integral_constantIbLb0EESY_IbLb1EEEEDaSU_SV_EUlSU_E_NS1_11comp_targetILNS1_3genE5ELNS1_11target_archE942ELNS1_3gpuE9ELNS1_3repE0EEENS1_30default_config_static_selectorELNS0_4arch9wavefront6targetE1EEEvT1_,comdat
.Lfunc_end815:
	.size	_ZN7rocprim17ROCPRIM_400000_NS6detail17trampoline_kernelINS0_14default_configENS1_33run_length_encode_config_selectorItjNS0_4plusIjEEEEZZNS1_33reduce_by_key_impl_wrapped_configILNS1_25lookback_scan_determinismE0ES3_S7_PKtNS0_17constant_iteratorIjlEEPtPlSF_S6_NS0_8equal_toItEEEE10hipError_tPvRmT2_T3_mT4_T5_T6_T7_T8_P12ihipStream_tbENKUlT_T0_E_clISt17integral_constantIbLb0EESY_IbLb1EEEEDaSU_SV_EUlSU_E_NS1_11comp_targetILNS1_3genE5ELNS1_11target_archE942ELNS1_3gpuE9ELNS1_3repE0EEENS1_30default_config_static_selectorELNS0_4arch9wavefront6targetE1EEEvT1_, .Lfunc_end815-_ZN7rocprim17ROCPRIM_400000_NS6detail17trampoline_kernelINS0_14default_configENS1_33run_length_encode_config_selectorItjNS0_4plusIjEEEEZZNS1_33reduce_by_key_impl_wrapped_configILNS1_25lookback_scan_determinismE0ES3_S7_PKtNS0_17constant_iteratorIjlEEPtPlSF_S6_NS0_8equal_toItEEEE10hipError_tPvRmT2_T3_mT4_T5_T6_T7_T8_P12ihipStream_tbENKUlT_T0_E_clISt17integral_constantIbLb0EESY_IbLb1EEEEDaSU_SV_EUlSU_E_NS1_11comp_targetILNS1_3genE5ELNS1_11target_archE942ELNS1_3gpuE9ELNS1_3repE0EEENS1_30default_config_static_selectorELNS0_4arch9wavefront6targetE1EEEvT1_
                                        ; -- End function
	.section	.AMDGPU.csdata,"",@progbits
; Kernel info:
; codeLenInByte = 0
; NumSgprs: 4
; NumVgprs: 0
; NumAgprs: 0
; TotalNumVgprs: 0
; ScratchSize: 0
; MemoryBound: 0
; FloatMode: 240
; IeeeMode: 1
; LDSByteSize: 0 bytes/workgroup (compile time only)
; SGPRBlocks: 0
; VGPRBlocks: 0
; NumSGPRsForWavesPerEU: 4
; NumVGPRsForWavesPerEU: 1
; AccumOffset: 4
; Occupancy: 8
; WaveLimiterHint : 0
; COMPUTE_PGM_RSRC2:SCRATCH_EN: 0
; COMPUTE_PGM_RSRC2:USER_SGPR: 6
; COMPUTE_PGM_RSRC2:TRAP_HANDLER: 0
; COMPUTE_PGM_RSRC2:TGID_X_EN: 1
; COMPUTE_PGM_RSRC2:TGID_Y_EN: 0
; COMPUTE_PGM_RSRC2:TGID_Z_EN: 0
; COMPUTE_PGM_RSRC2:TIDIG_COMP_CNT: 0
; COMPUTE_PGM_RSRC3_GFX90A:ACCUM_OFFSET: 0
; COMPUTE_PGM_RSRC3_GFX90A:TG_SPLIT: 0
	.section	.text._ZN7rocprim17ROCPRIM_400000_NS6detail17trampoline_kernelINS0_14default_configENS1_33run_length_encode_config_selectorItjNS0_4plusIjEEEEZZNS1_33reduce_by_key_impl_wrapped_configILNS1_25lookback_scan_determinismE0ES3_S7_PKtNS0_17constant_iteratorIjlEEPtPlSF_S6_NS0_8equal_toItEEEE10hipError_tPvRmT2_T3_mT4_T5_T6_T7_T8_P12ihipStream_tbENKUlT_T0_E_clISt17integral_constantIbLb0EESY_IbLb1EEEEDaSU_SV_EUlSU_E_NS1_11comp_targetILNS1_3genE4ELNS1_11target_archE910ELNS1_3gpuE8ELNS1_3repE0EEENS1_30default_config_static_selectorELNS0_4arch9wavefront6targetE1EEEvT1_,"axG",@progbits,_ZN7rocprim17ROCPRIM_400000_NS6detail17trampoline_kernelINS0_14default_configENS1_33run_length_encode_config_selectorItjNS0_4plusIjEEEEZZNS1_33reduce_by_key_impl_wrapped_configILNS1_25lookback_scan_determinismE0ES3_S7_PKtNS0_17constant_iteratorIjlEEPtPlSF_S6_NS0_8equal_toItEEEE10hipError_tPvRmT2_T3_mT4_T5_T6_T7_T8_P12ihipStream_tbENKUlT_T0_E_clISt17integral_constantIbLb0EESY_IbLb1EEEEDaSU_SV_EUlSU_E_NS1_11comp_targetILNS1_3genE4ELNS1_11target_archE910ELNS1_3gpuE8ELNS1_3repE0EEENS1_30default_config_static_selectorELNS0_4arch9wavefront6targetE1EEEvT1_,comdat
	.protected	_ZN7rocprim17ROCPRIM_400000_NS6detail17trampoline_kernelINS0_14default_configENS1_33run_length_encode_config_selectorItjNS0_4plusIjEEEEZZNS1_33reduce_by_key_impl_wrapped_configILNS1_25lookback_scan_determinismE0ES3_S7_PKtNS0_17constant_iteratorIjlEEPtPlSF_S6_NS0_8equal_toItEEEE10hipError_tPvRmT2_T3_mT4_T5_T6_T7_T8_P12ihipStream_tbENKUlT_T0_E_clISt17integral_constantIbLb0EESY_IbLb1EEEEDaSU_SV_EUlSU_E_NS1_11comp_targetILNS1_3genE4ELNS1_11target_archE910ELNS1_3gpuE8ELNS1_3repE0EEENS1_30default_config_static_selectorELNS0_4arch9wavefront6targetE1EEEvT1_ ; -- Begin function _ZN7rocprim17ROCPRIM_400000_NS6detail17trampoline_kernelINS0_14default_configENS1_33run_length_encode_config_selectorItjNS0_4plusIjEEEEZZNS1_33reduce_by_key_impl_wrapped_configILNS1_25lookback_scan_determinismE0ES3_S7_PKtNS0_17constant_iteratorIjlEEPtPlSF_S6_NS0_8equal_toItEEEE10hipError_tPvRmT2_T3_mT4_T5_T6_T7_T8_P12ihipStream_tbENKUlT_T0_E_clISt17integral_constantIbLb0EESY_IbLb1EEEEDaSU_SV_EUlSU_E_NS1_11comp_targetILNS1_3genE4ELNS1_11target_archE910ELNS1_3gpuE8ELNS1_3repE0EEENS1_30default_config_static_selectorELNS0_4arch9wavefront6targetE1EEEvT1_
	.globl	_ZN7rocprim17ROCPRIM_400000_NS6detail17trampoline_kernelINS0_14default_configENS1_33run_length_encode_config_selectorItjNS0_4plusIjEEEEZZNS1_33reduce_by_key_impl_wrapped_configILNS1_25lookback_scan_determinismE0ES3_S7_PKtNS0_17constant_iteratorIjlEEPtPlSF_S6_NS0_8equal_toItEEEE10hipError_tPvRmT2_T3_mT4_T5_T6_T7_T8_P12ihipStream_tbENKUlT_T0_E_clISt17integral_constantIbLb0EESY_IbLb1EEEEDaSU_SV_EUlSU_E_NS1_11comp_targetILNS1_3genE4ELNS1_11target_archE910ELNS1_3gpuE8ELNS1_3repE0EEENS1_30default_config_static_selectorELNS0_4arch9wavefront6targetE1EEEvT1_
	.p2align	8
	.type	_ZN7rocprim17ROCPRIM_400000_NS6detail17trampoline_kernelINS0_14default_configENS1_33run_length_encode_config_selectorItjNS0_4plusIjEEEEZZNS1_33reduce_by_key_impl_wrapped_configILNS1_25lookback_scan_determinismE0ES3_S7_PKtNS0_17constant_iteratorIjlEEPtPlSF_S6_NS0_8equal_toItEEEE10hipError_tPvRmT2_T3_mT4_T5_T6_T7_T8_P12ihipStream_tbENKUlT_T0_E_clISt17integral_constantIbLb0EESY_IbLb1EEEEDaSU_SV_EUlSU_E_NS1_11comp_targetILNS1_3genE4ELNS1_11target_archE910ELNS1_3gpuE8ELNS1_3repE0EEENS1_30default_config_static_selectorELNS0_4arch9wavefront6targetE1EEEvT1_,@function
_ZN7rocprim17ROCPRIM_400000_NS6detail17trampoline_kernelINS0_14default_configENS1_33run_length_encode_config_selectorItjNS0_4plusIjEEEEZZNS1_33reduce_by_key_impl_wrapped_configILNS1_25lookback_scan_determinismE0ES3_S7_PKtNS0_17constant_iteratorIjlEEPtPlSF_S6_NS0_8equal_toItEEEE10hipError_tPvRmT2_T3_mT4_T5_T6_T7_T8_P12ihipStream_tbENKUlT_T0_E_clISt17integral_constantIbLb0EESY_IbLb1EEEEDaSU_SV_EUlSU_E_NS1_11comp_targetILNS1_3genE4ELNS1_11target_archE910ELNS1_3gpuE8ELNS1_3repE0EEENS1_30default_config_static_selectorELNS0_4arch9wavefront6targetE1EEEvT1_: ; @_ZN7rocprim17ROCPRIM_400000_NS6detail17trampoline_kernelINS0_14default_configENS1_33run_length_encode_config_selectorItjNS0_4plusIjEEEEZZNS1_33reduce_by_key_impl_wrapped_configILNS1_25lookback_scan_determinismE0ES3_S7_PKtNS0_17constant_iteratorIjlEEPtPlSF_S6_NS0_8equal_toItEEEE10hipError_tPvRmT2_T3_mT4_T5_T6_T7_T8_P12ihipStream_tbENKUlT_T0_E_clISt17integral_constantIbLb0EESY_IbLb1EEEEDaSU_SV_EUlSU_E_NS1_11comp_targetILNS1_3genE4ELNS1_11target_archE910ELNS1_3gpuE8ELNS1_3repE0EEENS1_30default_config_static_selectorELNS0_4arch9wavefront6targetE1EEEvT1_
; %bb.0:
	s_load_dword s12, s[4:5], 0x10
	s_load_dwordx4 s[44:47], s[4:5], 0x20
	s_load_dwordx2 s[34:35], s[4:5], 0x30
	s_load_dwordx2 s[48:49], s[4:5], 0x70
	s_load_dwordx4 s[28:31], s[4:5], 0x60
	s_load_dwordx8 s[36:43], s[4:5], 0x40
	v_cmp_ne_u32_e64 s[2:3], 0, v0
	v_cmp_eq_u32_e64 s[0:1], 0, v0
	s_and_saveexec_b64 s[6:7], s[0:1]
	s_cbranch_execz .LBB816_4
; %bb.1:
	s_mov_b64 s[10:11], exec
	v_mbcnt_lo_u32_b32 v1, s10, 0
	v_mbcnt_hi_u32_b32 v1, s11, v1
	v_cmp_eq_u32_e32 vcc, 0, v1
                                        ; implicit-def: $vgpr2
	s_and_saveexec_b64 s[8:9], vcc
	s_cbranch_execz .LBB816_3
; %bb.2:
	s_load_dwordx2 s[14:15], s[4:5], 0x78
	s_bcnt1_i32_b64 s10, s[10:11]
	v_mov_b32_e32 v2, 0
	v_mov_b32_e32 v3, s10
	s_waitcnt lgkmcnt(0)
	global_atomic_add v2, v2, v3, s[14:15] glc
.LBB816_3:
	s_or_b64 exec, exec, s[8:9]
	s_waitcnt vmcnt(0)
	v_readfirstlane_b32 s8, v2
	v_add_u32_e32 v1, s8, v1
	v_mov_b32_e32 v2, 0
	ds_write_b32 v2, v1
.LBB816_4:
	s_or_b64 exec, exec, s[6:7]
	s_load_dwordx4 s[4:7], s[4:5], 0x0
	v_mov_b32_e32 v3, 0
	s_waitcnt lgkmcnt(0)
	s_barrier
	ds_read_b32 v1, v3
	s_mul_i32 s8, s40, s39
	s_mul_hi_u32 s9, s40, s38
	s_add_i32 s8, s9, s8
	s_mul_i32 s9, s41, s38
	s_add_i32 s8, s8, s9
	s_lshl_b64 s[6:7], s[6:7], 1
	s_add_u32 s4, s4, s6
	s_movk_i32 s6, 0xa80
	s_waitcnt lgkmcnt(0)
	v_mul_lo_u32 v2, v1, s6
	s_mul_i32 s9, s40, s38
	s_addc_u32 s5, s5, s7
	v_readfirstlane_b32 s56, v1
	v_lshlrev_b64 v[2:3], 1, v[2:3]
	v_add_co_u32_e32 v2, vcc, s4, v2
	s_add_u32 s4, s9, s56
	v_mov_b32_e32 v1, s5
	s_addc_u32 s5, s8, 0
	s_add_u32 s6, s42, -1
	s_addc_u32 s7, s43, -1
	s_cmp_eq_u64 s[4:5], s[6:7]
	v_addc_co_u32_e32 v3, vcc, v1, v3, vcc
	s_cselect_b64 s[40:41], -1, 0
	s_cmp_lg_u64 s[4:5], s[6:7]
	s_mov_b64 s[10:11], -1
	s_cselect_b64 s[8:9], -1, 0
	s_mul_i32 s33, s6, 0xfffff580
	s_and_b64 vcc, exec, s[40:41]
	s_barrier
	s_cbranch_vccnz .LBB816_6
; %bb.5:
	v_lshlrev_b32_e32 v1, 1, v0
	v_add_co_u32_e32 v4, vcc, v2, v1
	v_addc_co_u32_e32 v5, vcc, 0, v3, vcc
	s_movk_i32 s10, 0x1000
	v_readfirstlane_b32 s6, v2
	v_readfirstlane_b32 s7, v3
	v_add_co_u32_e32 v4, vcc, s10, v4
	s_nop 3
	global_load_ushort v6, v1, s[6:7]
	global_load_ushort v7, v1, s[6:7] offset:384
	global_load_ushort v8, v1, s[6:7] offset:768
	;; [unrolled: 1-line block ×7, first 2 shown]
	v_addc_co_u32_e32 v5, vcc, 0, v5, vcc
	global_load_ushort v14, v1, s[6:7] offset:3072
	global_load_ushort v15, v1, s[6:7] offset:3456
	global_load_ushort v16, v1, s[6:7] offset:3840
	global_load_ushort v17, v[4:5], off offset:128
	global_load_ushort v18, v[4:5], off offset:512
	;; [unrolled: 1-line block ×3, first 2 shown]
	v_mad_u32_u24 v4, v0, 26, v1
	s_mov_b64 s[6:7], -1
	s_waitcnt vmcnt(13)
	ds_write_b16 v1, v6
	s_waitcnt vmcnt(12)
	ds_write_b16 v1, v7 offset:384
	s_waitcnt vmcnt(11)
	ds_write_b16 v1, v8 offset:768
	;; [unrolled: 2-line block ×13, first 2 shown]
	s_waitcnt lgkmcnt(0)
	s_barrier
	ds_read2_b32 v[12:13], v4 offset1:1
	ds_read2_b32 v[10:11], v4 offset0:2 offset1:3
	ds_read2_b32 v[8:9], v4 offset0:4 offset1:5
	ds_read_b32 v1, v4 offset:24
	s_add_i32 s33, s33, s28
	s_cbranch_execz .LBB816_7
	s_branch .LBB816_36
.LBB816_6:
	s_mov_b64 s[6:7], 0
                                        ; implicit-def: $vgpr12
                                        ; implicit-def: $vgpr10
                                        ; implicit-def: $vgpr8
                                        ; implicit-def: $vgpr1
	s_add_i32 s33, s33, s28
	s_andn2_b64 vcc, exec, s[10:11]
	s_cbranch_vccnz .LBB816_36
.LBB816_7:
	v_cmp_gt_u32_e32 vcc, s33, v0
                                        ; implicit-def: $vgpr1
	s_and_saveexec_b64 s[6:7], vcc
	s_cbranch_execz .LBB816_9
; %bb.8:
	s_waitcnt lgkmcnt(0)
	v_lshlrev_b32_e32 v1, 1, v0
	v_readfirstlane_b32 s10, v2
	v_readfirstlane_b32 s11, v3
	s_nop 4
	global_load_ushort v1, v1, s[10:11]
.LBB816_9:
	s_or_b64 exec, exec, s[6:7]
	v_add_u32_e32 v4, 0xc0, v0
	v_cmp_gt_u32_e32 vcc, s33, v4
                                        ; implicit-def: $vgpr4
	s_and_saveexec_b64 s[6:7], vcc
	s_cbranch_execz .LBB816_11
; %bb.10:
	v_lshlrev_b32_e32 v4, 1, v0
	v_readfirstlane_b32 s10, v2
	v_readfirstlane_b32 s11, v3
	s_nop 4
	global_load_ushort v4, v4, s[10:11] offset:384
.LBB816_11:
	s_or_b64 exec, exec, s[6:7]
	v_add_u32_e32 v5, 0x180, v0
	v_cmp_gt_u32_e32 vcc, s33, v5
                                        ; implicit-def: $vgpr5
	s_and_saveexec_b64 s[6:7], vcc
	s_cbranch_execz .LBB816_13
; %bb.12:
	v_lshlrev_b32_e32 v5, 1, v0
	v_readfirstlane_b32 s10, v2
	v_readfirstlane_b32 s11, v3
	s_nop 4
	global_load_ushort v5, v5, s[10:11] offset:768
.LBB816_13:
	s_or_b64 exec, exec, s[6:7]
	v_add_u32_e32 v6, 0x240, v0
	v_cmp_gt_u32_e32 vcc, s33, v6
                                        ; implicit-def: $vgpr6
	s_and_saveexec_b64 s[6:7], vcc
	s_cbranch_execz .LBB816_15
; %bb.14:
	v_lshlrev_b32_e32 v6, 1, v0
	v_readfirstlane_b32 s10, v2
	v_readfirstlane_b32 s11, v3
	s_nop 4
	global_load_ushort v6, v6, s[10:11] offset:1152
.LBB816_15:
	s_or_b64 exec, exec, s[6:7]
	v_or_b32_e32 v7, 0x300, v0
	v_cmp_gt_u32_e32 vcc, s33, v7
                                        ; implicit-def: $vgpr7
	s_and_saveexec_b64 s[6:7], vcc
	s_cbranch_execz .LBB816_17
; %bb.16:
	v_lshlrev_b32_e32 v7, 1, v0
	v_readfirstlane_b32 s10, v2
	v_readfirstlane_b32 s11, v3
	s_nop 4
	global_load_ushort v7, v7, s[10:11] offset:1536
.LBB816_17:
	s_or_b64 exec, exec, s[6:7]
	s_waitcnt lgkmcnt(1)
	v_add_u32_e32 v8, 0x3c0, v0
	v_cmp_gt_u32_e32 vcc, s33, v8
                                        ; implicit-def: $vgpr8
	s_and_saveexec_b64 s[6:7], vcc
	s_cbranch_execz .LBB816_19
; %bb.18:
	v_lshlrev_b32_e32 v8, 1, v0
	v_readfirstlane_b32 s10, v2
	v_readfirstlane_b32 s11, v3
	s_nop 4
	global_load_ushort v8, v8, s[10:11] offset:1920
.LBB816_19:
	s_or_b64 exec, exec, s[6:7]
	v_add_u32_e32 v9, 0x480, v0
	v_cmp_gt_u32_e32 vcc, s33, v9
                                        ; implicit-def: $vgpr9
	s_and_saveexec_b64 s[6:7], vcc
	s_cbranch_execz .LBB816_21
; %bb.20:
	v_lshlrev_b32_e32 v9, 1, v0
	v_readfirstlane_b32 s10, v2
	v_readfirstlane_b32 s11, v3
	s_nop 4
	global_load_ushort v9, v9, s[10:11] offset:2304
.LBB816_21:
	s_or_b64 exec, exec, s[6:7]
	v_add_u32_e32 v10, 0x540, v0
	v_cmp_gt_u32_e32 vcc, s33, v10
                                        ; implicit-def: $vgpr10
	s_and_saveexec_b64 s[6:7], vcc
	s_cbranch_execz .LBB816_23
; %bb.22:
	v_lshlrev_b32_e32 v10, 1, v0
	v_readfirstlane_b32 s10, v2
	v_readfirstlane_b32 s11, v3
	s_nop 4
	global_load_ushort v10, v10, s[10:11] offset:2688
.LBB816_23:
	s_or_b64 exec, exec, s[6:7]
	v_or_b32_e32 v11, 0x600, v0
	v_cmp_gt_u32_e32 vcc, s33, v11
                                        ; implicit-def: $vgpr11
	s_and_saveexec_b64 s[6:7], vcc
	s_cbranch_execz .LBB816_25
; %bb.24:
	v_lshlrev_b32_e32 v11, 1, v0
	v_readfirstlane_b32 s10, v2
	v_readfirstlane_b32 s11, v3
	s_nop 4
	global_load_ushort v11, v11, s[10:11] offset:3072
.LBB816_25:
	s_or_b64 exec, exec, s[6:7]
	v_add_u32_e32 v12, 0x6c0, v0
	v_cmp_gt_u32_e32 vcc, s33, v12
                                        ; implicit-def: $vgpr12
	s_and_saveexec_b64 s[6:7], vcc
	s_cbranch_execz .LBB816_27
; %bb.26:
	v_lshlrev_b32_e32 v12, 1, v0
	v_readfirstlane_b32 s10, v2
	v_readfirstlane_b32 s11, v3
	s_nop 4
	global_load_ushort v12, v12, s[10:11] offset:3456
.LBB816_27:
	s_or_b64 exec, exec, s[6:7]
	v_add_u32_e32 v13, 0x780, v0
	v_cmp_gt_u32_e32 vcc, s33, v13
                                        ; implicit-def: $vgpr13
	s_and_saveexec_b64 s[6:7], vcc
	s_cbranch_execz .LBB816_29
; %bb.28:
	v_lshlrev_b32_e32 v13, 1, v0
	v_readfirstlane_b32 s10, v2
	v_readfirstlane_b32 s11, v3
	s_nop 4
	global_load_ushort v13, v13, s[10:11] offset:3840
.LBB816_29:
	s_or_b64 exec, exec, s[6:7]
	v_add_u32_e32 v15, 0x840, v0
	v_cmp_gt_u32_e32 vcc, s33, v15
                                        ; implicit-def: $vgpr14
	s_and_saveexec_b64 s[6:7], vcc
	s_cbranch_execz .LBB816_31
; %bb.30:
	v_lshlrev_b32_e32 v14, 1, v15
	v_readfirstlane_b32 s10, v2
	v_readfirstlane_b32 s11, v3
	s_nop 4
	global_load_ushort v14, v14, s[10:11]
.LBB816_31:
	s_or_b64 exec, exec, s[6:7]
	v_or_b32_e32 v16, 0x900, v0
	v_cmp_gt_u32_e32 vcc, s33, v16
                                        ; implicit-def: $vgpr15
	s_and_saveexec_b64 s[6:7], vcc
	s_cbranch_execz .LBB816_33
; %bb.32:
	v_lshlrev_b32_e32 v15, 1, v16
	v_readfirstlane_b32 s10, v2
	v_readfirstlane_b32 s11, v3
	s_nop 4
	global_load_ushort v15, v15, s[10:11]
.LBB816_33:
	s_or_b64 exec, exec, s[6:7]
	v_add_u32_e32 v17, 0x9c0, v0
	v_cmp_gt_u32_e32 vcc, s33, v17
                                        ; implicit-def: $vgpr16
	s_and_saveexec_b64 s[6:7], vcc
	s_cbranch_execz .LBB816_35
; %bb.34:
	v_lshlrev_b32_e32 v16, 1, v17
	v_readfirstlane_b32 s10, v2
	v_readfirstlane_b32 s11, v3
	s_nop 4
	global_load_ushort v16, v16, s[10:11]
.LBB816_35:
	s_or_b64 exec, exec, s[6:7]
	v_lshlrev_b32_e32 v17, 1, v0
	s_waitcnt vmcnt(0) lgkmcnt(0)
	ds_write_b16 v17, v1
	ds_write_b16 v17, v4 offset:384
	ds_write_b16 v17, v5 offset:768
	;; [unrolled: 1-line block ×13, first 2 shown]
	v_mad_u32_u24 v1, v0, 26, v17
	s_waitcnt lgkmcnt(0)
	s_barrier
	ds_read2_b32 v[12:13], v1 offset1:1
	ds_read2_b32 v[10:11], v1 offset0:2 offset1:3
	ds_read2_b32 v[8:9], v1 offset0:4 offset1:5
	ds_read_b32 v1, v1 offset:24
	v_mad_u32_u24 v4, v0, 14, 13
	v_cmp_gt_u32_e64 s[6:7], s33, v4
.LBB816_36:
	v_mov_b32_e32 v42, s12
                                        ; implicit-def: $vgpr43
	s_and_saveexec_b64 s[10:11], s[6:7]
; %bb.37:
	v_mov_b32_e32 v43, s12
; %bb.38:
	s_or_b64 exec, exec, s[10:11]
	s_cmp_eq_u64 s[4:5], 0
	s_cselect_b64 s[42:43], -1, 0
	s_cmp_lg_u64 s[4:5], 0
	s_mov_b64 s[6:7], 0
	s_cselect_b64 s[10:11], -1, 0
	s_and_b64 vcc, exec, s[8:9]
	s_waitcnt lgkmcnt(0)
	s_barrier
	s_cbranch_vccz .LBB816_44
; %bb.39:
	s_and_b64 vcc, exec, s[10:11]
	s_cbranch_vccz .LBB816_45
; %bb.40:
	global_load_ushort v4, v[2:3], off offset:-2
	v_lshrrev_b32_e32 v6, 16, v1
	v_lshlrev_b32_e32 v5, 1, v0
	v_cmp_ne_u16_e32 vcc, v1, v6
	v_cmp_ne_u16_sdwa s[6:7], v9, v1 src0_sel:WORD_1 src1_sel:DWORD
	v_cmp_ne_u16_sdwa s[8:9], v9, v9 src0_sel:DWORD src1_sel:WORD_1
	v_cmp_ne_u16_sdwa s[12:13], v8, v9 src0_sel:WORD_1 src1_sel:DWORD
	v_cmp_ne_u16_sdwa s[14:15], v8, v8 src0_sel:DWORD src1_sel:WORD_1
	;; [unrolled: 2-line block ×6, first 2 shown]
	ds_write_b16 v5, v6
	s_waitcnt lgkmcnt(0)
	s_barrier
	s_and_saveexec_b64 s[54:55], s[2:3]
	s_cbranch_execz .LBB816_42
; %bb.41:
	s_waitcnt vmcnt(0)
	v_add_u32_e32 v4, -2, v5
	ds_read_u16 v4, v4
.LBB816_42:
	s_or_b64 exec, exec, s[54:55]
	v_cndmask_b32_e64 v44, 0, 1, vcc
	v_cndmask_b32_e64 v45, 0, 1, s[6:7]
	v_cndmask_b32_e64 v46, 0, 1, s[8:9]
	;; [unrolled: 1-line block ×12, first 2 shown]
	s_waitcnt vmcnt(0) lgkmcnt(0)
	v_cmp_ne_u16_e64 s[8:9], v4, v12
	s_mov_b64 s[6:7], -1
.LBB816_43:
                                        ; implicit-def: $sgpr14
	s_branch .LBB816_57
.LBB816_44:
                                        ; implicit-def: $sgpr8_sgpr9
                                        ; implicit-def: $vgpr44
                                        ; implicit-def: $vgpr45
                                        ; implicit-def: $vgpr46
                                        ; implicit-def: $vgpr47
                                        ; implicit-def: $vgpr48
                                        ; implicit-def: $vgpr49
                                        ; implicit-def: $vgpr50
                                        ; implicit-def: $vgpr51
                                        ; implicit-def: $vgpr52
                                        ; implicit-def: $vgpr53
                                        ; implicit-def: $vgpr54
                                        ; implicit-def: $vgpr55
                                        ; implicit-def: $vgpr56
                                        ; implicit-def: $sgpr14
	s_cbranch_execnz .LBB816_49
	s_branch .LBB816_57
.LBB816_45:
                                        ; implicit-def: $sgpr8_sgpr9
                                        ; implicit-def: $vgpr44
                                        ; implicit-def: $vgpr45
                                        ; implicit-def: $vgpr46
                                        ; implicit-def: $vgpr47
                                        ; implicit-def: $vgpr48
                                        ; implicit-def: $vgpr49
                                        ; implicit-def: $vgpr50
                                        ; implicit-def: $vgpr51
                                        ; implicit-def: $vgpr52
                                        ; implicit-def: $vgpr53
                                        ; implicit-def: $vgpr54
                                        ; implicit-def: $vgpr55
                                        ; implicit-def: $vgpr56
	s_cbranch_execz .LBB816_43
; %bb.46:
	v_cmp_ne_u16_sdwa s[8:9], v9, v1 src0_sel:WORD_1 src1_sel:DWORD
	v_cndmask_b32_e64 v45, 0, 1, s[8:9]
	v_cmp_ne_u16_sdwa s[8:9], v9, v9 src0_sel:DWORD src1_sel:WORD_1
	v_cndmask_b32_e64 v46, 0, 1, s[8:9]
	v_cmp_ne_u16_sdwa s[8:9], v8, v9 src0_sel:WORD_1 src1_sel:DWORD
	v_cndmask_b32_e64 v47, 0, 1, s[8:9]
	v_cmp_ne_u16_sdwa s[8:9], v8, v8 src0_sel:DWORD src1_sel:WORD_1
	v_cndmask_b32_e64 v48, 0, 1, s[8:9]
	;; [unrolled: 4-line block ×4, first 2 shown]
	v_cmp_ne_u16_sdwa s[8:9], v13, v10 src0_sel:WORD_1 src1_sel:DWORD
	v_cndmask_b32_e64 v53, 0, 1, s[8:9]
	v_cmp_ne_u16_sdwa s[8:9], v13, v13 src0_sel:DWORD src1_sel:WORD_1
	v_lshrrev_b32_e32 v5, 16, v1
	v_cndmask_b32_e64 v54, 0, 1, s[8:9]
	v_cmp_ne_u16_sdwa s[8:9], v12, v13 src0_sel:WORD_1 src1_sel:DWORD
	v_cmp_ne_u16_e32 vcc, v1, v5
	v_cndmask_b32_e64 v55, 0, 1, s[8:9]
	v_cmp_ne_u16_sdwa s[8:9], v12, v12 src0_sel:DWORD src1_sel:WORD_1
	s_mov_b32 s14, 1
	v_lshlrev_b32_e32 v4, 1, v0
	v_cndmask_b32_e64 v44, 0, 1, vcc
	v_cndmask_b32_e64 v56, 0, 1, s[8:9]
	ds_write_b16 v4, v5
	s_waitcnt lgkmcnt(0)
	s_barrier
	s_waitcnt lgkmcnt(0)
                                        ; implicit-def: $sgpr8_sgpr9
	s_and_saveexec_b64 s[12:13], s[2:3]
	s_xor_b64 s[12:13], exec, s[12:13]
	s_cbranch_execz .LBB816_48
; %bb.47:
	v_add_u32_e32 v4, -2, v4
	ds_read_u16 v4, v4
	s_or_b64 s[6:7], s[6:7], exec
	s_waitcnt lgkmcnt(0)
	v_cmp_ne_u16_e32 vcc, v4, v12
	s_and_b64 s[8:9], vcc, exec
.LBB816_48:
	s_or_b64 exec, exec, s[12:13]
	s_branch .LBB816_57
.LBB816_49:
	s_mul_hi_u32 s8, s4, 0xfffff580
	s_mulk_i32 s5, 0xf580
	s_sub_i32 s8, s8, s4
	s_add_i32 s8, s8, s5
	s_mulk_i32 s4, 0xf580
	s_add_u32 s12, s4, s28
	s_addc_u32 s13, s8, s29
	s_and_b64 vcc, exec, s[10:11]
	v_lshrrev_b32_e32 v36, 16, v1
	v_mul_u32_u24_e32 v4, 14, v0
	v_mad_u32_u24 v6, v0, 14, 13
	v_mad_u32_u24 v34, v0, 14, 12
	v_cmp_ne_u16_sdwa s[52:53], v9, v1 src0_sel:WORD_1 src1_sel:DWORD
	v_mad_u32_u24 v32, v0, 14, 11
	v_cmp_ne_u16_sdwa s[8:9], v9, v9 src0_sel:DWORD src1_sel:WORD_1
	v_mad_u32_u24 v30, v0, 14, 10
	v_cmp_ne_u16_sdwa s[14:15], v8, v9 src0_sel:WORD_1 src1_sel:DWORD
	v_mad_u32_u24 v28, v0, 14, 9
	v_cmp_ne_u16_sdwa s[18:19], v8, v8 src0_sel:DWORD src1_sel:WORD_1
	;; [unrolled: 4-line block ×5, first 2 shown]
	v_mad_u32_u24 v14, v0, 14, 2
	v_cmp_ne_u16_sdwa s[16:17], v12, v13 src0_sel:WORD_1 src1_sel:DWORD
	v_cmp_ne_u16_sdwa s[10:11], v12, v12 src0_sel:DWORD src1_sel:WORD_1
	s_cbranch_vccz .LBB816_54
; %bb.50:
	global_load_ushort v2, v[2:3], off offset:-2
	v_mov_b32_e32 v7, 0
	v_cmp_gt_u64_e32 vcc, s[12:13], v[6:7]
	v_cmp_ne_u16_e64 s[4:5], v1, v36
	v_mov_b32_e32 v35, v7
	s_and_b64 s[4:5], vcc, s[4:5]
	v_cmp_gt_u64_e32 vcc, s[12:13], v[34:35]
	v_mov_b32_e32 v33, v7
	s_and_b64 s[6:7], vcc, s[52:53]
	v_cmp_gt_u64_e32 vcc, s[12:13], v[32:33]
	;; [unrolled: 3-line block ×11, first 2 shown]
	v_or_b32_e32 v38, 1, v4
	v_mov_b32_e32 v39, v7
	s_and_b64 s[16:17], vcc, s[16:17]
	v_cmp_gt_u64_e32 vcc, s[12:13], v[38:39]
	v_lshlrev_b32_e32 v3, 1, v0
	s_and_b64 s[10:11], vcc, s[10:11]
	ds_write_b16 v3, v36
	s_waitcnt lgkmcnt(0)
	s_barrier
	s_and_saveexec_b64 s[52:53], s[2:3]
	s_cbranch_execz .LBB816_52
; %bb.51:
	s_waitcnt vmcnt(0)
	v_add_u32_e32 v2, -2, v3
	ds_read_u16 v2, v2
.LBB816_52:
	s_or_b64 exec, exec, s[52:53]
	v_mov_b32_e32 v5, v7
	v_cndmask_b32_e64 v44, 0, 1, s[4:5]
	v_cmp_gt_u64_e32 vcc, s[12:13], v[4:5]
	s_waitcnt vmcnt(0) lgkmcnt(0)
	v_cmp_ne_u16_e64 s[4:5], v2, v12
	v_cndmask_b32_e64 v45, 0, 1, s[6:7]
	v_cndmask_b32_e64 v46, 0, 1, s[8:9]
	;; [unrolled: 1-line block ×12, first 2 shown]
	s_and_b64 s[8:9], vcc, s[4:5]
	s_mov_b64 s[6:7], -1
.LBB816_53:
                                        ; implicit-def: $sgpr14
	v_mov_b32_e32 v57, s14
	s_and_saveexec_b64 s[2:3], s[6:7]
	s_cbranch_execnz .LBB816_58
	s_branch .LBB816_59
.LBB816_54:
                                        ; implicit-def: $sgpr8_sgpr9
                                        ; implicit-def: $vgpr44
                                        ; implicit-def: $vgpr45
                                        ; implicit-def: $vgpr46
                                        ; implicit-def: $vgpr47
                                        ; implicit-def: $vgpr48
                                        ; implicit-def: $vgpr49
                                        ; implicit-def: $vgpr50
                                        ; implicit-def: $vgpr51
                                        ; implicit-def: $vgpr52
                                        ; implicit-def: $vgpr53
                                        ; implicit-def: $vgpr54
                                        ; implicit-def: $vgpr55
                                        ; implicit-def: $vgpr56
	s_cbranch_execz .LBB816_53
; %bb.55:
	v_mov_b32_e32 v7, 0
	v_cmp_gt_u64_e32 vcc, s[12:13], v[6:7]
	v_cmp_ne_u16_e64 s[4:5], v1, v36
	s_and_b64 s[4:5], vcc, s[4:5]
	v_mov_b32_e32 v35, v7
	v_cndmask_b32_e64 v44, 0, 1, s[4:5]
	v_cmp_gt_u64_e32 vcc, s[12:13], v[34:35]
	v_cmp_ne_u16_sdwa s[4:5], v9, v1 src0_sel:WORD_1 src1_sel:DWORD
	s_and_b64 s[4:5], vcc, s[4:5]
	v_mov_b32_e32 v33, v7
	v_cndmask_b32_e64 v45, 0, 1, s[4:5]
	v_cmp_gt_u64_e32 vcc, s[12:13], v[32:33]
	v_cmp_ne_u16_sdwa s[4:5], v9, v9 src0_sel:DWORD src1_sel:WORD_1
	s_and_b64 s[4:5], vcc, s[4:5]
	v_mov_b32_e32 v31, v7
	v_cndmask_b32_e64 v46, 0, 1, s[4:5]
	v_cmp_gt_u64_e32 vcc, s[12:13], v[30:31]
	v_cmp_ne_u16_sdwa s[4:5], v8, v9 src0_sel:WORD_1 src1_sel:DWORD
	s_and_b64 s[4:5], vcc, s[4:5]
	v_mov_b32_e32 v29, v7
	v_cndmask_b32_e64 v47, 0, 1, s[4:5]
	v_cmp_gt_u64_e32 vcc, s[12:13], v[28:29]
	v_cmp_ne_u16_sdwa s[4:5], v8, v8 src0_sel:DWORD src1_sel:WORD_1
	;; [unrolled: 10-line block ×5, first 2 shown]
	s_and_b64 s[4:5], vcc, s[4:5]
	v_mov_b32_e32 v15, v7
	v_cndmask_b32_e64 v54, 0, 1, s[4:5]
	v_cmp_gt_u64_e32 vcc, s[12:13], v[14:15]
	v_cmp_ne_u16_sdwa s[4:5], v12, v13 src0_sel:WORD_1 src1_sel:DWORD
	s_and_b64 s[4:5], vcc, s[4:5]
	v_or_b32_e32 v6, 1, v4
	v_cndmask_b32_e64 v55, 0, 1, s[4:5]
	v_cmp_gt_u64_e32 vcc, s[12:13], v[6:7]
	v_cmp_ne_u16_sdwa s[4:5], v12, v12 src0_sel:DWORD src1_sel:WORD_1
	s_and_b64 s[4:5], vcc, s[4:5]
	s_mov_b32 s14, 1
	v_lshlrev_b32_e32 v2, 1, v0
	v_cndmask_b32_e64 v56, 0, 1, s[4:5]
	ds_write_b16 v2, v36
	s_waitcnt lgkmcnt(0)
	s_barrier
	s_waitcnt lgkmcnt(0)
                                        ; implicit-def: $sgpr8_sgpr9
	s_and_saveexec_b64 s[4:5], s[2:3]
	s_cbranch_execz .LBB816_138
; %bb.56:
	v_add_u32_e32 v2, -2, v2
	ds_read_u16 v2, v2
	v_mov_b32_e32 v5, v7
	v_cmp_gt_u64_e32 vcc, s[12:13], v[4:5]
	s_or_b64 s[6:7], s[6:7], exec
	s_waitcnt lgkmcnt(0)
	v_cmp_ne_u16_e64 s[2:3], v2, v12
	s_and_b64 s[2:3], vcc, s[2:3]
	s_and_b64 s[8:9], s[2:3], exec
	s_or_b64 exec, exec, s[4:5]
.LBB816_57:
	v_mov_b32_e32 v57, s14
	s_and_saveexec_b64 s[2:3], s[6:7]
.LBB816_58:
	v_cndmask_b32_e64 v57, 0, 1, s[8:9]
.LBB816_59:
	s_or_b64 exec, exec, s[2:3]
	s_cmp_eq_u64 s[38:39], 0
	v_add_u32_e32 v2, v56, v57
	s_cselect_b64 s[38:39], -1, 0
	s_cmp_lg_u32 s56, 0
	v_cmp_eq_u32_e64 s[24:25], 0, v56
	v_cmp_eq_u32_e64 s[22:23], 0, v55
	v_add3_u32 v60, v2, v55, v54
	v_cmp_eq_u32_e64 s[20:21], 0, v54
	v_cmp_eq_u32_e64 s[18:19], 0, v53
	;; [unrolled: 1-line block ×10, first 2 shown]
	v_cmp_eq_u32_e32 vcc, 0, v44
	v_mbcnt_lo_u32_b32 v59, -1, 0
	v_lshrrev_b32_e32 v58, 6, v0
	s_cbranch_scc0 .LBB816_86
; %bb.60:
	v_cndmask_b32_e64 v2, 0, v42, s[24:25]
	v_add_u32_e32 v2, v2, v42
	v_cndmask_b32_e64 v2, 0, v2, s[22:23]
	v_add_u32_e32 v2, v2, v42
	;; [unrolled: 2-line block ×10, first 2 shown]
	v_cndmask_b32_e64 v2, 0, v2, s[4:5]
	v_add3_u32 v3, v60, v53, v52
	v_add_u32_e32 v2, v2, v42
	v_add3_u32 v3, v3, v51, v50
	v_cndmask_b32_e64 v2, 0, v2, s[2:3]
	v_add3_u32 v3, v3, v49, v48
	v_add_u32_e32 v2, v2, v42
	v_add3_u32 v3, v3, v47, v46
	v_cndmask_b32_e32 v2, 0, v2, vcc
	v_add3_u32 v3, v3, v45, v44
	v_add_u32_e32 v2, v2, v43
	v_mbcnt_hi_u32_b32 v17, -1, v59
	v_and_b32_e32 v4, 15, v17
	v_mov_b32_dpp v6, v2 row_shr:1 row_mask:0xf bank_mask:0xf
	v_cmp_eq_u32_e32 vcc, 0, v3
	v_mov_b32_dpp v5, v3 row_shr:1 row_mask:0xf bank_mask:0xf
	v_cndmask_b32_e32 v6, 0, v6, vcc
	v_cmp_eq_u32_e32 vcc, 0, v4
	v_cndmask_b32_e64 v5, v5, 0, vcc
	v_add_u32_e32 v3, v5, v3
	v_cndmask_b32_e64 v5, v6, 0, vcc
	v_add_u32_e32 v2, v5, v2
	v_cmp_eq_u32_e32 vcc, 0, v3
	v_mov_b32_dpp v5, v3 row_shr:2 row_mask:0xf bank_mask:0xf
	v_cmp_lt_u32_e64 s[26:27], 1, v4
	v_mov_b32_dpp v6, v2 row_shr:2 row_mask:0xf bank_mask:0xf
	v_cndmask_b32_e64 v5, 0, v5, s[26:27]
	s_and_b64 vcc, s[26:27], vcc
	v_cndmask_b32_e32 v6, 0, v6, vcc
	v_add_u32_e32 v3, v3, v5
	v_add_u32_e32 v2, v6, v2
	v_cmp_eq_u32_e32 vcc, 0, v3
	v_mov_b32_dpp v5, v3 row_shr:4 row_mask:0xf bank_mask:0xf
	v_cmp_lt_u32_e64 s[26:27], 3, v4
	v_mov_b32_dpp v6, v2 row_shr:4 row_mask:0xf bank_mask:0xf
	v_cndmask_b32_e64 v5, 0, v5, s[26:27]
	s_and_b64 vcc, s[26:27], vcc
	v_cndmask_b32_e32 v6, 0, v6, vcc
	v_add_u32_e32 v3, v5, v3
	v_add_u32_e32 v2, v2, v6
	v_cmp_eq_u32_e32 vcc, 0, v3
	v_cmp_lt_u32_e64 s[26:27], 7, v4
	v_mov_b32_dpp v5, v3 row_shr:8 row_mask:0xf bank_mask:0xf
	v_mov_b32_dpp v6, v2 row_shr:8 row_mask:0xf bank_mask:0xf
	s_and_b64 vcc, s[26:27], vcc
	v_cndmask_b32_e64 v4, 0, v5, s[26:27]
	v_cndmask_b32_e32 v5, 0, v6, vcc
	v_add_u32_e32 v2, v5, v2
	v_add_u32_e32 v3, v4, v3
	v_bfe_i32 v6, v17, 4, 1
	v_mov_b32_dpp v5, v2 row_bcast:15 row_mask:0xf bank_mask:0xf
	v_mov_b32_dpp v4, v3 row_bcast:15 row_mask:0xf bank_mask:0xf
	v_cmp_eq_u32_e32 vcc, 0, v3
	v_cndmask_b32_e32 v5, 0, v5, vcc
	v_and_b32_e32 v4, v6, v4
	v_add_u32_e32 v3, v4, v3
	v_and_b32_e32 v4, v6, v5
	v_add_u32_e32 v4, v4, v2
	v_mov_b32_dpp v2, v3 row_bcast:31 row_mask:0xf bank_mask:0xf
	v_cmp_eq_u32_e32 vcc, 0, v3
	v_cmp_lt_u32_e64 s[26:27], 31, v17
	v_mov_b32_dpp v5, v4 row_bcast:31 row_mask:0xf bank_mask:0xf
	v_cndmask_b32_e64 v2, 0, v2, s[26:27]
	s_and_b64 vcc, s[26:27], vcc
	v_add_u32_e32 v2, v2, v3
	v_cndmask_b32_e32 v3, 0, v5, vcc
	v_add_u32_e32 v3, v3, v4
	v_and_b32_e32 v4, 0xc0, v0
	v_min_u32_e32 v4, 0x80, v4
	v_or_b32_e32 v4, 63, v4
	v_cmp_eq_u32_e32 vcc, v4, v0
	v_lshlrev_b32_e32 v4, 3, v58
	s_and_saveexec_b64 s[26:27], vcc
	s_cbranch_execz .LBB816_62
; %bb.61:
	ds_write_b64 v4, v[2:3] offset:784
.LBB816_62:
	s_or_b64 exec, exec, s[26:27]
	v_cmp_gt_u32_e32 vcc, 3, v0
	s_waitcnt lgkmcnt(0)
	s_barrier
	s_and_saveexec_b64 s[28:29], vcc
	s_cbranch_execz .LBB816_64
; %bb.63:
	v_lshlrev_b32_e32 v5, 3, v0
	ds_read_b64 v[6:7], v5 offset:784
	v_and_b32_e32 v14, 3, v17
	v_cmp_lt_u32_e64 s[26:27], 1, v14
	s_waitcnt lgkmcnt(0)
	v_mov_b32_dpp v16, v7 row_shr:1 row_mask:0xf bank_mask:0xf
	v_cmp_eq_u32_e32 vcc, 0, v6
	v_mov_b32_dpp v15, v6 row_shr:1 row_mask:0xf bank_mask:0xf
	v_cndmask_b32_e32 v16, 0, v16, vcc
	v_cmp_eq_u32_e32 vcc, 0, v14
	v_cndmask_b32_e64 v15, v15, 0, vcc
	v_add_u32_e32 v6, v15, v6
	v_cndmask_b32_e64 v15, v16, 0, vcc
	v_add_u32_e32 v7, v15, v7
	v_cmp_eq_u32_e32 vcc, 0, v6
	v_mov_b32_dpp v15, v6 row_shr:2 row_mask:0xf bank_mask:0xf
	v_mov_b32_dpp v16, v7 row_shr:2 row_mask:0xf bank_mask:0xf
	v_cndmask_b32_e64 v14, 0, v15, s[26:27]
	s_and_b64 vcc, s[26:27], vcc
	v_add_u32_e32 v6, v14, v6
	v_cndmask_b32_e32 v14, 0, v16, vcc
	v_add_u32_e32 v7, v14, v7
	ds_write_b64 v5, v[6:7] offset:784
.LBB816_64:
	s_or_b64 exec, exec, s[28:29]
	v_cmp_gt_u32_e32 vcc, 64, v0
	v_cmp_lt_u32_e64 s[26:27], 63, v0
	v_mov_b32_e32 v14, 0
	v_mov_b32_e32 v15, 0
	s_waitcnt lgkmcnt(0)
	s_barrier
	s_and_saveexec_b64 s[28:29], s[26:27]
	s_cbranch_execz .LBB816_66
; %bb.65:
	ds_read_b64 v[14:15], v4 offset:776
	v_cmp_eq_u32_e64 s[26:27], 0, v2
	s_waitcnt lgkmcnt(0)
	v_add_u32_e32 v4, v14, v2
	v_cndmask_b32_e64 v2, 0, v15, s[26:27]
	v_add_u32_e32 v3, v2, v3
	v_mov_b32_e32 v2, v4
.LBB816_66:
	s_or_b64 exec, exec, s[28:29]
	v_add_u32_e32 v4, -1, v17
	v_and_b32_e32 v5, 64, v17
	v_cmp_lt_i32_e64 s[26:27], v4, v5
	v_cndmask_b32_e64 v4, v4, v17, s[26:27]
	v_lshlrev_b32_e32 v4, 2, v4
	ds_bpermute_b32 v22, v4, v2
	ds_bpermute_b32 v23, v4, v3
	v_cmp_eq_u32_e64 s[26:27], 0, v17
	s_and_saveexec_b64 s[50:51], vcc
	s_cbranch_execz .LBB816_85
; %bb.67:
	v_mov_b32_e32 v7, 0
	ds_read_b64 v[2:3], v7 offset:800
	s_waitcnt lgkmcnt(0)
	v_readfirstlane_b32 s54, v2
	v_readfirstlane_b32 s55, v3
	s_and_saveexec_b64 s[28:29], s[26:27]
	s_cbranch_execz .LBB816_69
; %bb.68:
	s_add_i32 s52, s56, 64
	s_mov_b32 s53, 0
	s_lshl_b64 s[58:59], s[52:53], 4
	s_add_u32 s58, s36, s58
	s_addc_u32 s59, s37, s59
	s_and_b32 s61, s55, 0xff000000
	s_mov_b32 s60, s53
	s_and_b32 s63, s55, 0xff0000
	s_mov_b32 s62, s53
	s_or_b64 s[60:61], s[62:63], s[60:61]
	s_and_b32 s63, s55, 0xff00
	s_or_b64 s[60:61], s[60:61], s[62:63]
	s_and_b32 s63, s55, 0xff
	s_or_b64 s[52:53], s[60:61], s[62:63]
	v_mov_b32_e32 v4, s54
	v_mov_b32_e32 v5, s53
	;; [unrolled: 1-line block ×3, first 2 shown]
	v_pk_mov_b32 v[2:3], s[58:59], s[58:59] op_sel:[0,1]
	;;#ASMSTART
	global_store_dwordx4 v[2:3], v[4:7] off	
s_waitcnt vmcnt(0)
	;;#ASMEND
.LBB816_69:
	s_or_b64 exec, exec, s[28:29]
	v_xad_u32 v16, v17, -1, s56
	v_add_u32_e32 v6, 64, v16
	v_lshlrev_b64 v[2:3], 4, v[6:7]
	v_mov_b32_e32 v4, s37
	v_add_co_u32_e32 v18, vcc, s36, v2
	v_addc_co_u32_e32 v19, vcc, v4, v3, vcc
	;;#ASMSTART
	global_load_dwordx4 v[2:5], v[18:19] off glc	
s_waitcnt vmcnt(0)
	;;#ASMEND
	v_and_b32_e32 v5, 0xff, v3
	v_and_b32_e32 v6, 0xff00, v3
	v_or3_b32 v5, 0, v5, v6
	v_or3_b32 v2, v2, 0, 0
	v_and_b32_e32 v6, 0xff000000, v3
	v_and_b32_e32 v3, 0xff0000, v3
	v_or3_b32 v3, v5, v3, v6
	v_or3_b32 v2, v2, 0, 0
	v_cmp_eq_u16_sdwa s[52:53], v4, v7 src0_sel:BYTE_0 src1_sel:DWORD
	s_and_saveexec_b64 s[28:29], s[52:53]
	s_cbranch_execz .LBB816_73
; %bb.70:
	s_mov_b64 s[52:53], 0
	v_mov_b32_e32 v6, 0
.LBB816_71:                             ; =>This Inner Loop Header: Depth=1
	;;#ASMSTART
	global_load_dwordx4 v[2:5], v[18:19] off glc	
s_waitcnt vmcnt(0)
	;;#ASMEND
	v_cmp_ne_u16_sdwa s[58:59], v4, v6 src0_sel:BYTE_0 src1_sel:DWORD
	s_or_b64 s[52:53], s[58:59], s[52:53]
	s_andn2_b64 exec, exec, s[52:53]
	s_cbranch_execnz .LBB816_71
; %bb.72:
	s_or_b64 exec, exec, s[52:53]
.LBB816_73:
	s_or_b64 exec, exec, s[28:29]
	v_mov_b32_e32 v24, 2
	v_cmp_eq_u16_sdwa s[28:29], v4, v24 src0_sel:BYTE_0 src1_sel:DWORD
	v_lshlrev_b64 v[18:19], v17, -1
	v_and_b32_e32 v5, s29, v19
	v_and_b32_e32 v25, 63, v17
	v_or_b32_e32 v5, 0x80000000, v5
	v_cmp_ne_u32_e32 vcc, 63, v25
	v_and_b32_e32 v6, s28, v18
	v_ffbl_b32_e32 v5, v5
	v_addc_co_u32_e32 v7, vcc, 0, v17, vcc
	v_add_u32_e32 v5, 32, v5
	v_ffbl_b32_e32 v6, v6
	v_lshlrev_b32_e32 v26, 2, v7
	v_min_u32_e32 v5, v6, v5
	ds_bpermute_b32 v6, v26, v3
	v_cmp_eq_u32_e32 vcc, 0, v2
	v_cmp_lt_u32_e64 s[28:29], v25, v5
	ds_bpermute_b32 v7, v26, v2
	s_and_b64 vcc, s[28:29], vcc
	s_waitcnt lgkmcnt(1)
	v_cndmask_b32_e32 v6, 0, v6, vcc
	v_cmp_gt_u32_e32 vcc, 62, v25
	v_add_u32_e32 v3, v6, v3
	v_cndmask_b32_e64 v6, 0, 1, vcc
	v_lshlrev_b32_e32 v6, 1, v6
	v_add_lshl_u32 v27, v6, v17, 2
	s_waitcnt lgkmcnt(0)
	v_cndmask_b32_e64 v7, 0, v7, s[28:29]
	ds_bpermute_b32 v6, v27, v3
	v_add_u32_e32 v2, v7, v2
	ds_bpermute_b32 v7, v27, v2
	v_add_u32_e32 v28, 2, v25
	v_cmp_eq_u32_e32 vcc, 0, v2
	s_waitcnt lgkmcnt(1)
	v_cndmask_b32_e32 v6, 0, v6, vcc
	v_cmp_gt_u32_e32 vcc, v28, v5
	v_cndmask_b32_e64 v6, v6, 0, vcc
	v_add_u32_e32 v3, v6, v3
	s_waitcnt lgkmcnt(0)
	v_cndmask_b32_e64 v6, v7, 0, vcc
	v_cmp_gt_u32_e32 vcc, 60, v25
	v_cndmask_b32_e64 v7, 0, 1, vcc
	v_lshlrev_b32_e32 v7, 2, v7
	v_add_lshl_u32 v29, v7, v17, 2
	ds_bpermute_b32 v7, v29, v3
	v_add_u32_e32 v2, v2, v6
	ds_bpermute_b32 v6, v29, v2
	v_add_u32_e32 v30, 4, v25
	v_cmp_eq_u32_e32 vcc, 0, v2
	s_waitcnt lgkmcnt(1)
	v_cndmask_b32_e32 v7, 0, v7, vcc
	v_cmp_gt_u32_e32 vcc, v30, v5
	v_cndmask_b32_e64 v7, v7, 0, vcc
	s_waitcnt lgkmcnt(0)
	v_cndmask_b32_e64 v6, v6, 0, vcc
	v_cmp_gt_u32_e32 vcc, 56, v25
	v_add_u32_e32 v3, v3, v7
	v_cndmask_b32_e64 v7, 0, 1, vcc
	v_lshlrev_b32_e32 v7, 3, v7
	v_add_lshl_u32 v31, v7, v17, 2
	ds_bpermute_b32 v7, v31, v3
	v_add_u32_e32 v2, v2, v6
	ds_bpermute_b32 v6, v31, v2
	v_add_u32_e32 v32, 8, v25
	v_cmp_eq_u32_e32 vcc, 0, v2
	s_waitcnt lgkmcnt(1)
	v_cndmask_b32_e32 v7, 0, v7, vcc
	v_cmp_gt_u32_e32 vcc, v32, v5
	v_cndmask_b32_e64 v7, v7, 0, vcc
	s_waitcnt lgkmcnt(0)
	v_cndmask_b32_e64 v6, v6, 0, vcc
	v_cmp_gt_u32_e32 vcc, 48, v25
	v_add_u32_e32 v3, v3, v7
	;; [unrolled: 16-line block ×3, first 2 shown]
	v_cndmask_b32_e64 v7, 0, 1, vcc
	v_lshlrev_b32_e32 v7, 5, v7
	v_add_lshl_u32 v35, v7, v17, 2
	ds_bpermute_b32 v7, v35, v3
	v_add_u32_e32 v2, v2, v6
	ds_bpermute_b32 v6, v35, v2
	v_add_u32_e32 v36, 32, v25
	v_cmp_eq_u32_e32 vcc, 0, v2
	s_waitcnt lgkmcnt(1)
	v_cndmask_b32_e32 v7, 0, v7, vcc
	v_cmp_gt_u32_e32 vcc, v36, v5
	v_cndmask_b32_e64 v5, v7, 0, vcc
	v_add_u32_e32 v3, v5, v3
	s_waitcnt lgkmcnt(0)
	v_cndmask_b32_e64 v5, v6, 0, vcc
	v_add_u32_e32 v2, v5, v2
	v_mov_b32_e32 v17, 0
	s_branch .LBB816_75
.LBB816_74:                             ;   in Loop: Header=BB816_75 Depth=1
	s_or_b64 exec, exec, s[28:29]
	v_cmp_eq_u16_sdwa s[28:29], v4, v24 src0_sel:BYTE_0 src1_sel:DWORD
	v_and_b32_e32 v5, s29, v19
	v_or_b32_e32 v5, 0x80000000, v5
	v_and_b32_e32 v20, s28, v18
	v_ffbl_b32_e32 v5, v5
	v_add_u32_e32 v5, 32, v5
	v_ffbl_b32_e32 v20, v20
	v_min_u32_e32 v5, v20, v5
	ds_bpermute_b32 v20, v26, v3
	v_cmp_eq_u32_e32 vcc, 0, v2
	v_cmp_lt_u32_e64 s[28:29], v25, v5
	ds_bpermute_b32 v21, v26, v2
	s_and_b64 vcc, s[28:29], vcc
	s_waitcnt lgkmcnt(1)
	v_cndmask_b32_e32 v20, 0, v20, vcc
	v_add_u32_e32 v3, v20, v3
	ds_bpermute_b32 v20, v27, v3
	s_waitcnt lgkmcnt(1)
	v_cndmask_b32_e64 v21, 0, v21, s[28:29]
	v_add_u32_e32 v2, v21, v2
	v_cmp_eq_u32_e32 vcc, 0, v2
	ds_bpermute_b32 v21, v27, v2
	s_waitcnt lgkmcnt(1)
	v_cndmask_b32_e32 v20, 0, v20, vcc
	v_cmp_gt_u32_e32 vcc, v28, v5
	v_cndmask_b32_e64 v20, v20, 0, vcc
	v_add_u32_e32 v3, v20, v3
	ds_bpermute_b32 v20, v29, v3
	s_waitcnt lgkmcnt(1)
	v_cndmask_b32_e64 v21, v21, 0, vcc
	v_add_u32_e32 v2, v2, v21
	v_cmp_eq_u32_e32 vcc, 0, v2
	ds_bpermute_b32 v21, v29, v2
	s_waitcnt lgkmcnt(1)
	v_cndmask_b32_e32 v20, 0, v20, vcc
	v_cmp_gt_u32_e32 vcc, v30, v5
	v_cndmask_b32_e64 v20, v20, 0, vcc
	v_add_u32_e32 v3, v3, v20
	ds_bpermute_b32 v20, v31, v3
	s_waitcnt lgkmcnt(1)
	v_cndmask_b32_e64 v21, v21, 0, vcc
	v_add_u32_e32 v2, v2, v21
	ds_bpermute_b32 v21, v31, v2
	v_cmp_eq_u32_e32 vcc, 0, v2
	s_waitcnt lgkmcnt(1)
	v_cndmask_b32_e32 v20, 0, v20, vcc
	v_cmp_gt_u32_e32 vcc, v32, v5
	v_cndmask_b32_e64 v20, v20, 0, vcc
	v_add_u32_e32 v3, v3, v20
	ds_bpermute_b32 v20, v33, v3
	s_waitcnt lgkmcnt(1)
	v_cndmask_b32_e64 v21, v21, 0, vcc
	v_add_u32_e32 v2, v2, v21
	ds_bpermute_b32 v21, v33, v2
	v_cmp_eq_u32_e32 vcc, 0, v2
	;; [unrolled: 11-line block ×3, first 2 shown]
	s_waitcnt lgkmcnt(1)
	v_cndmask_b32_e32 v20, 0, v20, vcc
	v_cmp_gt_u32_e32 vcc, v36, v5
	v_cndmask_b32_e64 v5, v20, 0, vcc
	v_add_u32_e32 v3, v5, v3
	s_waitcnt lgkmcnt(0)
	v_cndmask_b32_e64 v5, v21, 0, vcc
	v_cmp_eq_u32_e32 vcc, 0, v6
	v_cndmask_b32_e32 v3, 0, v3, vcc
	v_subrev_u32_e32 v16, 64, v16
	v_add3_u32 v2, v2, v6, v5
	v_add_u32_e32 v3, v3, v7
.LBB816_75:                             ; =>This Loop Header: Depth=1
                                        ;     Child Loop BB816_78 Depth 2
	v_cmp_ne_u16_sdwa s[28:29], v4, v24 src0_sel:BYTE_0 src1_sel:DWORD
	v_mov_b32_e32 v7, v3
	v_cndmask_b32_e64 v3, 0, 1, s[28:29]
	;;#ASMSTART
	;;#ASMEND
	v_cmp_ne_u32_e32 vcc, 0, v3
	s_cmp_lg_u64 vcc, exec
	v_mov_b32_e32 v6, v2
	s_cbranch_scc1 .LBB816_80
; %bb.76:                               ;   in Loop: Header=BB816_75 Depth=1
	v_lshlrev_b64 v[2:3], 4, v[16:17]
	v_mov_b32_e32 v4, s37
	v_add_co_u32_e32 v20, vcc, s36, v2
	v_addc_co_u32_e32 v21, vcc, v4, v3, vcc
	;;#ASMSTART
	global_load_dwordx4 v[2:5], v[20:21] off glc	
s_waitcnt vmcnt(0)
	;;#ASMEND
	v_and_b32_e32 v5, 0xff, v3
	v_and_b32_e32 v37, 0xff00, v3
	v_or3_b32 v5, 0, v5, v37
	v_or3_b32 v2, v2, 0, 0
	v_and_b32_e32 v37, 0xff000000, v3
	v_and_b32_e32 v3, 0xff0000, v3
	v_or3_b32 v3, v5, v3, v37
	v_or3_b32 v2, v2, 0, 0
	v_cmp_eq_u16_sdwa s[52:53], v4, v17 src0_sel:BYTE_0 src1_sel:DWORD
	s_and_saveexec_b64 s[28:29], s[52:53]
	s_cbranch_execz .LBB816_74
; %bb.77:                               ;   in Loop: Header=BB816_75 Depth=1
	s_mov_b64 s[52:53], 0
.LBB816_78:                             ;   Parent Loop BB816_75 Depth=1
                                        ; =>  This Inner Loop Header: Depth=2
	;;#ASMSTART
	global_load_dwordx4 v[2:5], v[20:21] off glc	
s_waitcnt vmcnt(0)
	;;#ASMEND
	v_cmp_ne_u16_sdwa s[58:59], v4, v17 src0_sel:BYTE_0 src1_sel:DWORD
	s_or_b64 s[52:53], s[58:59], s[52:53]
	s_andn2_b64 exec, exec, s[52:53]
	s_cbranch_execnz .LBB816_78
; %bb.79:                               ;   in Loop: Header=BB816_75 Depth=1
	s_or_b64 exec, exec, s[52:53]
	s_branch .LBB816_74
.LBB816_80:                             ;   in Loop: Header=BB816_75 Depth=1
                                        ; implicit-def: $vgpr3
                                        ; implicit-def: $vgpr2
                                        ; implicit-def: $vgpr4
	s_cbranch_execz .LBB816_75
; %bb.81:
	s_and_saveexec_b64 s[28:29], s[26:27]
	s_cbranch_execz .LBB816_83
; %bb.82:
	s_cmp_eq_u32 s54, 0
	s_cselect_b64 vcc, -1, 0
	s_mov_b32 s53, 0
	v_cndmask_b32_e32 v2, 0, v7, vcc
	s_add_i32 s52, s56, 64
	v_add_u32_e32 v2, s55, v2
	s_lshl_b64 s[52:53], s[52:53], 4
	s_add_u32 s52, s36, s52
	v_and_b32_e32 v3, 0xff000000, v2
	v_and_b32_e32 v4, 0xff0000, v2
	s_addc_u32 s53, s37, s53
	v_or_b32_e32 v3, v4, v3
	v_and_b32_e32 v4, 0xff00, v2
	v_and_b32_e32 v2, 0xff, v2
	v_add_u32_e32 v16, s54, v6
	v_mov_b32_e32 v19, 0
	v_or3_b32 v17, v3, v4, v2
	v_mov_b32_e32 v18, 2
	v_pk_mov_b32 v[2:3], s[52:53], s[52:53] op_sel:[0,1]
	;;#ASMSTART
	global_store_dwordx4 v[2:3], v[16:19] off	
s_waitcnt vmcnt(0)
	;;#ASMEND
	v_mov_b32_e32 v4, s54
	v_mov_b32_e32 v5, s55
	ds_write_b128 v19, v[4:7] offset:768
.LBB816_83:
	s_or_b64 exec, exec, s[28:29]
	s_and_b64 exec, exec, s[0:1]
	s_cbranch_execz .LBB816_85
; %bb.84:
	v_mov_b32_e32 v2, 0
	ds_write_b64 v2, v[6:7] offset:800
.LBB816_85:
	s_or_b64 exec, exec, s[50:51]
	v_mov_b32_e32 v4, 0
	s_waitcnt lgkmcnt(0)
	s_barrier
	ds_read_b64 v[2:3], v4 offset:800
	v_cndmask_b32_e64 v6, v22, v14, s[26:27]
	v_cmp_eq_u32_e32 vcc, 0, v6
	v_cndmask_b32_e64 v5, v23, v15, s[26:27]
	s_waitcnt lgkmcnt(0)
	v_cndmask_b32_e32 v7, 0, v3, vcc
	v_add_u32_e32 v5, v7, v5
	v_cndmask_b32_e64 v41, v5, v3, s[0:1]
	v_cndmask_b32_e64 v3, v6, 0, s[0:1]
	v_cmp_eq_u32_e32 vcc, 0, v57
	v_add_u32_e32 v40, v2, v3
	v_cndmask_b32_e32 v2, 0, v41, vcc
	v_add_u32_e32 v39, v2, v42
	v_cndmask_b32_e64 v2, 0, v39, s[24:25]
	v_add_u32_e32 v37, v2, v42
	v_cndmask_b32_e64 v2, 0, v37, s[22:23]
	v_add_u32_e32 v35, v2, v42
	v_cndmask_b32_e64 v2, 0, v35, s[20:21]
	v_add_u32_e32 v33, v2, v42
	v_cndmask_b32_e64 v2, 0, v33, s[18:19]
	v_add_u32_e32 v31, v2, v42
	v_cndmask_b32_e64 v2, 0, v31, s[16:17]
	v_add_u32_e32 v29, v2, v42
	v_cndmask_b32_e64 v2, 0, v29, s[14:15]
	v_add_u32_e32 v27, v2, v42
	v_cndmask_b32_e64 v2, 0, v27, s[12:13]
	v_add_u32_e32 v25, v2, v42
	v_add_u32_e32 v38, v40, v57
	v_cndmask_b32_e64 v2, 0, v25, s[10:11]
	v_add_u32_e32 v36, v38, v56
	v_add_u32_e32 v23, v2, v42
	v_add_u32_e32 v34, v36, v55
	v_cndmask_b32_e64 v2, 0, v23, s[8:9]
	v_add_u32_e32 v32, v34, v54
	;; [unrolled: 4-line block ×3, first 2 shown]
	v_add_u32_e32 v19, v2, v42
	s_barrier
	ds_read_b128 v[2:5], v4 offset:768
	v_add_u32_e32 v26, v28, v51
	v_add_u32_e32 v24, v26, v50
	;; [unrolled: 1-line block ×4, first 2 shown]
	v_cndmask_b32_e64 v6, 0, v19, s[4:5]
	v_add_u32_e32 v18, v20, v47
	v_add_u32_e32 v15, v6, v42
	s_waitcnt lgkmcnt(0)
	v_cmp_eq_u32_e32 vcc, 0, v2
	v_add_u32_e32 v14, v18, v46
	v_cndmask_b32_e64 v6, 0, v15, s[2:3]
	v_cndmask_b32_e32 v5, 0, v5, vcc
	v_add_u32_e32 v16, v14, v45
	v_add_u32_e32 v17, v6, v42
	;; [unrolled: 1-line block ×3, first 2 shown]
	s_branch .LBB816_98
.LBB816_86:
                                        ; implicit-def: $vgpr2
                                        ; implicit-def: $vgpr6
                                        ; implicit-def: $vgpr16_vgpr17
                                        ; implicit-def: $vgpr14_vgpr15
                                        ; implicit-def: $vgpr18_vgpr19
                                        ; implicit-def: $vgpr20_vgpr21
                                        ; implicit-def: $vgpr40_vgpr41
                                        ; implicit-def: $vgpr38_vgpr39
                                        ; implicit-def: $vgpr36_vgpr37
                                        ; implicit-def: $vgpr34_vgpr35
                                        ; implicit-def: $vgpr32_vgpr33
                                        ; implicit-def: $vgpr30_vgpr31
                                        ; implicit-def: $vgpr28_vgpr29
                                        ; implicit-def: $vgpr26_vgpr27
                                        ; implicit-def: $vgpr24_vgpr25
                                        ; implicit-def: $vgpr22_vgpr23
	s_cbranch_execz .LBB816_98
; %bb.87:
	s_and_b64 s[2:3], s[38:39], exec
	s_cselect_b32 s3, 0, s49
	s_cselect_b32 s2, 0, s48
	s_cmp_eq_u64 s[2:3], 0
	v_mov_b32_e32 v6, v42
	s_cbranch_scc1 .LBB816_89
; %bb.88:
	v_mov_b32_e32 v2, 0
	global_load_dword v6, v2, s[2:3]
.LBB816_89:
	v_cmp_eq_u32_e64 s[2:3], 0, v56
	v_cndmask_b32_e64 v2, 0, v42, s[2:3]
	v_add_u32_e32 v2, v2, v42
	v_cmp_eq_u32_e64 s[4:5], 0, v55
	v_cndmask_b32_e64 v2, 0, v2, s[4:5]
	v_add_u32_e32 v2, v2, v42
	;; [unrolled: 3-line block ×10, first 2 shown]
	v_cmp_eq_u32_e64 s[22:23], 0, v46
	v_cndmask_b32_e64 v2, 0, v2, s[22:23]
	v_add3_u32 v3, v60, v53, v52
	v_add_u32_e32 v2, v2, v42
	v_cmp_eq_u32_e32 vcc, 0, v45
	v_add3_u32 v3, v3, v51, v50
	v_cndmask_b32_e32 v2, 0, v2, vcc
	v_add3_u32 v3, v3, v49, v48
	v_add_u32_e32 v2, v2, v42
	v_cmp_eq_u32_e64 s[24:25], 0, v44
	v_add3_u32 v3, v3, v47, v46
	v_cndmask_b32_e64 v2, 0, v2, s[24:25]
	v_add3_u32 v3, v3, v45, v44
	v_add_u32_e32 v2, v2, v43
	v_mbcnt_hi_u32_b32 v7, -1, v59
	v_and_b32_e32 v4, 15, v7
	v_mov_b32_dpp v14, v2 row_shr:1 row_mask:0xf bank_mask:0xf
	v_cmp_eq_u32_e64 s[24:25], 0, v3
	v_mov_b32_dpp v5, v3 row_shr:1 row_mask:0xf bank_mask:0xf
	v_cndmask_b32_e64 v14, 0, v14, s[24:25]
	v_cmp_eq_u32_e64 s[24:25], 0, v4
	v_cndmask_b32_e64 v5, v5, 0, s[24:25]
	v_add_u32_e32 v3, v5, v3
	v_cndmask_b32_e64 v5, v14, 0, s[24:25]
	v_add_u32_e32 v2, v5, v2
	v_cmp_eq_u32_e64 s[24:25], 0, v3
	v_mov_b32_dpp v5, v3 row_shr:2 row_mask:0xf bank_mask:0xf
	v_cmp_lt_u32_e64 s[26:27], 1, v4
	v_mov_b32_dpp v14, v2 row_shr:2 row_mask:0xf bank_mask:0xf
	v_cndmask_b32_e64 v5, 0, v5, s[26:27]
	s_and_b64 s[24:25], s[26:27], s[24:25]
	v_cndmask_b32_e64 v14, 0, v14, s[24:25]
	v_add_u32_e32 v3, v3, v5
	v_add_u32_e32 v2, v14, v2
	v_cmp_eq_u32_e64 s[24:25], 0, v3
	v_mov_b32_dpp v5, v3 row_shr:4 row_mask:0xf bank_mask:0xf
	v_cmp_lt_u32_e64 s[26:27], 3, v4
	v_mov_b32_dpp v14, v2 row_shr:4 row_mask:0xf bank_mask:0xf
	v_cndmask_b32_e64 v5, 0, v5, s[26:27]
	s_and_b64 s[24:25], s[26:27], s[24:25]
	v_cndmask_b32_e64 v14, 0, v14, s[24:25]
	v_add_u32_e32 v3, v5, v3
	v_add_u32_e32 v2, v2, v14
	v_cmp_eq_u32_e64 s[24:25], 0, v3
	v_cmp_lt_u32_e64 s[26:27], 7, v4
	v_mov_b32_dpp v5, v3 row_shr:8 row_mask:0xf bank_mask:0xf
	v_mov_b32_dpp v14, v2 row_shr:8 row_mask:0xf bank_mask:0xf
	s_and_b64 s[24:25], s[26:27], s[24:25]
	v_cndmask_b32_e64 v4, 0, v5, s[26:27]
	v_cndmask_b32_e64 v5, 0, v14, s[24:25]
	v_add_u32_e32 v2, v5, v2
	v_add_u32_e32 v3, v4, v3
	v_bfe_i32 v14, v7, 4, 1
	v_mov_b32_dpp v5, v2 row_bcast:15 row_mask:0xf bank_mask:0xf
	v_mov_b32_dpp v4, v3 row_bcast:15 row_mask:0xf bank_mask:0xf
	v_cmp_eq_u32_e64 s[24:25], 0, v3
	v_cndmask_b32_e64 v5, 0, v5, s[24:25]
	v_and_b32_e32 v4, v14, v4
	v_add_u32_e32 v3, v4, v3
	v_and_b32_e32 v4, v14, v5
	v_add_u32_e32 v4, v4, v2
	v_mov_b32_dpp v2, v3 row_bcast:31 row_mask:0xf bank_mask:0xf
	v_cmp_eq_u32_e64 s[24:25], 0, v3
	v_cmp_lt_u32_e64 s[26:27], 31, v7
	v_mov_b32_dpp v5, v4 row_bcast:31 row_mask:0xf bank_mask:0xf
	v_cndmask_b32_e64 v2, 0, v2, s[26:27]
	s_and_b64 s[24:25], s[26:27], s[24:25]
	v_add_u32_e32 v2, v2, v3
	v_cndmask_b32_e64 v3, 0, v5, s[24:25]
	v_add_u32_e32 v3, v3, v4
	v_and_b32_e32 v4, 0xc0, v0
	v_min_u32_e32 v4, 0x80, v4
	v_or_b32_e32 v4, 63, v4
	v_cmp_eq_u32_e64 s[24:25], v4, v0
	v_lshlrev_b32_e32 v5, 3, v58
	s_and_saveexec_b64 s[26:27], s[24:25]
	s_cbranch_execz .LBB816_91
; %bb.90:
	ds_write_b64 v5, v[2:3] offset:784
.LBB816_91:
	s_or_b64 exec, exec, s[26:27]
	v_cmp_gt_u32_e64 s[24:25], 3, v0
	s_waitcnt lgkmcnt(0)
	s_barrier
	s_and_saveexec_b64 s[28:29], s[24:25]
	s_cbranch_execz .LBB816_93
; %bb.92:
	v_lshlrev_b32_e32 v4, 3, v0
	ds_read_b64 v[14:15], v4 offset:784
	v_and_b32_e32 v16, 3, v7
	v_cmp_lt_u32_e64 s[26:27], 1, v16
	s_waitcnt lgkmcnt(0)
	v_mov_b32_dpp v18, v15 row_shr:1 row_mask:0xf bank_mask:0xf
	v_cmp_eq_u32_e64 s[24:25], 0, v14
	v_mov_b32_dpp v17, v14 row_shr:1 row_mask:0xf bank_mask:0xf
	v_cndmask_b32_e64 v18, 0, v18, s[24:25]
	v_cmp_eq_u32_e64 s[24:25], 0, v16
	v_cndmask_b32_e64 v17, v17, 0, s[24:25]
	v_add_u32_e32 v14, v17, v14
	v_cndmask_b32_e64 v17, v18, 0, s[24:25]
	v_add_u32_e32 v15, v17, v15
	v_cmp_eq_u32_e64 s[24:25], 0, v14
	v_mov_b32_dpp v17, v14 row_shr:2 row_mask:0xf bank_mask:0xf
	v_mov_b32_dpp v18, v15 row_shr:2 row_mask:0xf bank_mask:0xf
	v_cndmask_b32_e64 v16, 0, v17, s[26:27]
	s_and_b64 s[24:25], s[26:27], s[24:25]
	v_add_u32_e32 v14, v16, v14
	v_cndmask_b32_e64 v16, 0, v18, s[24:25]
	v_add_u32_e32 v15, v16, v15
	ds_write_b64 v4, v[14:15] offset:784
.LBB816_93:
	s_or_b64 exec, exec, s[28:29]
	v_cmp_lt_u32_e64 s[24:25], 63, v0
	v_mov_b32_e32 v15, 0
	v_mov_b32_e32 v4, 0
	s_waitcnt vmcnt(0)
	v_mov_b32_e32 v14, v6
	s_waitcnt lgkmcnt(0)
	s_barrier
	s_and_saveexec_b64 s[26:27], s[24:25]
	s_cbranch_execz .LBB816_95
; %bb.94:
	ds_read_b64 v[4:5], v5 offset:776
	s_waitcnt lgkmcnt(0)
	v_cmp_eq_u32_e64 s[24:25], 0, v4
	v_cndmask_b32_e64 v14, 0, v6, s[24:25]
	v_add_u32_e32 v14, v14, v5
.LBB816_95:
	s_or_b64 exec, exec, s[26:27]
	v_cmp_eq_u32_e64 s[24:25], 0, v2
	v_add_u32_e32 v5, v4, v2
	v_cndmask_b32_e64 v2, 0, v14, s[24:25]
	v_add_u32_e32 v2, v2, v3
	v_add_u32_e32 v3, -1, v7
	v_and_b32_e32 v16, 64, v7
	v_cmp_lt_i32_e64 s[24:25], v3, v16
	v_cndmask_b32_e64 v3, v3, v7, s[24:25]
	v_lshlrev_b32_e32 v3, 2, v3
	ds_bpermute_b32 v2, v3, v2
	ds_bpermute_b32 v5, v3, v5
	v_cmp_eq_u32_e64 s[24:25], 0, v7
	s_waitcnt lgkmcnt(1)
	v_cndmask_b32_e64 v2, v2, v14, s[24:25]
	s_waitcnt lgkmcnt(0)
	v_cndmask_b32_e64 v3, v5, v4, s[24:25]
	v_cndmask_b32_e64 v41, v2, v6, s[0:1]
	v_cmp_eq_u32_e64 s[24:25], 0, v57
	v_cndmask_b32_e64 v2, 0, v41, s[24:25]
	v_add_u32_e32 v39, v2, v42
	v_cndmask_b32_e64 v2, 0, v39, s[2:3]
	v_add_u32_e32 v37, v2, v42
	;; [unrolled: 2-line block ×7, first 2 shown]
	v_cndmask_b32_e64 v2, 0, v27, s[14:15]
	v_cndmask_b32_e64 v40, v3, 0, s[0:1]
	v_add_u32_e32 v25, v2, v42
	v_add_u32_e32 v38, v40, v57
	v_cndmask_b32_e64 v2, 0, v25, s[16:17]
	v_add_u32_e32 v36, v38, v56
	v_add_u32_e32 v23, v2, v42
	v_add_u32_e32 v34, v36, v55
	v_cndmask_b32_e64 v2, 0, v23, s[18:19]
	v_add_u32_e32 v32, v34, v54
	;; [unrolled: 4-line block ×3, first 2 shown]
	v_add_u32_e32 v19, v2, v42
	ds_read_b64 v[2:3], v15 offset:800
	v_add_u32_e32 v26, v28, v51
	v_add_u32_e32 v24, v26, v50
	;; [unrolled: 1-line block ×3, first 2 shown]
	v_cndmask_b32_e64 v4, 0, v19, s[22:23]
	v_add_u32_e32 v20, v22, v48
	v_add_u32_e32 v15, v4, v42
	;; [unrolled: 1-line block ×3, first 2 shown]
	v_cndmask_b32_e32 v4, 0, v15, vcc
	s_waitcnt lgkmcnt(0)
	v_cmp_eq_u32_e32 vcc, 0, v2
	v_add_u32_e32 v14, v18, v46
	v_add_u32_e32 v17, v4, v42
	v_cndmask_b32_e32 v4, 0, v6, vcc
	v_add_u32_e32 v16, v14, v45
	v_add_u32_e32 v6, v4, v3
	s_and_saveexec_b64 s[2:3], s[0:1]
	s_cbranch_execz .LBB816_97
; %bb.96:
	s_add_u32 s4, s36, 0x400
	v_and_b32_e32 v3, 0xff000000, v6
	v_and_b32_e32 v4, 0xff0000, v6
	s_addc_u32 s5, s37, 0
	v_or_b32_e32 v3, v4, v3
	v_and_b32_e32 v4, 0xff00, v6
	v_and_b32_e32 v7, 0xff, v6
	v_mov_b32_e32 v5, 0
	v_or3_b32 v3, v3, v4, v7
	v_mov_b32_e32 v4, 2
	v_pk_mov_b32 v[42:43], s[4:5], s[4:5] op_sel:[0,1]
	;;#ASMSTART
	global_store_dwordx4 v[42:43], v[2:5] off	
s_waitcnt vmcnt(0)
	;;#ASMEND
.LBB816_97:
	s_or_b64 exec, exec, s[2:3]
	v_mov_b32_e32 v4, 0
.LBB816_98:
	s_and_b64 s[2:3], s[38:39], exec
	s_cselect_b32 s3, 0, s31
	s_cselect_b32 s2, 0, s30
	s_cmp_eq_u64 s[2:3], 0
	v_pk_mov_b32 v[42:43], 0, 0
	s_barrier
	s_cbranch_scc1 .LBB816_100
; %bb.99:
	v_mov_b32_e32 v3, 0
	global_load_dwordx2 v[42:43], v3, s[2:3]
.LBB816_100:
	s_waitcnt vmcnt(0)
	v_lshlrev_b64 v[58:59], 1, v[42:43]
	v_mov_b32_e32 v3, s45
	v_add_co_u32_e32 v7, vcc, s44, v58
	v_mov_b32_e32 v5, 0
	v_addc_co_u32_e32 v60, vcc, v3, v59, vcc
	v_lshlrev_b64 v[58:59], 1, v[4:5]
	v_add_co_u32_e32 v3, vcc, v7, v58
	v_addc_co_u32_e32 v7, vcc, v60, v59, vcc
	v_cmp_eq_u32_e32 vcc, 0, v57
	v_cndmask_b32_e64 v58, 1, 2, vcc
	v_cmp_eq_u32_e32 vcc, 0, v56
	v_cndmask_b32_e64 v59, 1, 2, vcc
	v_cmp_eq_u32_e32 vcc, 0, v55
	v_and_b32_e32 v58, v59, v58
	v_cndmask_b32_e64 v59, 1, 2, vcc
	v_cmp_eq_u32_e32 vcc, 0, v54
	v_and_b32_e32 v58, v58, v59
	;; [unrolled: 3-line block ×12, first 2 shown]
	v_cndmask_b32_e64 v59, 1, 2, vcc
	s_movk_i32 s30, 0xc0
	v_and_b32_e32 v58, v58, v59
	v_cmp_gt_u32_e32 vcc, s30, v2
	v_cmp_ne_u32_e64 s[28:29], 0, v57
	v_cmp_ne_u32_e64 s[26:27], 0, v56
	;; [unrolled: 1-line block ×14, first 2 shown]
	s_mov_b64 s[36:37], -1
	v_cmp_gt_i16_e64 s[30:31], 2, v58
	s_cbranch_vccz .LBB816_107
; %bb.101:
	s_and_saveexec_b64 s[36:37], s[30:31]
	s_cbranch_execz .LBB816_106
; %bb.102:
	v_cmp_ne_u16_e32 vcc, 1, v58
	s_mov_b64 s[38:39], 0
	s_and_saveexec_b64 s[30:31], vcc
	s_xor_b64 s[30:31], exec, s[30:31]
	s_cbranch_execnz .LBB816_139
; %bb.103:
	s_andn2_saveexec_b64 s[30:31], s[30:31]
	s_cbranch_execnz .LBB816_154
.LBB816_104:
	s_or_b64 exec, exec, s[30:31]
	s_and_b64 exec, exec, s[38:39]
	s_cbranch_execz .LBB816_106
.LBB816_105:
	v_sub_u32_e32 v60, v16, v4
	v_mov_b32_e32 v61, 0
	v_lshlrev_b64 v[60:61], 1, v[60:61]
	v_add_co_u32_e32 v60, vcc, v3, v60
	v_addc_co_u32_e32 v61, vcc, v7, v61, vcc
	global_store_short_d16_hi v[60:61], v1, off
.LBB816_106:
	s_or_b64 exec, exec, s[36:37]
	s_mov_b64 s[36:37], 0
.LBB816_107:
	s_and_b64 vcc, exec, s[36:37]
	s_cbranch_vccz .LBB816_117
; %bb.108:
	v_cmp_gt_i16_e32 vcc, 2, v58
	s_and_saveexec_b64 s[30:31], vcc
	s_cbranch_execz .LBB816_113
; %bb.109:
	v_cmp_ne_u16_e32 vcc, 1, v58
	s_mov_b64 s[38:39], 0
	s_and_saveexec_b64 s[36:37], vcc
	s_xor_b64 s[36:37], exec, s[36:37]
	s_cbranch_execnz .LBB816_155
; %bb.110:
	s_andn2_saveexec_b64 s[2:3], s[36:37]
	s_cbranch_execnz .LBB816_170
.LBB816_111:
	s_or_b64 exec, exec, s[2:3]
	s_and_b64 exec, exec, s[38:39]
	s_cbranch_execz .LBB816_113
.LBB816_112:
	v_sub_u32_e32 v8, v16, v4
	v_lshlrev_b32_e32 v8, 1, v8
	ds_write_b16_d16_hi v8, v1
.LBB816_113:
	s_or_b64 exec, exec, s[30:31]
	v_cmp_lt_u32_e32 vcc, v0, v2
	s_waitcnt lgkmcnt(0)
	s_barrier
	s_and_saveexec_b64 s[2:3], vcc
	s_cbranch_execz .LBB816_116
; %bb.114:
	v_lshlrev_b32_e32 v1, 1, v0
	s_mov_b64 s[4:5], 0
	v_mov_b32_e32 v9, 0
	v_mov_b32_e32 v8, v0
.LBB816_115:                            ; =>This Inner Loop Header: Depth=1
	ds_read_u16 v12, v1
	v_lshlrev_b64 v[10:11], 1, v[8:9]
	v_add_co_u32_e32 v10, vcc, v3, v10
	v_add_u32_e32 v8, 0xc0, v8
	v_addc_co_u32_e32 v11, vcc, v7, v11, vcc
	v_cmp_ge_u32_e32 vcc, v8, v2
	v_add_u32_e32 v1, 0x180, v1
	s_or_b64 s[4:5], vcc, s[4:5]
	s_waitcnt lgkmcnt(0)
	global_store_short v[10:11], v12, off
	s_andn2_b64 exec, exec, s[4:5]
	s_cbranch_execnz .LBB816_115
.LBB816_116:
	s_or_b64 exec, exec, s[2:3]
.LBB816_117:
	s_cmpk_lg_i32 s33, 0xa80
	s_cselect_b64 s[2:3], -1, 0
	v_cndmask_b32_e64 v11, 0, 1, s[42:43]
	s_and_b64 s[2:3], s[2:3], s[40:41]
	v_sub_u32_e32 v1, v2, v11
	v_cndmask_b32_e64 v3, 0, 1, s[2:3]
	s_and_b64 s[0:1], s[0:1], s[42:43]
	v_add_u32_e32 v1, v1, v3
	v_cndmask_b32_e64 v3, v57, 0, s[0:1]
	s_lshr_b32 s0, s33, 1
	s_mul_hi_u32 s0, s0, 0x92492493
	s_lshr_b32 s0, s0, 2
	v_mad_i32_i24 v7, v0, -14, s33
	v_cmp_eq_u32_e32 vcc, s0, v0
	v_cmp_ne_u32_e64 s[0:1], 0, v7
	v_cndmask_b32_e64 v8, 1, v3, s[0:1]
	v_cmp_ne_u32_e64 s[0:1], 1, v7
	v_cndmask_b32_e64 v9, 1, v56, s[0:1]
	;; [unrolled: 2-line block ×13, first 2 shown]
	v_cmp_ne_u32_e64 s[0:1], 13, v7
	s_and_b64 vcc, vcc, s[40:41]
	v_cndmask_b32_e64 v7, 1, v44, s[0:1]
	v_cndmask_b32_e32 v13, v53, v13, vcc
	v_cndmask_b32_e32 v12, v54, v12, vcc
	;; [unrolled: 1-line block ×5, first 2 shown]
	v_lshlrev_b64 v[8:9], 3, v[42:43]
	v_cndmask_b32_e32 v44, v44, v7, vcc
	v_cndmask_b32_e32 v45, v45, v64, vcc
	;; [unrolled: 1-line block ×9, first 2 shown]
	v_mov_b32_e32 v3, s47
	v_add_co_u32_e32 v7, vcc, s46, v8
	v_addc_co_u32_e32 v3, vcc, v3, v9, vcc
	v_lshlrev_b64 v[8:9], 3, v[4:5]
	v_add_co_u32_e32 v5, vcc, v7, v8
	v_addc_co_u32_e32 v10, vcc, v3, v9, vcc
	v_lshlrev_b32_e32 v3, 3, v11
	v_add_co_u32_e32 v3, vcc, v3, v5
	v_addc_co_u32_e32 v7, vcc, 0, v10, vcc
	v_add_co_u32_e32 v3, vcc, -8, v3
	v_addc_co_u32_e32 v7, vcc, -1, v7, vcc
	v_cmp_eq_u32_e32 vcc, 0, v55
	v_cndmask_b32_e64 v9, 1, 2, vcc
	v_cmp_eq_u32_e32 vcc, 0, v54
	v_add_u32_e32 v8, v4, v11
	v_cndmask_b32_e64 v11, 1, 2, vcc
	v_cmp_eq_u32_e32 vcc, 0, v53
	v_and_b32_e32 v9, v11, v9
	v_cndmask_b32_e64 v11, 1, 2, vcc
	v_cmp_eq_u32_e32 vcc, 0, v12
	v_and_b32_e32 v9, v9, v11
	;; [unrolled: 3-line block ×12, first 2 shown]
	v_cndmask_b32_e64 v11, 1, 2, vcc
	s_movk_i32 s28, 0xc0
	v_and_b32_e32 v9, v9, v11
	v_cmp_gt_u32_e32 vcc, s28, v1
	v_cmp_ne_u32_e64 s[26:27], 0, v55
	v_cmp_ne_u32_e64 s[24:25], 0, v54
	;; [unrolled: 1-line block ×14, first 2 shown]
	s_mov_b64 s[30:31], -1
	v_cmp_gt_i16_e64 s[28:29], 2, v9
	s_barrier
	s_cbranch_vccz .LBB816_124
; %bb.118:
	s_and_saveexec_b64 s[30:31], s[28:29]
	s_cbranch_execz .LBB816_123
; %bb.119:
	v_cmp_ne_u16_e32 vcc, 1, v9
	s_mov_b64 s[36:37], 0
	s_and_saveexec_b64 s[28:29], vcc
	s_xor_b64 s[28:29], exec, s[28:29]
	s_cbranch_execnz .LBB816_171
; %bb.120:
	s_andn2_saveexec_b64 s[28:29], s[28:29]
	s_cbranch_execnz .LBB816_186
.LBB816_121:
	s_or_b64 exec, exec, s[28:29]
	s_and_b64 exec, exec, s[36:37]
	s_cbranch_execz .LBB816_123
.LBB816_122:
	v_mov_b32_e32 v13, 0
	v_sub_u32_e32 v44, v16, v8
	v_mov_b32_e32 v45, v13
	v_lshlrev_b64 v[44:45], 3, v[44:45]
	v_add_co_u32_e32 v44, vcc, v3, v44
	v_mov_b32_e32 v12, v17
	v_addc_co_u32_e32 v45, vcc, v7, v45, vcc
	global_store_dwordx2 v[44:45], v[12:13], off
.LBB816_123:
	s_or_b64 exec, exec, s[30:31]
	s_mov_b64 s[30:31], 0
.LBB816_124:
	s_and_b64 vcc, exec, s[30:31]
	s_cbranch_vccz .LBB816_134
; %bb.125:
	v_cmp_gt_i16_e32 vcc, 2, v9
	s_and_saveexec_b64 s[28:29], vcc
	s_cbranch_execz .LBB816_130
; %bb.126:
	v_cmp_ne_u16_e32 vcc, 1, v9
	s_mov_b64 s[36:37], 0
	s_and_saveexec_b64 s[30:31], vcc
	s_xor_b64 s[30:31], exec, s[30:31]
	s_cbranch_execnz .LBB816_187
; %bb.127:
	s_andn2_saveexec_b64 s[0:1], s[30:31]
	s_cbranch_execnz .LBB816_202
.LBB816_128:
	s_or_b64 exec, exec, s[0:1]
	s_and_b64 exec, exec, s[36:37]
	s_cbranch_execz .LBB816_130
.LBB816_129:
	v_sub_u32_e32 v8, v16, v8
	v_lshlrev_b32_e32 v8, 2, v8
	ds_write_b32 v8, v17
.LBB816_130:
	s_or_b64 exec, exec, s[28:29]
	v_cmp_lt_u32_e32 vcc, v0, v1
	s_waitcnt lgkmcnt(0)
	s_barrier
	s_and_saveexec_b64 s[0:1], vcc
	s_cbranch_execz .LBB816_133
; %bb.131:
	v_lshlrev_b32_e32 v11, 2, v0
	s_mov_b64 s[2:3], 0
	v_mov_b32_e32 v9, 0
	v_mov_b32_e32 v8, v0
.LBB816_132:                            ; =>This Inner Loop Header: Depth=1
	ds_read_b32 v12, v11
	v_lshlrev_b64 v[14:15], 3, v[8:9]
	v_add_co_u32_e32 v14, vcc, v3, v14
	v_add_u32_e32 v8, 0xc0, v8
	v_addc_co_u32_e32 v15, vcc, v7, v15, vcc
	v_cmp_ge_u32_e32 vcc, v8, v1
	v_mov_b32_e32 v13, v9
	v_add_u32_e32 v11, 0x300, v11
	s_or_b64 s[2:3], vcc, s[2:3]
	s_waitcnt lgkmcnt(0)
	global_store_dwordx2 v[14:15], v[12:13], off
	s_andn2_b64 exec, exec, s[2:3]
	s_cbranch_execnz .LBB816_132
.LBB816_133:
	s_or_b64 exec, exec, s[0:1]
.LBB816_134:
	s_movk_i32 s0, 0xbf
	v_cmp_eq_u32_e32 vcc, s0, v0
	s_and_b64 s[0:1], vcc, s[40:41]
	s_and_saveexec_b64 s[2:3], s[0:1]
	s_cbranch_execz .LBB816_137
; %bb.135:
	v_add_co_u32_e32 v0, vcc, v2, v4
	v_addc_co_u32_e64 v1, s[0:1], 0, 0, vcc
	v_add_co_u32_e32 v0, vcc, v0, v42
	v_mov_b32_e32 v3, 0
	v_addc_co_u32_e32 v1, vcc, v1, v43, vcc
	s_cmpk_lg_i32 s33, 0xa80
	global_store_dwordx2 v3, v[0:1], s[34:35]
	s_cbranch_scc1 .LBB816_137
; %bb.136:
	v_lshlrev_b64 v[0:1], 3, v[2:3]
	v_add_co_u32_e32 v0, vcc, v5, v0
	v_mov_b32_e32 v7, v3
	v_addc_co_u32_e32 v1, vcc, v10, v1, vcc
	global_store_dwordx2 v[0:1], v[6:7], off offset:-8
.LBB816_137:
	s_endpgm
.LBB816_138:
	s_or_b64 exec, exec, s[4:5]
	v_mov_b32_e32 v57, s14
	s_and_saveexec_b64 s[2:3], s[6:7]
	s_cbranch_execnz .LBB816_58
	s_branch .LBB816_59
.LBB816_139:
	s_and_saveexec_b64 s[38:39], s[28:29]
	s_cbranch_execnz .LBB816_203
; %bb.140:
	s_or_b64 exec, exec, s[38:39]
	s_and_saveexec_b64 s[38:39], s[26:27]
	s_cbranch_execnz .LBB816_204
.LBB816_141:
	s_or_b64 exec, exec, s[38:39]
	s_and_saveexec_b64 s[38:39], s[24:25]
	s_cbranch_execnz .LBB816_205
.LBB816_142:
	s_or_b64 exec, exec, s[38:39]
	s_and_saveexec_b64 s[38:39], s[22:23]
	s_cbranch_execnz .LBB816_206
.LBB816_143:
	s_or_b64 exec, exec, s[38:39]
	s_and_saveexec_b64 s[38:39], s[20:21]
	s_cbranch_execnz .LBB816_207
.LBB816_144:
	s_or_b64 exec, exec, s[38:39]
	s_and_saveexec_b64 s[38:39], s[18:19]
	s_cbranch_execnz .LBB816_208
.LBB816_145:
	s_or_b64 exec, exec, s[38:39]
	s_and_saveexec_b64 s[38:39], s[16:17]
	s_cbranch_execnz .LBB816_209
.LBB816_146:
	s_or_b64 exec, exec, s[38:39]
	s_and_saveexec_b64 s[38:39], s[14:15]
	s_cbranch_execnz .LBB816_210
.LBB816_147:
	s_or_b64 exec, exec, s[38:39]
	s_and_saveexec_b64 s[38:39], s[12:13]
	s_cbranch_execnz .LBB816_211
.LBB816_148:
	s_or_b64 exec, exec, s[38:39]
	s_and_saveexec_b64 s[38:39], s[10:11]
	s_cbranch_execnz .LBB816_212
.LBB816_149:
	s_or_b64 exec, exec, s[38:39]
	s_and_saveexec_b64 s[38:39], s[8:9]
	s_cbranch_execnz .LBB816_213
.LBB816_150:
	s_or_b64 exec, exec, s[38:39]
	s_and_saveexec_b64 s[38:39], s[6:7]
	s_cbranch_execnz .LBB816_214
.LBB816_151:
	s_or_b64 exec, exec, s[38:39]
	s_and_saveexec_b64 s[38:39], s[4:5]
	s_cbranch_execz .LBB816_153
.LBB816_152:
	v_sub_u32_e32 v60, v14, v4
	v_mov_b32_e32 v61, 0
	v_lshlrev_b64 v[60:61], 1, v[60:61]
	v_add_co_u32_e32 v60, vcc, v3, v60
	v_addc_co_u32_e32 v61, vcc, v7, v61, vcc
	global_store_short v[60:61], v1, off
.LBB816_153:
	s_or_b64 exec, exec, s[38:39]
	s_and_b64 s[38:39], s[2:3], exec
	s_andn2_saveexec_b64 s[30:31], s[30:31]
	s_cbranch_execz .LBB816_104
.LBB816_154:
	v_sub_u32_e32 v60, v40, v4
	v_mov_b32_e32 v61, 0
	v_lshlrev_b64 v[62:63], 1, v[60:61]
	v_add_co_u32_e32 v62, vcc, v3, v62
	v_addc_co_u32_e32 v63, vcc, v7, v63, vcc
	v_sub_u32_e32 v60, v38, v4
	global_store_short v[62:63], v12, off
	v_lshlrev_b64 v[62:63], 1, v[60:61]
	v_add_co_u32_e32 v62, vcc, v3, v62
	v_addc_co_u32_e32 v63, vcc, v7, v63, vcc
	v_sub_u32_e32 v60, v36, v4
	global_store_short_d16_hi v[62:63], v12, off
	v_lshlrev_b64 v[62:63], 1, v[60:61]
	v_add_co_u32_e32 v62, vcc, v3, v62
	v_addc_co_u32_e32 v63, vcc, v7, v63, vcc
	v_sub_u32_e32 v60, v34, v4
	global_store_short v[62:63], v13, off
	v_lshlrev_b64 v[62:63], 1, v[60:61]
	v_add_co_u32_e32 v62, vcc, v3, v62
	v_addc_co_u32_e32 v63, vcc, v7, v63, vcc
	v_sub_u32_e32 v60, v32, v4
	global_store_short_d16_hi v[62:63], v13, off
	v_lshlrev_b64 v[62:63], 1, v[60:61]
	v_add_co_u32_e32 v62, vcc, v3, v62
	v_addc_co_u32_e32 v63, vcc, v7, v63, vcc
	v_sub_u32_e32 v60, v30, v4
	global_store_short v[62:63], v10, off
	v_lshlrev_b64 v[62:63], 1, v[60:61]
	v_add_co_u32_e32 v62, vcc, v3, v62
	v_addc_co_u32_e32 v63, vcc, v7, v63, vcc
	v_sub_u32_e32 v60, v28, v4
	global_store_short_d16_hi v[62:63], v10, off
	v_lshlrev_b64 v[62:63], 1, v[60:61]
	v_add_co_u32_e32 v62, vcc, v3, v62
	v_addc_co_u32_e32 v63, vcc, v7, v63, vcc
	v_sub_u32_e32 v60, v26, v4
	global_store_short v[62:63], v11, off
	v_lshlrev_b64 v[62:63], 1, v[60:61]
	v_add_co_u32_e32 v62, vcc, v3, v62
	v_addc_co_u32_e32 v63, vcc, v7, v63, vcc
	v_sub_u32_e32 v60, v24, v4
	global_store_short_d16_hi v[62:63], v11, off
	v_lshlrev_b64 v[62:63], 1, v[60:61]
	v_add_co_u32_e32 v62, vcc, v3, v62
	v_addc_co_u32_e32 v63, vcc, v7, v63, vcc
	v_sub_u32_e32 v60, v22, v4
	global_store_short v[62:63], v8, off
	v_lshlrev_b64 v[62:63], 1, v[60:61]
	v_add_co_u32_e32 v62, vcc, v3, v62
	v_addc_co_u32_e32 v63, vcc, v7, v63, vcc
	v_sub_u32_e32 v60, v20, v4
	global_store_short_d16_hi v[62:63], v8, off
	v_lshlrev_b64 v[62:63], 1, v[60:61]
	v_add_co_u32_e32 v62, vcc, v3, v62
	v_addc_co_u32_e32 v63, vcc, v7, v63, vcc
	v_sub_u32_e32 v60, v18, v4
	global_store_short v[62:63], v9, off
	v_lshlrev_b64 v[62:63], 1, v[60:61]
	v_add_co_u32_e32 v62, vcc, v3, v62
	v_sub_u32_e32 v60, v14, v4
	v_addc_co_u32_e32 v63, vcc, v7, v63, vcc
	v_lshlrev_b64 v[60:61], 1, v[60:61]
	v_add_co_u32_e32 v60, vcc, v3, v60
	v_addc_co_u32_e32 v61, vcc, v7, v61, vcc
	s_or_b64 s[38:39], s[38:39], exec
	global_store_short_d16_hi v[62:63], v9, off
	global_store_short v[60:61], v1, off
	s_or_b64 exec, exec, s[30:31]
	s_and_b64 exec, exec, s[38:39]
	s_cbranch_execnz .LBB816_105
	s_branch .LBB816_106
.LBB816_155:
	s_and_saveexec_b64 s[38:39], s[28:29]
	s_cbranch_execnz .LBB816_215
; %bb.156:
	s_or_b64 exec, exec, s[38:39]
	s_and_saveexec_b64 s[28:29], s[26:27]
	s_cbranch_execnz .LBB816_216
.LBB816_157:
	s_or_b64 exec, exec, s[28:29]
	s_and_saveexec_b64 s[26:27], s[24:25]
	s_cbranch_execnz .LBB816_217
.LBB816_158:
	s_or_b64 exec, exec, s[26:27]
	s_and_saveexec_b64 s[24:25], s[22:23]
	s_cbranch_execnz .LBB816_218
.LBB816_159:
	s_or_b64 exec, exec, s[24:25]
	s_and_saveexec_b64 s[22:23], s[20:21]
	s_cbranch_execnz .LBB816_219
.LBB816_160:
	s_or_b64 exec, exec, s[22:23]
	s_and_saveexec_b64 s[20:21], s[18:19]
	s_cbranch_execnz .LBB816_220
.LBB816_161:
	s_or_b64 exec, exec, s[20:21]
	s_and_saveexec_b64 s[18:19], s[16:17]
	s_cbranch_execnz .LBB816_221
.LBB816_162:
	s_or_b64 exec, exec, s[18:19]
	s_and_saveexec_b64 s[16:17], s[14:15]
	s_cbranch_execnz .LBB816_222
.LBB816_163:
	s_or_b64 exec, exec, s[16:17]
	s_and_saveexec_b64 s[14:15], s[12:13]
	s_cbranch_execnz .LBB816_223
.LBB816_164:
	s_or_b64 exec, exec, s[14:15]
	s_and_saveexec_b64 s[12:13], s[10:11]
	s_cbranch_execnz .LBB816_224
.LBB816_165:
	s_or_b64 exec, exec, s[12:13]
	s_and_saveexec_b64 s[10:11], s[8:9]
	s_cbranch_execnz .LBB816_225
.LBB816_166:
	s_or_b64 exec, exec, s[10:11]
	s_and_saveexec_b64 s[8:9], s[6:7]
	s_cbranch_execnz .LBB816_226
.LBB816_167:
	s_or_b64 exec, exec, s[8:9]
	s_and_saveexec_b64 s[6:7], s[4:5]
	s_cbranch_execz .LBB816_169
.LBB816_168:
	v_sub_u32_e32 v8, v14, v4
	v_lshlrev_b32_e32 v8, 1, v8
	ds_write_b16 v8, v1
.LBB816_169:
	s_or_b64 exec, exec, s[6:7]
	s_and_b64 s[38:39], s[2:3], exec
                                        ; implicit-def: $vgpr12
                                        ; implicit-def: $vgpr10
                                        ; implicit-def: $vgpr8
	s_andn2_saveexec_b64 s[2:3], s[36:37]
	s_cbranch_execz .LBB816_111
.LBB816_170:
	v_sub_u32_e32 v58, v40, v4
	v_lshlrev_b32_e32 v58, 1, v58
	ds_write_b16 v58, v12
	v_sub_u32_e32 v58, v38, v4
	v_lshlrev_b32_e32 v58, 1, v58
	ds_write_b16_d16_hi v58, v12
	v_sub_u32_e32 v12, v36, v4
	v_lshlrev_b32_e32 v12, 1, v12
	ds_write_b16 v12, v13
	v_sub_u32_e32 v12, v34, v4
	v_lshlrev_b32_e32 v12, 1, v12
	ds_write_b16_d16_hi v12, v13
	;; [unrolled: 6-line block ×6, first 2 shown]
	v_sub_u32_e32 v8, v14, v4
	v_lshlrev_b32_e32 v8, 1, v8
	s_or_b64 s[38:39], s[38:39], exec
	ds_write_b16 v8, v1
	s_or_b64 exec, exec, s[2:3]
	s_and_b64 exec, exec, s[38:39]
	s_cbranch_execnz .LBB816_112
	s_branch .LBB816_113
.LBB816_171:
	s_and_saveexec_b64 s[36:37], s[26:27]
	s_cbranch_execnz .LBB816_227
; %bb.172:
	s_or_b64 exec, exec, s[36:37]
	s_and_saveexec_b64 s[36:37], s[24:25]
	s_cbranch_execnz .LBB816_228
.LBB816_173:
	s_or_b64 exec, exec, s[36:37]
	s_and_saveexec_b64 s[36:37], s[22:23]
	s_cbranch_execnz .LBB816_229
.LBB816_174:
	s_or_b64 exec, exec, s[36:37]
	s_and_saveexec_b64 s[36:37], s[20:21]
	s_cbranch_execnz .LBB816_230
.LBB816_175:
	s_or_b64 exec, exec, s[36:37]
	s_and_saveexec_b64 s[36:37], s[18:19]
	s_cbranch_execnz .LBB816_231
.LBB816_176:
	s_or_b64 exec, exec, s[36:37]
	s_and_saveexec_b64 s[36:37], s[16:17]
	s_cbranch_execnz .LBB816_232
.LBB816_177:
	s_or_b64 exec, exec, s[36:37]
	s_and_saveexec_b64 s[36:37], s[14:15]
	s_cbranch_execnz .LBB816_233
.LBB816_178:
	s_or_b64 exec, exec, s[36:37]
	s_and_saveexec_b64 s[36:37], s[12:13]
	s_cbranch_execnz .LBB816_234
.LBB816_179:
	s_or_b64 exec, exec, s[36:37]
	s_and_saveexec_b64 s[36:37], s[10:11]
	s_cbranch_execnz .LBB816_235
.LBB816_180:
	s_or_b64 exec, exec, s[36:37]
	s_and_saveexec_b64 s[36:37], s[8:9]
	s_cbranch_execnz .LBB816_236
.LBB816_181:
	s_or_b64 exec, exec, s[36:37]
	s_and_saveexec_b64 s[36:37], s[6:7]
	s_cbranch_execnz .LBB816_237
.LBB816_182:
	s_or_b64 exec, exec, s[36:37]
	s_and_saveexec_b64 s[36:37], s[4:5]
	s_cbranch_execnz .LBB816_238
.LBB816_183:
	s_or_b64 exec, exec, s[36:37]
	s_and_saveexec_b64 s[36:37], s[2:3]
	s_cbranch_execz .LBB816_185
.LBB816_184:
	v_sub_u32_e32 v12, v14, v8
	v_mov_b32_e32 v13, 0
	v_lshlrev_b64 v[44:45], 3, v[12:13]
	v_add_co_u32_e32 v44, vcc, v3, v44
	v_addc_co_u32_e32 v45, vcc, v7, v45, vcc
	v_mov_b32_e32 v12, v15
	global_store_dwordx2 v[44:45], v[12:13], off
.LBB816_185:
	s_or_b64 exec, exec, s[36:37]
	s_and_b64 s[36:37], s[0:1], exec
	s_andn2_saveexec_b64 s[28:29], s[28:29]
	s_cbranch_execz .LBB816_121
.LBB816_186:
	v_mov_b32_e32 v13, 0
	v_sub_u32_e32 v44, v40, v8
	v_mov_b32_e32 v45, v13
	v_lshlrev_b64 v[44:45], 3, v[44:45]
	v_add_co_u32_e32 v44, vcc, v3, v44
	v_mov_b32_e32 v12, v41
	v_addc_co_u32_e32 v45, vcc, v7, v45, vcc
	global_store_dwordx2 v[44:45], v[12:13], off
	v_sub_u32_e32 v44, v38, v8
	v_mov_b32_e32 v45, v13
	v_lshlrev_b64 v[44:45], 3, v[44:45]
	v_add_co_u32_e32 v44, vcc, v3, v44
	v_mov_b32_e32 v12, v39
	v_addc_co_u32_e32 v45, vcc, v7, v45, vcc
	global_store_dwordx2 v[44:45], v[12:13], off
	;; [unrolled: 7-line block ×12, first 2 shown]
	v_sub_u32_e32 v44, v14, v8
	v_mov_b32_e32 v45, v13
	v_lshlrev_b64 v[44:45], 3, v[44:45]
	v_add_co_u32_e32 v44, vcc, v3, v44
	v_mov_b32_e32 v12, v15
	v_addc_co_u32_e32 v45, vcc, v7, v45, vcc
	s_or_b64 s[36:37], s[36:37], exec
	global_store_dwordx2 v[44:45], v[12:13], off
	s_or_b64 exec, exec, s[28:29]
	s_and_b64 exec, exec, s[36:37]
	s_cbranch_execnz .LBB816_122
	s_branch .LBB816_123
.LBB816_187:
	s_and_saveexec_b64 s[36:37], s[26:27]
	s_cbranch_execnz .LBB816_239
; %bb.188:
	s_or_b64 exec, exec, s[36:37]
	s_and_saveexec_b64 s[26:27], s[24:25]
	s_cbranch_execnz .LBB816_240
.LBB816_189:
	s_or_b64 exec, exec, s[26:27]
	s_and_saveexec_b64 s[24:25], s[22:23]
	s_cbranch_execnz .LBB816_241
.LBB816_190:
	s_or_b64 exec, exec, s[24:25]
	s_and_saveexec_b64 s[22:23], s[20:21]
	s_cbranch_execnz .LBB816_242
.LBB816_191:
	s_or_b64 exec, exec, s[22:23]
	s_and_saveexec_b64 s[20:21], s[18:19]
	s_cbranch_execnz .LBB816_243
.LBB816_192:
	s_or_b64 exec, exec, s[20:21]
	s_and_saveexec_b64 s[18:19], s[16:17]
	s_cbranch_execnz .LBB816_244
.LBB816_193:
	s_or_b64 exec, exec, s[18:19]
	s_and_saveexec_b64 s[16:17], s[14:15]
	s_cbranch_execnz .LBB816_245
.LBB816_194:
	s_or_b64 exec, exec, s[16:17]
	s_and_saveexec_b64 s[14:15], s[12:13]
	s_cbranch_execnz .LBB816_246
.LBB816_195:
	s_or_b64 exec, exec, s[14:15]
	s_and_saveexec_b64 s[12:13], s[10:11]
	s_cbranch_execnz .LBB816_247
.LBB816_196:
	s_or_b64 exec, exec, s[12:13]
	s_and_saveexec_b64 s[10:11], s[8:9]
	s_cbranch_execnz .LBB816_248
.LBB816_197:
	s_or_b64 exec, exec, s[10:11]
	s_and_saveexec_b64 s[8:9], s[6:7]
	s_cbranch_execnz .LBB816_249
.LBB816_198:
	s_or_b64 exec, exec, s[8:9]
	s_and_saveexec_b64 s[6:7], s[4:5]
	s_cbranch_execnz .LBB816_250
.LBB816_199:
	s_or_b64 exec, exec, s[6:7]
	s_and_saveexec_b64 s[4:5], s[2:3]
	s_cbranch_execz .LBB816_201
.LBB816_200:
	v_sub_u32_e32 v9, v14, v8
	v_lshlrev_b32_e32 v9, 2, v9
	ds_write_b32 v9, v15
.LBB816_201:
	s_or_b64 exec, exec, s[4:5]
	s_and_b64 s[36:37], s[0:1], exec
                                        ; implicit-def: $vgpr14_vgpr15
                                        ; implicit-def: $vgpr18_vgpr19
                                        ; implicit-def: $vgpr20_vgpr21
                                        ; implicit-def: $vgpr40_vgpr41
                                        ; implicit-def: $vgpr38_vgpr39
                                        ; implicit-def: $vgpr36_vgpr37
                                        ; implicit-def: $vgpr34_vgpr35
                                        ; implicit-def: $vgpr32_vgpr33
                                        ; implicit-def: $vgpr30_vgpr31
                                        ; implicit-def: $vgpr28_vgpr29
                                        ; implicit-def: $vgpr26_vgpr27
                                        ; implicit-def: $vgpr24_vgpr25
                                        ; implicit-def: $vgpr22_vgpr23
	s_andn2_saveexec_b64 s[0:1], s[30:31]
	s_cbranch_execz .LBB816_128
.LBB816_202:
	v_sub_u32_e32 v9, v40, v8
	v_lshlrev_b32_e32 v9, 2, v9
	ds_write_b32 v9, v41
	v_sub_u32_e32 v9, v38, v8
	v_lshlrev_b32_e32 v9, 2, v9
	ds_write_b32 v9, v39
	;; [unrolled: 3-line block ×12, first 2 shown]
	v_sub_u32_e32 v9, v14, v8
	v_lshlrev_b32_e32 v9, 2, v9
	s_or_b64 s[36:37], s[36:37], exec
	ds_write_b32 v9, v15
	s_or_b64 exec, exec, s[0:1]
	s_and_b64 exec, exec, s[36:37]
	s_cbranch_execnz .LBB816_129
	s_branch .LBB816_130
.LBB816_203:
	v_sub_u32_e32 v60, v40, v4
	v_mov_b32_e32 v61, 0
	v_lshlrev_b64 v[60:61], 1, v[60:61]
	v_add_co_u32_e32 v60, vcc, v3, v60
	v_addc_co_u32_e32 v61, vcc, v7, v61, vcc
	global_store_short v[60:61], v12, off
	s_or_b64 exec, exec, s[38:39]
	s_and_saveexec_b64 s[38:39], s[26:27]
	s_cbranch_execz .LBB816_141
.LBB816_204:
	v_sub_u32_e32 v60, v38, v4
	v_mov_b32_e32 v61, 0
	v_lshlrev_b64 v[60:61], 1, v[60:61]
	v_add_co_u32_e32 v60, vcc, v3, v60
	v_addc_co_u32_e32 v61, vcc, v7, v61, vcc
	global_store_short_d16_hi v[60:61], v12, off
	s_or_b64 exec, exec, s[38:39]
	s_and_saveexec_b64 s[38:39], s[24:25]
	s_cbranch_execz .LBB816_142
.LBB816_205:
	v_sub_u32_e32 v60, v36, v4
	v_mov_b32_e32 v61, 0
	v_lshlrev_b64 v[60:61], 1, v[60:61]
	v_add_co_u32_e32 v60, vcc, v3, v60
	v_addc_co_u32_e32 v61, vcc, v7, v61, vcc
	global_store_short v[60:61], v13, off
	s_or_b64 exec, exec, s[38:39]
	s_and_saveexec_b64 s[38:39], s[22:23]
	s_cbranch_execz .LBB816_143
.LBB816_206:
	v_sub_u32_e32 v60, v34, v4
	v_mov_b32_e32 v61, 0
	v_lshlrev_b64 v[60:61], 1, v[60:61]
	v_add_co_u32_e32 v60, vcc, v3, v60
	v_addc_co_u32_e32 v61, vcc, v7, v61, vcc
	global_store_short_d16_hi v[60:61], v13, off
	s_or_b64 exec, exec, s[38:39]
	s_and_saveexec_b64 s[38:39], s[20:21]
	s_cbranch_execz .LBB816_144
.LBB816_207:
	v_sub_u32_e32 v60, v32, v4
	v_mov_b32_e32 v61, 0
	v_lshlrev_b64 v[60:61], 1, v[60:61]
	v_add_co_u32_e32 v60, vcc, v3, v60
	v_addc_co_u32_e32 v61, vcc, v7, v61, vcc
	global_store_short v[60:61], v10, off
	s_or_b64 exec, exec, s[38:39]
	s_and_saveexec_b64 s[38:39], s[18:19]
	s_cbranch_execz .LBB816_145
.LBB816_208:
	v_sub_u32_e32 v60, v30, v4
	v_mov_b32_e32 v61, 0
	v_lshlrev_b64 v[60:61], 1, v[60:61]
	v_add_co_u32_e32 v60, vcc, v3, v60
	v_addc_co_u32_e32 v61, vcc, v7, v61, vcc
	global_store_short_d16_hi v[60:61], v10, off
	s_or_b64 exec, exec, s[38:39]
	s_and_saveexec_b64 s[38:39], s[16:17]
	s_cbranch_execz .LBB816_146
.LBB816_209:
	v_sub_u32_e32 v60, v28, v4
	v_mov_b32_e32 v61, 0
	v_lshlrev_b64 v[60:61], 1, v[60:61]
	v_add_co_u32_e32 v60, vcc, v3, v60
	v_addc_co_u32_e32 v61, vcc, v7, v61, vcc
	global_store_short v[60:61], v11, off
	s_or_b64 exec, exec, s[38:39]
	s_and_saveexec_b64 s[38:39], s[14:15]
	s_cbranch_execz .LBB816_147
.LBB816_210:
	v_sub_u32_e32 v60, v26, v4
	v_mov_b32_e32 v61, 0
	v_lshlrev_b64 v[60:61], 1, v[60:61]
	v_add_co_u32_e32 v60, vcc, v3, v60
	v_addc_co_u32_e32 v61, vcc, v7, v61, vcc
	global_store_short_d16_hi v[60:61], v11, off
	s_or_b64 exec, exec, s[38:39]
	s_and_saveexec_b64 s[38:39], s[12:13]
	s_cbranch_execz .LBB816_148
.LBB816_211:
	v_sub_u32_e32 v60, v24, v4
	v_mov_b32_e32 v61, 0
	v_lshlrev_b64 v[60:61], 1, v[60:61]
	v_add_co_u32_e32 v60, vcc, v3, v60
	v_addc_co_u32_e32 v61, vcc, v7, v61, vcc
	global_store_short v[60:61], v8, off
	s_or_b64 exec, exec, s[38:39]
	s_and_saveexec_b64 s[38:39], s[10:11]
	s_cbranch_execz .LBB816_149
.LBB816_212:
	v_sub_u32_e32 v60, v22, v4
	v_mov_b32_e32 v61, 0
	v_lshlrev_b64 v[60:61], 1, v[60:61]
	v_add_co_u32_e32 v60, vcc, v3, v60
	v_addc_co_u32_e32 v61, vcc, v7, v61, vcc
	global_store_short_d16_hi v[60:61], v8, off
	s_or_b64 exec, exec, s[38:39]
	s_and_saveexec_b64 s[38:39], s[8:9]
	s_cbranch_execz .LBB816_150
.LBB816_213:
	v_sub_u32_e32 v60, v20, v4
	v_mov_b32_e32 v61, 0
	v_lshlrev_b64 v[60:61], 1, v[60:61]
	v_add_co_u32_e32 v60, vcc, v3, v60
	v_addc_co_u32_e32 v61, vcc, v7, v61, vcc
	global_store_short v[60:61], v9, off
	s_or_b64 exec, exec, s[38:39]
	s_and_saveexec_b64 s[38:39], s[6:7]
	s_cbranch_execz .LBB816_151
.LBB816_214:
	v_sub_u32_e32 v60, v18, v4
	v_mov_b32_e32 v61, 0
	v_lshlrev_b64 v[60:61], 1, v[60:61]
	v_add_co_u32_e32 v60, vcc, v3, v60
	v_addc_co_u32_e32 v61, vcc, v7, v61, vcc
	global_store_short_d16_hi v[60:61], v9, off
	s_or_b64 exec, exec, s[38:39]
	s_and_saveexec_b64 s[38:39], s[4:5]
	s_cbranch_execnz .LBB816_152
	s_branch .LBB816_153
.LBB816_215:
	v_sub_u32_e32 v58, v40, v4
	v_lshlrev_b32_e32 v58, 1, v58
	ds_write_b16 v58, v12
	s_or_b64 exec, exec, s[38:39]
	s_and_saveexec_b64 s[28:29], s[26:27]
	s_cbranch_execz .LBB816_157
.LBB816_216:
	v_sub_u32_e32 v58, v38, v4
	v_lshlrev_b32_e32 v58, 1, v58
	ds_write_b16_d16_hi v58, v12
	s_or_b64 exec, exec, s[28:29]
	s_and_saveexec_b64 s[26:27], s[24:25]
	s_cbranch_execz .LBB816_158
.LBB816_217:
	v_sub_u32_e32 v12, v36, v4
	v_lshlrev_b32_e32 v12, 1, v12
	ds_write_b16 v12, v13
	s_or_b64 exec, exec, s[26:27]
	s_and_saveexec_b64 s[24:25], s[22:23]
	s_cbranch_execz .LBB816_159
.LBB816_218:
	v_sub_u32_e32 v12, v34, v4
	v_lshlrev_b32_e32 v12, 1, v12
	ds_write_b16_d16_hi v12, v13
	s_or_b64 exec, exec, s[24:25]
	s_and_saveexec_b64 s[22:23], s[20:21]
	s_cbranch_execz .LBB816_160
.LBB816_219:
	v_sub_u32_e32 v12, v32, v4
	v_lshlrev_b32_e32 v12, 1, v12
	ds_write_b16 v12, v10
	s_or_b64 exec, exec, s[22:23]
	s_and_saveexec_b64 s[20:21], s[18:19]
	s_cbranch_execz .LBB816_161
.LBB816_220:
	v_sub_u32_e32 v12, v30, v4
	v_lshlrev_b32_e32 v12, 1, v12
	ds_write_b16_d16_hi v12, v10
	s_or_b64 exec, exec, s[20:21]
	s_and_saveexec_b64 s[18:19], s[16:17]
	s_cbranch_execz .LBB816_162
.LBB816_221:
	v_sub_u32_e32 v10, v28, v4
	v_lshlrev_b32_e32 v10, 1, v10
	ds_write_b16 v10, v11
	s_or_b64 exec, exec, s[18:19]
	s_and_saveexec_b64 s[16:17], s[14:15]
	s_cbranch_execz .LBB816_163
.LBB816_222:
	v_sub_u32_e32 v10, v26, v4
	v_lshlrev_b32_e32 v10, 1, v10
	ds_write_b16_d16_hi v10, v11
	s_or_b64 exec, exec, s[16:17]
	s_and_saveexec_b64 s[14:15], s[12:13]
	s_cbranch_execz .LBB816_164
.LBB816_223:
	v_sub_u32_e32 v10, v24, v4
	v_lshlrev_b32_e32 v10, 1, v10
	ds_write_b16 v10, v8
	s_or_b64 exec, exec, s[14:15]
	s_and_saveexec_b64 s[12:13], s[10:11]
	s_cbranch_execz .LBB816_165
.LBB816_224:
	v_sub_u32_e32 v10, v22, v4
	v_lshlrev_b32_e32 v10, 1, v10
	ds_write_b16_d16_hi v10, v8
	s_or_b64 exec, exec, s[12:13]
	s_and_saveexec_b64 s[10:11], s[8:9]
	s_cbranch_execz .LBB816_166
.LBB816_225:
	v_sub_u32_e32 v8, v20, v4
	v_lshlrev_b32_e32 v8, 1, v8
	ds_write_b16 v8, v9
	s_or_b64 exec, exec, s[10:11]
	s_and_saveexec_b64 s[8:9], s[6:7]
	s_cbranch_execz .LBB816_167
.LBB816_226:
	v_sub_u32_e32 v8, v18, v4
	v_lshlrev_b32_e32 v8, 1, v8
	ds_write_b16_d16_hi v8, v9
	s_or_b64 exec, exec, s[8:9]
	s_and_saveexec_b64 s[6:7], s[4:5]
	s_cbranch_execnz .LBB816_168
	s_branch .LBB816_169
.LBB816_227:
	v_sub_u32_e32 v12, v40, v8
	v_mov_b32_e32 v13, 0
	v_lshlrev_b64 v[44:45], 3, v[12:13]
	v_add_co_u32_e32 v44, vcc, v3, v44
	v_addc_co_u32_e32 v45, vcc, v7, v45, vcc
	v_mov_b32_e32 v12, v41
	global_store_dwordx2 v[44:45], v[12:13], off
	s_or_b64 exec, exec, s[36:37]
	s_and_saveexec_b64 s[36:37], s[24:25]
	s_cbranch_execz .LBB816_173
.LBB816_228:
	v_sub_u32_e32 v12, v38, v8
	v_mov_b32_e32 v13, 0
	v_lshlrev_b64 v[44:45], 3, v[12:13]
	v_add_co_u32_e32 v44, vcc, v3, v44
	v_addc_co_u32_e32 v45, vcc, v7, v45, vcc
	v_mov_b32_e32 v12, v39
	global_store_dwordx2 v[44:45], v[12:13], off
	s_or_b64 exec, exec, s[36:37]
	s_and_saveexec_b64 s[36:37], s[22:23]
	s_cbranch_execz .LBB816_174
.LBB816_229:
	v_sub_u32_e32 v12, v36, v8
	v_mov_b32_e32 v13, 0
	v_lshlrev_b64 v[44:45], 3, v[12:13]
	v_add_co_u32_e32 v44, vcc, v3, v44
	v_addc_co_u32_e32 v45, vcc, v7, v45, vcc
	v_mov_b32_e32 v12, v37
	global_store_dwordx2 v[44:45], v[12:13], off
	s_or_b64 exec, exec, s[36:37]
	s_and_saveexec_b64 s[36:37], s[20:21]
	s_cbranch_execz .LBB816_175
.LBB816_230:
	v_sub_u32_e32 v12, v34, v8
	v_mov_b32_e32 v13, 0
	v_lshlrev_b64 v[44:45], 3, v[12:13]
	v_add_co_u32_e32 v44, vcc, v3, v44
	v_addc_co_u32_e32 v45, vcc, v7, v45, vcc
	v_mov_b32_e32 v12, v35
	global_store_dwordx2 v[44:45], v[12:13], off
	s_or_b64 exec, exec, s[36:37]
	s_and_saveexec_b64 s[36:37], s[18:19]
	s_cbranch_execz .LBB816_176
.LBB816_231:
	v_sub_u32_e32 v12, v32, v8
	v_mov_b32_e32 v13, 0
	v_lshlrev_b64 v[44:45], 3, v[12:13]
	v_add_co_u32_e32 v44, vcc, v3, v44
	v_addc_co_u32_e32 v45, vcc, v7, v45, vcc
	v_mov_b32_e32 v12, v33
	global_store_dwordx2 v[44:45], v[12:13], off
	s_or_b64 exec, exec, s[36:37]
	s_and_saveexec_b64 s[36:37], s[16:17]
	s_cbranch_execz .LBB816_177
.LBB816_232:
	v_sub_u32_e32 v12, v30, v8
	v_mov_b32_e32 v13, 0
	v_lshlrev_b64 v[44:45], 3, v[12:13]
	v_add_co_u32_e32 v44, vcc, v3, v44
	v_addc_co_u32_e32 v45, vcc, v7, v45, vcc
	v_mov_b32_e32 v12, v31
	global_store_dwordx2 v[44:45], v[12:13], off
	s_or_b64 exec, exec, s[36:37]
	s_and_saveexec_b64 s[36:37], s[14:15]
	s_cbranch_execz .LBB816_178
.LBB816_233:
	v_sub_u32_e32 v12, v28, v8
	v_mov_b32_e32 v13, 0
	v_lshlrev_b64 v[44:45], 3, v[12:13]
	v_add_co_u32_e32 v44, vcc, v3, v44
	v_addc_co_u32_e32 v45, vcc, v7, v45, vcc
	v_mov_b32_e32 v12, v29
	global_store_dwordx2 v[44:45], v[12:13], off
	s_or_b64 exec, exec, s[36:37]
	s_and_saveexec_b64 s[36:37], s[12:13]
	s_cbranch_execz .LBB816_179
.LBB816_234:
	v_sub_u32_e32 v12, v26, v8
	v_mov_b32_e32 v13, 0
	v_lshlrev_b64 v[44:45], 3, v[12:13]
	v_add_co_u32_e32 v44, vcc, v3, v44
	v_addc_co_u32_e32 v45, vcc, v7, v45, vcc
	v_mov_b32_e32 v12, v27
	global_store_dwordx2 v[44:45], v[12:13], off
	s_or_b64 exec, exec, s[36:37]
	s_and_saveexec_b64 s[36:37], s[10:11]
	s_cbranch_execz .LBB816_180
.LBB816_235:
	v_sub_u32_e32 v12, v24, v8
	v_mov_b32_e32 v13, 0
	v_lshlrev_b64 v[44:45], 3, v[12:13]
	v_add_co_u32_e32 v44, vcc, v3, v44
	v_addc_co_u32_e32 v45, vcc, v7, v45, vcc
	v_mov_b32_e32 v12, v25
	global_store_dwordx2 v[44:45], v[12:13], off
	s_or_b64 exec, exec, s[36:37]
	s_and_saveexec_b64 s[36:37], s[8:9]
	s_cbranch_execz .LBB816_181
.LBB816_236:
	v_sub_u32_e32 v12, v22, v8
	v_mov_b32_e32 v13, 0
	v_lshlrev_b64 v[44:45], 3, v[12:13]
	v_add_co_u32_e32 v44, vcc, v3, v44
	v_addc_co_u32_e32 v45, vcc, v7, v45, vcc
	v_mov_b32_e32 v12, v23
	global_store_dwordx2 v[44:45], v[12:13], off
	s_or_b64 exec, exec, s[36:37]
	s_and_saveexec_b64 s[36:37], s[6:7]
	s_cbranch_execz .LBB816_182
.LBB816_237:
	v_sub_u32_e32 v12, v20, v8
	v_mov_b32_e32 v13, 0
	v_lshlrev_b64 v[44:45], 3, v[12:13]
	v_add_co_u32_e32 v44, vcc, v3, v44
	v_addc_co_u32_e32 v45, vcc, v7, v45, vcc
	v_mov_b32_e32 v12, v21
	global_store_dwordx2 v[44:45], v[12:13], off
	s_or_b64 exec, exec, s[36:37]
	s_and_saveexec_b64 s[36:37], s[4:5]
	s_cbranch_execz .LBB816_183
.LBB816_238:
	v_sub_u32_e32 v12, v18, v8
	v_mov_b32_e32 v13, 0
	v_lshlrev_b64 v[44:45], 3, v[12:13]
	v_add_co_u32_e32 v44, vcc, v3, v44
	v_addc_co_u32_e32 v45, vcc, v7, v45, vcc
	v_mov_b32_e32 v12, v19
	global_store_dwordx2 v[44:45], v[12:13], off
	s_or_b64 exec, exec, s[36:37]
	s_and_saveexec_b64 s[36:37], s[2:3]
	s_cbranch_execnz .LBB816_184
	s_branch .LBB816_185
.LBB816_239:
	v_sub_u32_e32 v9, v40, v8
	v_lshlrev_b32_e32 v9, 2, v9
	ds_write_b32 v9, v41
	s_or_b64 exec, exec, s[36:37]
	s_and_saveexec_b64 s[26:27], s[24:25]
	s_cbranch_execz .LBB816_189
.LBB816_240:
	v_sub_u32_e32 v9, v38, v8
	v_lshlrev_b32_e32 v9, 2, v9
	ds_write_b32 v9, v39
	s_or_b64 exec, exec, s[26:27]
	s_and_saveexec_b64 s[24:25], s[22:23]
	s_cbranch_execz .LBB816_190
.LBB816_241:
	v_sub_u32_e32 v9, v36, v8
	v_lshlrev_b32_e32 v9, 2, v9
	ds_write_b32 v9, v37
	s_or_b64 exec, exec, s[24:25]
	s_and_saveexec_b64 s[22:23], s[20:21]
	s_cbranch_execz .LBB816_191
.LBB816_242:
	v_sub_u32_e32 v9, v34, v8
	v_lshlrev_b32_e32 v9, 2, v9
	ds_write_b32 v9, v35
	s_or_b64 exec, exec, s[22:23]
	s_and_saveexec_b64 s[20:21], s[18:19]
	s_cbranch_execz .LBB816_192
.LBB816_243:
	v_sub_u32_e32 v9, v32, v8
	v_lshlrev_b32_e32 v9, 2, v9
	ds_write_b32 v9, v33
	s_or_b64 exec, exec, s[20:21]
	s_and_saveexec_b64 s[18:19], s[16:17]
	s_cbranch_execz .LBB816_193
.LBB816_244:
	v_sub_u32_e32 v9, v30, v8
	v_lshlrev_b32_e32 v9, 2, v9
	ds_write_b32 v9, v31
	s_or_b64 exec, exec, s[18:19]
	s_and_saveexec_b64 s[16:17], s[14:15]
	s_cbranch_execz .LBB816_194
.LBB816_245:
	v_sub_u32_e32 v9, v28, v8
	v_lshlrev_b32_e32 v9, 2, v9
	ds_write_b32 v9, v29
	s_or_b64 exec, exec, s[16:17]
	s_and_saveexec_b64 s[14:15], s[12:13]
	s_cbranch_execz .LBB816_195
.LBB816_246:
	v_sub_u32_e32 v9, v26, v8
	v_lshlrev_b32_e32 v9, 2, v9
	ds_write_b32 v9, v27
	s_or_b64 exec, exec, s[14:15]
	s_and_saveexec_b64 s[12:13], s[10:11]
	s_cbranch_execz .LBB816_196
.LBB816_247:
	v_sub_u32_e32 v9, v24, v8
	v_lshlrev_b32_e32 v9, 2, v9
	ds_write_b32 v9, v25
	s_or_b64 exec, exec, s[12:13]
	s_and_saveexec_b64 s[10:11], s[8:9]
	s_cbranch_execz .LBB816_197
.LBB816_248:
	v_sub_u32_e32 v9, v22, v8
	v_lshlrev_b32_e32 v9, 2, v9
	ds_write_b32 v9, v23
	s_or_b64 exec, exec, s[10:11]
	s_and_saveexec_b64 s[8:9], s[6:7]
	s_cbranch_execz .LBB816_198
.LBB816_249:
	v_sub_u32_e32 v9, v20, v8
	v_lshlrev_b32_e32 v9, 2, v9
	ds_write_b32 v9, v21
	s_or_b64 exec, exec, s[8:9]
	s_and_saveexec_b64 s[6:7], s[4:5]
	s_cbranch_execz .LBB816_199
.LBB816_250:
	v_sub_u32_e32 v9, v18, v8
	v_lshlrev_b32_e32 v9, 2, v9
	ds_write_b32 v9, v19
	s_or_b64 exec, exec, s[6:7]
	s_and_saveexec_b64 s[4:5], s[2:3]
	s_cbranch_execnz .LBB816_200
	s_branch .LBB816_201
	.section	.rodata,"a",@progbits
	.p2align	6, 0x0
	.amdhsa_kernel _ZN7rocprim17ROCPRIM_400000_NS6detail17trampoline_kernelINS0_14default_configENS1_33run_length_encode_config_selectorItjNS0_4plusIjEEEEZZNS1_33reduce_by_key_impl_wrapped_configILNS1_25lookback_scan_determinismE0ES3_S7_PKtNS0_17constant_iteratorIjlEEPtPlSF_S6_NS0_8equal_toItEEEE10hipError_tPvRmT2_T3_mT4_T5_T6_T7_T8_P12ihipStream_tbENKUlT_T0_E_clISt17integral_constantIbLb0EESY_IbLb1EEEEDaSU_SV_EUlSU_E_NS1_11comp_targetILNS1_3genE4ELNS1_11target_archE910ELNS1_3gpuE8ELNS1_3repE0EEENS1_30default_config_static_selectorELNS0_4arch9wavefront6targetE1EEEvT1_
		.amdhsa_group_segment_fixed_size 10752
		.amdhsa_private_segment_fixed_size 0
		.amdhsa_kernarg_size 128
		.amdhsa_user_sgpr_count 6
		.amdhsa_user_sgpr_private_segment_buffer 1
		.amdhsa_user_sgpr_dispatch_ptr 0
		.amdhsa_user_sgpr_queue_ptr 0
		.amdhsa_user_sgpr_kernarg_segment_ptr 1
		.amdhsa_user_sgpr_dispatch_id 0
		.amdhsa_user_sgpr_flat_scratch_init 0
		.amdhsa_user_sgpr_kernarg_preload_length 0
		.amdhsa_user_sgpr_kernarg_preload_offset 0
		.amdhsa_user_sgpr_private_segment_size 0
		.amdhsa_uses_dynamic_stack 0
		.amdhsa_system_sgpr_private_segment_wavefront_offset 0
		.amdhsa_system_sgpr_workgroup_id_x 1
		.amdhsa_system_sgpr_workgroup_id_y 0
		.amdhsa_system_sgpr_workgroup_id_z 0
		.amdhsa_system_sgpr_workgroup_info 0
		.amdhsa_system_vgpr_workitem_id 0
		.amdhsa_next_free_vgpr 65
		.amdhsa_next_free_sgpr 64
		.amdhsa_accum_offset 68
		.amdhsa_reserve_vcc 1
		.amdhsa_reserve_flat_scratch 0
		.amdhsa_float_round_mode_32 0
		.amdhsa_float_round_mode_16_64 0
		.amdhsa_float_denorm_mode_32 3
		.amdhsa_float_denorm_mode_16_64 3
		.amdhsa_dx10_clamp 1
		.amdhsa_ieee_mode 1
		.amdhsa_fp16_overflow 0
		.amdhsa_tg_split 0
		.amdhsa_exception_fp_ieee_invalid_op 0
		.amdhsa_exception_fp_denorm_src 0
		.amdhsa_exception_fp_ieee_div_zero 0
		.amdhsa_exception_fp_ieee_overflow 0
		.amdhsa_exception_fp_ieee_underflow 0
		.amdhsa_exception_fp_ieee_inexact 0
		.amdhsa_exception_int_div_zero 0
	.end_amdhsa_kernel
	.section	.text._ZN7rocprim17ROCPRIM_400000_NS6detail17trampoline_kernelINS0_14default_configENS1_33run_length_encode_config_selectorItjNS0_4plusIjEEEEZZNS1_33reduce_by_key_impl_wrapped_configILNS1_25lookback_scan_determinismE0ES3_S7_PKtNS0_17constant_iteratorIjlEEPtPlSF_S6_NS0_8equal_toItEEEE10hipError_tPvRmT2_T3_mT4_T5_T6_T7_T8_P12ihipStream_tbENKUlT_T0_E_clISt17integral_constantIbLb0EESY_IbLb1EEEEDaSU_SV_EUlSU_E_NS1_11comp_targetILNS1_3genE4ELNS1_11target_archE910ELNS1_3gpuE8ELNS1_3repE0EEENS1_30default_config_static_selectorELNS0_4arch9wavefront6targetE1EEEvT1_,"axG",@progbits,_ZN7rocprim17ROCPRIM_400000_NS6detail17trampoline_kernelINS0_14default_configENS1_33run_length_encode_config_selectorItjNS0_4plusIjEEEEZZNS1_33reduce_by_key_impl_wrapped_configILNS1_25lookback_scan_determinismE0ES3_S7_PKtNS0_17constant_iteratorIjlEEPtPlSF_S6_NS0_8equal_toItEEEE10hipError_tPvRmT2_T3_mT4_T5_T6_T7_T8_P12ihipStream_tbENKUlT_T0_E_clISt17integral_constantIbLb0EESY_IbLb1EEEEDaSU_SV_EUlSU_E_NS1_11comp_targetILNS1_3genE4ELNS1_11target_archE910ELNS1_3gpuE8ELNS1_3repE0EEENS1_30default_config_static_selectorELNS0_4arch9wavefront6targetE1EEEvT1_,comdat
.Lfunc_end816:
	.size	_ZN7rocprim17ROCPRIM_400000_NS6detail17trampoline_kernelINS0_14default_configENS1_33run_length_encode_config_selectorItjNS0_4plusIjEEEEZZNS1_33reduce_by_key_impl_wrapped_configILNS1_25lookback_scan_determinismE0ES3_S7_PKtNS0_17constant_iteratorIjlEEPtPlSF_S6_NS0_8equal_toItEEEE10hipError_tPvRmT2_T3_mT4_T5_T6_T7_T8_P12ihipStream_tbENKUlT_T0_E_clISt17integral_constantIbLb0EESY_IbLb1EEEEDaSU_SV_EUlSU_E_NS1_11comp_targetILNS1_3genE4ELNS1_11target_archE910ELNS1_3gpuE8ELNS1_3repE0EEENS1_30default_config_static_selectorELNS0_4arch9wavefront6targetE1EEEvT1_, .Lfunc_end816-_ZN7rocprim17ROCPRIM_400000_NS6detail17trampoline_kernelINS0_14default_configENS1_33run_length_encode_config_selectorItjNS0_4plusIjEEEEZZNS1_33reduce_by_key_impl_wrapped_configILNS1_25lookback_scan_determinismE0ES3_S7_PKtNS0_17constant_iteratorIjlEEPtPlSF_S6_NS0_8equal_toItEEEE10hipError_tPvRmT2_T3_mT4_T5_T6_T7_T8_P12ihipStream_tbENKUlT_T0_E_clISt17integral_constantIbLb0EESY_IbLb1EEEEDaSU_SV_EUlSU_E_NS1_11comp_targetILNS1_3genE4ELNS1_11target_archE910ELNS1_3gpuE8ELNS1_3repE0EEENS1_30default_config_static_selectorELNS0_4arch9wavefront6targetE1EEEvT1_
                                        ; -- End function
	.section	.AMDGPU.csdata,"",@progbits
; Kernel info:
; codeLenInByte = 13576
; NumSgprs: 68
; NumVgprs: 65
; NumAgprs: 0
; TotalNumVgprs: 65
; ScratchSize: 0
; MemoryBound: 0
; FloatMode: 240
; IeeeMode: 1
; LDSByteSize: 10752 bytes/workgroup (compile time only)
; SGPRBlocks: 8
; VGPRBlocks: 8
; NumSGPRsForWavesPerEU: 68
; NumVGPRsForWavesPerEU: 65
; AccumOffset: 68
; Occupancy: 5
; WaveLimiterHint : 1
; COMPUTE_PGM_RSRC2:SCRATCH_EN: 0
; COMPUTE_PGM_RSRC2:USER_SGPR: 6
; COMPUTE_PGM_RSRC2:TRAP_HANDLER: 0
; COMPUTE_PGM_RSRC2:TGID_X_EN: 1
; COMPUTE_PGM_RSRC2:TGID_Y_EN: 0
; COMPUTE_PGM_RSRC2:TGID_Z_EN: 0
; COMPUTE_PGM_RSRC2:TIDIG_COMP_CNT: 0
; COMPUTE_PGM_RSRC3_GFX90A:ACCUM_OFFSET: 16
; COMPUTE_PGM_RSRC3_GFX90A:TG_SPLIT: 0
	.section	.text._ZN7rocprim17ROCPRIM_400000_NS6detail17trampoline_kernelINS0_14default_configENS1_33run_length_encode_config_selectorItjNS0_4plusIjEEEEZZNS1_33reduce_by_key_impl_wrapped_configILNS1_25lookback_scan_determinismE0ES3_S7_PKtNS0_17constant_iteratorIjlEEPtPlSF_S6_NS0_8equal_toItEEEE10hipError_tPvRmT2_T3_mT4_T5_T6_T7_T8_P12ihipStream_tbENKUlT_T0_E_clISt17integral_constantIbLb0EESY_IbLb1EEEEDaSU_SV_EUlSU_E_NS1_11comp_targetILNS1_3genE3ELNS1_11target_archE908ELNS1_3gpuE7ELNS1_3repE0EEENS1_30default_config_static_selectorELNS0_4arch9wavefront6targetE1EEEvT1_,"axG",@progbits,_ZN7rocprim17ROCPRIM_400000_NS6detail17trampoline_kernelINS0_14default_configENS1_33run_length_encode_config_selectorItjNS0_4plusIjEEEEZZNS1_33reduce_by_key_impl_wrapped_configILNS1_25lookback_scan_determinismE0ES3_S7_PKtNS0_17constant_iteratorIjlEEPtPlSF_S6_NS0_8equal_toItEEEE10hipError_tPvRmT2_T3_mT4_T5_T6_T7_T8_P12ihipStream_tbENKUlT_T0_E_clISt17integral_constantIbLb0EESY_IbLb1EEEEDaSU_SV_EUlSU_E_NS1_11comp_targetILNS1_3genE3ELNS1_11target_archE908ELNS1_3gpuE7ELNS1_3repE0EEENS1_30default_config_static_selectorELNS0_4arch9wavefront6targetE1EEEvT1_,comdat
	.protected	_ZN7rocprim17ROCPRIM_400000_NS6detail17trampoline_kernelINS0_14default_configENS1_33run_length_encode_config_selectorItjNS0_4plusIjEEEEZZNS1_33reduce_by_key_impl_wrapped_configILNS1_25lookback_scan_determinismE0ES3_S7_PKtNS0_17constant_iteratorIjlEEPtPlSF_S6_NS0_8equal_toItEEEE10hipError_tPvRmT2_T3_mT4_T5_T6_T7_T8_P12ihipStream_tbENKUlT_T0_E_clISt17integral_constantIbLb0EESY_IbLb1EEEEDaSU_SV_EUlSU_E_NS1_11comp_targetILNS1_3genE3ELNS1_11target_archE908ELNS1_3gpuE7ELNS1_3repE0EEENS1_30default_config_static_selectorELNS0_4arch9wavefront6targetE1EEEvT1_ ; -- Begin function _ZN7rocprim17ROCPRIM_400000_NS6detail17trampoline_kernelINS0_14default_configENS1_33run_length_encode_config_selectorItjNS0_4plusIjEEEEZZNS1_33reduce_by_key_impl_wrapped_configILNS1_25lookback_scan_determinismE0ES3_S7_PKtNS0_17constant_iteratorIjlEEPtPlSF_S6_NS0_8equal_toItEEEE10hipError_tPvRmT2_T3_mT4_T5_T6_T7_T8_P12ihipStream_tbENKUlT_T0_E_clISt17integral_constantIbLb0EESY_IbLb1EEEEDaSU_SV_EUlSU_E_NS1_11comp_targetILNS1_3genE3ELNS1_11target_archE908ELNS1_3gpuE7ELNS1_3repE0EEENS1_30default_config_static_selectorELNS0_4arch9wavefront6targetE1EEEvT1_
	.globl	_ZN7rocprim17ROCPRIM_400000_NS6detail17trampoline_kernelINS0_14default_configENS1_33run_length_encode_config_selectorItjNS0_4plusIjEEEEZZNS1_33reduce_by_key_impl_wrapped_configILNS1_25lookback_scan_determinismE0ES3_S7_PKtNS0_17constant_iteratorIjlEEPtPlSF_S6_NS0_8equal_toItEEEE10hipError_tPvRmT2_T3_mT4_T5_T6_T7_T8_P12ihipStream_tbENKUlT_T0_E_clISt17integral_constantIbLb0EESY_IbLb1EEEEDaSU_SV_EUlSU_E_NS1_11comp_targetILNS1_3genE3ELNS1_11target_archE908ELNS1_3gpuE7ELNS1_3repE0EEENS1_30default_config_static_selectorELNS0_4arch9wavefront6targetE1EEEvT1_
	.p2align	8
	.type	_ZN7rocprim17ROCPRIM_400000_NS6detail17trampoline_kernelINS0_14default_configENS1_33run_length_encode_config_selectorItjNS0_4plusIjEEEEZZNS1_33reduce_by_key_impl_wrapped_configILNS1_25lookback_scan_determinismE0ES3_S7_PKtNS0_17constant_iteratorIjlEEPtPlSF_S6_NS0_8equal_toItEEEE10hipError_tPvRmT2_T3_mT4_T5_T6_T7_T8_P12ihipStream_tbENKUlT_T0_E_clISt17integral_constantIbLb0EESY_IbLb1EEEEDaSU_SV_EUlSU_E_NS1_11comp_targetILNS1_3genE3ELNS1_11target_archE908ELNS1_3gpuE7ELNS1_3repE0EEENS1_30default_config_static_selectorELNS0_4arch9wavefront6targetE1EEEvT1_,@function
_ZN7rocprim17ROCPRIM_400000_NS6detail17trampoline_kernelINS0_14default_configENS1_33run_length_encode_config_selectorItjNS0_4plusIjEEEEZZNS1_33reduce_by_key_impl_wrapped_configILNS1_25lookback_scan_determinismE0ES3_S7_PKtNS0_17constant_iteratorIjlEEPtPlSF_S6_NS0_8equal_toItEEEE10hipError_tPvRmT2_T3_mT4_T5_T6_T7_T8_P12ihipStream_tbENKUlT_T0_E_clISt17integral_constantIbLb0EESY_IbLb1EEEEDaSU_SV_EUlSU_E_NS1_11comp_targetILNS1_3genE3ELNS1_11target_archE908ELNS1_3gpuE7ELNS1_3repE0EEENS1_30default_config_static_selectorELNS0_4arch9wavefront6targetE1EEEvT1_: ; @_ZN7rocprim17ROCPRIM_400000_NS6detail17trampoline_kernelINS0_14default_configENS1_33run_length_encode_config_selectorItjNS0_4plusIjEEEEZZNS1_33reduce_by_key_impl_wrapped_configILNS1_25lookback_scan_determinismE0ES3_S7_PKtNS0_17constant_iteratorIjlEEPtPlSF_S6_NS0_8equal_toItEEEE10hipError_tPvRmT2_T3_mT4_T5_T6_T7_T8_P12ihipStream_tbENKUlT_T0_E_clISt17integral_constantIbLb0EESY_IbLb1EEEEDaSU_SV_EUlSU_E_NS1_11comp_targetILNS1_3genE3ELNS1_11target_archE908ELNS1_3gpuE7ELNS1_3repE0EEENS1_30default_config_static_selectorELNS0_4arch9wavefront6targetE1EEEvT1_
; %bb.0:
	.section	.rodata,"a",@progbits
	.p2align	6, 0x0
	.amdhsa_kernel _ZN7rocprim17ROCPRIM_400000_NS6detail17trampoline_kernelINS0_14default_configENS1_33run_length_encode_config_selectorItjNS0_4plusIjEEEEZZNS1_33reduce_by_key_impl_wrapped_configILNS1_25lookback_scan_determinismE0ES3_S7_PKtNS0_17constant_iteratorIjlEEPtPlSF_S6_NS0_8equal_toItEEEE10hipError_tPvRmT2_T3_mT4_T5_T6_T7_T8_P12ihipStream_tbENKUlT_T0_E_clISt17integral_constantIbLb0EESY_IbLb1EEEEDaSU_SV_EUlSU_E_NS1_11comp_targetILNS1_3genE3ELNS1_11target_archE908ELNS1_3gpuE7ELNS1_3repE0EEENS1_30default_config_static_selectorELNS0_4arch9wavefront6targetE1EEEvT1_
		.amdhsa_group_segment_fixed_size 0
		.amdhsa_private_segment_fixed_size 0
		.amdhsa_kernarg_size 128
		.amdhsa_user_sgpr_count 6
		.amdhsa_user_sgpr_private_segment_buffer 1
		.amdhsa_user_sgpr_dispatch_ptr 0
		.amdhsa_user_sgpr_queue_ptr 0
		.amdhsa_user_sgpr_kernarg_segment_ptr 1
		.amdhsa_user_sgpr_dispatch_id 0
		.amdhsa_user_sgpr_flat_scratch_init 0
		.amdhsa_user_sgpr_kernarg_preload_length 0
		.amdhsa_user_sgpr_kernarg_preload_offset 0
		.amdhsa_user_sgpr_private_segment_size 0
		.amdhsa_uses_dynamic_stack 0
		.amdhsa_system_sgpr_private_segment_wavefront_offset 0
		.amdhsa_system_sgpr_workgroup_id_x 1
		.amdhsa_system_sgpr_workgroup_id_y 0
		.amdhsa_system_sgpr_workgroup_id_z 0
		.amdhsa_system_sgpr_workgroup_info 0
		.amdhsa_system_vgpr_workitem_id 0
		.amdhsa_next_free_vgpr 1
		.amdhsa_next_free_sgpr 0
		.amdhsa_accum_offset 4
		.amdhsa_reserve_vcc 0
		.amdhsa_reserve_flat_scratch 0
		.amdhsa_float_round_mode_32 0
		.amdhsa_float_round_mode_16_64 0
		.amdhsa_float_denorm_mode_32 3
		.amdhsa_float_denorm_mode_16_64 3
		.amdhsa_dx10_clamp 1
		.amdhsa_ieee_mode 1
		.amdhsa_fp16_overflow 0
		.amdhsa_tg_split 0
		.amdhsa_exception_fp_ieee_invalid_op 0
		.amdhsa_exception_fp_denorm_src 0
		.amdhsa_exception_fp_ieee_div_zero 0
		.amdhsa_exception_fp_ieee_overflow 0
		.amdhsa_exception_fp_ieee_underflow 0
		.amdhsa_exception_fp_ieee_inexact 0
		.amdhsa_exception_int_div_zero 0
	.end_amdhsa_kernel
	.section	.text._ZN7rocprim17ROCPRIM_400000_NS6detail17trampoline_kernelINS0_14default_configENS1_33run_length_encode_config_selectorItjNS0_4plusIjEEEEZZNS1_33reduce_by_key_impl_wrapped_configILNS1_25lookback_scan_determinismE0ES3_S7_PKtNS0_17constant_iteratorIjlEEPtPlSF_S6_NS0_8equal_toItEEEE10hipError_tPvRmT2_T3_mT4_T5_T6_T7_T8_P12ihipStream_tbENKUlT_T0_E_clISt17integral_constantIbLb0EESY_IbLb1EEEEDaSU_SV_EUlSU_E_NS1_11comp_targetILNS1_3genE3ELNS1_11target_archE908ELNS1_3gpuE7ELNS1_3repE0EEENS1_30default_config_static_selectorELNS0_4arch9wavefront6targetE1EEEvT1_,"axG",@progbits,_ZN7rocprim17ROCPRIM_400000_NS6detail17trampoline_kernelINS0_14default_configENS1_33run_length_encode_config_selectorItjNS0_4plusIjEEEEZZNS1_33reduce_by_key_impl_wrapped_configILNS1_25lookback_scan_determinismE0ES3_S7_PKtNS0_17constant_iteratorIjlEEPtPlSF_S6_NS0_8equal_toItEEEE10hipError_tPvRmT2_T3_mT4_T5_T6_T7_T8_P12ihipStream_tbENKUlT_T0_E_clISt17integral_constantIbLb0EESY_IbLb1EEEEDaSU_SV_EUlSU_E_NS1_11comp_targetILNS1_3genE3ELNS1_11target_archE908ELNS1_3gpuE7ELNS1_3repE0EEENS1_30default_config_static_selectorELNS0_4arch9wavefront6targetE1EEEvT1_,comdat
.Lfunc_end817:
	.size	_ZN7rocprim17ROCPRIM_400000_NS6detail17trampoline_kernelINS0_14default_configENS1_33run_length_encode_config_selectorItjNS0_4plusIjEEEEZZNS1_33reduce_by_key_impl_wrapped_configILNS1_25lookback_scan_determinismE0ES3_S7_PKtNS0_17constant_iteratorIjlEEPtPlSF_S6_NS0_8equal_toItEEEE10hipError_tPvRmT2_T3_mT4_T5_T6_T7_T8_P12ihipStream_tbENKUlT_T0_E_clISt17integral_constantIbLb0EESY_IbLb1EEEEDaSU_SV_EUlSU_E_NS1_11comp_targetILNS1_3genE3ELNS1_11target_archE908ELNS1_3gpuE7ELNS1_3repE0EEENS1_30default_config_static_selectorELNS0_4arch9wavefront6targetE1EEEvT1_, .Lfunc_end817-_ZN7rocprim17ROCPRIM_400000_NS6detail17trampoline_kernelINS0_14default_configENS1_33run_length_encode_config_selectorItjNS0_4plusIjEEEEZZNS1_33reduce_by_key_impl_wrapped_configILNS1_25lookback_scan_determinismE0ES3_S7_PKtNS0_17constant_iteratorIjlEEPtPlSF_S6_NS0_8equal_toItEEEE10hipError_tPvRmT2_T3_mT4_T5_T6_T7_T8_P12ihipStream_tbENKUlT_T0_E_clISt17integral_constantIbLb0EESY_IbLb1EEEEDaSU_SV_EUlSU_E_NS1_11comp_targetILNS1_3genE3ELNS1_11target_archE908ELNS1_3gpuE7ELNS1_3repE0EEENS1_30default_config_static_selectorELNS0_4arch9wavefront6targetE1EEEvT1_
                                        ; -- End function
	.section	.AMDGPU.csdata,"",@progbits
; Kernel info:
; codeLenInByte = 0
; NumSgprs: 4
; NumVgprs: 0
; NumAgprs: 0
; TotalNumVgprs: 0
; ScratchSize: 0
; MemoryBound: 0
; FloatMode: 240
; IeeeMode: 1
; LDSByteSize: 0 bytes/workgroup (compile time only)
; SGPRBlocks: 0
; VGPRBlocks: 0
; NumSGPRsForWavesPerEU: 4
; NumVGPRsForWavesPerEU: 1
; AccumOffset: 4
; Occupancy: 8
; WaveLimiterHint : 0
; COMPUTE_PGM_RSRC2:SCRATCH_EN: 0
; COMPUTE_PGM_RSRC2:USER_SGPR: 6
; COMPUTE_PGM_RSRC2:TRAP_HANDLER: 0
; COMPUTE_PGM_RSRC2:TGID_X_EN: 1
; COMPUTE_PGM_RSRC2:TGID_Y_EN: 0
; COMPUTE_PGM_RSRC2:TGID_Z_EN: 0
; COMPUTE_PGM_RSRC2:TIDIG_COMP_CNT: 0
; COMPUTE_PGM_RSRC3_GFX90A:ACCUM_OFFSET: 0
; COMPUTE_PGM_RSRC3_GFX90A:TG_SPLIT: 0
	.section	.text._ZN7rocprim17ROCPRIM_400000_NS6detail17trampoline_kernelINS0_14default_configENS1_33run_length_encode_config_selectorItjNS0_4plusIjEEEEZZNS1_33reduce_by_key_impl_wrapped_configILNS1_25lookback_scan_determinismE0ES3_S7_PKtNS0_17constant_iteratorIjlEEPtPlSF_S6_NS0_8equal_toItEEEE10hipError_tPvRmT2_T3_mT4_T5_T6_T7_T8_P12ihipStream_tbENKUlT_T0_E_clISt17integral_constantIbLb0EESY_IbLb1EEEEDaSU_SV_EUlSU_E_NS1_11comp_targetILNS1_3genE2ELNS1_11target_archE906ELNS1_3gpuE6ELNS1_3repE0EEENS1_30default_config_static_selectorELNS0_4arch9wavefront6targetE1EEEvT1_,"axG",@progbits,_ZN7rocprim17ROCPRIM_400000_NS6detail17trampoline_kernelINS0_14default_configENS1_33run_length_encode_config_selectorItjNS0_4plusIjEEEEZZNS1_33reduce_by_key_impl_wrapped_configILNS1_25lookback_scan_determinismE0ES3_S7_PKtNS0_17constant_iteratorIjlEEPtPlSF_S6_NS0_8equal_toItEEEE10hipError_tPvRmT2_T3_mT4_T5_T6_T7_T8_P12ihipStream_tbENKUlT_T0_E_clISt17integral_constantIbLb0EESY_IbLb1EEEEDaSU_SV_EUlSU_E_NS1_11comp_targetILNS1_3genE2ELNS1_11target_archE906ELNS1_3gpuE6ELNS1_3repE0EEENS1_30default_config_static_selectorELNS0_4arch9wavefront6targetE1EEEvT1_,comdat
	.protected	_ZN7rocprim17ROCPRIM_400000_NS6detail17trampoline_kernelINS0_14default_configENS1_33run_length_encode_config_selectorItjNS0_4plusIjEEEEZZNS1_33reduce_by_key_impl_wrapped_configILNS1_25lookback_scan_determinismE0ES3_S7_PKtNS0_17constant_iteratorIjlEEPtPlSF_S6_NS0_8equal_toItEEEE10hipError_tPvRmT2_T3_mT4_T5_T6_T7_T8_P12ihipStream_tbENKUlT_T0_E_clISt17integral_constantIbLb0EESY_IbLb1EEEEDaSU_SV_EUlSU_E_NS1_11comp_targetILNS1_3genE2ELNS1_11target_archE906ELNS1_3gpuE6ELNS1_3repE0EEENS1_30default_config_static_selectorELNS0_4arch9wavefront6targetE1EEEvT1_ ; -- Begin function _ZN7rocprim17ROCPRIM_400000_NS6detail17trampoline_kernelINS0_14default_configENS1_33run_length_encode_config_selectorItjNS0_4plusIjEEEEZZNS1_33reduce_by_key_impl_wrapped_configILNS1_25lookback_scan_determinismE0ES3_S7_PKtNS0_17constant_iteratorIjlEEPtPlSF_S6_NS0_8equal_toItEEEE10hipError_tPvRmT2_T3_mT4_T5_T6_T7_T8_P12ihipStream_tbENKUlT_T0_E_clISt17integral_constantIbLb0EESY_IbLb1EEEEDaSU_SV_EUlSU_E_NS1_11comp_targetILNS1_3genE2ELNS1_11target_archE906ELNS1_3gpuE6ELNS1_3repE0EEENS1_30default_config_static_selectorELNS0_4arch9wavefront6targetE1EEEvT1_
	.globl	_ZN7rocprim17ROCPRIM_400000_NS6detail17trampoline_kernelINS0_14default_configENS1_33run_length_encode_config_selectorItjNS0_4plusIjEEEEZZNS1_33reduce_by_key_impl_wrapped_configILNS1_25lookback_scan_determinismE0ES3_S7_PKtNS0_17constant_iteratorIjlEEPtPlSF_S6_NS0_8equal_toItEEEE10hipError_tPvRmT2_T3_mT4_T5_T6_T7_T8_P12ihipStream_tbENKUlT_T0_E_clISt17integral_constantIbLb0EESY_IbLb1EEEEDaSU_SV_EUlSU_E_NS1_11comp_targetILNS1_3genE2ELNS1_11target_archE906ELNS1_3gpuE6ELNS1_3repE0EEENS1_30default_config_static_selectorELNS0_4arch9wavefront6targetE1EEEvT1_
	.p2align	8
	.type	_ZN7rocprim17ROCPRIM_400000_NS6detail17trampoline_kernelINS0_14default_configENS1_33run_length_encode_config_selectorItjNS0_4plusIjEEEEZZNS1_33reduce_by_key_impl_wrapped_configILNS1_25lookback_scan_determinismE0ES3_S7_PKtNS0_17constant_iteratorIjlEEPtPlSF_S6_NS0_8equal_toItEEEE10hipError_tPvRmT2_T3_mT4_T5_T6_T7_T8_P12ihipStream_tbENKUlT_T0_E_clISt17integral_constantIbLb0EESY_IbLb1EEEEDaSU_SV_EUlSU_E_NS1_11comp_targetILNS1_3genE2ELNS1_11target_archE906ELNS1_3gpuE6ELNS1_3repE0EEENS1_30default_config_static_selectorELNS0_4arch9wavefront6targetE1EEEvT1_,@function
_ZN7rocprim17ROCPRIM_400000_NS6detail17trampoline_kernelINS0_14default_configENS1_33run_length_encode_config_selectorItjNS0_4plusIjEEEEZZNS1_33reduce_by_key_impl_wrapped_configILNS1_25lookback_scan_determinismE0ES3_S7_PKtNS0_17constant_iteratorIjlEEPtPlSF_S6_NS0_8equal_toItEEEE10hipError_tPvRmT2_T3_mT4_T5_T6_T7_T8_P12ihipStream_tbENKUlT_T0_E_clISt17integral_constantIbLb0EESY_IbLb1EEEEDaSU_SV_EUlSU_E_NS1_11comp_targetILNS1_3genE2ELNS1_11target_archE906ELNS1_3gpuE6ELNS1_3repE0EEENS1_30default_config_static_selectorELNS0_4arch9wavefront6targetE1EEEvT1_: ; @_ZN7rocprim17ROCPRIM_400000_NS6detail17trampoline_kernelINS0_14default_configENS1_33run_length_encode_config_selectorItjNS0_4plusIjEEEEZZNS1_33reduce_by_key_impl_wrapped_configILNS1_25lookback_scan_determinismE0ES3_S7_PKtNS0_17constant_iteratorIjlEEPtPlSF_S6_NS0_8equal_toItEEEE10hipError_tPvRmT2_T3_mT4_T5_T6_T7_T8_P12ihipStream_tbENKUlT_T0_E_clISt17integral_constantIbLb0EESY_IbLb1EEEEDaSU_SV_EUlSU_E_NS1_11comp_targetILNS1_3genE2ELNS1_11target_archE906ELNS1_3gpuE6ELNS1_3repE0EEENS1_30default_config_static_selectorELNS0_4arch9wavefront6targetE1EEEvT1_
; %bb.0:
	.section	.rodata,"a",@progbits
	.p2align	6, 0x0
	.amdhsa_kernel _ZN7rocprim17ROCPRIM_400000_NS6detail17trampoline_kernelINS0_14default_configENS1_33run_length_encode_config_selectorItjNS0_4plusIjEEEEZZNS1_33reduce_by_key_impl_wrapped_configILNS1_25lookback_scan_determinismE0ES3_S7_PKtNS0_17constant_iteratorIjlEEPtPlSF_S6_NS0_8equal_toItEEEE10hipError_tPvRmT2_T3_mT4_T5_T6_T7_T8_P12ihipStream_tbENKUlT_T0_E_clISt17integral_constantIbLb0EESY_IbLb1EEEEDaSU_SV_EUlSU_E_NS1_11comp_targetILNS1_3genE2ELNS1_11target_archE906ELNS1_3gpuE6ELNS1_3repE0EEENS1_30default_config_static_selectorELNS0_4arch9wavefront6targetE1EEEvT1_
		.amdhsa_group_segment_fixed_size 0
		.amdhsa_private_segment_fixed_size 0
		.amdhsa_kernarg_size 128
		.amdhsa_user_sgpr_count 6
		.amdhsa_user_sgpr_private_segment_buffer 1
		.amdhsa_user_sgpr_dispatch_ptr 0
		.amdhsa_user_sgpr_queue_ptr 0
		.amdhsa_user_sgpr_kernarg_segment_ptr 1
		.amdhsa_user_sgpr_dispatch_id 0
		.amdhsa_user_sgpr_flat_scratch_init 0
		.amdhsa_user_sgpr_kernarg_preload_length 0
		.amdhsa_user_sgpr_kernarg_preload_offset 0
		.amdhsa_user_sgpr_private_segment_size 0
		.amdhsa_uses_dynamic_stack 0
		.amdhsa_system_sgpr_private_segment_wavefront_offset 0
		.amdhsa_system_sgpr_workgroup_id_x 1
		.amdhsa_system_sgpr_workgroup_id_y 0
		.amdhsa_system_sgpr_workgroup_id_z 0
		.amdhsa_system_sgpr_workgroup_info 0
		.amdhsa_system_vgpr_workitem_id 0
		.amdhsa_next_free_vgpr 1
		.amdhsa_next_free_sgpr 0
		.amdhsa_accum_offset 4
		.amdhsa_reserve_vcc 0
		.amdhsa_reserve_flat_scratch 0
		.amdhsa_float_round_mode_32 0
		.amdhsa_float_round_mode_16_64 0
		.amdhsa_float_denorm_mode_32 3
		.amdhsa_float_denorm_mode_16_64 3
		.amdhsa_dx10_clamp 1
		.amdhsa_ieee_mode 1
		.amdhsa_fp16_overflow 0
		.amdhsa_tg_split 0
		.amdhsa_exception_fp_ieee_invalid_op 0
		.amdhsa_exception_fp_denorm_src 0
		.amdhsa_exception_fp_ieee_div_zero 0
		.amdhsa_exception_fp_ieee_overflow 0
		.amdhsa_exception_fp_ieee_underflow 0
		.amdhsa_exception_fp_ieee_inexact 0
		.amdhsa_exception_int_div_zero 0
	.end_amdhsa_kernel
	.section	.text._ZN7rocprim17ROCPRIM_400000_NS6detail17trampoline_kernelINS0_14default_configENS1_33run_length_encode_config_selectorItjNS0_4plusIjEEEEZZNS1_33reduce_by_key_impl_wrapped_configILNS1_25lookback_scan_determinismE0ES3_S7_PKtNS0_17constant_iteratorIjlEEPtPlSF_S6_NS0_8equal_toItEEEE10hipError_tPvRmT2_T3_mT4_T5_T6_T7_T8_P12ihipStream_tbENKUlT_T0_E_clISt17integral_constantIbLb0EESY_IbLb1EEEEDaSU_SV_EUlSU_E_NS1_11comp_targetILNS1_3genE2ELNS1_11target_archE906ELNS1_3gpuE6ELNS1_3repE0EEENS1_30default_config_static_selectorELNS0_4arch9wavefront6targetE1EEEvT1_,"axG",@progbits,_ZN7rocprim17ROCPRIM_400000_NS6detail17trampoline_kernelINS0_14default_configENS1_33run_length_encode_config_selectorItjNS0_4plusIjEEEEZZNS1_33reduce_by_key_impl_wrapped_configILNS1_25lookback_scan_determinismE0ES3_S7_PKtNS0_17constant_iteratorIjlEEPtPlSF_S6_NS0_8equal_toItEEEE10hipError_tPvRmT2_T3_mT4_T5_T6_T7_T8_P12ihipStream_tbENKUlT_T0_E_clISt17integral_constantIbLb0EESY_IbLb1EEEEDaSU_SV_EUlSU_E_NS1_11comp_targetILNS1_3genE2ELNS1_11target_archE906ELNS1_3gpuE6ELNS1_3repE0EEENS1_30default_config_static_selectorELNS0_4arch9wavefront6targetE1EEEvT1_,comdat
.Lfunc_end818:
	.size	_ZN7rocprim17ROCPRIM_400000_NS6detail17trampoline_kernelINS0_14default_configENS1_33run_length_encode_config_selectorItjNS0_4plusIjEEEEZZNS1_33reduce_by_key_impl_wrapped_configILNS1_25lookback_scan_determinismE0ES3_S7_PKtNS0_17constant_iteratorIjlEEPtPlSF_S6_NS0_8equal_toItEEEE10hipError_tPvRmT2_T3_mT4_T5_T6_T7_T8_P12ihipStream_tbENKUlT_T0_E_clISt17integral_constantIbLb0EESY_IbLb1EEEEDaSU_SV_EUlSU_E_NS1_11comp_targetILNS1_3genE2ELNS1_11target_archE906ELNS1_3gpuE6ELNS1_3repE0EEENS1_30default_config_static_selectorELNS0_4arch9wavefront6targetE1EEEvT1_, .Lfunc_end818-_ZN7rocprim17ROCPRIM_400000_NS6detail17trampoline_kernelINS0_14default_configENS1_33run_length_encode_config_selectorItjNS0_4plusIjEEEEZZNS1_33reduce_by_key_impl_wrapped_configILNS1_25lookback_scan_determinismE0ES3_S7_PKtNS0_17constant_iteratorIjlEEPtPlSF_S6_NS0_8equal_toItEEEE10hipError_tPvRmT2_T3_mT4_T5_T6_T7_T8_P12ihipStream_tbENKUlT_T0_E_clISt17integral_constantIbLb0EESY_IbLb1EEEEDaSU_SV_EUlSU_E_NS1_11comp_targetILNS1_3genE2ELNS1_11target_archE906ELNS1_3gpuE6ELNS1_3repE0EEENS1_30default_config_static_selectorELNS0_4arch9wavefront6targetE1EEEvT1_
                                        ; -- End function
	.section	.AMDGPU.csdata,"",@progbits
; Kernel info:
; codeLenInByte = 0
; NumSgprs: 4
; NumVgprs: 0
; NumAgprs: 0
; TotalNumVgprs: 0
; ScratchSize: 0
; MemoryBound: 0
; FloatMode: 240
; IeeeMode: 1
; LDSByteSize: 0 bytes/workgroup (compile time only)
; SGPRBlocks: 0
; VGPRBlocks: 0
; NumSGPRsForWavesPerEU: 4
; NumVGPRsForWavesPerEU: 1
; AccumOffset: 4
; Occupancy: 8
; WaveLimiterHint : 0
; COMPUTE_PGM_RSRC2:SCRATCH_EN: 0
; COMPUTE_PGM_RSRC2:USER_SGPR: 6
; COMPUTE_PGM_RSRC2:TRAP_HANDLER: 0
; COMPUTE_PGM_RSRC2:TGID_X_EN: 1
; COMPUTE_PGM_RSRC2:TGID_Y_EN: 0
; COMPUTE_PGM_RSRC2:TGID_Z_EN: 0
; COMPUTE_PGM_RSRC2:TIDIG_COMP_CNT: 0
; COMPUTE_PGM_RSRC3_GFX90A:ACCUM_OFFSET: 0
; COMPUTE_PGM_RSRC3_GFX90A:TG_SPLIT: 0
	.section	.text._ZN7rocprim17ROCPRIM_400000_NS6detail17trampoline_kernelINS0_14default_configENS1_33run_length_encode_config_selectorItjNS0_4plusIjEEEEZZNS1_33reduce_by_key_impl_wrapped_configILNS1_25lookback_scan_determinismE0ES3_S7_PKtNS0_17constant_iteratorIjlEEPtPlSF_S6_NS0_8equal_toItEEEE10hipError_tPvRmT2_T3_mT4_T5_T6_T7_T8_P12ihipStream_tbENKUlT_T0_E_clISt17integral_constantIbLb0EESY_IbLb1EEEEDaSU_SV_EUlSU_E_NS1_11comp_targetILNS1_3genE10ELNS1_11target_archE1201ELNS1_3gpuE5ELNS1_3repE0EEENS1_30default_config_static_selectorELNS0_4arch9wavefront6targetE1EEEvT1_,"axG",@progbits,_ZN7rocprim17ROCPRIM_400000_NS6detail17trampoline_kernelINS0_14default_configENS1_33run_length_encode_config_selectorItjNS0_4plusIjEEEEZZNS1_33reduce_by_key_impl_wrapped_configILNS1_25lookback_scan_determinismE0ES3_S7_PKtNS0_17constant_iteratorIjlEEPtPlSF_S6_NS0_8equal_toItEEEE10hipError_tPvRmT2_T3_mT4_T5_T6_T7_T8_P12ihipStream_tbENKUlT_T0_E_clISt17integral_constantIbLb0EESY_IbLb1EEEEDaSU_SV_EUlSU_E_NS1_11comp_targetILNS1_3genE10ELNS1_11target_archE1201ELNS1_3gpuE5ELNS1_3repE0EEENS1_30default_config_static_selectorELNS0_4arch9wavefront6targetE1EEEvT1_,comdat
	.protected	_ZN7rocprim17ROCPRIM_400000_NS6detail17trampoline_kernelINS0_14default_configENS1_33run_length_encode_config_selectorItjNS0_4plusIjEEEEZZNS1_33reduce_by_key_impl_wrapped_configILNS1_25lookback_scan_determinismE0ES3_S7_PKtNS0_17constant_iteratorIjlEEPtPlSF_S6_NS0_8equal_toItEEEE10hipError_tPvRmT2_T3_mT4_T5_T6_T7_T8_P12ihipStream_tbENKUlT_T0_E_clISt17integral_constantIbLb0EESY_IbLb1EEEEDaSU_SV_EUlSU_E_NS1_11comp_targetILNS1_3genE10ELNS1_11target_archE1201ELNS1_3gpuE5ELNS1_3repE0EEENS1_30default_config_static_selectorELNS0_4arch9wavefront6targetE1EEEvT1_ ; -- Begin function _ZN7rocprim17ROCPRIM_400000_NS6detail17trampoline_kernelINS0_14default_configENS1_33run_length_encode_config_selectorItjNS0_4plusIjEEEEZZNS1_33reduce_by_key_impl_wrapped_configILNS1_25lookback_scan_determinismE0ES3_S7_PKtNS0_17constant_iteratorIjlEEPtPlSF_S6_NS0_8equal_toItEEEE10hipError_tPvRmT2_T3_mT4_T5_T6_T7_T8_P12ihipStream_tbENKUlT_T0_E_clISt17integral_constantIbLb0EESY_IbLb1EEEEDaSU_SV_EUlSU_E_NS1_11comp_targetILNS1_3genE10ELNS1_11target_archE1201ELNS1_3gpuE5ELNS1_3repE0EEENS1_30default_config_static_selectorELNS0_4arch9wavefront6targetE1EEEvT1_
	.globl	_ZN7rocprim17ROCPRIM_400000_NS6detail17trampoline_kernelINS0_14default_configENS1_33run_length_encode_config_selectorItjNS0_4plusIjEEEEZZNS1_33reduce_by_key_impl_wrapped_configILNS1_25lookback_scan_determinismE0ES3_S7_PKtNS0_17constant_iteratorIjlEEPtPlSF_S6_NS0_8equal_toItEEEE10hipError_tPvRmT2_T3_mT4_T5_T6_T7_T8_P12ihipStream_tbENKUlT_T0_E_clISt17integral_constantIbLb0EESY_IbLb1EEEEDaSU_SV_EUlSU_E_NS1_11comp_targetILNS1_3genE10ELNS1_11target_archE1201ELNS1_3gpuE5ELNS1_3repE0EEENS1_30default_config_static_selectorELNS0_4arch9wavefront6targetE1EEEvT1_
	.p2align	8
	.type	_ZN7rocprim17ROCPRIM_400000_NS6detail17trampoline_kernelINS0_14default_configENS1_33run_length_encode_config_selectorItjNS0_4plusIjEEEEZZNS1_33reduce_by_key_impl_wrapped_configILNS1_25lookback_scan_determinismE0ES3_S7_PKtNS0_17constant_iteratorIjlEEPtPlSF_S6_NS0_8equal_toItEEEE10hipError_tPvRmT2_T3_mT4_T5_T6_T7_T8_P12ihipStream_tbENKUlT_T0_E_clISt17integral_constantIbLb0EESY_IbLb1EEEEDaSU_SV_EUlSU_E_NS1_11comp_targetILNS1_3genE10ELNS1_11target_archE1201ELNS1_3gpuE5ELNS1_3repE0EEENS1_30default_config_static_selectorELNS0_4arch9wavefront6targetE1EEEvT1_,@function
_ZN7rocprim17ROCPRIM_400000_NS6detail17trampoline_kernelINS0_14default_configENS1_33run_length_encode_config_selectorItjNS0_4plusIjEEEEZZNS1_33reduce_by_key_impl_wrapped_configILNS1_25lookback_scan_determinismE0ES3_S7_PKtNS0_17constant_iteratorIjlEEPtPlSF_S6_NS0_8equal_toItEEEE10hipError_tPvRmT2_T3_mT4_T5_T6_T7_T8_P12ihipStream_tbENKUlT_T0_E_clISt17integral_constantIbLb0EESY_IbLb1EEEEDaSU_SV_EUlSU_E_NS1_11comp_targetILNS1_3genE10ELNS1_11target_archE1201ELNS1_3gpuE5ELNS1_3repE0EEENS1_30default_config_static_selectorELNS0_4arch9wavefront6targetE1EEEvT1_: ; @_ZN7rocprim17ROCPRIM_400000_NS6detail17trampoline_kernelINS0_14default_configENS1_33run_length_encode_config_selectorItjNS0_4plusIjEEEEZZNS1_33reduce_by_key_impl_wrapped_configILNS1_25lookback_scan_determinismE0ES3_S7_PKtNS0_17constant_iteratorIjlEEPtPlSF_S6_NS0_8equal_toItEEEE10hipError_tPvRmT2_T3_mT4_T5_T6_T7_T8_P12ihipStream_tbENKUlT_T0_E_clISt17integral_constantIbLb0EESY_IbLb1EEEEDaSU_SV_EUlSU_E_NS1_11comp_targetILNS1_3genE10ELNS1_11target_archE1201ELNS1_3gpuE5ELNS1_3repE0EEENS1_30default_config_static_selectorELNS0_4arch9wavefront6targetE1EEEvT1_
; %bb.0:
	.section	.rodata,"a",@progbits
	.p2align	6, 0x0
	.amdhsa_kernel _ZN7rocprim17ROCPRIM_400000_NS6detail17trampoline_kernelINS0_14default_configENS1_33run_length_encode_config_selectorItjNS0_4plusIjEEEEZZNS1_33reduce_by_key_impl_wrapped_configILNS1_25lookback_scan_determinismE0ES3_S7_PKtNS0_17constant_iteratorIjlEEPtPlSF_S6_NS0_8equal_toItEEEE10hipError_tPvRmT2_T3_mT4_T5_T6_T7_T8_P12ihipStream_tbENKUlT_T0_E_clISt17integral_constantIbLb0EESY_IbLb1EEEEDaSU_SV_EUlSU_E_NS1_11comp_targetILNS1_3genE10ELNS1_11target_archE1201ELNS1_3gpuE5ELNS1_3repE0EEENS1_30default_config_static_selectorELNS0_4arch9wavefront6targetE1EEEvT1_
		.amdhsa_group_segment_fixed_size 0
		.amdhsa_private_segment_fixed_size 0
		.amdhsa_kernarg_size 128
		.amdhsa_user_sgpr_count 6
		.amdhsa_user_sgpr_private_segment_buffer 1
		.amdhsa_user_sgpr_dispatch_ptr 0
		.amdhsa_user_sgpr_queue_ptr 0
		.amdhsa_user_sgpr_kernarg_segment_ptr 1
		.amdhsa_user_sgpr_dispatch_id 0
		.amdhsa_user_sgpr_flat_scratch_init 0
		.amdhsa_user_sgpr_kernarg_preload_length 0
		.amdhsa_user_sgpr_kernarg_preload_offset 0
		.amdhsa_user_sgpr_private_segment_size 0
		.amdhsa_uses_dynamic_stack 0
		.amdhsa_system_sgpr_private_segment_wavefront_offset 0
		.amdhsa_system_sgpr_workgroup_id_x 1
		.amdhsa_system_sgpr_workgroup_id_y 0
		.amdhsa_system_sgpr_workgroup_id_z 0
		.amdhsa_system_sgpr_workgroup_info 0
		.amdhsa_system_vgpr_workitem_id 0
		.amdhsa_next_free_vgpr 1
		.amdhsa_next_free_sgpr 0
		.amdhsa_accum_offset 4
		.amdhsa_reserve_vcc 0
		.amdhsa_reserve_flat_scratch 0
		.amdhsa_float_round_mode_32 0
		.amdhsa_float_round_mode_16_64 0
		.amdhsa_float_denorm_mode_32 3
		.amdhsa_float_denorm_mode_16_64 3
		.amdhsa_dx10_clamp 1
		.amdhsa_ieee_mode 1
		.amdhsa_fp16_overflow 0
		.amdhsa_tg_split 0
		.amdhsa_exception_fp_ieee_invalid_op 0
		.amdhsa_exception_fp_denorm_src 0
		.amdhsa_exception_fp_ieee_div_zero 0
		.amdhsa_exception_fp_ieee_overflow 0
		.amdhsa_exception_fp_ieee_underflow 0
		.amdhsa_exception_fp_ieee_inexact 0
		.amdhsa_exception_int_div_zero 0
	.end_amdhsa_kernel
	.section	.text._ZN7rocprim17ROCPRIM_400000_NS6detail17trampoline_kernelINS0_14default_configENS1_33run_length_encode_config_selectorItjNS0_4plusIjEEEEZZNS1_33reduce_by_key_impl_wrapped_configILNS1_25lookback_scan_determinismE0ES3_S7_PKtNS0_17constant_iteratorIjlEEPtPlSF_S6_NS0_8equal_toItEEEE10hipError_tPvRmT2_T3_mT4_T5_T6_T7_T8_P12ihipStream_tbENKUlT_T0_E_clISt17integral_constantIbLb0EESY_IbLb1EEEEDaSU_SV_EUlSU_E_NS1_11comp_targetILNS1_3genE10ELNS1_11target_archE1201ELNS1_3gpuE5ELNS1_3repE0EEENS1_30default_config_static_selectorELNS0_4arch9wavefront6targetE1EEEvT1_,"axG",@progbits,_ZN7rocprim17ROCPRIM_400000_NS6detail17trampoline_kernelINS0_14default_configENS1_33run_length_encode_config_selectorItjNS0_4plusIjEEEEZZNS1_33reduce_by_key_impl_wrapped_configILNS1_25lookback_scan_determinismE0ES3_S7_PKtNS0_17constant_iteratorIjlEEPtPlSF_S6_NS0_8equal_toItEEEE10hipError_tPvRmT2_T3_mT4_T5_T6_T7_T8_P12ihipStream_tbENKUlT_T0_E_clISt17integral_constantIbLb0EESY_IbLb1EEEEDaSU_SV_EUlSU_E_NS1_11comp_targetILNS1_3genE10ELNS1_11target_archE1201ELNS1_3gpuE5ELNS1_3repE0EEENS1_30default_config_static_selectorELNS0_4arch9wavefront6targetE1EEEvT1_,comdat
.Lfunc_end819:
	.size	_ZN7rocprim17ROCPRIM_400000_NS6detail17trampoline_kernelINS0_14default_configENS1_33run_length_encode_config_selectorItjNS0_4plusIjEEEEZZNS1_33reduce_by_key_impl_wrapped_configILNS1_25lookback_scan_determinismE0ES3_S7_PKtNS0_17constant_iteratorIjlEEPtPlSF_S6_NS0_8equal_toItEEEE10hipError_tPvRmT2_T3_mT4_T5_T6_T7_T8_P12ihipStream_tbENKUlT_T0_E_clISt17integral_constantIbLb0EESY_IbLb1EEEEDaSU_SV_EUlSU_E_NS1_11comp_targetILNS1_3genE10ELNS1_11target_archE1201ELNS1_3gpuE5ELNS1_3repE0EEENS1_30default_config_static_selectorELNS0_4arch9wavefront6targetE1EEEvT1_, .Lfunc_end819-_ZN7rocprim17ROCPRIM_400000_NS6detail17trampoline_kernelINS0_14default_configENS1_33run_length_encode_config_selectorItjNS0_4plusIjEEEEZZNS1_33reduce_by_key_impl_wrapped_configILNS1_25lookback_scan_determinismE0ES3_S7_PKtNS0_17constant_iteratorIjlEEPtPlSF_S6_NS0_8equal_toItEEEE10hipError_tPvRmT2_T3_mT4_T5_T6_T7_T8_P12ihipStream_tbENKUlT_T0_E_clISt17integral_constantIbLb0EESY_IbLb1EEEEDaSU_SV_EUlSU_E_NS1_11comp_targetILNS1_3genE10ELNS1_11target_archE1201ELNS1_3gpuE5ELNS1_3repE0EEENS1_30default_config_static_selectorELNS0_4arch9wavefront6targetE1EEEvT1_
                                        ; -- End function
	.section	.AMDGPU.csdata,"",@progbits
; Kernel info:
; codeLenInByte = 0
; NumSgprs: 4
; NumVgprs: 0
; NumAgprs: 0
; TotalNumVgprs: 0
; ScratchSize: 0
; MemoryBound: 0
; FloatMode: 240
; IeeeMode: 1
; LDSByteSize: 0 bytes/workgroup (compile time only)
; SGPRBlocks: 0
; VGPRBlocks: 0
; NumSGPRsForWavesPerEU: 4
; NumVGPRsForWavesPerEU: 1
; AccumOffset: 4
; Occupancy: 8
; WaveLimiterHint : 0
; COMPUTE_PGM_RSRC2:SCRATCH_EN: 0
; COMPUTE_PGM_RSRC2:USER_SGPR: 6
; COMPUTE_PGM_RSRC2:TRAP_HANDLER: 0
; COMPUTE_PGM_RSRC2:TGID_X_EN: 1
; COMPUTE_PGM_RSRC2:TGID_Y_EN: 0
; COMPUTE_PGM_RSRC2:TGID_Z_EN: 0
; COMPUTE_PGM_RSRC2:TIDIG_COMP_CNT: 0
; COMPUTE_PGM_RSRC3_GFX90A:ACCUM_OFFSET: 0
; COMPUTE_PGM_RSRC3_GFX90A:TG_SPLIT: 0
	.section	.text._ZN7rocprim17ROCPRIM_400000_NS6detail17trampoline_kernelINS0_14default_configENS1_33run_length_encode_config_selectorItjNS0_4plusIjEEEEZZNS1_33reduce_by_key_impl_wrapped_configILNS1_25lookback_scan_determinismE0ES3_S7_PKtNS0_17constant_iteratorIjlEEPtPlSF_S6_NS0_8equal_toItEEEE10hipError_tPvRmT2_T3_mT4_T5_T6_T7_T8_P12ihipStream_tbENKUlT_T0_E_clISt17integral_constantIbLb0EESY_IbLb1EEEEDaSU_SV_EUlSU_E_NS1_11comp_targetILNS1_3genE10ELNS1_11target_archE1200ELNS1_3gpuE4ELNS1_3repE0EEENS1_30default_config_static_selectorELNS0_4arch9wavefront6targetE1EEEvT1_,"axG",@progbits,_ZN7rocprim17ROCPRIM_400000_NS6detail17trampoline_kernelINS0_14default_configENS1_33run_length_encode_config_selectorItjNS0_4plusIjEEEEZZNS1_33reduce_by_key_impl_wrapped_configILNS1_25lookback_scan_determinismE0ES3_S7_PKtNS0_17constant_iteratorIjlEEPtPlSF_S6_NS0_8equal_toItEEEE10hipError_tPvRmT2_T3_mT4_T5_T6_T7_T8_P12ihipStream_tbENKUlT_T0_E_clISt17integral_constantIbLb0EESY_IbLb1EEEEDaSU_SV_EUlSU_E_NS1_11comp_targetILNS1_3genE10ELNS1_11target_archE1200ELNS1_3gpuE4ELNS1_3repE0EEENS1_30default_config_static_selectorELNS0_4arch9wavefront6targetE1EEEvT1_,comdat
	.protected	_ZN7rocprim17ROCPRIM_400000_NS6detail17trampoline_kernelINS0_14default_configENS1_33run_length_encode_config_selectorItjNS0_4plusIjEEEEZZNS1_33reduce_by_key_impl_wrapped_configILNS1_25lookback_scan_determinismE0ES3_S7_PKtNS0_17constant_iteratorIjlEEPtPlSF_S6_NS0_8equal_toItEEEE10hipError_tPvRmT2_T3_mT4_T5_T6_T7_T8_P12ihipStream_tbENKUlT_T0_E_clISt17integral_constantIbLb0EESY_IbLb1EEEEDaSU_SV_EUlSU_E_NS1_11comp_targetILNS1_3genE10ELNS1_11target_archE1200ELNS1_3gpuE4ELNS1_3repE0EEENS1_30default_config_static_selectorELNS0_4arch9wavefront6targetE1EEEvT1_ ; -- Begin function _ZN7rocprim17ROCPRIM_400000_NS6detail17trampoline_kernelINS0_14default_configENS1_33run_length_encode_config_selectorItjNS0_4plusIjEEEEZZNS1_33reduce_by_key_impl_wrapped_configILNS1_25lookback_scan_determinismE0ES3_S7_PKtNS0_17constant_iteratorIjlEEPtPlSF_S6_NS0_8equal_toItEEEE10hipError_tPvRmT2_T3_mT4_T5_T6_T7_T8_P12ihipStream_tbENKUlT_T0_E_clISt17integral_constantIbLb0EESY_IbLb1EEEEDaSU_SV_EUlSU_E_NS1_11comp_targetILNS1_3genE10ELNS1_11target_archE1200ELNS1_3gpuE4ELNS1_3repE0EEENS1_30default_config_static_selectorELNS0_4arch9wavefront6targetE1EEEvT1_
	.globl	_ZN7rocprim17ROCPRIM_400000_NS6detail17trampoline_kernelINS0_14default_configENS1_33run_length_encode_config_selectorItjNS0_4plusIjEEEEZZNS1_33reduce_by_key_impl_wrapped_configILNS1_25lookback_scan_determinismE0ES3_S7_PKtNS0_17constant_iteratorIjlEEPtPlSF_S6_NS0_8equal_toItEEEE10hipError_tPvRmT2_T3_mT4_T5_T6_T7_T8_P12ihipStream_tbENKUlT_T0_E_clISt17integral_constantIbLb0EESY_IbLb1EEEEDaSU_SV_EUlSU_E_NS1_11comp_targetILNS1_3genE10ELNS1_11target_archE1200ELNS1_3gpuE4ELNS1_3repE0EEENS1_30default_config_static_selectorELNS0_4arch9wavefront6targetE1EEEvT1_
	.p2align	8
	.type	_ZN7rocprim17ROCPRIM_400000_NS6detail17trampoline_kernelINS0_14default_configENS1_33run_length_encode_config_selectorItjNS0_4plusIjEEEEZZNS1_33reduce_by_key_impl_wrapped_configILNS1_25lookback_scan_determinismE0ES3_S7_PKtNS0_17constant_iteratorIjlEEPtPlSF_S6_NS0_8equal_toItEEEE10hipError_tPvRmT2_T3_mT4_T5_T6_T7_T8_P12ihipStream_tbENKUlT_T0_E_clISt17integral_constantIbLb0EESY_IbLb1EEEEDaSU_SV_EUlSU_E_NS1_11comp_targetILNS1_3genE10ELNS1_11target_archE1200ELNS1_3gpuE4ELNS1_3repE0EEENS1_30default_config_static_selectorELNS0_4arch9wavefront6targetE1EEEvT1_,@function
_ZN7rocprim17ROCPRIM_400000_NS6detail17trampoline_kernelINS0_14default_configENS1_33run_length_encode_config_selectorItjNS0_4plusIjEEEEZZNS1_33reduce_by_key_impl_wrapped_configILNS1_25lookback_scan_determinismE0ES3_S7_PKtNS0_17constant_iteratorIjlEEPtPlSF_S6_NS0_8equal_toItEEEE10hipError_tPvRmT2_T3_mT4_T5_T6_T7_T8_P12ihipStream_tbENKUlT_T0_E_clISt17integral_constantIbLb0EESY_IbLb1EEEEDaSU_SV_EUlSU_E_NS1_11comp_targetILNS1_3genE10ELNS1_11target_archE1200ELNS1_3gpuE4ELNS1_3repE0EEENS1_30default_config_static_selectorELNS0_4arch9wavefront6targetE1EEEvT1_: ; @_ZN7rocprim17ROCPRIM_400000_NS6detail17trampoline_kernelINS0_14default_configENS1_33run_length_encode_config_selectorItjNS0_4plusIjEEEEZZNS1_33reduce_by_key_impl_wrapped_configILNS1_25lookback_scan_determinismE0ES3_S7_PKtNS0_17constant_iteratorIjlEEPtPlSF_S6_NS0_8equal_toItEEEE10hipError_tPvRmT2_T3_mT4_T5_T6_T7_T8_P12ihipStream_tbENKUlT_T0_E_clISt17integral_constantIbLb0EESY_IbLb1EEEEDaSU_SV_EUlSU_E_NS1_11comp_targetILNS1_3genE10ELNS1_11target_archE1200ELNS1_3gpuE4ELNS1_3repE0EEENS1_30default_config_static_selectorELNS0_4arch9wavefront6targetE1EEEvT1_
; %bb.0:
	.section	.rodata,"a",@progbits
	.p2align	6, 0x0
	.amdhsa_kernel _ZN7rocprim17ROCPRIM_400000_NS6detail17trampoline_kernelINS0_14default_configENS1_33run_length_encode_config_selectorItjNS0_4plusIjEEEEZZNS1_33reduce_by_key_impl_wrapped_configILNS1_25lookback_scan_determinismE0ES3_S7_PKtNS0_17constant_iteratorIjlEEPtPlSF_S6_NS0_8equal_toItEEEE10hipError_tPvRmT2_T3_mT4_T5_T6_T7_T8_P12ihipStream_tbENKUlT_T0_E_clISt17integral_constantIbLb0EESY_IbLb1EEEEDaSU_SV_EUlSU_E_NS1_11comp_targetILNS1_3genE10ELNS1_11target_archE1200ELNS1_3gpuE4ELNS1_3repE0EEENS1_30default_config_static_selectorELNS0_4arch9wavefront6targetE1EEEvT1_
		.amdhsa_group_segment_fixed_size 0
		.amdhsa_private_segment_fixed_size 0
		.amdhsa_kernarg_size 128
		.amdhsa_user_sgpr_count 6
		.amdhsa_user_sgpr_private_segment_buffer 1
		.amdhsa_user_sgpr_dispatch_ptr 0
		.amdhsa_user_sgpr_queue_ptr 0
		.amdhsa_user_sgpr_kernarg_segment_ptr 1
		.amdhsa_user_sgpr_dispatch_id 0
		.amdhsa_user_sgpr_flat_scratch_init 0
		.amdhsa_user_sgpr_kernarg_preload_length 0
		.amdhsa_user_sgpr_kernarg_preload_offset 0
		.amdhsa_user_sgpr_private_segment_size 0
		.amdhsa_uses_dynamic_stack 0
		.amdhsa_system_sgpr_private_segment_wavefront_offset 0
		.amdhsa_system_sgpr_workgroup_id_x 1
		.amdhsa_system_sgpr_workgroup_id_y 0
		.amdhsa_system_sgpr_workgroup_id_z 0
		.amdhsa_system_sgpr_workgroup_info 0
		.amdhsa_system_vgpr_workitem_id 0
		.amdhsa_next_free_vgpr 1
		.amdhsa_next_free_sgpr 0
		.amdhsa_accum_offset 4
		.amdhsa_reserve_vcc 0
		.amdhsa_reserve_flat_scratch 0
		.amdhsa_float_round_mode_32 0
		.amdhsa_float_round_mode_16_64 0
		.amdhsa_float_denorm_mode_32 3
		.amdhsa_float_denorm_mode_16_64 3
		.amdhsa_dx10_clamp 1
		.amdhsa_ieee_mode 1
		.amdhsa_fp16_overflow 0
		.amdhsa_tg_split 0
		.amdhsa_exception_fp_ieee_invalid_op 0
		.amdhsa_exception_fp_denorm_src 0
		.amdhsa_exception_fp_ieee_div_zero 0
		.amdhsa_exception_fp_ieee_overflow 0
		.amdhsa_exception_fp_ieee_underflow 0
		.amdhsa_exception_fp_ieee_inexact 0
		.amdhsa_exception_int_div_zero 0
	.end_amdhsa_kernel
	.section	.text._ZN7rocprim17ROCPRIM_400000_NS6detail17trampoline_kernelINS0_14default_configENS1_33run_length_encode_config_selectorItjNS0_4plusIjEEEEZZNS1_33reduce_by_key_impl_wrapped_configILNS1_25lookback_scan_determinismE0ES3_S7_PKtNS0_17constant_iteratorIjlEEPtPlSF_S6_NS0_8equal_toItEEEE10hipError_tPvRmT2_T3_mT4_T5_T6_T7_T8_P12ihipStream_tbENKUlT_T0_E_clISt17integral_constantIbLb0EESY_IbLb1EEEEDaSU_SV_EUlSU_E_NS1_11comp_targetILNS1_3genE10ELNS1_11target_archE1200ELNS1_3gpuE4ELNS1_3repE0EEENS1_30default_config_static_selectorELNS0_4arch9wavefront6targetE1EEEvT1_,"axG",@progbits,_ZN7rocprim17ROCPRIM_400000_NS6detail17trampoline_kernelINS0_14default_configENS1_33run_length_encode_config_selectorItjNS0_4plusIjEEEEZZNS1_33reduce_by_key_impl_wrapped_configILNS1_25lookback_scan_determinismE0ES3_S7_PKtNS0_17constant_iteratorIjlEEPtPlSF_S6_NS0_8equal_toItEEEE10hipError_tPvRmT2_T3_mT4_T5_T6_T7_T8_P12ihipStream_tbENKUlT_T0_E_clISt17integral_constantIbLb0EESY_IbLb1EEEEDaSU_SV_EUlSU_E_NS1_11comp_targetILNS1_3genE10ELNS1_11target_archE1200ELNS1_3gpuE4ELNS1_3repE0EEENS1_30default_config_static_selectorELNS0_4arch9wavefront6targetE1EEEvT1_,comdat
.Lfunc_end820:
	.size	_ZN7rocprim17ROCPRIM_400000_NS6detail17trampoline_kernelINS0_14default_configENS1_33run_length_encode_config_selectorItjNS0_4plusIjEEEEZZNS1_33reduce_by_key_impl_wrapped_configILNS1_25lookback_scan_determinismE0ES3_S7_PKtNS0_17constant_iteratorIjlEEPtPlSF_S6_NS0_8equal_toItEEEE10hipError_tPvRmT2_T3_mT4_T5_T6_T7_T8_P12ihipStream_tbENKUlT_T0_E_clISt17integral_constantIbLb0EESY_IbLb1EEEEDaSU_SV_EUlSU_E_NS1_11comp_targetILNS1_3genE10ELNS1_11target_archE1200ELNS1_3gpuE4ELNS1_3repE0EEENS1_30default_config_static_selectorELNS0_4arch9wavefront6targetE1EEEvT1_, .Lfunc_end820-_ZN7rocprim17ROCPRIM_400000_NS6detail17trampoline_kernelINS0_14default_configENS1_33run_length_encode_config_selectorItjNS0_4plusIjEEEEZZNS1_33reduce_by_key_impl_wrapped_configILNS1_25lookback_scan_determinismE0ES3_S7_PKtNS0_17constant_iteratorIjlEEPtPlSF_S6_NS0_8equal_toItEEEE10hipError_tPvRmT2_T3_mT4_T5_T6_T7_T8_P12ihipStream_tbENKUlT_T0_E_clISt17integral_constantIbLb0EESY_IbLb1EEEEDaSU_SV_EUlSU_E_NS1_11comp_targetILNS1_3genE10ELNS1_11target_archE1200ELNS1_3gpuE4ELNS1_3repE0EEENS1_30default_config_static_selectorELNS0_4arch9wavefront6targetE1EEEvT1_
                                        ; -- End function
	.section	.AMDGPU.csdata,"",@progbits
; Kernel info:
; codeLenInByte = 0
; NumSgprs: 4
; NumVgprs: 0
; NumAgprs: 0
; TotalNumVgprs: 0
; ScratchSize: 0
; MemoryBound: 0
; FloatMode: 240
; IeeeMode: 1
; LDSByteSize: 0 bytes/workgroup (compile time only)
; SGPRBlocks: 0
; VGPRBlocks: 0
; NumSGPRsForWavesPerEU: 4
; NumVGPRsForWavesPerEU: 1
; AccumOffset: 4
; Occupancy: 8
; WaveLimiterHint : 0
; COMPUTE_PGM_RSRC2:SCRATCH_EN: 0
; COMPUTE_PGM_RSRC2:USER_SGPR: 6
; COMPUTE_PGM_RSRC2:TRAP_HANDLER: 0
; COMPUTE_PGM_RSRC2:TGID_X_EN: 1
; COMPUTE_PGM_RSRC2:TGID_Y_EN: 0
; COMPUTE_PGM_RSRC2:TGID_Z_EN: 0
; COMPUTE_PGM_RSRC2:TIDIG_COMP_CNT: 0
; COMPUTE_PGM_RSRC3_GFX90A:ACCUM_OFFSET: 0
; COMPUTE_PGM_RSRC3_GFX90A:TG_SPLIT: 0
	.section	.text._ZN7rocprim17ROCPRIM_400000_NS6detail17trampoline_kernelINS0_14default_configENS1_33run_length_encode_config_selectorItjNS0_4plusIjEEEEZZNS1_33reduce_by_key_impl_wrapped_configILNS1_25lookback_scan_determinismE0ES3_S7_PKtNS0_17constant_iteratorIjlEEPtPlSF_S6_NS0_8equal_toItEEEE10hipError_tPvRmT2_T3_mT4_T5_T6_T7_T8_P12ihipStream_tbENKUlT_T0_E_clISt17integral_constantIbLb0EESY_IbLb1EEEEDaSU_SV_EUlSU_E_NS1_11comp_targetILNS1_3genE9ELNS1_11target_archE1100ELNS1_3gpuE3ELNS1_3repE0EEENS1_30default_config_static_selectorELNS0_4arch9wavefront6targetE1EEEvT1_,"axG",@progbits,_ZN7rocprim17ROCPRIM_400000_NS6detail17trampoline_kernelINS0_14default_configENS1_33run_length_encode_config_selectorItjNS0_4plusIjEEEEZZNS1_33reduce_by_key_impl_wrapped_configILNS1_25lookback_scan_determinismE0ES3_S7_PKtNS0_17constant_iteratorIjlEEPtPlSF_S6_NS0_8equal_toItEEEE10hipError_tPvRmT2_T3_mT4_T5_T6_T7_T8_P12ihipStream_tbENKUlT_T0_E_clISt17integral_constantIbLb0EESY_IbLb1EEEEDaSU_SV_EUlSU_E_NS1_11comp_targetILNS1_3genE9ELNS1_11target_archE1100ELNS1_3gpuE3ELNS1_3repE0EEENS1_30default_config_static_selectorELNS0_4arch9wavefront6targetE1EEEvT1_,comdat
	.protected	_ZN7rocprim17ROCPRIM_400000_NS6detail17trampoline_kernelINS0_14default_configENS1_33run_length_encode_config_selectorItjNS0_4plusIjEEEEZZNS1_33reduce_by_key_impl_wrapped_configILNS1_25lookback_scan_determinismE0ES3_S7_PKtNS0_17constant_iteratorIjlEEPtPlSF_S6_NS0_8equal_toItEEEE10hipError_tPvRmT2_T3_mT4_T5_T6_T7_T8_P12ihipStream_tbENKUlT_T0_E_clISt17integral_constantIbLb0EESY_IbLb1EEEEDaSU_SV_EUlSU_E_NS1_11comp_targetILNS1_3genE9ELNS1_11target_archE1100ELNS1_3gpuE3ELNS1_3repE0EEENS1_30default_config_static_selectorELNS0_4arch9wavefront6targetE1EEEvT1_ ; -- Begin function _ZN7rocprim17ROCPRIM_400000_NS6detail17trampoline_kernelINS0_14default_configENS1_33run_length_encode_config_selectorItjNS0_4plusIjEEEEZZNS1_33reduce_by_key_impl_wrapped_configILNS1_25lookback_scan_determinismE0ES3_S7_PKtNS0_17constant_iteratorIjlEEPtPlSF_S6_NS0_8equal_toItEEEE10hipError_tPvRmT2_T3_mT4_T5_T6_T7_T8_P12ihipStream_tbENKUlT_T0_E_clISt17integral_constantIbLb0EESY_IbLb1EEEEDaSU_SV_EUlSU_E_NS1_11comp_targetILNS1_3genE9ELNS1_11target_archE1100ELNS1_3gpuE3ELNS1_3repE0EEENS1_30default_config_static_selectorELNS0_4arch9wavefront6targetE1EEEvT1_
	.globl	_ZN7rocprim17ROCPRIM_400000_NS6detail17trampoline_kernelINS0_14default_configENS1_33run_length_encode_config_selectorItjNS0_4plusIjEEEEZZNS1_33reduce_by_key_impl_wrapped_configILNS1_25lookback_scan_determinismE0ES3_S7_PKtNS0_17constant_iteratorIjlEEPtPlSF_S6_NS0_8equal_toItEEEE10hipError_tPvRmT2_T3_mT4_T5_T6_T7_T8_P12ihipStream_tbENKUlT_T0_E_clISt17integral_constantIbLb0EESY_IbLb1EEEEDaSU_SV_EUlSU_E_NS1_11comp_targetILNS1_3genE9ELNS1_11target_archE1100ELNS1_3gpuE3ELNS1_3repE0EEENS1_30default_config_static_selectorELNS0_4arch9wavefront6targetE1EEEvT1_
	.p2align	8
	.type	_ZN7rocprim17ROCPRIM_400000_NS6detail17trampoline_kernelINS0_14default_configENS1_33run_length_encode_config_selectorItjNS0_4plusIjEEEEZZNS1_33reduce_by_key_impl_wrapped_configILNS1_25lookback_scan_determinismE0ES3_S7_PKtNS0_17constant_iteratorIjlEEPtPlSF_S6_NS0_8equal_toItEEEE10hipError_tPvRmT2_T3_mT4_T5_T6_T7_T8_P12ihipStream_tbENKUlT_T0_E_clISt17integral_constantIbLb0EESY_IbLb1EEEEDaSU_SV_EUlSU_E_NS1_11comp_targetILNS1_3genE9ELNS1_11target_archE1100ELNS1_3gpuE3ELNS1_3repE0EEENS1_30default_config_static_selectorELNS0_4arch9wavefront6targetE1EEEvT1_,@function
_ZN7rocprim17ROCPRIM_400000_NS6detail17trampoline_kernelINS0_14default_configENS1_33run_length_encode_config_selectorItjNS0_4plusIjEEEEZZNS1_33reduce_by_key_impl_wrapped_configILNS1_25lookback_scan_determinismE0ES3_S7_PKtNS0_17constant_iteratorIjlEEPtPlSF_S6_NS0_8equal_toItEEEE10hipError_tPvRmT2_T3_mT4_T5_T6_T7_T8_P12ihipStream_tbENKUlT_T0_E_clISt17integral_constantIbLb0EESY_IbLb1EEEEDaSU_SV_EUlSU_E_NS1_11comp_targetILNS1_3genE9ELNS1_11target_archE1100ELNS1_3gpuE3ELNS1_3repE0EEENS1_30default_config_static_selectorELNS0_4arch9wavefront6targetE1EEEvT1_: ; @_ZN7rocprim17ROCPRIM_400000_NS6detail17trampoline_kernelINS0_14default_configENS1_33run_length_encode_config_selectorItjNS0_4plusIjEEEEZZNS1_33reduce_by_key_impl_wrapped_configILNS1_25lookback_scan_determinismE0ES3_S7_PKtNS0_17constant_iteratorIjlEEPtPlSF_S6_NS0_8equal_toItEEEE10hipError_tPvRmT2_T3_mT4_T5_T6_T7_T8_P12ihipStream_tbENKUlT_T0_E_clISt17integral_constantIbLb0EESY_IbLb1EEEEDaSU_SV_EUlSU_E_NS1_11comp_targetILNS1_3genE9ELNS1_11target_archE1100ELNS1_3gpuE3ELNS1_3repE0EEENS1_30default_config_static_selectorELNS0_4arch9wavefront6targetE1EEEvT1_
; %bb.0:
	.section	.rodata,"a",@progbits
	.p2align	6, 0x0
	.amdhsa_kernel _ZN7rocprim17ROCPRIM_400000_NS6detail17trampoline_kernelINS0_14default_configENS1_33run_length_encode_config_selectorItjNS0_4plusIjEEEEZZNS1_33reduce_by_key_impl_wrapped_configILNS1_25lookback_scan_determinismE0ES3_S7_PKtNS0_17constant_iteratorIjlEEPtPlSF_S6_NS0_8equal_toItEEEE10hipError_tPvRmT2_T3_mT4_T5_T6_T7_T8_P12ihipStream_tbENKUlT_T0_E_clISt17integral_constantIbLb0EESY_IbLb1EEEEDaSU_SV_EUlSU_E_NS1_11comp_targetILNS1_3genE9ELNS1_11target_archE1100ELNS1_3gpuE3ELNS1_3repE0EEENS1_30default_config_static_selectorELNS0_4arch9wavefront6targetE1EEEvT1_
		.amdhsa_group_segment_fixed_size 0
		.amdhsa_private_segment_fixed_size 0
		.amdhsa_kernarg_size 128
		.amdhsa_user_sgpr_count 6
		.amdhsa_user_sgpr_private_segment_buffer 1
		.amdhsa_user_sgpr_dispatch_ptr 0
		.amdhsa_user_sgpr_queue_ptr 0
		.amdhsa_user_sgpr_kernarg_segment_ptr 1
		.amdhsa_user_sgpr_dispatch_id 0
		.amdhsa_user_sgpr_flat_scratch_init 0
		.amdhsa_user_sgpr_kernarg_preload_length 0
		.amdhsa_user_sgpr_kernarg_preload_offset 0
		.amdhsa_user_sgpr_private_segment_size 0
		.amdhsa_uses_dynamic_stack 0
		.amdhsa_system_sgpr_private_segment_wavefront_offset 0
		.amdhsa_system_sgpr_workgroup_id_x 1
		.amdhsa_system_sgpr_workgroup_id_y 0
		.amdhsa_system_sgpr_workgroup_id_z 0
		.amdhsa_system_sgpr_workgroup_info 0
		.amdhsa_system_vgpr_workitem_id 0
		.amdhsa_next_free_vgpr 1
		.amdhsa_next_free_sgpr 0
		.amdhsa_accum_offset 4
		.amdhsa_reserve_vcc 0
		.amdhsa_reserve_flat_scratch 0
		.amdhsa_float_round_mode_32 0
		.amdhsa_float_round_mode_16_64 0
		.amdhsa_float_denorm_mode_32 3
		.amdhsa_float_denorm_mode_16_64 3
		.amdhsa_dx10_clamp 1
		.amdhsa_ieee_mode 1
		.amdhsa_fp16_overflow 0
		.amdhsa_tg_split 0
		.amdhsa_exception_fp_ieee_invalid_op 0
		.amdhsa_exception_fp_denorm_src 0
		.amdhsa_exception_fp_ieee_div_zero 0
		.amdhsa_exception_fp_ieee_overflow 0
		.amdhsa_exception_fp_ieee_underflow 0
		.amdhsa_exception_fp_ieee_inexact 0
		.amdhsa_exception_int_div_zero 0
	.end_amdhsa_kernel
	.section	.text._ZN7rocprim17ROCPRIM_400000_NS6detail17trampoline_kernelINS0_14default_configENS1_33run_length_encode_config_selectorItjNS0_4plusIjEEEEZZNS1_33reduce_by_key_impl_wrapped_configILNS1_25lookback_scan_determinismE0ES3_S7_PKtNS0_17constant_iteratorIjlEEPtPlSF_S6_NS0_8equal_toItEEEE10hipError_tPvRmT2_T3_mT4_T5_T6_T7_T8_P12ihipStream_tbENKUlT_T0_E_clISt17integral_constantIbLb0EESY_IbLb1EEEEDaSU_SV_EUlSU_E_NS1_11comp_targetILNS1_3genE9ELNS1_11target_archE1100ELNS1_3gpuE3ELNS1_3repE0EEENS1_30default_config_static_selectorELNS0_4arch9wavefront6targetE1EEEvT1_,"axG",@progbits,_ZN7rocprim17ROCPRIM_400000_NS6detail17trampoline_kernelINS0_14default_configENS1_33run_length_encode_config_selectorItjNS0_4plusIjEEEEZZNS1_33reduce_by_key_impl_wrapped_configILNS1_25lookback_scan_determinismE0ES3_S7_PKtNS0_17constant_iteratorIjlEEPtPlSF_S6_NS0_8equal_toItEEEE10hipError_tPvRmT2_T3_mT4_T5_T6_T7_T8_P12ihipStream_tbENKUlT_T0_E_clISt17integral_constantIbLb0EESY_IbLb1EEEEDaSU_SV_EUlSU_E_NS1_11comp_targetILNS1_3genE9ELNS1_11target_archE1100ELNS1_3gpuE3ELNS1_3repE0EEENS1_30default_config_static_selectorELNS0_4arch9wavefront6targetE1EEEvT1_,comdat
.Lfunc_end821:
	.size	_ZN7rocprim17ROCPRIM_400000_NS6detail17trampoline_kernelINS0_14default_configENS1_33run_length_encode_config_selectorItjNS0_4plusIjEEEEZZNS1_33reduce_by_key_impl_wrapped_configILNS1_25lookback_scan_determinismE0ES3_S7_PKtNS0_17constant_iteratorIjlEEPtPlSF_S6_NS0_8equal_toItEEEE10hipError_tPvRmT2_T3_mT4_T5_T6_T7_T8_P12ihipStream_tbENKUlT_T0_E_clISt17integral_constantIbLb0EESY_IbLb1EEEEDaSU_SV_EUlSU_E_NS1_11comp_targetILNS1_3genE9ELNS1_11target_archE1100ELNS1_3gpuE3ELNS1_3repE0EEENS1_30default_config_static_selectorELNS0_4arch9wavefront6targetE1EEEvT1_, .Lfunc_end821-_ZN7rocprim17ROCPRIM_400000_NS6detail17trampoline_kernelINS0_14default_configENS1_33run_length_encode_config_selectorItjNS0_4plusIjEEEEZZNS1_33reduce_by_key_impl_wrapped_configILNS1_25lookback_scan_determinismE0ES3_S7_PKtNS0_17constant_iteratorIjlEEPtPlSF_S6_NS0_8equal_toItEEEE10hipError_tPvRmT2_T3_mT4_T5_T6_T7_T8_P12ihipStream_tbENKUlT_T0_E_clISt17integral_constantIbLb0EESY_IbLb1EEEEDaSU_SV_EUlSU_E_NS1_11comp_targetILNS1_3genE9ELNS1_11target_archE1100ELNS1_3gpuE3ELNS1_3repE0EEENS1_30default_config_static_selectorELNS0_4arch9wavefront6targetE1EEEvT1_
                                        ; -- End function
	.section	.AMDGPU.csdata,"",@progbits
; Kernel info:
; codeLenInByte = 0
; NumSgprs: 4
; NumVgprs: 0
; NumAgprs: 0
; TotalNumVgprs: 0
; ScratchSize: 0
; MemoryBound: 0
; FloatMode: 240
; IeeeMode: 1
; LDSByteSize: 0 bytes/workgroup (compile time only)
; SGPRBlocks: 0
; VGPRBlocks: 0
; NumSGPRsForWavesPerEU: 4
; NumVGPRsForWavesPerEU: 1
; AccumOffset: 4
; Occupancy: 8
; WaveLimiterHint : 0
; COMPUTE_PGM_RSRC2:SCRATCH_EN: 0
; COMPUTE_PGM_RSRC2:USER_SGPR: 6
; COMPUTE_PGM_RSRC2:TRAP_HANDLER: 0
; COMPUTE_PGM_RSRC2:TGID_X_EN: 1
; COMPUTE_PGM_RSRC2:TGID_Y_EN: 0
; COMPUTE_PGM_RSRC2:TGID_Z_EN: 0
; COMPUTE_PGM_RSRC2:TIDIG_COMP_CNT: 0
; COMPUTE_PGM_RSRC3_GFX90A:ACCUM_OFFSET: 0
; COMPUTE_PGM_RSRC3_GFX90A:TG_SPLIT: 0
	.section	.text._ZN7rocprim17ROCPRIM_400000_NS6detail17trampoline_kernelINS0_14default_configENS1_33run_length_encode_config_selectorItjNS0_4plusIjEEEEZZNS1_33reduce_by_key_impl_wrapped_configILNS1_25lookback_scan_determinismE0ES3_S7_PKtNS0_17constant_iteratorIjlEEPtPlSF_S6_NS0_8equal_toItEEEE10hipError_tPvRmT2_T3_mT4_T5_T6_T7_T8_P12ihipStream_tbENKUlT_T0_E_clISt17integral_constantIbLb0EESY_IbLb1EEEEDaSU_SV_EUlSU_E_NS1_11comp_targetILNS1_3genE8ELNS1_11target_archE1030ELNS1_3gpuE2ELNS1_3repE0EEENS1_30default_config_static_selectorELNS0_4arch9wavefront6targetE1EEEvT1_,"axG",@progbits,_ZN7rocprim17ROCPRIM_400000_NS6detail17trampoline_kernelINS0_14default_configENS1_33run_length_encode_config_selectorItjNS0_4plusIjEEEEZZNS1_33reduce_by_key_impl_wrapped_configILNS1_25lookback_scan_determinismE0ES3_S7_PKtNS0_17constant_iteratorIjlEEPtPlSF_S6_NS0_8equal_toItEEEE10hipError_tPvRmT2_T3_mT4_T5_T6_T7_T8_P12ihipStream_tbENKUlT_T0_E_clISt17integral_constantIbLb0EESY_IbLb1EEEEDaSU_SV_EUlSU_E_NS1_11comp_targetILNS1_3genE8ELNS1_11target_archE1030ELNS1_3gpuE2ELNS1_3repE0EEENS1_30default_config_static_selectorELNS0_4arch9wavefront6targetE1EEEvT1_,comdat
	.protected	_ZN7rocprim17ROCPRIM_400000_NS6detail17trampoline_kernelINS0_14default_configENS1_33run_length_encode_config_selectorItjNS0_4plusIjEEEEZZNS1_33reduce_by_key_impl_wrapped_configILNS1_25lookback_scan_determinismE0ES3_S7_PKtNS0_17constant_iteratorIjlEEPtPlSF_S6_NS0_8equal_toItEEEE10hipError_tPvRmT2_T3_mT4_T5_T6_T7_T8_P12ihipStream_tbENKUlT_T0_E_clISt17integral_constantIbLb0EESY_IbLb1EEEEDaSU_SV_EUlSU_E_NS1_11comp_targetILNS1_3genE8ELNS1_11target_archE1030ELNS1_3gpuE2ELNS1_3repE0EEENS1_30default_config_static_selectorELNS0_4arch9wavefront6targetE1EEEvT1_ ; -- Begin function _ZN7rocprim17ROCPRIM_400000_NS6detail17trampoline_kernelINS0_14default_configENS1_33run_length_encode_config_selectorItjNS0_4plusIjEEEEZZNS1_33reduce_by_key_impl_wrapped_configILNS1_25lookback_scan_determinismE0ES3_S7_PKtNS0_17constant_iteratorIjlEEPtPlSF_S6_NS0_8equal_toItEEEE10hipError_tPvRmT2_T3_mT4_T5_T6_T7_T8_P12ihipStream_tbENKUlT_T0_E_clISt17integral_constantIbLb0EESY_IbLb1EEEEDaSU_SV_EUlSU_E_NS1_11comp_targetILNS1_3genE8ELNS1_11target_archE1030ELNS1_3gpuE2ELNS1_3repE0EEENS1_30default_config_static_selectorELNS0_4arch9wavefront6targetE1EEEvT1_
	.globl	_ZN7rocprim17ROCPRIM_400000_NS6detail17trampoline_kernelINS0_14default_configENS1_33run_length_encode_config_selectorItjNS0_4plusIjEEEEZZNS1_33reduce_by_key_impl_wrapped_configILNS1_25lookback_scan_determinismE0ES3_S7_PKtNS0_17constant_iteratorIjlEEPtPlSF_S6_NS0_8equal_toItEEEE10hipError_tPvRmT2_T3_mT4_T5_T6_T7_T8_P12ihipStream_tbENKUlT_T0_E_clISt17integral_constantIbLb0EESY_IbLb1EEEEDaSU_SV_EUlSU_E_NS1_11comp_targetILNS1_3genE8ELNS1_11target_archE1030ELNS1_3gpuE2ELNS1_3repE0EEENS1_30default_config_static_selectorELNS0_4arch9wavefront6targetE1EEEvT1_
	.p2align	8
	.type	_ZN7rocprim17ROCPRIM_400000_NS6detail17trampoline_kernelINS0_14default_configENS1_33run_length_encode_config_selectorItjNS0_4plusIjEEEEZZNS1_33reduce_by_key_impl_wrapped_configILNS1_25lookback_scan_determinismE0ES3_S7_PKtNS0_17constant_iteratorIjlEEPtPlSF_S6_NS0_8equal_toItEEEE10hipError_tPvRmT2_T3_mT4_T5_T6_T7_T8_P12ihipStream_tbENKUlT_T0_E_clISt17integral_constantIbLb0EESY_IbLb1EEEEDaSU_SV_EUlSU_E_NS1_11comp_targetILNS1_3genE8ELNS1_11target_archE1030ELNS1_3gpuE2ELNS1_3repE0EEENS1_30default_config_static_selectorELNS0_4arch9wavefront6targetE1EEEvT1_,@function
_ZN7rocprim17ROCPRIM_400000_NS6detail17trampoline_kernelINS0_14default_configENS1_33run_length_encode_config_selectorItjNS0_4plusIjEEEEZZNS1_33reduce_by_key_impl_wrapped_configILNS1_25lookback_scan_determinismE0ES3_S7_PKtNS0_17constant_iteratorIjlEEPtPlSF_S6_NS0_8equal_toItEEEE10hipError_tPvRmT2_T3_mT4_T5_T6_T7_T8_P12ihipStream_tbENKUlT_T0_E_clISt17integral_constantIbLb0EESY_IbLb1EEEEDaSU_SV_EUlSU_E_NS1_11comp_targetILNS1_3genE8ELNS1_11target_archE1030ELNS1_3gpuE2ELNS1_3repE0EEENS1_30default_config_static_selectorELNS0_4arch9wavefront6targetE1EEEvT1_: ; @_ZN7rocprim17ROCPRIM_400000_NS6detail17trampoline_kernelINS0_14default_configENS1_33run_length_encode_config_selectorItjNS0_4plusIjEEEEZZNS1_33reduce_by_key_impl_wrapped_configILNS1_25lookback_scan_determinismE0ES3_S7_PKtNS0_17constant_iteratorIjlEEPtPlSF_S6_NS0_8equal_toItEEEE10hipError_tPvRmT2_T3_mT4_T5_T6_T7_T8_P12ihipStream_tbENKUlT_T0_E_clISt17integral_constantIbLb0EESY_IbLb1EEEEDaSU_SV_EUlSU_E_NS1_11comp_targetILNS1_3genE8ELNS1_11target_archE1030ELNS1_3gpuE2ELNS1_3repE0EEENS1_30default_config_static_selectorELNS0_4arch9wavefront6targetE1EEEvT1_
; %bb.0:
	.section	.rodata,"a",@progbits
	.p2align	6, 0x0
	.amdhsa_kernel _ZN7rocprim17ROCPRIM_400000_NS6detail17trampoline_kernelINS0_14default_configENS1_33run_length_encode_config_selectorItjNS0_4plusIjEEEEZZNS1_33reduce_by_key_impl_wrapped_configILNS1_25lookback_scan_determinismE0ES3_S7_PKtNS0_17constant_iteratorIjlEEPtPlSF_S6_NS0_8equal_toItEEEE10hipError_tPvRmT2_T3_mT4_T5_T6_T7_T8_P12ihipStream_tbENKUlT_T0_E_clISt17integral_constantIbLb0EESY_IbLb1EEEEDaSU_SV_EUlSU_E_NS1_11comp_targetILNS1_3genE8ELNS1_11target_archE1030ELNS1_3gpuE2ELNS1_3repE0EEENS1_30default_config_static_selectorELNS0_4arch9wavefront6targetE1EEEvT1_
		.amdhsa_group_segment_fixed_size 0
		.amdhsa_private_segment_fixed_size 0
		.amdhsa_kernarg_size 128
		.amdhsa_user_sgpr_count 6
		.amdhsa_user_sgpr_private_segment_buffer 1
		.amdhsa_user_sgpr_dispatch_ptr 0
		.amdhsa_user_sgpr_queue_ptr 0
		.amdhsa_user_sgpr_kernarg_segment_ptr 1
		.amdhsa_user_sgpr_dispatch_id 0
		.amdhsa_user_sgpr_flat_scratch_init 0
		.amdhsa_user_sgpr_kernarg_preload_length 0
		.amdhsa_user_sgpr_kernarg_preload_offset 0
		.amdhsa_user_sgpr_private_segment_size 0
		.amdhsa_uses_dynamic_stack 0
		.amdhsa_system_sgpr_private_segment_wavefront_offset 0
		.amdhsa_system_sgpr_workgroup_id_x 1
		.amdhsa_system_sgpr_workgroup_id_y 0
		.amdhsa_system_sgpr_workgroup_id_z 0
		.amdhsa_system_sgpr_workgroup_info 0
		.amdhsa_system_vgpr_workitem_id 0
		.amdhsa_next_free_vgpr 1
		.amdhsa_next_free_sgpr 0
		.amdhsa_accum_offset 4
		.amdhsa_reserve_vcc 0
		.amdhsa_reserve_flat_scratch 0
		.amdhsa_float_round_mode_32 0
		.amdhsa_float_round_mode_16_64 0
		.amdhsa_float_denorm_mode_32 3
		.amdhsa_float_denorm_mode_16_64 3
		.amdhsa_dx10_clamp 1
		.amdhsa_ieee_mode 1
		.amdhsa_fp16_overflow 0
		.amdhsa_tg_split 0
		.amdhsa_exception_fp_ieee_invalid_op 0
		.amdhsa_exception_fp_denorm_src 0
		.amdhsa_exception_fp_ieee_div_zero 0
		.amdhsa_exception_fp_ieee_overflow 0
		.amdhsa_exception_fp_ieee_underflow 0
		.amdhsa_exception_fp_ieee_inexact 0
		.amdhsa_exception_int_div_zero 0
	.end_amdhsa_kernel
	.section	.text._ZN7rocprim17ROCPRIM_400000_NS6detail17trampoline_kernelINS0_14default_configENS1_33run_length_encode_config_selectorItjNS0_4plusIjEEEEZZNS1_33reduce_by_key_impl_wrapped_configILNS1_25lookback_scan_determinismE0ES3_S7_PKtNS0_17constant_iteratorIjlEEPtPlSF_S6_NS0_8equal_toItEEEE10hipError_tPvRmT2_T3_mT4_T5_T6_T7_T8_P12ihipStream_tbENKUlT_T0_E_clISt17integral_constantIbLb0EESY_IbLb1EEEEDaSU_SV_EUlSU_E_NS1_11comp_targetILNS1_3genE8ELNS1_11target_archE1030ELNS1_3gpuE2ELNS1_3repE0EEENS1_30default_config_static_selectorELNS0_4arch9wavefront6targetE1EEEvT1_,"axG",@progbits,_ZN7rocprim17ROCPRIM_400000_NS6detail17trampoline_kernelINS0_14default_configENS1_33run_length_encode_config_selectorItjNS0_4plusIjEEEEZZNS1_33reduce_by_key_impl_wrapped_configILNS1_25lookback_scan_determinismE0ES3_S7_PKtNS0_17constant_iteratorIjlEEPtPlSF_S6_NS0_8equal_toItEEEE10hipError_tPvRmT2_T3_mT4_T5_T6_T7_T8_P12ihipStream_tbENKUlT_T0_E_clISt17integral_constantIbLb0EESY_IbLb1EEEEDaSU_SV_EUlSU_E_NS1_11comp_targetILNS1_3genE8ELNS1_11target_archE1030ELNS1_3gpuE2ELNS1_3repE0EEENS1_30default_config_static_selectorELNS0_4arch9wavefront6targetE1EEEvT1_,comdat
.Lfunc_end822:
	.size	_ZN7rocprim17ROCPRIM_400000_NS6detail17trampoline_kernelINS0_14default_configENS1_33run_length_encode_config_selectorItjNS0_4plusIjEEEEZZNS1_33reduce_by_key_impl_wrapped_configILNS1_25lookback_scan_determinismE0ES3_S7_PKtNS0_17constant_iteratorIjlEEPtPlSF_S6_NS0_8equal_toItEEEE10hipError_tPvRmT2_T3_mT4_T5_T6_T7_T8_P12ihipStream_tbENKUlT_T0_E_clISt17integral_constantIbLb0EESY_IbLb1EEEEDaSU_SV_EUlSU_E_NS1_11comp_targetILNS1_3genE8ELNS1_11target_archE1030ELNS1_3gpuE2ELNS1_3repE0EEENS1_30default_config_static_selectorELNS0_4arch9wavefront6targetE1EEEvT1_, .Lfunc_end822-_ZN7rocprim17ROCPRIM_400000_NS6detail17trampoline_kernelINS0_14default_configENS1_33run_length_encode_config_selectorItjNS0_4plusIjEEEEZZNS1_33reduce_by_key_impl_wrapped_configILNS1_25lookback_scan_determinismE0ES3_S7_PKtNS0_17constant_iteratorIjlEEPtPlSF_S6_NS0_8equal_toItEEEE10hipError_tPvRmT2_T3_mT4_T5_T6_T7_T8_P12ihipStream_tbENKUlT_T0_E_clISt17integral_constantIbLb0EESY_IbLb1EEEEDaSU_SV_EUlSU_E_NS1_11comp_targetILNS1_3genE8ELNS1_11target_archE1030ELNS1_3gpuE2ELNS1_3repE0EEENS1_30default_config_static_selectorELNS0_4arch9wavefront6targetE1EEEvT1_
                                        ; -- End function
	.section	.AMDGPU.csdata,"",@progbits
; Kernel info:
; codeLenInByte = 0
; NumSgprs: 4
; NumVgprs: 0
; NumAgprs: 0
; TotalNumVgprs: 0
; ScratchSize: 0
; MemoryBound: 0
; FloatMode: 240
; IeeeMode: 1
; LDSByteSize: 0 bytes/workgroup (compile time only)
; SGPRBlocks: 0
; VGPRBlocks: 0
; NumSGPRsForWavesPerEU: 4
; NumVGPRsForWavesPerEU: 1
; AccumOffset: 4
; Occupancy: 8
; WaveLimiterHint : 0
; COMPUTE_PGM_RSRC2:SCRATCH_EN: 0
; COMPUTE_PGM_RSRC2:USER_SGPR: 6
; COMPUTE_PGM_RSRC2:TRAP_HANDLER: 0
; COMPUTE_PGM_RSRC2:TGID_X_EN: 1
; COMPUTE_PGM_RSRC2:TGID_Y_EN: 0
; COMPUTE_PGM_RSRC2:TGID_Z_EN: 0
; COMPUTE_PGM_RSRC2:TIDIG_COMP_CNT: 0
; COMPUTE_PGM_RSRC3_GFX90A:ACCUM_OFFSET: 0
; COMPUTE_PGM_RSRC3_GFX90A:TG_SPLIT: 0
	.section	.text._ZN2at6native8internal12_GLOBAL__N_126adjacent_difference_kernelIPKN3c108BFloat16EEEvlT_Pi,"axG",@progbits,_ZN2at6native8internal12_GLOBAL__N_126adjacent_difference_kernelIPKN3c108BFloat16EEEvlT_Pi,comdat
	.globl	_ZN2at6native8internal12_GLOBAL__N_126adjacent_difference_kernelIPKN3c108BFloat16EEEvlT_Pi ; -- Begin function _ZN2at6native8internal12_GLOBAL__N_126adjacent_difference_kernelIPKN3c108BFloat16EEEvlT_Pi
	.p2align	8
	.type	_ZN2at6native8internal12_GLOBAL__N_126adjacent_difference_kernelIPKN3c108BFloat16EEEvlT_Pi,@function
_ZN2at6native8internal12_GLOBAL__N_126adjacent_difference_kernelIPKN3c108BFloat16EEEvlT_Pi: ; @_ZN2at6native8internal12_GLOBAL__N_126adjacent_difference_kernelIPKN3c108BFloat16EEEvlT_Pi
; %bb.0:
	s_load_dword s7, s[4:5], 0x24
	s_load_dwordx4 s[0:3], s[4:5], 0x0
	s_add_u32 s10, s4, 24
	s_addc_u32 s11, s5, 0
	v_mov_b32_e32 v1, 0
	s_waitcnt lgkmcnt(0)
	s_and_b32 s7, s7, 0xffff
	v_mov_b32_e32 v2, s6
	v_mad_u64_u32 v[4:5], s[8:9], s7, v2, v[0:1]
	v_cmp_gt_i64_e32 vcc, s[0:1], v[4:5]
	s_and_saveexec_b64 s[8:9], vcc
	s_cbranch_execz .LBB823_5
; %bb.1:
	s_load_dword s12, s[10:11], 0x0
	s_load_dwordx2 s[8:9], s[4:5], 0x10
	s_mul_hi_u32 s13, s7, s6
	s_mul_i32 s10, s7, s6
	s_mov_b32 s6, 0
	s_waitcnt lgkmcnt(0)
	s_mul_i32 s11, s12, s7
	v_mov_b32_e32 v2, v1
	v_mov_b32_e32 v3, v4
	s_mov_b64 s[4:5], 0
	v_mov_b32_e32 v6, s9
	v_mov_b32_e32 v7, s6
	;; [unrolled: 1-line block ×4, first 2 shown]
	v_pk_mov_b32 v[4:5], v[0:1], v[0:1] op_sel:[0,1]
	s_branch .LBB823_3
.LBB823_2:                              ;   in Loop: Header=BB823_3 Depth=1
	s_or_b64 exec, exec, s[6:7]
	v_ashrrev_i64 v[10:11], 30, v[2:3]
	v_add_co_u32_e32 v10, vcc, s8, v10
	v_addc_co_u32_e32 v11, vcc, v6, v11, vcc
	v_add_co_u32_e32 v4, vcc, s11, v4
	v_addc_co_u32_e32 v5, vcc, v5, v7, vcc
	global_store_dword v[10:11], v0, off
	v_add_co_u32_e32 v10, vcc, s10, v4
	v_addc_co_u32_e32 v11, vcc, v8, v5, vcc
	v_cmp_le_i64_e32 vcc, s[0:1], v[10:11]
	s_or_b64 s[4:5], vcc, s[4:5]
	v_add_co_u32_e32 v2, vcc, 0, v2
	v_addc_co_u32_e32 v3, vcc, v3, v9, vcc
	s_andn2_b64 exec, exec, s[4:5]
	s_cbranch_execz .LBB823_5
.LBB823_3:                              ; =>This Inner Loop Header: Depth=1
	v_add_u32_e32 v0, s10, v4
	v_cmp_lt_i32_e32 vcc, 0, v0
	v_mov_b32_e32 v0, 0
	s_and_saveexec_b64 s[6:7], vcc
	s_cbranch_execz .LBB823_2
; %bb.4:                                ;   in Loop: Header=BB823_3 Depth=1
	v_add_u32_e32 v0, s10, v4
	v_lshlrev_b32_e32 v12, 1, v0
	v_add_u32_e32 v0, -1, v0
	v_lshlrev_b64 v[10:11], 1, v[0:1]
	v_mov_b32_e32 v0, s3
	v_add_co_u32_e32 v10, vcc, s2, v10
	v_addc_co_u32_e32 v11, vcc, v0, v11, vcc
	global_load_ushort v0, v12, s[2:3]
	global_load_ushort v13, v[10:11], off
	s_waitcnt vmcnt(1)
	v_lshlrev_b32_e32 v0, 16, v0
	s_waitcnt vmcnt(0)
	v_lshlrev_b32_e32 v10, 16, v13
	v_cmp_neq_f32_e32 vcc, v0, v10
	v_cndmask_b32_e64 v0, 0, 1, vcc
	s_branch .LBB823_2
.LBB823_5:
	s_endpgm
	.section	.rodata,"a",@progbits
	.p2align	6, 0x0
	.amdhsa_kernel _ZN2at6native8internal12_GLOBAL__N_126adjacent_difference_kernelIPKN3c108BFloat16EEEvlT_Pi
		.amdhsa_group_segment_fixed_size 0
		.amdhsa_private_segment_fixed_size 0
		.amdhsa_kernarg_size 280
		.amdhsa_user_sgpr_count 6
		.amdhsa_user_sgpr_private_segment_buffer 1
		.amdhsa_user_sgpr_dispatch_ptr 0
		.amdhsa_user_sgpr_queue_ptr 0
		.amdhsa_user_sgpr_kernarg_segment_ptr 1
		.amdhsa_user_sgpr_dispatch_id 0
		.amdhsa_user_sgpr_flat_scratch_init 0
		.amdhsa_user_sgpr_kernarg_preload_length 0
		.amdhsa_user_sgpr_kernarg_preload_offset 0
		.amdhsa_user_sgpr_private_segment_size 0
		.amdhsa_uses_dynamic_stack 0
		.amdhsa_system_sgpr_private_segment_wavefront_offset 0
		.amdhsa_system_sgpr_workgroup_id_x 1
		.amdhsa_system_sgpr_workgroup_id_y 0
		.amdhsa_system_sgpr_workgroup_id_z 0
		.amdhsa_system_sgpr_workgroup_info 0
		.amdhsa_system_vgpr_workitem_id 0
		.amdhsa_next_free_vgpr 14
		.amdhsa_next_free_sgpr 14
		.amdhsa_accum_offset 16
		.amdhsa_reserve_vcc 1
		.amdhsa_reserve_flat_scratch 0
		.amdhsa_float_round_mode_32 0
		.amdhsa_float_round_mode_16_64 0
		.amdhsa_float_denorm_mode_32 3
		.amdhsa_float_denorm_mode_16_64 3
		.amdhsa_dx10_clamp 1
		.amdhsa_ieee_mode 1
		.amdhsa_fp16_overflow 0
		.amdhsa_tg_split 0
		.amdhsa_exception_fp_ieee_invalid_op 0
		.amdhsa_exception_fp_denorm_src 0
		.amdhsa_exception_fp_ieee_div_zero 0
		.amdhsa_exception_fp_ieee_overflow 0
		.amdhsa_exception_fp_ieee_underflow 0
		.amdhsa_exception_fp_ieee_inexact 0
		.amdhsa_exception_int_div_zero 0
	.end_amdhsa_kernel
	.section	.text._ZN2at6native8internal12_GLOBAL__N_126adjacent_difference_kernelIPKN3c108BFloat16EEEvlT_Pi,"axG",@progbits,_ZN2at6native8internal12_GLOBAL__N_126adjacent_difference_kernelIPKN3c108BFloat16EEEvlT_Pi,comdat
.Lfunc_end823:
	.size	_ZN2at6native8internal12_GLOBAL__N_126adjacent_difference_kernelIPKN3c108BFloat16EEEvlT_Pi, .Lfunc_end823-_ZN2at6native8internal12_GLOBAL__N_126adjacent_difference_kernelIPKN3c108BFloat16EEEvlT_Pi
                                        ; -- End function
	.section	.AMDGPU.csdata,"",@progbits
; Kernel info:
; codeLenInByte = 312
; NumSgprs: 18
; NumVgprs: 14
; NumAgprs: 0
; TotalNumVgprs: 14
; ScratchSize: 0
; MemoryBound: 0
; FloatMode: 240
; IeeeMode: 1
; LDSByteSize: 0 bytes/workgroup (compile time only)
; SGPRBlocks: 2
; VGPRBlocks: 1
; NumSGPRsForWavesPerEU: 18
; NumVGPRsForWavesPerEU: 14
; AccumOffset: 16
; Occupancy: 8
; WaveLimiterHint : 0
; COMPUTE_PGM_RSRC2:SCRATCH_EN: 0
; COMPUTE_PGM_RSRC2:USER_SGPR: 6
; COMPUTE_PGM_RSRC2:TRAP_HANDLER: 0
; COMPUTE_PGM_RSRC2:TGID_X_EN: 1
; COMPUTE_PGM_RSRC2:TGID_Y_EN: 0
; COMPUTE_PGM_RSRC2:TGID_Z_EN: 0
; COMPUTE_PGM_RSRC2:TIDIG_COMP_CNT: 0
; COMPUTE_PGM_RSRC3_GFX90A:ACCUM_OFFSET: 3
; COMPUTE_PGM_RSRC3_GFX90A:TG_SPLIT: 0
	.section	.text._ZN7rocprim17ROCPRIM_400000_NS6detail17trampoline_kernelINS0_14default_configENS1_25partition_config_selectorILNS1_17partition_subalgoE8EN3c108BFloat16ENS0_10empty_typeEbEEZZNS1_14partition_implILS5_8ELb0ES3_jPKS7_PS8_PKS8_NS0_5tupleIJPS7_S8_EEENSG_IJSD_SD_EEENS0_18inequality_wrapperIN6hipcub16HIPCUB_304000_NS8EqualityEEEPlJS8_EEE10hipError_tPvRmT3_T4_T5_T6_T7_T9_mT8_P12ihipStream_tbDpT10_ENKUlT_T0_E_clISt17integral_constantIbLb0EES19_EEDaS14_S15_EUlS14_E_NS1_11comp_targetILNS1_3genE0ELNS1_11target_archE4294967295ELNS1_3gpuE0ELNS1_3repE0EEENS1_30default_config_static_selectorELNS0_4arch9wavefront6targetE1EEEvT1_,"axG",@progbits,_ZN7rocprim17ROCPRIM_400000_NS6detail17trampoline_kernelINS0_14default_configENS1_25partition_config_selectorILNS1_17partition_subalgoE8EN3c108BFloat16ENS0_10empty_typeEbEEZZNS1_14partition_implILS5_8ELb0ES3_jPKS7_PS8_PKS8_NS0_5tupleIJPS7_S8_EEENSG_IJSD_SD_EEENS0_18inequality_wrapperIN6hipcub16HIPCUB_304000_NS8EqualityEEEPlJS8_EEE10hipError_tPvRmT3_T4_T5_T6_T7_T9_mT8_P12ihipStream_tbDpT10_ENKUlT_T0_E_clISt17integral_constantIbLb0EES19_EEDaS14_S15_EUlS14_E_NS1_11comp_targetILNS1_3genE0ELNS1_11target_archE4294967295ELNS1_3gpuE0ELNS1_3repE0EEENS1_30default_config_static_selectorELNS0_4arch9wavefront6targetE1EEEvT1_,comdat
	.protected	_ZN7rocprim17ROCPRIM_400000_NS6detail17trampoline_kernelINS0_14default_configENS1_25partition_config_selectorILNS1_17partition_subalgoE8EN3c108BFloat16ENS0_10empty_typeEbEEZZNS1_14partition_implILS5_8ELb0ES3_jPKS7_PS8_PKS8_NS0_5tupleIJPS7_S8_EEENSG_IJSD_SD_EEENS0_18inequality_wrapperIN6hipcub16HIPCUB_304000_NS8EqualityEEEPlJS8_EEE10hipError_tPvRmT3_T4_T5_T6_T7_T9_mT8_P12ihipStream_tbDpT10_ENKUlT_T0_E_clISt17integral_constantIbLb0EES19_EEDaS14_S15_EUlS14_E_NS1_11comp_targetILNS1_3genE0ELNS1_11target_archE4294967295ELNS1_3gpuE0ELNS1_3repE0EEENS1_30default_config_static_selectorELNS0_4arch9wavefront6targetE1EEEvT1_ ; -- Begin function _ZN7rocprim17ROCPRIM_400000_NS6detail17trampoline_kernelINS0_14default_configENS1_25partition_config_selectorILNS1_17partition_subalgoE8EN3c108BFloat16ENS0_10empty_typeEbEEZZNS1_14partition_implILS5_8ELb0ES3_jPKS7_PS8_PKS8_NS0_5tupleIJPS7_S8_EEENSG_IJSD_SD_EEENS0_18inequality_wrapperIN6hipcub16HIPCUB_304000_NS8EqualityEEEPlJS8_EEE10hipError_tPvRmT3_T4_T5_T6_T7_T9_mT8_P12ihipStream_tbDpT10_ENKUlT_T0_E_clISt17integral_constantIbLb0EES19_EEDaS14_S15_EUlS14_E_NS1_11comp_targetILNS1_3genE0ELNS1_11target_archE4294967295ELNS1_3gpuE0ELNS1_3repE0EEENS1_30default_config_static_selectorELNS0_4arch9wavefront6targetE1EEEvT1_
	.globl	_ZN7rocprim17ROCPRIM_400000_NS6detail17trampoline_kernelINS0_14default_configENS1_25partition_config_selectorILNS1_17partition_subalgoE8EN3c108BFloat16ENS0_10empty_typeEbEEZZNS1_14partition_implILS5_8ELb0ES3_jPKS7_PS8_PKS8_NS0_5tupleIJPS7_S8_EEENSG_IJSD_SD_EEENS0_18inequality_wrapperIN6hipcub16HIPCUB_304000_NS8EqualityEEEPlJS8_EEE10hipError_tPvRmT3_T4_T5_T6_T7_T9_mT8_P12ihipStream_tbDpT10_ENKUlT_T0_E_clISt17integral_constantIbLb0EES19_EEDaS14_S15_EUlS14_E_NS1_11comp_targetILNS1_3genE0ELNS1_11target_archE4294967295ELNS1_3gpuE0ELNS1_3repE0EEENS1_30default_config_static_selectorELNS0_4arch9wavefront6targetE1EEEvT1_
	.p2align	8
	.type	_ZN7rocprim17ROCPRIM_400000_NS6detail17trampoline_kernelINS0_14default_configENS1_25partition_config_selectorILNS1_17partition_subalgoE8EN3c108BFloat16ENS0_10empty_typeEbEEZZNS1_14partition_implILS5_8ELb0ES3_jPKS7_PS8_PKS8_NS0_5tupleIJPS7_S8_EEENSG_IJSD_SD_EEENS0_18inequality_wrapperIN6hipcub16HIPCUB_304000_NS8EqualityEEEPlJS8_EEE10hipError_tPvRmT3_T4_T5_T6_T7_T9_mT8_P12ihipStream_tbDpT10_ENKUlT_T0_E_clISt17integral_constantIbLb0EES19_EEDaS14_S15_EUlS14_E_NS1_11comp_targetILNS1_3genE0ELNS1_11target_archE4294967295ELNS1_3gpuE0ELNS1_3repE0EEENS1_30default_config_static_selectorELNS0_4arch9wavefront6targetE1EEEvT1_,@function
_ZN7rocprim17ROCPRIM_400000_NS6detail17trampoline_kernelINS0_14default_configENS1_25partition_config_selectorILNS1_17partition_subalgoE8EN3c108BFloat16ENS0_10empty_typeEbEEZZNS1_14partition_implILS5_8ELb0ES3_jPKS7_PS8_PKS8_NS0_5tupleIJPS7_S8_EEENSG_IJSD_SD_EEENS0_18inequality_wrapperIN6hipcub16HIPCUB_304000_NS8EqualityEEEPlJS8_EEE10hipError_tPvRmT3_T4_T5_T6_T7_T9_mT8_P12ihipStream_tbDpT10_ENKUlT_T0_E_clISt17integral_constantIbLb0EES19_EEDaS14_S15_EUlS14_E_NS1_11comp_targetILNS1_3genE0ELNS1_11target_archE4294967295ELNS1_3gpuE0ELNS1_3repE0EEENS1_30default_config_static_selectorELNS0_4arch9wavefront6targetE1EEEvT1_: ; @_ZN7rocprim17ROCPRIM_400000_NS6detail17trampoline_kernelINS0_14default_configENS1_25partition_config_selectorILNS1_17partition_subalgoE8EN3c108BFloat16ENS0_10empty_typeEbEEZZNS1_14partition_implILS5_8ELb0ES3_jPKS7_PS8_PKS8_NS0_5tupleIJPS7_S8_EEENSG_IJSD_SD_EEENS0_18inequality_wrapperIN6hipcub16HIPCUB_304000_NS8EqualityEEEPlJS8_EEE10hipError_tPvRmT3_T4_T5_T6_T7_T9_mT8_P12ihipStream_tbDpT10_ENKUlT_T0_E_clISt17integral_constantIbLb0EES19_EEDaS14_S15_EUlS14_E_NS1_11comp_targetILNS1_3genE0ELNS1_11target_archE4294967295ELNS1_3gpuE0ELNS1_3repE0EEENS1_30default_config_static_selectorELNS0_4arch9wavefront6targetE1EEEvT1_
; %bb.0:
	.section	.rodata,"a",@progbits
	.p2align	6, 0x0
	.amdhsa_kernel _ZN7rocprim17ROCPRIM_400000_NS6detail17trampoline_kernelINS0_14default_configENS1_25partition_config_selectorILNS1_17partition_subalgoE8EN3c108BFloat16ENS0_10empty_typeEbEEZZNS1_14partition_implILS5_8ELb0ES3_jPKS7_PS8_PKS8_NS0_5tupleIJPS7_S8_EEENSG_IJSD_SD_EEENS0_18inequality_wrapperIN6hipcub16HIPCUB_304000_NS8EqualityEEEPlJS8_EEE10hipError_tPvRmT3_T4_T5_T6_T7_T9_mT8_P12ihipStream_tbDpT10_ENKUlT_T0_E_clISt17integral_constantIbLb0EES19_EEDaS14_S15_EUlS14_E_NS1_11comp_targetILNS1_3genE0ELNS1_11target_archE4294967295ELNS1_3gpuE0ELNS1_3repE0EEENS1_30default_config_static_selectorELNS0_4arch9wavefront6targetE1EEEvT1_
		.amdhsa_group_segment_fixed_size 0
		.amdhsa_private_segment_fixed_size 0
		.amdhsa_kernarg_size 112
		.amdhsa_user_sgpr_count 6
		.amdhsa_user_sgpr_private_segment_buffer 1
		.amdhsa_user_sgpr_dispatch_ptr 0
		.amdhsa_user_sgpr_queue_ptr 0
		.amdhsa_user_sgpr_kernarg_segment_ptr 1
		.amdhsa_user_sgpr_dispatch_id 0
		.amdhsa_user_sgpr_flat_scratch_init 0
		.amdhsa_user_sgpr_kernarg_preload_length 0
		.amdhsa_user_sgpr_kernarg_preload_offset 0
		.amdhsa_user_sgpr_private_segment_size 0
		.amdhsa_uses_dynamic_stack 0
		.amdhsa_system_sgpr_private_segment_wavefront_offset 0
		.amdhsa_system_sgpr_workgroup_id_x 1
		.amdhsa_system_sgpr_workgroup_id_y 0
		.amdhsa_system_sgpr_workgroup_id_z 0
		.amdhsa_system_sgpr_workgroup_info 0
		.amdhsa_system_vgpr_workitem_id 0
		.amdhsa_next_free_vgpr 1
		.amdhsa_next_free_sgpr 0
		.amdhsa_accum_offset 4
		.amdhsa_reserve_vcc 0
		.amdhsa_reserve_flat_scratch 0
		.amdhsa_float_round_mode_32 0
		.amdhsa_float_round_mode_16_64 0
		.amdhsa_float_denorm_mode_32 3
		.amdhsa_float_denorm_mode_16_64 3
		.amdhsa_dx10_clamp 1
		.amdhsa_ieee_mode 1
		.amdhsa_fp16_overflow 0
		.amdhsa_tg_split 0
		.amdhsa_exception_fp_ieee_invalid_op 0
		.amdhsa_exception_fp_denorm_src 0
		.amdhsa_exception_fp_ieee_div_zero 0
		.amdhsa_exception_fp_ieee_overflow 0
		.amdhsa_exception_fp_ieee_underflow 0
		.amdhsa_exception_fp_ieee_inexact 0
		.amdhsa_exception_int_div_zero 0
	.end_amdhsa_kernel
	.section	.text._ZN7rocprim17ROCPRIM_400000_NS6detail17trampoline_kernelINS0_14default_configENS1_25partition_config_selectorILNS1_17partition_subalgoE8EN3c108BFloat16ENS0_10empty_typeEbEEZZNS1_14partition_implILS5_8ELb0ES3_jPKS7_PS8_PKS8_NS0_5tupleIJPS7_S8_EEENSG_IJSD_SD_EEENS0_18inequality_wrapperIN6hipcub16HIPCUB_304000_NS8EqualityEEEPlJS8_EEE10hipError_tPvRmT3_T4_T5_T6_T7_T9_mT8_P12ihipStream_tbDpT10_ENKUlT_T0_E_clISt17integral_constantIbLb0EES19_EEDaS14_S15_EUlS14_E_NS1_11comp_targetILNS1_3genE0ELNS1_11target_archE4294967295ELNS1_3gpuE0ELNS1_3repE0EEENS1_30default_config_static_selectorELNS0_4arch9wavefront6targetE1EEEvT1_,"axG",@progbits,_ZN7rocprim17ROCPRIM_400000_NS6detail17trampoline_kernelINS0_14default_configENS1_25partition_config_selectorILNS1_17partition_subalgoE8EN3c108BFloat16ENS0_10empty_typeEbEEZZNS1_14partition_implILS5_8ELb0ES3_jPKS7_PS8_PKS8_NS0_5tupleIJPS7_S8_EEENSG_IJSD_SD_EEENS0_18inequality_wrapperIN6hipcub16HIPCUB_304000_NS8EqualityEEEPlJS8_EEE10hipError_tPvRmT3_T4_T5_T6_T7_T9_mT8_P12ihipStream_tbDpT10_ENKUlT_T0_E_clISt17integral_constantIbLb0EES19_EEDaS14_S15_EUlS14_E_NS1_11comp_targetILNS1_3genE0ELNS1_11target_archE4294967295ELNS1_3gpuE0ELNS1_3repE0EEENS1_30default_config_static_selectorELNS0_4arch9wavefront6targetE1EEEvT1_,comdat
.Lfunc_end824:
	.size	_ZN7rocprim17ROCPRIM_400000_NS6detail17trampoline_kernelINS0_14default_configENS1_25partition_config_selectorILNS1_17partition_subalgoE8EN3c108BFloat16ENS0_10empty_typeEbEEZZNS1_14partition_implILS5_8ELb0ES3_jPKS7_PS8_PKS8_NS0_5tupleIJPS7_S8_EEENSG_IJSD_SD_EEENS0_18inequality_wrapperIN6hipcub16HIPCUB_304000_NS8EqualityEEEPlJS8_EEE10hipError_tPvRmT3_T4_T5_T6_T7_T9_mT8_P12ihipStream_tbDpT10_ENKUlT_T0_E_clISt17integral_constantIbLb0EES19_EEDaS14_S15_EUlS14_E_NS1_11comp_targetILNS1_3genE0ELNS1_11target_archE4294967295ELNS1_3gpuE0ELNS1_3repE0EEENS1_30default_config_static_selectorELNS0_4arch9wavefront6targetE1EEEvT1_, .Lfunc_end824-_ZN7rocprim17ROCPRIM_400000_NS6detail17trampoline_kernelINS0_14default_configENS1_25partition_config_selectorILNS1_17partition_subalgoE8EN3c108BFloat16ENS0_10empty_typeEbEEZZNS1_14partition_implILS5_8ELb0ES3_jPKS7_PS8_PKS8_NS0_5tupleIJPS7_S8_EEENSG_IJSD_SD_EEENS0_18inequality_wrapperIN6hipcub16HIPCUB_304000_NS8EqualityEEEPlJS8_EEE10hipError_tPvRmT3_T4_T5_T6_T7_T9_mT8_P12ihipStream_tbDpT10_ENKUlT_T0_E_clISt17integral_constantIbLb0EES19_EEDaS14_S15_EUlS14_E_NS1_11comp_targetILNS1_3genE0ELNS1_11target_archE4294967295ELNS1_3gpuE0ELNS1_3repE0EEENS1_30default_config_static_selectorELNS0_4arch9wavefront6targetE1EEEvT1_
                                        ; -- End function
	.section	.AMDGPU.csdata,"",@progbits
; Kernel info:
; codeLenInByte = 0
; NumSgprs: 4
; NumVgprs: 0
; NumAgprs: 0
; TotalNumVgprs: 0
; ScratchSize: 0
; MemoryBound: 0
; FloatMode: 240
; IeeeMode: 1
; LDSByteSize: 0 bytes/workgroup (compile time only)
; SGPRBlocks: 0
; VGPRBlocks: 0
; NumSGPRsForWavesPerEU: 4
; NumVGPRsForWavesPerEU: 1
; AccumOffset: 4
; Occupancy: 8
; WaveLimiterHint : 0
; COMPUTE_PGM_RSRC2:SCRATCH_EN: 0
; COMPUTE_PGM_RSRC2:USER_SGPR: 6
; COMPUTE_PGM_RSRC2:TRAP_HANDLER: 0
; COMPUTE_PGM_RSRC2:TGID_X_EN: 1
; COMPUTE_PGM_RSRC2:TGID_Y_EN: 0
; COMPUTE_PGM_RSRC2:TGID_Z_EN: 0
; COMPUTE_PGM_RSRC2:TIDIG_COMP_CNT: 0
; COMPUTE_PGM_RSRC3_GFX90A:ACCUM_OFFSET: 0
; COMPUTE_PGM_RSRC3_GFX90A:TG_SPLIT: 0
	.section	.text._ZN7rocprim17ROCPRIM_400000_NS6detail17trampoline_kernelINS0_14default_configENS1_25partition_config_selectorILNS1_17partition_subalgoE8EN3c108BFloat16ENS0_10empty_typeEbEEZZNS1_14partition_implILS5_8ELb0ES3_jPKS7_PS8_PKS8_NS0_5tupleIJPS7_S8_EEENSG_IJSD_SD_EEENS0_18inequality_wrapperIN6hipcub16HIPCUB_304000_NS8EqualityEEEPlJS8_EEE10hipError_tPvRmT3_T4_T5_T6_T7_T9_mT8_P12ihipStream_tbDpT10_ENKUlT_T0_E_clISt17integral_constantIbLb0EES19_EEDaS14_S15_EUlS14_E_NS1_11comp_targetILNS1_3genE5ELNS1_11target_archE942ELNS1_3gpuE9ELNS1_3repE0EEENS1_30default_config_static_selectorELNS0_4arch9wavefront6targetE1EEEvT1_,"axG",@progbits,_ZN7rocprim17ROCPRIM_400000_NS6detail17trampoline_kernelINS0_14default_configENS1_25partition_config_selectorILNS1_17partition_subalgoE8EN3c108BFloat16ENS0_10empty_typeEbEEZZNS1_14partition_implILS5_8ELb0ES3_jPKS7_PS8_PKS8_NS0_5tupleIJPS7_S8_EEENSG_IJSD_SD_EEENS0_18inequality_wrapperIN6hipcub16HIPCUB_304000_NS8EqualityEEEPlJS8_EEE10hipError_tPvRmT3_T4_T5_T6_T7_T9_mT8_P12ihipStream_tbDpT10_ENKUlT_T0_E_clISt17integral_constantIbLb0EES19_EEDaS14_S15_EUlS14_E_NS1_11comp_targetILNS1_3genE5ELNS1_11target_archE942ELNS1_3gpuE9ELNS1_3repE0EEENS1_30default_config_static_selectorELNS0_4arch9wavefront6targetE1EEEvT1_,comdat
	.protected	_ZN7rocprim17ROCPRIM_400000_NS6detail17trampoline_kernelINS0_14default_configENS1_25partition_config_selectorILNS1_17partition_subalgoE8EN3c108BFloat16ENS0_10empty_typeEbEEZZNS1_14partition_implILS5_8ELb0ES3_jPKS7_PS8_PKS8_NS0_5tupleIJPS7_S8_EEENSG_IJSD_SD_EEENS0_18inequality_wrapperIN6hipcub16HIPCUB_304000_NS8EqualityEEEPlJS8_EEE10hipError_tPvRmT3_T4_T5_T6_T7_T9_mT8_P12ihipStream_tbDpT10_ENKUlT_T0_E_clISt17integral_constantIbLb0EES19_EEDaS14_S15_EUlS14_E_NS1_11comp_targetILNS1_3genE5ELNS1_11target_archE942ELNS1_3gpuE9ELNS1_3repE0EEENS1_30default_config_static_selectorELNS0_4arch9wavefront6targetE1EEEvT1_ ; -- Begin function _ZN7rocprim17ROCPRIM_400000_NS6detail17trampoline_kernelINS0_14default_configENS1_25partition_config_selectorILNS1_17partition_subalgoE8EN3c108BFloat16ENS0_10empty_typeEbEEZZNS1_14partition_implILS5_8ELb0ES3_jPKS7_PS8_PKS8_NS0_5tupleIJPS7_S8_EEENSG_IJSD_SD_EEENS0_18inequality_wrapperIN6hipcub16HIPCUB_304000_NS8EqualityEEEPlJS8_EEE10hipError_tPvRmT3_T4_T5_T6_T7_T9_mT8_P12ihipStream_tbDpT10_ENKUlT_T0_E_clISt17integral_constantIbLb0EES19_EEDaS14_S15_EUlS14_E_NS1_11comp_targetILNS1_3genE5ELNS1_11target_archE942ELNS1_3gpuE9ELNS1_3repE0EEENS1_30default_config_static_selectorELNS0_4arch9wavefront6targetE1EEEvT1_
	.globl	_ZN7rocprim17ROCPRIM_400000_NS6detail17trampoline_kernelINS0_14default_configENS1_25partition_config_selectorILNS1_17partition_subalgoE8EN3c108BFloat16ENS0_10empty_typeEbEEZZNS1_14partition_implILS5_8ELb0ES3_jPKS7_PS8_PKS8_NS0_5tupleIJPS7_S8_EEENSG_IJSD_SD_EEENS0_18inequality_wrapperIN6hipcub16HIPCUB_304000_NS8EqualityEEEPlJS8_EEE10hipError_tPvRmT3_T4_T5_T6_T7_T9_mT8_P12ihipStream_tbDpT10_ENKUlT_T0_E_clISt17integral_constantIbLb0EES19_EEDaS14_S15_EUlS14_E_NS1_11comp_targetILNS1_3genE5ELNS1_11target_archE942ELNS1_3gpuE9ELNS1_3repE0EEENS1_30default_config_static_selectorELNS0_4arch9wavefront6targetE1EEEvT1_
	.p2align	8
	.type	_ZN7rocprim17ROCPRIM_400000_NS6detail17trampoline_kernelINS0_14default_configENS1_25partition_config_selectorILNS1_17partition_subalgoE8EN3c108BFloat16ENS0_10empty_typeEbEEZZNS1_14partition_implILS5_8ELb0ES3_jPKS7_PS8_PKS8_NS0_5tupleIJPS7_S8_EEENSG_IJSD_SD_EEENS0_18inequality_wrapperIN6hipcub16HIPCUB_304000_NS8EqualityEEEPlJS8_EEE10hipError_tPvRmT3_T4_T5_T6_T7_T9_mT8_P12ihipStream_tbDpT10_ENKUlT_T0_E_clISt17integral_constantIbLb0EES19_EEDaS14_S15_EUlS14_E_NS1_11comp_targetILNS1_3genE5ELNS1_11target_archE942ELNS1_3gpuE9ELNS1_3repE0EEENS1_30default_config_static_selectorELNS0_4arch9wavefront6targetE1EEEvT1_,@function
_ZN7rocprim17ROCPRIM_400000_NS6detail17trampoline_kernelINS0_14default_configENS1_25partition_config_selectorILNS1_17partition_subalgoE8EN3c108BFloat16ENS0_10empty_typeEbEEZZNS1_14partition_implILS5_8ELb0ES3_jPKS7_PS8_PKS8_NS0_5tupleIJPS7_S8_EEENSG_IJSD_SD_EEENS0_18inequality_wrapperIN6hipcub16HIPCUB_304000_NS8EqualityEEEPlJS8_EEE10hipError_tPvRmT3_T4_T5_T6_T7_T9_mT8_P12ihipStream_tbDpT10_ENKUlT_T0_E_clISt17integral_constantIbLb0EES19_EEDaS14_S15_EUlS14_E_NS1_11comp_targetILNS1_3genE5ELNS1_11target_archE942ELNS1_3gpuE9ELNS1_3repE0EEENS1_30default_config_static_selectorELNS0_4arch9wavefront6targetE1EEEvT1_: ; @_ZN7rocprim17ROCPRIM_400000_NS6detail17trampoline_kernelINS0_14default_configENS1_25partition_config_selectorILNS1_17partition_subalgoE8EN3c108BFloat16ENS0_10empty_typeEbEEZZNS1_14partition_implILS5_8ELb0ES3_jPKS7_PS8_PKS8_NS0_5tupleIJPS7_S8_EEENSG_IJSD_SD_EEENS0_18inequality_wrapperIN6hipcub16HIPCUB_304000_NS8EqualityEEEPlJS8_EEE10hipError_tPvRmT3_T4_T5_T6_T7_T9_mT8_P12ihipStream_tbDpT10_ENKUlT_T0_E_clISt17integral_constantIbLb0EES19_EEDaS14_S15_EUlS14_E_NS1_11comp_targetILNS1_3genE5ELNS1_11target_archE942ELNS1_3gpuE9ELNS1_3repE0EEENS1_30default_config_static_selectorELNS0_4arch9wavefront6targetE1EEEvT1_
; %bb.0:
	.section	.rodata,"a",@progbits
	.p2align	6, 0x0
	.amdhsa_kernel _ZN7rocprim17ROCPRIM_400000_NS6detail17trampoline_kernelINS0_14default_configENS1_25partition_config_selectorILNS1_17partition_subalgoE8EN3c108BFloat16ENS0_10empty_typeEbEEZZNS1_14partition_implILS5_8ELb0ES3_jPKS7_PS8_PKS8_NS0_5tupleIJPS7_S8_EEENSG_IJSD_SD_EEENS0_18inequality_wrapperIN6hipcub16HIPCUB_304000_NS8EqualityEEEPlJS8_EEE10hipError_tPvRmT3_T4_T5_T6_T7_T9_mT8_P12ihipStream_tbDpT10_ENKUlT_T0_E_clISt17integral_constantIbLb0EES19_EEDaS14_S15_EUlS14_E_NS1_11comp_targetILNS1_3genE5ELNS1_11target_archE942ELNS1_3gpuE9ELNS1_3repE0EEENS1_30default_config_static_selectorELNS0_4arch9wavefront6targetE1EEEvT1_
		.amdhsa_group_segment_fixed_size 0
		.amdhsa_private_segment_fixed_size 0
		.amdhsa_kernarg_size 112
		.amdhsa_user_sgpr_count 6
		.amdhsa_user_sgpr_private_segment_buffer 1
		.amdhsa_user_sgpr_dispatch_ptr 0
		.amdhsa_user_sgpr_queue_ptr 0
		.amdhsa_user_sgpr_kernarg_segment_ptr 1
		.amdhsa_user_sgpr_dispatch_id 0
		.amdhsa_user_sgpr_flat_scratch_init 0
		.amdhsa_user_sgpr_kernarg_preload_length 0
		.amdhsa_user_sgpr_kernarg_preload_offset 0
		.amdhsa_user_sgpr_private_segment_size 0
		.amdhsa_uses_dynamic_stack 0
		.amdhsa_system_sgpr_private_segment_wavefront_offset 0
		.amdhsa_system_sgpr_workgroup_id_x 1
		.amdhsa_system_sgpr_workgroup_id_y 0
		.amdhsa_system_sgpr_workgroup_id_z 0
		.amdhsa_system_sgpr_workgroup_info 0
		.amdhsa_system_vgpr_workitem_id 0
		.amdhsa_next_free_vgpr 1
		.amdhsa_next_free_sgpr 0
		.amdhsa_accum_offset 4
		.amdhsa_reserve_vcc 0
		.amdhsa_reserve_flat_scratch 0
		.amdhsa_float_round_mode_32 0
		.amdhsa_float_round_mode_16_64 0
		.amdhsa_float_denorm_mode_32 3
		.amdhsa_float_denorm_mode_16_64 3
		.amdhsa_dx10_clamp 1
		.amdhsa_ieee_mode 1
		.amdhsa_fp16_overflow 0
		.amdhsa_tg_split 0
		.amdhsa_exception_fp_ieee_invalid_op 0
		.amdhsa_exception_fp_denorm_src 0
		.amdhsa_exception_fp_ieee_div_zero 0
		.amdhsa_exception_fp_ieee_overflow 0
		.amdhsa_exception_fp_ieee_underflow 0
		.amdhsa_exception_fp_ieee_inexact 0
		.amdhsa_exception_int_div_zero 0
	.end_amdhsa_kernel
	.section	.text._ZN7rocprim17ROCPRIM_400000_NS6detail17trampoline_kernelINS0_14default_configENS1_25partition_config_selectorILNS1_17partition_subalgoE8EN3c108BFloat16ENS0_10empty_typeEbEEZZNS1_14partition_implILS5_8ELb0ES3_jPKS7_PS8_PKS8_NS0_5tupleIJPS7_S8_EEENSG_IJSD_SD_EEENS0_18inequality_wrapperIN6hipcub16HIPCUB_304000_NS8EqualityEEEPlJS8_EEE10hipError_tPvRmT3_T4_T5_T6_T7_T9_mT8_P12ihipStream_tbDpT10_ENKUlT_T0_E_clISt17integral_constantIbLb0EES19_EEDaS14_S15_EUlS14_E_NS1_11comp_targetILNS1_3genE5ELNS1_11target_archE942ELNS1_3gpuE9ELNS1_3repE0EEENS1_30default_config_static_selectorELNS0_4arch9wavefront6targetE1EEEvT1_,"axG",@progbits,_ZN7rocprim17ROCPRIM_400000_NS6detail17trampoline_kernelINS0_14default_configENS1_25partition_config_selectorILNS1_17partition_subalgoE8EN3c108BFloat16ENS0_10empty_typeEbEEZZNS1_14partition_implILS5_8ELb0ES3_jPKS7_PS8_PKS8_NS0_5tupleIJPS7_S8_EEENSG_IJSD_SD_EEENS0_18inequality_wrapperIN6hipcub16HIPCUB_304000_NS8EqualityEEEPlJS8_EEE10hipError_tPvRmT3_T4_T5_T6_T7_T9_mT8_P12ihipStream_tbDpT10_ENKUlT_T0_E_clISt17integral_constantIbLb0EES19_EEDaS14_S15_EUlS14_E_NS1_11comp_targetILNS1_3genE5ELNS1_11target_archE942ELNS1_3gpuE9ELNS1_3repE0EEENS1_30default_config_static_selectorELNS0_4arch9wavefront6targetE1EEEvT1_,comdat
.Lfunc_end825:
	.size	_ZN7rocprim17ROCPRIM_400000_NS6detail17trampoline_kernelINS0_14default_configENS1_25partition_config_selectorILNS1_17partition_subalgoE8EN3c108BFloat16ENS0_10empty_typeEbEEZZNS1_14partition_implILS5_8ELb0ES3_jPKS7_PS8_PKS8_NS0_5tupleIJPS7_S8_EEENSG_IJSD_SD_EEENS0_18inequality_wrapperIN6hipcub16HIPCUB_304000_NS8EqualityEEEPlJS8_EEE10hipError_tPvRmT3_T4_T5_T6_T7_T9_mT8_P12ihipStream_tbDpT10_ENKUlT_T0_E_clISt17integral_constantIbLb0EES19_EEDaS14_S15_EUlS14_E_NS1_11comp_targetILNS1_3genE5ELNS1_11target_archE942ELNS1_3gpuE9ELNS1_3repE0EEENS1_30default_config_static_selectorELNS0_4arch9wavefront6targetE1EEEvT1_, .Lfunc_end825-_ZN7rocprim17ROCPRIM_400000_NS6detail17trampoline_kernelINS0_14default_configENS1_25partition_config_selectorILNS1_17partition_subalgoE8EN3c108BFloat16ENS0_10empty_typeEbEEZZNS1_14partition_implILS5_8ELb0ES3_jPKS7_PS8_PKS8_NS0_5tupleIJPS7_S8_EEENSG_IJSD_SD_EEENS0_18inequality_wrapperIN6hipcub16HIPCUB_304000_NS8EqualityEEEPlJS8_EEE10hipError_tPvRmT3_T4_T5_T6_T7_T9_mT8_P12ihipStream_tbDpT10_ENKUlT_T0_E_clISt17integral_constantIbLb0EES19_EEDaS14_S15_EUlS14_E_NS1_11comp_targetILNS1_3genE5ELNS1_11target_archE942ELNS1_3gpuE9ELNS1_3repE0EEENS1_30default_config_static_selectorELNS0_4arch9wavefront6targetE1EEEvT1_
                                        ; -- End function
	.section	.AMDGPU.csdata,"",@progbits
; Kernel info:
; codeLenInByte = 0
; NumSgprs: 4
; NumVgprs: 0
; NumAgprs: 0
; TotalNumVgprs: 0
; ScratchSize: 0
; MemoryBound: 0
; FloatMode: 240
; IeeeMode: 1
; LDSByteSize: 0 bytes/workgroup (compile time only)
; SGPRBlocks: 0
; VGPRBlocks: 0
; NumSGPRsForWavesPerEU: 4
; NumVGPRsForWavesPerEU: 1
; AccumOffset: 4
; Occupancy: 8
; WaveLimiterHint : 0
; COMPUTE_PGM_RSRC2:SCRATCH_EN: 0
; COMPUTE_PGM_RSRC2:USER_SGPR: 6
; COMPUTE_PGM_RSRC2:TRAP_HANDLER: 0
; COMPUTE_PGM_RSRC2:TGID_X_EN: 1
; COMPUTE_PGM_RSRC2:TGID_Y_EN: 0
; COMPUTE_PGM_RSRC2:TGID_Z_EN: 0
; COMPUTE_PGM_RSRC2:TIDIG_COMP_CNT: 0
; COMPUTE_PGM_RSRC3_GFX90A:ACCUM_OFFSET: 0
; COMPUTE_PGM_RSRC3_GFX90A:TG_SPLIT: 0
	.section	.text._ZN7rocprim17ROCPRIM_400000_NS6detail17trampoline_kernelINS0_14default_configENS1_25partition_config_selectorILNS1_17partition_subalgoE8EN3c108BFloat16ENS0_10empty_typeEbEEZZNS1_14partition_implILS5_8ELb0ES3_jPKS7_PS8_PKS8_NS0_5tupleIJPS7_S8_EEENSG_IJSD_SD_EEENS0_18inequality_wrapperIN6hipcub16HIPCUB_304000_NS8EqualityEEEPlJS8_EEE10hipError_tPvRmT3_T4_T5_T6_T7_T9_mT8_P12ihipStream_tbDpT10_ENKUlT_T0_E_clISt17integral_constantIbLb0EES19_EEDaS14_S15_EUlS14_E_NS1_11comp_targetILNS1_3genE4ELNS1_11target_archE910ELNS1_3gpuE8ELNS1_3repE0EEENS1_30default_config_static_selectorELNS0_4arch9wavefront6targetE1EEEvT1_,"axG",@progbits,_ZN7rocprim17ROCPRIM_400000_NS6detail17trampoline_kernelINS0_14default_configENS1_25partition_config_selectorILNS1_17partition_subalgoE8EN3c108BFloat16ENS0_10empty_typeEbEEZZNS1_14partition_implILS5_8ELb0ES3_jPKS7_PS8_PKS8_NS0_5tupleIJPS7_S8_EEENSG_IJSD_SD_EEENS0_18inequality_wrapperIN6hipcub16HIPCUB_304000_NS8EqualityEEEPlJS8_EEE10hipError_tPvRmT3_T4_T5_T6_T7_T9_mT8_P12ihipStream_tbDpT10_ENKUlT_T0_E_clISt17integral_constantIbLb0EES19_EEDaS14_S15_EUlS14_E_NS1_11comp_targetILNS1_3genE4ELNS1_11target_archE910ELNS1_3gpuE8ELNS1_3repE0EEENS1_30default_config_static_selectorELNS0_4arch9wavefront6targetE1EEEvT1_,comdat
	.protected	_ZN7rocprim17ROCPRIM_400000_NS6detail17trampoline_kernelINS0_14default_configENS1_25partition_config_selectorILNS1_17partition_subalgoE8EN3c108BFloat16ENS0_10empty_typeEbEEZZNS1_14partition_implILS5_8ELb0ES3_jPKS7_PS8_PKS8_NS0_5tupleIJPS7_S8_EEENSG_IJSD_SD_EEENS0_18inequality_wrapperIN6hipcub16HIPCUB_304000_NS8EqualityEEEPlJS8_EEE10hipError_tPvRmT3_T4_T5_T6_T7_T9_mT8_P12ihipStream_tbDpT10_ENKUlT_T0_E_clISt17integral_constantIbLb0EES19_EEDaS14_S15_EUlS14_E_NS1_11comp_targetILNS1_3genE4ELNS1_11target_archE910ELNS1_3gpuE8ELNS1_3repE0EEENS1_30default_config_static_selectorELNS0_4arch9wavefront6targetE1EEEvT1_ ; -- Begin function _ZN7rocprim17ROCPRIM_400000_NS6detail17trampoline_kernelINS0_14default_configENS1_25partition_config_selectorILNS1_17partition_subalgoE8EN3c108BFloat16ENS0_10empty_typeEbEEZZNS1_14partition_implILS5_8ELb0ES3_jPKS7_PS8_PKS8_NS0_5tupleIJPS7_S8_EEENSG_IJSD_SD_EEENS0_18inequality_wrapperIN6hipcub16HIPCUB_304000_NS8EqualityEEEPlJS8_EEE10hipError_tPvRmT3_T4_T5_T6_T7_T9_mT8_P12ihipStream_tbDpT10_ENKUlT_T0_E_clISt17integral_constantIbLb0EES19_EEDaS14_S15_EUlS14_E_NS1_11comp_targetILNS1_3genE4ELNS1_11target_archE910ELNS1_3gpuE8ELNS1_3repE0EEENS1_30default_config_static_selectorELNS0_4arch9wavefront6targetE1EEEvT1_
	.globl	_ZN7rocprim17ROCPRIM_400000_NS6detail17trampoline_kernelINS0_14default_configENS1_25partition_config_selectorILNS1_17partition_subalgoE8EN3c108BFloat16ENS0_10empty_typeEbEEZZNS1_14partition_implILS5_8ELb0ES3_jPKS7_PS8_PKS8_NS0_5tupleIJPS7_S8_EEENSG_IJSD_SD_EEENS0_18inequality_wrapperIN6hipcub16HIPCUB_304000_NS8EqualityEEEPlJS8_EEE10hipError_tPvRmT3_T4_T5_T6_T7_T9_mT8_P12ihipStream_tbDpT10_ENKUlT_T0_E_clISt17integral_constantIbLb0EES19_EEDaS14_S15_EUlS14_E_NS1_11comp_targetILNS1_3genE4ELNS1_11target_archE910ELNS1_3gpuE8ELNS1_3repE0EEENS1_30default_config_static_selectorELNS0_4arch9wavefront6targetE1EEEvT1_
	.p2align	8
	.type	_ZN7rocprim17ROCPRIM_400000_NS6detail17trampoline_kernelINS0_14default_configENS1_25partition_config_selectorILNS1_17partition_subalgoE8EN3c108BFloat16ENS0_10empty_typeEbEEZZNS1_14partition_implILS5_8ELb0ES3_jPKS7_PS8_PKS8_NS0_5tupleIJPS7_S8_EEENSG_IJSD_SD_EEENS0_18inequality_wrapperIN6hipcub16HIPCUB_304000_NS8EqualityEEEPlJS8_EEE10hipError_tPvRmT3_T4_T5_T6_T7_T9_mT8_P12ihipStream_tbDpT10_ENKUlT_T0_E_clISt17integral_constantIbLb0EES19_EEDaS14_S15_EUlS14_E_NS1_11comp_targetILNS1_3genE4ELNS1_11target_archE910ELNS1_3gpuE8ELNS1_3repE0EEENS1_30default_config_static_selectorELNS0_4arch9wavefront6targetE1EEEvT1_,@function
_ZN7rocprim17ROCPRIM_400000_NS6detail17trampoline_kernelINS0_14default_configENS1_25partition_config_selectorILNS1_17partition_subalgoE8EN3c108BFloat16ENS0_10empty_typeEbEEZZNS1_14partition_implILS5_8ELb0ES3_jPKS7_PS8_PKS8_NS0_5tupleIJPS7_S8_EEENSG_IJSD_SD_EEENS0_18inequality_wrapperIN6hipcub16HIPCUB_304000_NS8EqualityEEEPlJS8_EEE10hipError_tPvRmT3_T4_T5_T6_T7_T9_mT8_P12ihipStream_tbDpT10_ENKUlT_T0_E_clISt17integral_constantIbLb0EES19_EEDaS14_S15_EUlS14_E_NS1_11comp_targetILNS1_3genE4ELNS1_11target_archE910ELNS1_3gpuE8ELNS1_3repE0EEENS1_30default_config_static_selectorELNS0_4arch9wavefront6targetE1EEEvT1_: ; @_ZN7rocprim17ROCPRIM_400000_NS6detail17trampoline_kernelINS0_14default_configENS1_25partition_config_selectorILNS1_17partition_subalgoE8EN3c108BFloat16ENS0_10empty_typeEbEEZZNS1_14partition_implILS5_8ELb0ES3_jPKS7_PS8_PKS8_NS0_5tupleIJPS7_S8_EEENSG_IJSD_SD_EEENS0_18inequality_wrapperIN6hipcub16HIPCUB_304000_NS8EqualityEEEPlJS8_EEE10hipError_tPvRmT3_T4_T5_T6_T7_T9_mT8_P12ihipStream_tbDpT10_ENKUlT_T0_E_clISt17integral_constantIbLb0EES19_EEDaS14_S15_EUlS14_E_NS1_11comp_targetILNS1_3genE4ELNS1_11target_archE910ELNS1_3gpuE8ELNS1_3repE0EEENS1_30default_config_static_selectorELNS0_4arch9wavefront6targetE1EEEvT1_
; %bb.0:
	s_load_dwordx2 s[8:9], s[4:5], 0x50
	s_load_dwordx4 s[0:3], s[4:5], 0x8
	s_load_dwordx4 s[20:23], s[4:5], 0x40
	s_load_dword s7, s[4:5], 0x68
	s_waitcnt lgkmcnt(0)
	v_mov_b32_e32 v3, s9
	s_lshl_b64 s[10:11], s[2:3], 1
	s_add_u32 s12, s0, s10
	s_mul_i32 s9, s7, 0x1600
	s_addc_u32 s13, s1, s11
	s_add_i32 s1, s9, s2
	s_add_i32 s10, s7, -1
	s_sub_i32 s7, s8, s1
	v_mov_b32_e32 v2, s8
	s_add_u32 s8, s2, s9
	s_addc_u32 s9, s3, 0
	s_cmp_eq_u32 s6, s10
	s_load_dwordx2 s[22:23], s[22:23], 0x0
	v_cmp_ge_u64_e32 vcc, s[8:9], v[2:3]
	s_cselect_b64 s[24:25], -1, 0
	s_mul_i32 s0, s6, 0x1600
	s_mov_b32 s1, 0
	s_and_b64 s[8:9], s[24:25], vcc
	s_xor_b64 s[26:27], s[8:9], -1
	s_lshl_b64 s[0:1], s[0:1], 1
	s_add_u32 s0, s12, s0
	s_mov_b64 s[10:11], -1
	s_addc_u32 s1, s13, s1
	s_and_b64 vcc, exec, s[26:27]
	s_cbranch_vccz .LBB826_2
; %bb.1:
	v_lshlrev_b32_e32 v1, 1, v0
	v_mov_b32_e32 v2, s1
	v_add_co_u32_e32 v4, vcc, s0, v1
	v_addc_co_u32_e32 v5, vcc, 0, v2, vcc
	v_add_co_u32_e32 v2, vcc, 0x1000, v4
	v_addc_co_u32_e32 v3, vcc, 0, v5, vcc
	global_load_ushort v6, v1, s[0:1]
	global_load_ushort v7, v1, s[0:1] offset:512
	global_load_ushort v8, v1, s[0:1] offset:1024
	;; [unrolled: 1-line block ×7, first 2 shown]
	global_load_ushort v14, v[2:3], off
	global_load_ushort v15, v[2:3], off offset:512
	global_load_ushort v16, v[2:3], off offset:1024
	;; [unrolled: 1-line block ×7, first 2 shown]
	v_add_co_u32_e32 v2, vcc, 0x2000, v4
	v_addc_co_u32_e32 v3, vcc, 0, v5, vcc
	global_load_ushort v4, v[2:3], off
	global_load_ushort v5, v[2:3], off offset:512
	global_load_ushort v22, v[2:3], off offset:1024
	;; [unrolled: 1-line block ×5, first 2 shown]
	s_mov_b64 s[10:11], 0
	s_waitcnt vmcnt(21)
	ds_write_b16 v1, v6
	s_waitcnt vmcnt(20)
	ds_write_b16 v1, v7 offset:512
	s_waitcnt vmcnt(19)
	ds_write_b16 v1, v8 offset:1024
	;; [unrolled: 2-line block ×21, first 2 shown]
	s_waitcnt lgkmcnt(0)
	s_barrier
.LBB826_2:
	s_andn2_b64 vcc, exec, s[10:11]
	s_addk_i32 s7, 0x1600
	s_cbranch_vccnz .LBB826_48
; %bb.3:
	v_cmp_gt_u32_e32 vcc, s7, v0
                                        ; implicit-def: $vgpr1
	s_and_saveexec_b64 s[10:11], vcc
	s_cbranch_execz .LBB826_5
; %bb.4:
	v_lshlrev_b32_e32 v1, 1, v0
	global_load_ushort v1, v1, s[0:1]
.LBB826_5:
	s_or_b64 exec, exec, s[10:11]
	v_or_b32_e32 v2, 0x100, v0
	v_cmp_gt_u32_e32 vcc, s7, v2
                                        ; implicit-def: $vgpr2
	s_and_saveexec_b64 s[10:11], vcc
	s_cbranch_execz .LBB826_7
; %bb.6:
	v_lshlrev_b32_e32 v2, 1, v0
	global_load_ushort v2, v2, s[0:1] offset:512
.LBB826_7:
	s_or_b64 exec, exec, s[10:11]
	v_or_b32_e32 v3, 0x200, v0
	v_cmp_gt_u32_e32 vcc, s7, v3
                                        ; implicit-def: $vgpr3
	s_and_saveexec_b64 s[10:11], vcc
	s_cbranch_execz .LBB826_9
; %bb.8:
	v_lshlrev_b32_e32 v3, 1, v0
	global_load_ushort v3, v3, s[0:1] offset:1024
.LBB826_9:
	s_or_b64 exec, exec, s[10:11]
	v_or_b32_e32 v4, 0x300, v0
	v_cmp_gt_u32_e32 vcc, s7, v4
                                        ; implicit-def: $vgpr4
	s_and_saveexec_b64 s[10:11], vcc
	s_cbranch_execz .LBB826_11
; %bb.10:
	v_lshlrev_b32_e32 v4, 1, v0
	global_load_ushort v4, v4, s[0:1] offset:1536
.LBB826_11:
	s_or_b64 exec, exec, s[10:11]
	v_or_b32_e32 v5, 0x400, v0
	v_cmp_gt_u32_e32 vcc, s7, v5
                                        ; implicit-def: $vgpr5
	s_and_saveexec_b64 s[10:11], vcc
	s_cbranch_execz .LBB826_13
; %bb.12:
	v_lshlrev_b32_e32 v5, 1, v0
	global_load_ushort v5, v5, s[0:1] offset:2048
.LBB826_13:
	s_or_b64 exec, exec, s[10:11]
	v_or_b32_e32 v6, 0x500, v0
	v_cmp_gt_u32_e32 vcc, s7, v6
                                        ; implicit-def: $vgpr6
	s_and_saveexec_b64 s[10:11], vcc
	s_cbranch_execz .LBB826_15
; %bb.14:
	v_lshlrev_b32_e32 v6, 1, v0
	global_load_ushort v6, v6, s[0:1] offset:2560
.LBB826_15:
	s_or_b64 exec, exec, s[10:11]
	v_or_b32_e32 v7, 0x600, v0
	v_cmp_gt_u32_e32 vcc, s7, v7
                                        ; implicit-def: $vgpr7
	s_and_saveexec_b64 s[10:11], vcc
	s_cbranch_execz .LBB826_17
; %bb.16:
	v_lshlrev_b32_e32 v7, 1, v0
	global_load_ushort v7, v7, s[0:1] offset:3072
.LBB826_17:
	s_or_b64 exec, exec, s[10:11]
	v_or_b32_e32 v8, 0x700, v0
	v_cmp_gt_u32_e32 vcc, s7, v8
                                        ; implicit-def: $vgpr8
	s_and_saveexec_b64 s[10:11], vcc
	s_cbranch_execz .LBB826_19
; %bb.18:
	v_lshlrev_b32_e32 v8, 1, v0
	global_load_ushort v8, v8, s[0:1] offset:3584
.LBB826_19:
	s_or_b64 exec, exec, s[10:11]
	v_or_b32_e32 v10, 0x800, v0
	v_cmp_gt_u32_e32 vcc, s7, v10
                                        ; implicit-def: $vgpr9
	s_and_saveexec_b64 s[10:11], vcc
	s_cbranch_execz .LBB826_21
; %bb.20:
	v_lshlrev_b32_e32 v9, 1, v10
	global_load_ushort v9, v9, s[0:1]
.LBB826_21:
	s_or_b64 exec, exec, s[10:11]
	v_or_b32_e32 v11, 0x900, v0
	v_cmp_gt_u32_e32 vcc, s7, v11
                                        ; implicit-def: $vgpr10
	s_and_saveexec_b64 s[10:11], vcc
	s_cbranch_execz .LBB826_23
; %bb.22:
	v_lshlrev_b32_e32 v10, 1, v11
	global_load_ushort v10, v10, s[0:1]
.LBB826_23:
	s_or_b64 exec, exec, s[10:11]
	v_or_b32_e32 v12, 0xa00, v0
	v_cmp_gt_u32_e32 vcc, s7, v12
                                        ; implicit-def: $vgpr11
	s_and_saveexec_b64 s[10:11], vcc
	s_cbranch_execz .LBB826_25
; %bb.24:
	v_lshlrev_b32_e32 v11, 1, v12
	global_load_ushort v11, v11, s[0:1]
.LBB826_25:
	s_or_b64 exec, exec, s[10:11]
	v_or_b32_e32 v13, 0xb00, v0
	v_cmp_gt_u32_e32 vcc, s7, v13
                                        ; implicit-def: $vgpr12
	s_and_saveexec_b64 s[10:11], vcc
	s_cbranch_execz .LBB826_27
; %bb.26:
	v_lshlrev_b32_e32 v12, 1, v13
	global_load_ushort v12, v12, s[0:1]
.LBB826_27:
	s_or_b64 exec, exec, s[10:11]
	v_or_b32_e32 v14, 0xc00, v0
	v_cmp_gt_u32_e32 vcc, s7, v14
                                        ; implicit-def: $vgpr13
	s_and_saveexec_b64 s[10:11], vcc
	s_cbranch_execz .LBB826_29
; %bb.28:
	v_lshlrev_b32_e32 v13, 1, v14
	global_load_ushort v13, v13, s[0:1]
.LBB826_29:
	s_or_b64 exec, exec, s[10:11]
	v_or_b32_e32 v15, 0xd00, v0
	v_cmp_gt_u32_e32 vcc, s7, v15
                                        ; implicit-def: $vgpr14
	s_and_saveexec_b64 s[10:11], vcc
	s_cbranch_execz .LBB826_31
; %bb.30:
	v_lshlrev_b32_e32 v14, 1, v15
	global_load_ushort v14, v14, s[0:1]
.LBB826_31:
	s_or_b64 exec, exec, s[10:11]
	v_or_b32_e32 v16, 0xe00, v0
	v_cmp_gt_u32_e32 vcc, s7, v16
                                        ; implicit-def: $vgpr15
	s_and_saveexec_b64 s[10:11], vcc
	s_cbranch_execz .LBB826_33
; %bb.32:
	v_lshlrev_b32_e32 v15, 1, v16
	global_load_ushort v15, v15, s[0:1]
.LBB826_33:
	s_or_b64 exec, exec, s[10:11]
	v_or_b32_e32 v17, 0xf00, v0
	v_cmp_gt_u32_e32 vcc, s7, v17
                                        ; implicit-def: $vgpr16
	s_and_saveexec_b64 s[10:11], vcc
	s_cbranch_execz .LBB826_35
; %bb.34:
	v_lshlrev_b32_e32 v16, 1, v17
	global_load_ushort v16, v16, s[0:1]
.LBB826_35:
	s_or_b64 exec, exec, s[10:11]
	v_or_b32_e32 v18, 0x1000, v0
	v_cmp_gt_u32_e32 vcc, s7, v18
                                        ; implicit-def: $vgpr17
	s_and_saveexec_b64 s[10:11], vcc
	s_cbranch_execz .LBB826_37
; %bb.36:
	v_lshlrev_b32_e32 v17, 1, v18
	global_load_ushort v17, v17, s[0:1]
.LBB826_37:
	s_or_b64 exec, exec, s[10:11]
	v_or_b32_e32 v19, 0x1100, v0
	v_cmp_gt_u32_e32 vcc, s7, v19
                                        ; implicit-def: $vgpr18
	s_and_saveexec_b64 s[10:11], vcc
	s_cbranch_execz .LBB826_39
; %bb.38:
	v_lshlrev_b32_e32 v18, 1, v19
	global_load_ushort v18, v18, s[0:1]
.LBB826_39:
	s_or_b64 exec, exec, s[10:11]
	v_or_b32_e32 v20, 0x1200, v0
	v_cmp_gt_u32_e32 vcc, s7, v20
                                        ; implicit-def: $vgpr19
	s_and_saveexec_b64 s[10:11], vcc
	s_cbranch_execz .LBB826_41
; %bb.40:
	v_lshlrev_b32_e32 v19, 1, v20
	global_load_ushort v19, v19, s[0:1]
.LBB826_41:
	s_or_b64 exec, exec, s[10:11]
	v_or_b32_e32 v21, 0x1300, v0
	v_cmp_gt_u32_e32 vcc, s7, v21
                                        ; implicit-def: $vgpr20
	s_and_saveexec_b64 s[10:11], vcc
	s_cbranch_execz .LBB826_43
; %bb.42:
	v_lshlrev_b32_e32 v20, 1, v21
	global_load_ushort v20, v20, s[0:1]
.LBB826_43:
	s_or_b64 exec, exec, s[10:11]
	v_or_b32_e32 v22, 0x1400, v0
	v_cmp_gt_u32_e32 vcc, s7, v22
                                        ; implicit-def: $vgpr21
	s_and_saveexec_b64 s[10:11], vcc
	s_cbranch_execz .LBB826_45
; %bb.44:
	v_lshlrev_b32_e32 v21, 1, v22
	global_load_ushort v21, v21, s[0:1]
.LBB826_45:
	s_or_b64 exec, exec, s[10:11]
	v_or_b32_e32 v23, 0x1500, v0
	v_cmp_gt_u32_e32 vcc, s7, v23
                                        ; implicit-def: $vgpr22
	s_and_saveexec_b64 s[10:11], vcc
	s_cbranch_execz .LBB826_47
; %bb.46:
	v_lshlrev_b32_e32 v22, 1, v23
	global_load_ushort v22, v22, s[0:1]
.LBB826_47:
	s_or_b64 exec, exec, s[10:11]
	v_lshlrev_b32_e32 v23, 1, v0
	s_waitcnt vmcnt(0)
	ds_write_b16 v23, v1
	ds_write_b16 v23, v2 offset:512
	ds_write_b16 v23, v3 offset:1024
	ds_write_b16 v23, v4 offset:1536
	ds_write_b16 v23, v5 offset:2048
	ds_write_b16 v23, v6 offset:2560
	ds_write_b16 v23, v7 offset:3072
	ds_write_b16 v23, v8 offset:3584
	ds_write_b16 v23, v9 offset:4096
	ds_write_b16 v23, v10 offset:4608
	ds_write_b16 v23, v11 offset:5120
	ds_write_b16 v23, v12 offset:5632
	ds_write_b16 v23, v13 offset:6144
	ds_write_b16 v23, v14 offset:6656
	ds_write_b16 v23, v15 offset:7168
	ds_write_b16 v23, v16 offset:7680
	ds_write_b16 v23, v17 offset:8192
	ds_write_b16 v23, v18 offset:8704
	ds_write_b16 v23, v19 offset:9216
	ds_write_b16 v23, v20 offset:9728
	ds_write_b16 v23, v21 offset:10240
	ds_write_b16 v23, v22 offset:10752
	s_waitcnt lgkmcnt(0)
	s_barrier
.LBB826_48:
	v_mul_u32_u24_e32 v20, 22, v0
	v_lshlrev_b32_e32 v34, 1, v20
	s_waitcnt lgkmcnt(0)
	ds_read_b32 v1, v34 offset:40
	ds_read2_b32 v[2:3], v34 offset0:8 offset1:9
	ds_read2_b32 v[10:11], v34 offset1:1
	ds_read2_b32 v[8:9], v34 offset0:2 offset1:3
	ds_read2_b32 v[4:5], v34 offset0:6 offset1:7
	;; [unrolled: 1-line block ×3, first 2 shown]
	s_cmp_lg_u32 s6, 0
	s_cselect_b64 s[16:17], -1, 0
	s_cmp_lg_u64 s[2:3], 0
	s_cselect_b64 s[2:3], -1, 0
	s_or_b64 s[2:3], s[16:17], s[2:3]
	v_mad_u32_u24 v12, v0, 22, 21
	v_mad_u32_u24 v13, v0, 22, 20
	;; [unrolled: 1-line block ×8, first 2 shown]
	v_or_b32_e32 v32, 1, v20
	v_mad_u32_u24 v33, v0, 22, 2
	v_mad_u32_u24 v31, v0, 22, 3
	;; [unrolled: 1-line block ×12, first 2 shown]
	s_mov_b64 s[10:11], 0
	s_and_b64 vcc, exec, s[2:3]
	s_waitcnt lgkmcnt(0)
	s_barrier
	s_cbranch_vccz .LBB826_53
; %bb.49:
	v_mov_b32_e32 v35, 0
	global_load_ushort v35, v35, s[0:1] offset:-2
	v_lshlrev_b32_e32 v36, 1, v0
	s_and_b64 vcc, exec, s[26:27]
	ds_write_b16_d16_hi v36, v1
	s_cbranch_vccz .LBB826_55
; %bb.50:
	v_cmp_ne_u32_e32 vcc, 0, v0
	s_waitcnt vmcnt(0)
	v_mov_b32_e32 v37, v35
	s_waitcnt lgkmcnt(0)
	s_barrier
	s_and_saveexec_b64 s[0:1], vcc
	s_cbranch_execz .LBB826_52
; %bb.51:
	v_add_u32_e32 v37, -2, v36
	ds_read_u16 v37, v37
.LBB826_52:
	s_or_b64 exec, exec, s[0:1]
	v_and_b32_e32 v38, 0xffff0000, v1
	v_lshlrev_b32_e32 v39, 16, v1
	v_cmp_neq_f32_e32 vcc, v39, v38
	v_and_b32_e32 v38, 0xffff0000, v3
	v_cndmask_b32_e64 v60, 0, 1, vcc
	v_lshlrev_b32_e32 v40, 16, v3
	v_cmp_neq_f32_e32 vcc, v38, v39
	v_cndmask_b32_e64 v61, 0, 1, vcc
	v_cmp_neq_f32_e32 vcc, v40, v38
	v_and_b32_e32 v38, 0xffff0000, v2
	v_cndmask_b32_e64 v62, 0, 1, vcc
	v_lshlrev_b32_e32 v39, 16, v2
	v_cmp_neq_f32_e32 vcc, v38, v40
	v_cndmask_b32_e64 v63, 0, 1, vcc
	;; [unrolled: 6-line block ×10, first 2 shown]
	v_cmp_neq_f32_e32 vcc, v39, v38
	s_waitcnt lgkmcnt(0)
	v_lshlrev_b32_e32 v37, 16, v37
	v_cndmask_b32_e64 v80, 0, 1, vcc
	v_cmp_neq_f32_e64 s[0:1], v39, v37
	s_branch .LBB826_59
.LBB826_53:
                                        ; implicit-def: $sgpr0_sgpr1
                                        ; implicit-def: $vgpr80
                                        ; implicit-def: $vgpr79
                                        ; implicit-def: $vgpr78
                                        ; implicit-def: $vgpr77
                                        ; implicit-def: $vgpr76
                                        ; implicit-def: $vgpr75
                                        ; implicit-def: $vgpr74
                                        ; implicit-def: $vgpr73
                                        ; implicit-def: $vgpr72
                                        ; implicit-def: $vgpr71
                                        ; implicit-def: $vgpr70
                                        ; implicit-def: $vgpr69
                                        ; implicit-def: $vgpr68
                                        ; implicit-def: $vgpr67
                                        ; implicit-def: $vgpr66
                                        ; implicit-def: $vgpr65
                                        ; implicit-def: $vgpr64
                                        ; implicit-def: $vgpr63
                                        ; implicit-def: $vgpr62
                                        ; implicit-def: $vgpr61
                                        ; implicit-def: $vgpr60
	s_branch .LBB826_60
.LBB826_54:
                                        ; implicit-def: $sgpr12
	s_branch .LBB826_68
.LBB826_55:
                                        ; implicit-def: $sgpr0_sgpr1
                                        ; implicit-def: $vgpr80
                                        ; implicit-def: $vgpr79
                                        ; implicit-def: $vgpr78
                                        ; implicit-def: $vgpr77
                                        ; implicit-def: $vgpr76
                                        ; implicit-def: $vgpr75
                                        ; implicit-def: $vgpr74
                                        ; implicit-def: $vgpr73
                                        ; implicit-def: $vgpr72
                                        ; implicit-def: $vgpr71
                                        ; implicit-def: $vgpr70
                                        ; implicit-def: $vgpr69
                                        ; implicit-def: $vgpr68
                                        ; implicit-def: $vgpr67
                                        ; implicit-def: $vgpr66
                                        ; implicit-def: $vgpr65
                                        ; implicit-def: $vgpr64
                                        ; implicit-def: $vgpr63
                                        ; implicit-def: $vgpr62
                                        ; implicit-def: $vgpr61
                                        ; implicit-def: $vgpr60
	s_cbranch_execz .LBB826_59
; %bb.56:
	v_cmp_ne_u32_e32 vcc, 0, v0
	s_waitcnt lgkmcnt(0)
	s_barrier
	s_and_saveexec_b64 s[0:1], vcc
	s_cbranch_execz .LBB826_58
; %bb.57:
	s_waitcnt vmcnt(0)
	v_add_u32_e32 v35, -2, v36
	ds_read_u16 v35, v35
.LBB826_58:
	s_or_b64 exec, exec, s[0:1]
	v_and_b32_e32 v36, 0xffff0000, v1
	v_lshlrev_b32_e32 v37, 16, v1
	v_cmp_gt_u32_e32 vcc, s7, v12
	v_cmp_neq_f32_e64 s[0:1], v37, v36
	v_and_b32_e32 v36, 0xffff0000, v3
	s_and_b64 s[0:1], vcc, s[0:1]
	v_cmp_gt_u32_e32 vcc, s7, v13
	v_lshlrev_b32_e32 v38, 16, v3
	v_cmp_neq_f32_e64 s[2:3], v36, v37
	v_cndmask_b32_e64 v60, 0, 1, s[0:1]
	v_cmp_gt_u32_e64 s[0:1], s7, v14
	s_and_b64 s[2:3], vcc, s[2:3]
	v_cmp_neq_f32_e32 vcc, v38, v36
	v_and_b32_e32 v36, 0xffff0000, v2
	v_cndmask_b32_e64 v61, 0, 1, s[2:3]
	s_and_b64 s[0:1], s[0:1], vcc
	v_cmp_gt_u32_e32 vcc, s7, v15
	v_lshlrev_b32_e32 v37, 16, v2
	v_cmp_neq_f32_e64 s[2:3], v36, v38
	v_cndmask_b32_e64 v62, 0, 1, s[0:1]
	v_cmp_gt_u32_e64 s[0:1], s7, v16
	s_and_b64 s[2:3], vcc, s[2:3]
	v_cmp_neq_f32_e32 vcc, v37, v36
	v_and_b32_e32 v36, 0xffff0000, v5
	v_cndmask_b32_e64 v63, 0, 1, s[2:3]
	s_and_b64 s[0:1], s[0:1], vcc
	;; [unrolled: 10-line block ×9, first 2 shown]
	v_cmp_gt_u32_e32 vcc, s7, v33
	v_lshlrev_b32_e32 v37, 16, v10
	v_cmp_neq_f32_e64 s[2:3], v36, v38
	v_cndmask_b32_e64 v78, 0, 1, s[0:1]
	v_cmp_gt_u32_e64 s[0:1], s7, v32
	s_and_b64 s[2:3], vcc, s[2:3]
	v_cmp_neq_f32_e32 vcc, v37, v36
	s_and_b64 s[0:1], s[0:1], vcc
	s_waitcnt vmcnt(0) lgkmcnt(0)
	v_lshlrev_b32_e32 v35, 16, v35
	v_cndmask_b32_e64 v80, 0, 1, s[0:1]
	v_cmp_gt_u32_e32 vcc, s7, v20
	v_cmp_neq_f32_e64 s[0:1], v37, v35
	v_cndmask_b32_e64 v79, 0, 1, s[2:3]
	s_and_b64 s[0:1], vcc, s[0:1]
.LBB826_59:
	s_mov_b64 s[10:11], -1
	s_cbranch_execnz .LBB826_54
.LBB826_60:
	s_movk_i32 s0, 0xffd6
	v_mad_i32_i24 v34, v0, s0, v34
	s_and_b64 vcc, exec, s[26:27]
	v_lshlrev_b32_e32 v45, 16, v1
	v_lshlrev_b32_e32 v44, 16, v3
	;; [unrolled: 1-line block ×10, first 2 shown]
	s_waitcnt vmcnt(0)
	v_lshlrev_b32_e32 v35, 16, v10
	ds_write_b16_d16_hi v34, v1
	s_cbranch_vccz .LBB826_64
; %bb.61:
	v_and_b32_e32 v46, 0xffff0000, v1
	v_cmp_neq_f32_e32 vcc, v45, v46
	v_and_b32_e32 v46, 0xffff0000, v3
	v_cndmask_b32_e64 v60, 0, 1, vcc
	v_cmp_neq_f32_e32 vcc, v46, v45
	v_cndmask_b32_e64 v61, 0, 1, vcc
	v_cmp_neq_f32_e32 vcc, v44, v46
	v_and_b32_e32 v46, 0xffff0000, v2
	v_cndmask_b32_e64 v62, 0, 1, vcc
	v_cmp_neq_f32_e32 vcc, v46, v44
	v_cndmask_b32_e64 v63, 0, 1, vcc
	;; [unrolled: 5-line block ×10, first 2 shown]
	v_cmp_neq_f32_e32 vcc, v35, v46
	v_cndmask_b32_e64 v80, 0, 1, vcc
	v_cmp_ne_u32_e32 vcc, 0, v0
	s_waitcnt lgkmcnt(0)
	s_barrier
	s_waitcnt lgkmcnt(0)
                                        ; implicit-def: $sgpr0_sgpr1
	s_and_saveexec_b64 s[2:3], vcc
	s_xor_b64 s[2:3], exec, s[2:3]
	s_cbranch_execz .LBB826_63
; %bb.62:
	v_add_u32_e32 v46, -2, v34
	ds_read_u16 v46, v46
	s_or_b64 s[10:11], s[10:11], exec
	s_waitcnt lgkmcnt(0)
	v_lshlrev_b32_e32 v46, 16, v46
	v_cmp_neq_f32_e32 vcc, v35, v46
	s_and_b64 s[0:1], vcc, exec
.LBB826_63:
	s_or_b64 exec, exec, s[2:3]
	s_mov_b32 s12, 1
	s_branch .LBB826_68
.LBB826_64:
                                        ; implicit-def: $sgpr0_sgpr1
                                        ; implicit-def: $vgpr80
                                        ; implicit-def: $vgpr79
                                        ; implicit-def: $vgpr78
                                        ; implicit-def: $vgpr77
                                        ; implicit-def: $vgpr76
                                        ; implicit-def: $vgpr75
                                        ; implicit-def: $vgpr74
                                        ; implicit-def: $vgpr73
                                        ; implicit-def: $vgpr72
                                        ; implicit-def: $vgpr71
                                        ; implicit-def: $vgpr70
                                        ; implicit-def: $vgpr69
                                        ; implicit-def: $vgpr68
                                        ; implicit-def: $vgpr67
                                        ; implicit-def: $vgpr66
                                        ; implicit-def: $vgpr65
                                        ; implicit-def: $vgpr64
                                        ; implicit-def: $vgpr63
                                        ; implicit-def: $vgpr62
                                        ; implicit-def: $vgpr61
                                        ; implicit-def: $vgpr60
                                        ; implicit-def: $sgpr12
	s_cbranch_execz .LBB826_68
; %bb.65:
	v_and_b32_e32 v46, 0xffff0000, v1
	v_cmp_gt_u32_e32 vcc, s7, v12
	v_cmp_neq_f32_e64 s[0:1], v45, v46
	v_and_b32_e32 v46, 0xffff0000, v3
	s_and_b64 s[0:1], vcc, s[0:1]
	v_cmp_gt_u32_e32 vcc, s7, v13
	v_cmp_neq_f32_e64 s[2:3], v46, v45
	v_cndmask_b32_e64 v60, 0, 1, s[0:1]
	v_cmp_gt_u32_e64 s[0:1], s7, v14
	s_and_b64 s[2:3], vcc, s[2:3]
	v_cmp_neq_f32_e32 vcc, v44, v46
	v_and_b32_e32 v45, 0xffff0000, v2
	v_cndmask_b32_e64 v61, 0, 1, s[2:3]
	s_and_b64 s[0:1], s[0:1], vcc
	v_cmp_gt_u32_e32 vcc, s7, v15
	v_cmp_neq_f32_e64 s[2:3], v45, v44
	v_cndmask_b32_e64 v62, 0, 1, s[0:1]
	v_cmp_gt_u32_e64 s[0:1], s7, v16
	s_and_b64 s[2:3], vcc, s[2:3]
	v_cmp_neq_f32_e32 vcc, v43, v45
	v_and_b32_e32 v44, 0xffff0000, v5
	v_cndmask_b32_e64 v63, 0, 1, s[2:3]
	s_and_b64 s[0:1], s[0:1], vcc
	;; [unrolled: 9-line block ×9, first 2 shown]
	v_cmp_gt_u32_e32 vcc, s7, v33
	v_cmp_neq_f32_e64 s[2:3], v37, v36
	v_cndmask_b32_e64 v78, 0, 1, s[0:1]
	v_cmp_gt_u32_e64 s[0:1], s7, v32
	s_and_b64 s[2:3], vcc, s[2:3]
	v_cmp_neq_f32_e32 vcc, v35, v37
	s_and_b64 s[0:1], s[0:1], vcc
	v_cndmask_b32_e64 v79, 0, 1, s[2:3]
	v_cndmask_b32_e64 v80, 0, 1, s[0:1]
	v_cmp_ne_u32_e32 vcc, 0, v0
	s_waitcnt lgkmcnt(0)
	s_barrier
	s_waitcnt lgkmcnt(0)
                                        ; implicit-def: $sgpr0_sgpr1
	s_and_saveexec_b64 s[2:3], vcc
	s_cbranch_execz .LBB826_67
; %bb.66:
	v_add_u32_e32 v34, -2, v34
	ds_read_u16 v34, v34
	v_cmp_gt_u32_e32 vcc, s7, v20
	s_or_b64 s[10:11], s[10:11], exec
	s_waitcnt lgkmcnt(0)
	v_lshlrev_b32_e32 v34, 16, v34
	v_cmp_neq_f32_e64 s[0:1], v35, v34
	s_and_b64 s[0:1], vcc, s[0:1]
	s_and_b64 s[0:1], s[0:1], exec
.LBB826_67:
	s_or_b64 exec, exec, s[2:3]
	s_mov_b32 s12, 1
.LBB826_68:
	v_mov_b32_e32 v81, s12
	s_and_saveexec_b64 s[2:3], s[10:11]
; %bb.69:
	v_cndmask_b32_e64 v81, 0, 1, s[0:1]
; %bb.70:
	s_or_b64 exec, exec, s[2:3]
	s_load_dwordx2 s[28:29], s[4:5], 0x60
	s_andn2_b64 vcc, exec, s[8:9]
	s_cbranch_vccnz .LBB826_72
; %bb.71:
	v_cmp_gt_u32_e32 vcc, s7, v20
	v_cndmask_b32_e32 v81, 0, v81, vcc
	v_cmp_gt_u32_e32 vcc, s7, v32
	v_cndmask_b32_e32 v80, 0, v80, vcc
	;; [unrolled: 2-line block ×22, first 2 shown]
.LBB826_72:
	v_and_b32_e32 v47, 0xff, v63
	v_and_b32_e32 v49, 0xff, v62
	v_add_u32_sdwa v12, v61, v60 dst_sel:DWORD dst_unused:UNUSED_PAD src0_sel:BYTE_0 src1_sel:BYTE_0
	v_and_b32_e32 v43, 0xff, v65
	v_and_b32_e32 v45, 0xff, v64
	v_add3_u32 v12, v12, v49, v47
	v_and_b32_e32 v39, 0xff, v67
	v_and_b32_e32 v41, 0xff, v66
	v_add3_u32 v12, v12, v45, v43
	s_waitcnt vmcnt(0)
	v_and_b32_e32 v35, 0xff, v69
	v_and_b32_e32 v37, 0xff, v68
	v_add3_u32 v12, v12, v41, v39
	v_and_b32_e32 v32, 0xff, v71
	v_and_b32_e32 v33, 0xff, v70
	v_add3_u32 v12, v12, v37, v35
	;; [unrolled: 3-line block ×7, first 2 shown]
	v_add3_u32 v38, v12, v23, v22
	v_mbcnt_lo_u32_b32 v12, -1, 0
	v_mbcnt_hi_u32_b32 v34, -1, v12
	v_and_b32_e32 v12, 15, v34
	v_cmp_eq_u32_e64 s[14:15], 0, v12
	v_cmp_lt_u32_e64 s[12:13], 1, v12
	v_cmp_lt_u32_e64 s[10:11], 3, v12
	;; [unrolled: 1-line block ×3, first 2 shown]
	v_and_b32_e32 v12, 16, v34
	v_cmp_eq_u32_e64 s[18:19], 0, v12
	v_or_b32_e32 v12, 63, v0
	v_cmp_lt_u32_e64 s[0:1], 31, v34
	v_lshrrev_b32_e32 v36, 6, v0
	v_cmp_eq_u32_e64 s[2:3], v12, v0
	s_and_b64 vcc, exec, s[16:17]
	s_waitcnt lgkmcnt(0)
	s_barrier
	s_cbranch_vccz .LBB826_99
; %bb.73:
	v_mov_b32_dpp v12, v38 row_shr:1 row_mask:0xf bank_mask:0xf
	v_cndmask_b32_e64 v12, v12, 0, s[14:15]
	v_add_u32_e32 v12, v12, v38
	s_nop 1
	v_mov_b32_dpp v13, v12 row_shr:2 row_mask:0xf bank_mask:0xf
	v_cndmask_b32_e64 v13, 0, v13, s[12:13]
	v_add_u32_e32 v12, v12, v13
	s_nop 1
	;; [unrolled: 4-line block ×4, first 2 shown]
	v_mov_b32_dpp v13, v12 row_bcast:15 row_mask:0xf bank_mask:0xf
	v_cndmask_b32_e64 v13, v13, 0, s[18:19]
	v_add_u32_e32 v12, v12, v13
	s_nop 1
	v_mov_b32_dpp v13, v12 row_bcast:31 row_mask:0xf bank_mask:0xf
	v_cndmask_b32_e64 v13, 0, v13, s[0:1]
	v_add_u32_e32 v12, v12, v13
	s_and_saveexec_b64 s[16:17], s[2:3]
	s_cbranch_execz .LBB826_75
; %bb.74:
	v_lshlrev_b32_e32 v13, 2, v36
	ds_write_b32 v13, v12
.LBB826_75:
	s_or_b64 exec, exec, s[16:17]
	v_cmp_gt_u32_e32 vcc, 4, v0
	s_waitcnt lgkmcnt(0)
	s_barrier
	s_and_saveexec_b64 s[16:17], vcc
	s_cbranch_execz .LBB826_77
; %bb.76:
	v_lshlrev_b32_e32 v13, 2, v0
	ds_read_b32 v14, v13
	v_and_b32_e32 v15, 3, v34
	v_cmp_ne_u32_e32 vcc, 0, v15
	s_waitcnt lgkmcnt(0)
	v_mov_b32_dpp v16, v14 row_shr:1 row_mask:0xf bank_mask:0xf
	v_cndmask_b32_e32 v16, 0, v16, vcc
	v_add_u32_e32 v14, v16, v14
	v_cmp_lt_u32_e32 vcc, 1, v15
	s_nop 0
	v_mov_b32_dpp v16, v14 row_shr:2 row_mask:0xf bank_mask:0xf
	v_cndmask_b32_e32 v15, 0, v16, vcc
	v_add_u32_e32 v14, v14, v15
	ds_write_b32 v13, v14
.LBB826_77:
	s_or_b64 exec, exec, s[16:17]
	v_cmp_gt_u32_e32 vcc, 64, v0
	v_cmp_lt_u32_e64 s[16:17], 63, v0
	s_waitcnt lgkmcnt(0)
	s_barrier
	s_waitcnt lgkmcnt(0)
                                        ; implicit-def: $vgpr40
	s_and_saveexec_b64 s[30:31], s[16:17]
	s_cbranch_execz .LBB826_79
; %bb.78:
	v_lshl_add_u32 v13, v36, 2, -4
	ds_read_b32 v40, v13
	s_waitcnt lgkmcnt(0)
	v_add_u32_e32 v12, v40, v12
.LBB826_79:
	s_or_b64 exec, exec, s[30:31]
	v_add_u32_e32 v13, -1, v34
	v_and_b32_e32 v14, 64, v34
	v_cmp_lt_i32_e64 s[16:17], v13, v14
	v_cndmask_b32_e64 v13, v13, v34, s[16:17]
	v_lshlrev_b32_e32 v13, 2, v13
	ds_bpermute_b32 v42, v13, v12
	v_cmp_eq_u32_e64 s[16:17], 0, v34
	s_and_saveexec_b64 s[30:31], vcc
	s_cbranch_execz .LBB826_98
; %bb.80:
	v_mov_b32_e32 v19, 0
	ds_read_b32 v12, v19 offset:12
	s_and_saveexec_b64 s[34:35], s[16:17]
	s_cbranch_execz .LBB826_82
; %bb.81:
	s_add_i32 s36, s6, 64
	s_mov_b32 s37, 0
	s_lshl_b64 s[36:37], s[36:37], 3
	s_add_u32 s36, s28, s36
	v_mov_b32_e32 v13, 1
	s_addc_u32 s37, s29, s37
	s_waitcnt lgkmcnt(0)
	global_store_dwordx2 v19, v[12:13], s[36:37]
.LBB826_82:
	s_or_b64 exec, exec, s[34:35]
	v_xad_u32 v14, v34, -1, s6
	v_add_u32_e32 v18, 64, v14
	v_lshlrev_b64 v[16:17], 3, v[18:19]
	v_mov_b32_e32 v13, s29
	v_add_co_u32_e32 v20, vcc, s28, v16
	v_addc_co_u32_e32 v21, vcc, v13, v17, vcc
	global_load_dwordx2 v[16:17], v[20:21], off glc
	s_waitcnt vmcnt(0)
	v_cmp_eq_u16_sdwa s[36:37], v17, v19 src0_sel:BYTE_0 src1_sel:DWORD
	s_and_saveexec_b64 s[34:35], s[36:37]
	s_cbranch_execz .LBB826_86
; %bb.83:
	s_mov_b64 s[36:37], 0
	v_mov_b32_e32 v13, 0
.LBB826_84:                             ; =>This Inner Loop Header: Depth=1
	global_load_dwordx2 v[16:17], v[20:21], off glc
	s_waitcnt vmcnt(0)
	v_cmp_ne_u16_sdwa s[38:39], v17, v13 src0_sel:BYTE_0 src1_sel:DWORD
	s_or_b64 s[36:37], s[38:39], s[36:37]
	s_andn2_b64 exec, exec, s[36:37]
	s_cbranch_execnz .LBB826_84
; %bb.85:
	s_or_b64 exec, exec, s[36:37]
.LBB826_86:
	s_or_b64 exec, exec, s[34:35]
	v_and_b32_e32 v46, 63, v34
	v_mov_b32_e32 v44, 2
	v_cmp_ne_u32_e32 vcc, 63, v46
	v_cmp_eq_u16_sdwa s[34:35], v17, v44 src0_sel:BYTE_0 src1_sel:DWORD
	v_lshlrev_b64 v[18:19], v34, -1
	v_addc_co_u32_e32 v20, vcc, 0, v34, vcc
	v_and_b32_e32 v13, s35, v19
	v_lshlrev_b32_e32 v48, 2, v20
	v_or_b32_e32 v13, 0x80000000, v13
	ds_bpermute_b32 v20, v48, v16
	v_and_b32_e32 v15, s34, v18
	v_ffbl_b32_e32 v13, v13
	v_add_u32_e32 v13, 32, v13
	v_ffbl_b32_e32 v15, v15
	v_min_u32_e32 v13, v15, v13
	v_cmp_lt_u32_e32 vcc, v46, v13
	s_waitcnt lgkmcnt(0)
	v_cndmask_b32_e32 v15, 0, v20, vcc
	v_cmp_gt_u32_e32 vcc, 62, v46
	v_add_u32_e32 v15, v15, v16
	v_cndmask_b32_e64 v16, 0, 1, vcc
	v_lshlrev_b32_e32 v16, 1, v16
	v_add_lshl_u32 v50, v16, v34, 2
	ds_bpermute_b32 v16, v50, v15
	v_add_u32_e32 v51, 2, v46
	v_cmp_le_u32_e32 vcc, v51, v13
	v_add_u32_e32 v53, 4, v46
	v_add_u32_e32 v55, 8, v46
	s_waitcnt lgkmcnt(0)
	v_cndmask_b32_e32 v16, 0, v16, vcc
	v_cmp_gt_u32_e32 vcc, 60, v46
	v_add_u32_e32 v15, v15, v16
	v_cndmask_b32_e64 v16, 0, 1, vcc
	v_lshlrev_b32_e32 v16, 2, v16
	v_add_lshl_u32 v52, v16, v34, 2
	ds_bpermute_b32 v16, v52, v15
	v_cmp_le_u32_e32 vcc, v53, v13
	v_add_u32_e32 v57, 16, v46
	v_add_u32_e32 v59, 32, v46
	s_waitcnt lgkmcnt(0)
	v_cndmask_b32_e32 v16, 0, v16, vcc
	v_cmp_gt_u32_e32 vcc, 56, v46
	v_add_u32_e32 v15, v15, v16
	v_cndmask_b32_e64 v16, 0, 1, vcc
	v_lshlrev_b32_e32 v16, 3, v16
	v_add_lshl_u32 v54, v16, v34, 2
	ds_bpermute_b32 v16, v54, v15
	v_cmp_le_u32_e32 vcc, v55, v13
	s_waitcnt lgkmcnt(0)
	v_cndmask_b32_e32 v16, 0, v16, vcc
	v_cmp_gt_u32_e32 vcc, 48, v46
	v_add_u32_e32 v15, v15, v16
	v_cndmask_b32_e64 v16, 0, 1, vcc
	v_lshlrev_b32_e32 v16, 4, v16
	v_add_lshl_u32 v56, v16, v34, 2
	ds_bpermute_b32 v16, v56, v15
	v_cmp_le_u32_e32 vcc, v57, v13
	;; [unrolled: 9-line block ×3, first 2 shown]
	s_waitcnt lgkmcnt(0)
	v_cndmask_b32_e32 v13, 0, v16, vcc
	v_add_u32_e32 v16, v15, v13
	v_mov_b32_e32 v15, 0
	s_branch .LBB826_88
.LBB826_87:                             ;   in Loop: Header=BB826_88 Depth=1
	s_or_b64 exec, exec, s[34:35]
	v_cmp_eq_u16_sdwa s[34:35], v17, v44 src0_sel:BYTE_0 src1_sel:DWORD
	v_and_b32_e32 v20, s35, v19
	v_or_b32_e32 v20, 0x80000000, v20
	ds_bpermute_b32 v82, v48, v16
	v_and_b32_e32 v21, s34, v18
	v_ffbl_b32_e32 v20, v20
	v_add_u32_e32 v20, 32, v20
	v_ffbl_b32_e32 v21, v21
	v_min_u32_e32 v20, v21, v20
	v_cmp_lt_u32_e32 vcc, v46, v20
	s_waitcnt lgkmcnt(0)
	v_cndmask_b32_e32 v21, 0, v82, vcc
	v_add_u32_e32 v16, v21, v16
	ds_bpermute_b32 v21, v50, v16
	v_cmp_le_u32_e32 vcc, v51, v20
	v_subrev_u32_e32 v14, 64, v14
	s_waitcnt lgkmcnt(0)
	v_cndmask_b32_e32 v21, 0, v21, vcc
	v_add_u32_e32 v16, v16, v21
	ds_bpermute_b32 v21, v52, v16
	v_cmp_le_u32_e32 vcc, v53, v20
	s_waitcnt lgkmcnt(0)
	v_cndmask_b32_e32 v21, 0, v21, vcc
	v_add_u32_e32 v16, v16, v21
	ds_bpermute_b32 v21, v54, v16
	v_cmp_le_u32_e32 vcc, v55, v20
	;; [unrolled: 5-line block ×4, first 2 shown]
	s_waitcnt lgkmcnt(0)
	v_cndmask_b32_e32 v20, 0, v21, vcc
	v_add3_u32 v16, v20, v13, v16
.LBB826_88:                             ; =>This Loop Header: Depth=1
                                        ;     Child Loop BB826_91 Depth 2
	v_cmp_ne_u16_sdwa s[34:35], v17, v44 src0_sel:BYTE_0 src1_sel:DWORD
	v_cndmask_b32_e64 v13, 0, 1, s[34:35]
	;;#ASMSTART
	;;#ASMEND
	v_cmp_ne_u32_e32 vcc, 0, v13
	s_cmp_lg_u64 vcc, exec
	v_mov_b32_e32 v13, v16
	s_cbranch_scc1 .LBB826_93
; %bb.89:                               ;   in Loop: Header=BB826_88 Depth=1
	v_lshlrev_b64 v[16:17], 3, v[14:15]
	v_mov_b32_e32 v21, s29
	v_add_co_u32_e32 v20, vcc, s28, v16
	v_addc_co_u32_e32 v21, vcc, v21, v17, vcc
	global_load_dwordx2 v[16:17], v[20:21], off glc
	s_waitcnt vmcnt(0)
	v_cmp_eq_u16_sdwa s[36:37], v17, v15 src0_sel:BYTE_0 src1_sel:DWORD
	s_and_saveexec_b64 s[34:35], s[36:37]
	s_cbranch_execz .LBB826_87
; %bb.90:                               ;   in Loop: Header=BB826_88 Depth=1
	s_mov_b64 s[36:37], 0
.LBB826_91:                             ;   Parent Loop BB826_88 Depth=1
                                        ; =>  This Inner Loop Header: Depth=2
	global_load_dwordx2 v[16:17], v[20:21], off glc
	s_waitcnt vmcnt(0)
	v_cmp_ne_u16_sdwa s[38:39], v17, v15 src0_sel:BYTE_0 src1_sel:DWORD
	s_or_b64 s[36:37], s[38:39], s[36:37]
	s_andn2_b64 exec, exec, s[36:37]
	s_cbranch_execnz .LBB826_91
; %bb.92:                               ;   in Loop: Header=BB826_88 Depth=1
	s_or_b64 exec, exec, s[36:37]
	s_branch .LBB826_87
.LBB826_93:                             ;   in Loop: Header=BB826_88 Depth=1
                                        ; implicit-def: $vgpr16
                                        ; implicit-def: $vgpr17
	s_cbranch_execz .LBB826_88
; %bb.94:
	s_and_saveexec_b64 s[34:35], s[16:17]
	s_cbranch_execz .LBB826_96
; %bb.95:
	s_add_i32 s6, s6, 64
	s_mov_b32 s7, 0
	s_lshl_b64 s[6:7], s[6:7], 3
	s_add_u32 s6, s28, s6
	v_add_u32_e32 v14, v13, v12
	v_mov_b32_e32 v15, 2
	s_addc_u32 s7, s29, s7
	v_mov_b32_e32 v16, 0
	global_store_dwordx2 v16, v[14:15], s[6:7]
	ds_write_b64 v16, v[12:13] offset:11264
.LBB826_96:
	s_or_b64 exec, exec, s[34:35]
	v_cmp_eq_u32_e32 vcc, 0, v0
	s_and_b64 exec, exec, vcc
	s_cbranch_execz .LBB826_98
; %bb.97:
	v_mov_b32_e32 v12, 0
	ds_write_b32 v12, v13 offset:12
.LBB826_98:
	s_or_b64 exec, exec, s[30:31]
	v_mov_b32_e32 v12, 0
	s_waitcnt lgkmcnt(0)
	s_barrier
	ds_read_b32 v15, v12 offset:12
	s_waitcnt lgkmcnt(0)
	s_barrier
	ds_read_b64 v[12:13], v12 offset:11264
	v_cndmask_b32_e64 v14, v42, v40, s[16:17]
	v_cmp_ne_u32_e32 vcc, 0, v0
	v_cndmask_b32_e32 v14, 0, v14, vcc
	v_add_u32_e32 v52, v15, v14
	s_waitcnt lgkmcnt(0)
	v_mov_b32_e32 v14, v13
	s_load_dwordx2 s[4:5], s[4:5], 0x28
	s_branch .LBB826_109
.LBB826_99:
                                        ; implicit-def: $vgpr14
                                        ; implicit-def: $vgpr12
                                        ; implicit-def: $vgpr52
	s_load_dwordx2 s[4:5], s[4:5], 0x28
	s_cbranch_execz .LBB826_109
; %bb.100:
	v_mov_b32_dpp v12, v38 row_shr:1 row_mask:0xf bank_mask:0xf
	v_cndmask_b32_e64 v12, v12, 0, s[14:15]
	v_add_u32_e32 v12, v12, v38
	s_nop 1
	v_mov_b32_dpp v13, v12 row_shr:2 row_mask:0xf bank_mask:0xf
	v_cndmask_b32_e64 v13, 0, v13, s[12:13]
	v_add_u32_e32 v12, v12, v13
	s_nop 1
	;; [unrolled: 4-line block ×4, first 2 shown]
	v_mov_b32_dpp v13, v12 row_bcast:15 row_mask:0xf bank_mask:0xf
	v_cndmask_b32_e64 v13, v13, 0, s[18:19]
	v_add_u32_e32 v12, v12, v13
	s_nop 1
	v_mov_b32_dpp v13, v12 row_bcast:31 row_mask:0xf bank_mask:0xf
	v_cndmask_b32_e64 v13, 0, v13, s[0:1]
	v_add_u32_e32 v12, v12, v13
	s_and_saveexec_b64 s[0:1], s[2:3]
	s_cbranch_execz .LBB826_102
; %bb.101:
	v_lshlrev_b32_e32 v13, 2, v36
	ds_write_b32 v13, v12
.LBB826_102:
	s_or_b64 exec, exec, s[0:1]
	v_cmp_gt_u32_e32 vcc, 4, v0
	s_waitcnt lgkmcnt(0)
	s_barrier
	s_and_saveexec_b64 s[0:1], vcc
	s_cbranch_execz .LBB826_104
; %bb.103:
	v_lshlrev_b32_e32 v13, 2, v0
	ds_read_b32 v14, v13
	v_and_b32_e32 v15, 3, v34
	v_cmp_ne_u32_e32 vcc, 0, v15
	s_waitcnt lgkmcnt(0)
	v_mov_b32_dpp v16, v14 row_shr:1 row_mask:0xf bank_mask:0xf
	v_cndmask_b32_e32 v16, 0, v16, vcc
	v_add_u32_e32 v14, v16, v14
	v_cmp_lt_u32_e32 vcc, 1, v15
	s_nop 0
	v_mov_b32_dpp v16, v14 row_shr:2 row_mask:0xf bank_mask:0xf
	v_cndmask_b32_e32 v15, 0, v16, vcc
	v_add_u32_e32 v14, v14, v15
	ds_write_b32 v13, v14
.LBB826_104:
	s_or_b64 exec, exec, s[0:1]
	v_cmp_lt_u32_e32 vcc, 63, v0
	v_mov_b32_e32 v13, 0
	v_mov_b32_e32 v14, 0
	s_waitcnt lgkmcnt(0)
	s_barrier
	s_and_saveexec_b64 s[0:1], vcc
	s_cbranch_execz .LBB826_106
; %bb.105:
	v_lshl_add_u32 v14, v36, 2, -4
	ds_read_b32 v14, v14
.LBB826_106:
	s_or_b64 exec, exec, s[0:1]
	v_add_u32_e32 v15, -1, v34
	v_and_b32_e32 v16, 64, v34
	v_cmp_lt_i32_e32 vcc, v15, v16
	v_cndmask_b32_e32 v15, v15, v34, vcc
	s_waitcnt lgkmcnt(0)
	v_add_u32_e32 v12, v14, v12
	v_lshlrev_b32_e32 v15, 2, v15
	ds_bpermute_b32 v15, v15, v12
	ds_read_b32 v12, v13 offset:12
	v_cmp_eq_u32_e32 vcc, 0, v0
	s_and_saveexec_b64 s[0:1], vcc
	s_cbranch_execz .LBB826_108
; %bb.107:
	v_mov_b32_e32 v16, 0
	v_mov_b32_e32 v13, 2
	s_waitcnt lgkmcnt(0)
	global_store_dwordx2 v16, v[12:13], s[28:29] offset:512
.LBB826_108:
	s_or_b64 exec, exec, s[0:1]
	v_cmp_eq_u32_e64 s[0:1], 0, v34
	s_waitcnt lgkmcnt(1)
	v_cndmask_b32_e64 v13, v15, v14, s[0:1]
	v_mov_b32_e32 v14, 0
	v_cndmask_b32_e64 v52, v13, 0, vcc
	s_waitcnt lgkmcnt(0)
	s_barrier
.LBB826_109:
	v_add_u32_e32 v58, v52, v22
	v_add_u32_e32 v56, v58, v23
	;; [unrolled: 1-line block ×19, first 2 shown]
	s_movk_i32 s0, 0x101
	v_add_u32_e32 v18, v20, v49
	v_cmp_gt_u32_e32 vcc, s0, v12
	v_add_u32_sdwa v16, v18, v61 dst_sel:DWORD dst_unused:UNUSED_PAD src0_sel:DWORD src1_sel:BYTE_0
	s_mov_b64 s[0:1], -1
	s_cbranch_vccnz .LBB826_113
; %bb.110:
	s_and_b64 vcc, exec, s[0:1]
	s_cbranch_vccnz .LBB826_180
.LBB826_111:
	v_cmp_eq_u32_e32 vcc, 0, v0
	s_and_b64 s[0:1], vcc, s[24:25]
	s_and_saveexec_b64 s[2:3], s[0:1]
	s_cbranch_execnz .LBB826_240
.LBB826_112:
	s_endpgm
.LBB826_113:
	v_add_u32_e32 v13, v14, v12
	s_lshl_b64 s[0:1], s[22:23], 1
	s_waitcnt lgkmcnt(0)
	s_add_u32 s2, s4, s0
	v_cmp_lt_u32_e32 vcc, v52, v13
	s_addc_u32 s3, s5, s1
	s_or_b64 s[6:7], s[26:27], vcc
	s_and_saveexec_b64 s[0:1], s[6:7]
	s_cbranch_execz .LBB826_116
; %bb.114:
	v_and_b32_e32 v15, 1, v81
	v_cmp_eq_u32_e32 vcc, 1, v15
	s_and_b64 exec, exec, vcc
	s_cbranch_execz .LBB826_116
; %bb.115:
	v_mov_b32_e32 v53, 0
	v_lshlrev_b64 v[82:83], 1, v[52:53]
	v_mov_b32_e32 v15, s3
	v_add_co_u32_e32 v82, vcc, s2, v82
	v_addc_co_u32_e32 v83, vcc, v15, v83, vcc
	global_store_short v[82:83], v10, off
.LBB826_116:
	s_or_b64 exec, exec, s[0:1]
	v_cmp_lt_u32_e32 vcc, v58, v13
	s_or_b64 s[6:7], s[26:27], vcc
	s_and_saveexec_b64 s[0:1], s[6:7]
	s_cbranch_execz .LBB826_119
; %bb.117:
	v_and_b32_e32 v15, 1, v80
	v_cmp_eq_u32_e32 vcc, 1, v15
	s_and_b64 exec, exec, vcc
	s_cbranch_execz .LBB826_119
; %bb.118:
	v_mov_b32_e32 v59, 0
	v_lshlrev_b64 v[82:83], 1, v[58:59]
	v_mov_b32_e32 v15, s3
	v_add_co_u32_e32 v82, vcc, s2, v82
	v_addc_co_u32_e32 v83, vcc, v15, v83, vcc
	global_store_short_d16_hi v[82:83], v10, off
.LBB826_119:
	s_or_b64 exec, exec, s[0:1]
	v_cmp_lt_u32_e32 vcc, v56, v13
	s_or_b64 s[6:7], s[26:27], vcc
	s_and_saveexec_b64 s[0:1], s[6:7]
	s_cbranch_execz .LBB826_122
; %bb.120:
	v_and_b32_e32 v15, 1, v79
	v_cmp_eq_u32_e32 vcc, 1, v15
	s_and_b64 exec, exec, vcc
	s_cbranch_execz .LBB826_122
; %bb.121:
	v_mov_b32_e32 v57, 0
	v_lshlrev_b64 v[82:83], 1, v[56:57]
	v_mov_b32_e32 v15, s3
	v_add_co_u32_e32 v82, vcc, s2, v82
	v_addc_co_u32_e32 v83, vcc, v15, v83, vcc
	global_store_short v[82:83], v11, off
.LBB826_122:
	s_or_b64 exec, exec, s[0:1]
	v_cmp_lt_u32_e32 vcc, v54, v13
	s_or_b64 s[6:7], s[26:27], vcc
	s_and_saveexec_b64 s[0:1], s[6:7]
	s_cbranch_execz .LBB826_125
; %bb.123:
	v_and_b32_e32 v15, 1, v78
	v_cmp_eq_u32_e32 vcc, 1, v15
	s_and_b64 exec, exec, vcc
	s_cbranch_execz .LBB826_125
; %bb.124:
	v_mov_b32_e32 v55, 0
	v_lshlrev_b64 v[82:83], 1, v[54:55]
	v_mov_b32_e32 v15, s3
	v_add_co_u32_e32 v82, vcc, s2, v82
	v_addc_co_u32_e32 v83, vcc, v15, v83, vcc
	global_store_short_d16_hi v[82:83], v11, off
.LBB826_125:
	s_or_b64 exec, exec, s[0:1]
	v_cmp_lt_u32_e32 vcc, v50, v13
	;; [unrolled: 36-line block ×10, first 2 shown]
	s_or_b64 s[6:7], s[26:27], vcc
	s_and_saveexec_b64 s[0:1], s[6:7]
	s_cbranch_execz .LBB826_176
; %bb.174:
	v_and_b32_e32 v15, 1, v61
	v_cmp_eq_u32_e32 vcc, 1, v15
	s_and_b64 exec, exec, vcc
	s_cbranch_execz .LBB826_176
; %bb.175:
	v_mov_b32_e32 v19, 0
	v_lshlrev_b64 v[82:83], 1, v[18:19]
	v_mov_b32_e32 v15, s3
	v_add_co_u32_e32 v82, vcc, s2, v82
	v_addc_co_u32_e32 v83, vcc, v15, v83, vcc
	global_store_short v[82:83], v1, off
.LBB826_176:
	s_or_b64 exec, exec, s[0:1]
	v_cmp_lt_u32_e32 vcc, v16, v13
	s_or_b64 s[6:7], s[26:27], vcc
	s_and_saveexec_b64 s[0:1], s[6:7]
	s_cbranch_execz .LBB826_179
; %bb.177:
	v_and_b32_e32 v13, 1, v60
	v_cmp_eq_u32_e32 vcc, 1, v13
	s_and_b64 exec, exec, vcc
	s_cbranch_execz .LBB826_179
; %bb.178:
	v_mov_b32_e32 v17, 0
	v_lshlrev_b64 v[82:83], 1, v[16:17]
	v_mov_b32_e32 v13, s3
	v_add_co_u32_e32 v82, vcc, s2, v82
	v_addc_co_u32_e32 v83, vcc, v13, v83, vcc
	global_store_short_d16_hi v[82:83], v1, off
.LBB826_179:
	s_or_b64 exec, exec, s[0:1]
	s_branch .LBB826_111
.LBB826_180:
	v_and_b32_e32 v13, 1, v81
	v_cmp_eq_u32_e32 vcc, 1, v13
	s_and_saveexec_b64 s[0:1], vcc
	s_cbranch_execz .LBB826_182
; %bb.181:
	v_sub_u32_e32 v13, v52, v14
	v_lshlrev_b32_e32 v13, 1, v13
	ds_write_b16 v13, v10
.LBB826_182:
	s_or_b64 exec, exec, s[0:1]
	v_and_b32_e32 v13, 1, v80
	v_cmp_eq_u32_e32 vcc, 1, v13
	s_and_saveexec_b64 s[0:1], vcc
	s_cbranch_execz .LBB826_184
; %bb.183:
	v_sub_u32_e32 v13, v58, v14
	v_lshlrev_b32_e32 v13, 1, v13
	ds_write_b16_d16_hi v13, v10
.LBB826_184:
	s_or_b64 exec, exec, s[0:1]
	v_and_b32_e32 v10, 1, v79
	v_cmp_eq_u32_e32 vcc, 1, v10
	s_and_saveexec_b64 s[0:1], vcc
	s_cbranch_execz .LBB826_186
; %bb.185:
	v_sub_u32_e32 v10, v56, v14
	v_lshlrev_b32_e32 v10, 1, v10
	ds_write_b16 v10, v11
.LBB826_186:
	s_or_b64 exec, exec, s[0:1]
	v_and_b32_e32 v10, 1, v78
	v_cmp_eq_u32_e32 vcc, 1, v10
	s_and_saveexec_b64 s[0:1], vcc
	s_cbranch_execz .LBB826_188
; %bb.187:
	v_sub_u32_e32 v10, v54, v14
	v_lshlrev_b32_e32 v10, 1, v10
	ds_write_b16_d16_hi v10, v11
.LBB826_188:
	s_or_b64 exec, exec, s[0:1]
	;; [unrolled: 20-line block ×11, first 2 shown]
	v_cmp_lt_u32_e32 vcc, v0, v12
	s_waitcnt lgkmcnt(0)
	s_barrier
	s_and_saveexec_b64 s[6:7], vcc
	s_cbranch_execz .LBB826_239
; %bb.225:
	s_lshl_b64 s[0:1], s[22:23], 1
	v_mov_b32_e32 v15, 0
	s_add_u32 s0, s4, s0
	s_addc_u32 s1, s5, s1
	v_lshlrev_b64 v[2:3], 1, v[14:15]
	v_mov_b32_e32 v1, s1
	v_add_co_u32_e32 v10, vcc, s0, v2
	v_addc_co_u32_e32 v11, vcc, v1, v3, vcc
	v_xad_u32 v1, v0, -1, v12
	s_movk_i32 s0, 0x1700
	v_cmp_gt_u32_e32 vcc, s0, v1
	s_movk_i32 s0, 0x16ff
	v_cmp_lt_u32_e64 s[0:1], s0, v1
	v_mov_b32_e32 v2, v0
	s_and_saveexec_b64 s[4:5], s[0:1]
	s_cbranch_execz .LBB826_236
; %bb.226:
	v_sub_u32_e32 v2, v0, v12
	v_or_b32_e32 v2, 0xff, v2
	v_cmp_ge_u32_e64 s[0:1], v2, v0
	s_mov_b64 s[2:3], -1
	v_mov_b32_e32 v2, v0
	s_and_saveexec_b64 s[8:9], s[0:1]
	s_cbranch_execz .LBB826_235
; %bb.227:
	v_lshrrev_b32_e32 v13, 8, v1
	v_add_u32_e32 v4, -3, v13
	v_or_b32_e32 v3, 0x300, v0
	v_or_b32_e32 v2, 0x200, v0
	v_lshrrev_b32_e32 v5, 2, v4
	v_or_b32_e32 v1, 0x100, v0
	v_add_u32_e32 v16, 1, v5
	v_cmp_lt_u32_e64 s[0:1], 11, v4
	v_pk_mov_b32 v[6:7], v[2:3], v[2:3] op_sel:[0,1]
	v_mov_b32_e32 v19, 0
	v_lshlrev_b32_e32 v15, 1, v0
	v_pk_mov_b32 v[4:5], v[0:1], v[0:1] op_sel:[0,1]
	s_and_saveexec_b64 s[10:11], s[0:1]
	s_cbranch_execz .LBB826_231
; %bb.228:
	v_pk_mov_b32 v[6:7], v[2:3], v[2:3] op_sel:[0,1]
	v_and_b32_e32 v17, 0x7ffffffc, v16
	s_mov_b32 s14, 0
	s_mov_b64 s[12:13], 0
	v_mov_b32_e32 v9, 0
	v_mov_b32_e32 v18, v15
	v_pk_mov_b32 v[4:5], v[0:1], v[0:1] op_sel:[0,1]
.LBB826_229:                            ; =>This Inner Loop Header: Depth=1
	v_mov_b32_e32 v8, v4
	v_lshlrev_b64 v[36:37], 1, v[8:9]
	v_add_u32_e32 v22, 0x400, v5
	v_mov_b32_e32 v23, v9
	v_add_co_u32_e64 v36, s[2:3], v10, v36
	v_lshlrev_b64 v[22:23], 1, v[22:23]
	v_addc_co_u32_e64 v37, s[2:3], v11, v37, s[2:3]
	v_add_u32_e32 v20, 0x400, v6
	v_mov_b32_e32 v21, v9
	v_add_co_u32_e64 v22, s[2:3], v10, v22
	v_lshlrev_b64 v[20:21], 1, v[20:21]
	v_addc_co_u32_e64 v23, s[2:3], v11, v23, s[2:3]
	v_add_u32_e32 v2, 0x400, v7
	v_mov_b32_e32 v3, v9
	v_add_co_u32_e64 v20, s[2:3], v10, v20
	v_add_u32_e32 v17, -4, v17
	v_mov_b32_e32 v8, v5
	v_lshlrev_b64 v[2:3], 1, v[2:3]
	v_addc_co_u32_e64 v21, s[2:3], v11, v21, s[2:3]
	v_add_u32_e32 v28, 0x800, v5
	v_mov_b32_e32 v29, v9
	s_add_i32 s14, s14, 16
	v_cmp_eq_u32_e64 s[0:1], 0, v17
	v_lshlrev_b64 v[38:39], 1, v[8:9]
	v_add_co_u32_e64 v2, s[2:3], v10, v2
	v_lshlrev_b64 v[28:29], 1, v[28:29]
	v_mov_b32_e32 v8, v6
	v_addc_co_u32_e64 v3, s[2:3], v11, v3, s[2:3]
	s_or_b64 s[12:13], s[0:1], s[12:13]
	v_add_co_u32_e64 v38, s[0:1], v10, v38
	v_add_u32_e32 v26, 0x800, v6
	v_mov_b32_e32 v27, v9
	v_add_co_u32_e64 v28, s[2:3], v10, v28
	v_addc_co_u32_e64 v39, s[0:1], v11, v39, s[0:1]
	v_lshlrev_b64 v[40:41], 1, v[8:9]
	v_lshlrev_b64 v[26:27], 1, v[26:27]
	v_addc_co_u32_e64 v29, s[2:3], v11, v29, s[2:3]
	v_mov_b32_e32 v8, v7
	v_add_co_u32_e64 v40, s[0:1], v10, v40
	ds_read_u16 v1, v18
	ds_read_u16 v44, v18 offset:512
	ds_read_u16 v45, v18 offset:1024
	;; [unrolled: 1-line block ×7, first 2 shown]
	v_add_u32_e32 v24, 0x800, v7
	v_mov_b32_e32 v25, v9
	v_add_co_u32_e64 v26, s[2:3], v10, v26
	v_addc_co_u32_e64 v41, s[0:1], v11, v41, s[0:1]
	v_lshlrev_b64 v[42:43], 1, v[8:9]
	v_lshlrev_b64 v[24:25], 1, v[24:25]
	v_addc_co_u32_e64 v27, s[2:3], v11, v27, s[2:3]
	v_add_u32_e32 v8, 0x400, v4
	v_add_co_u32_e64 v42, s[0:1], v10, v42
	v_add_u32_e32 v34, 0xc00, v5
	v_mov_b32_e32 v35, v9
	ds_read_u16 v51, v18 offset:4096
	ds_read_u16 v52, v18 offset:4608
	ds_read_u16 v53, v18 offset:5120
	ds_read_u16 v54, v18 offset:5632
	ds_read_u16 v55, v18 offset:6144
	ds_read_u16 v56, v18 offset:6656
	ds_read_u16 v57, v18 offset:7168
	ds_read_u16 v58, v18 offset:7680
	v_add_co_u32_e64 v24, s[2:3], v10, v24
	v_addc_co_u32_e64 v43, s[0:1], v11, v43, s[0:1]
	s_waitcnt lgkmcnt(14)
	global_store_short v[36:37], v1, off
	global_store_short v[38:39], v44, off
	s_waitcnt lgkmcnt(13)
	global_store_short v[40:41], v45, off
	v_lshlrev_b64 v[36:37], 1, v[8:9]
	v_lshlrev_b64 v[34:35], 1, v[34:35]
	v_addc_co_u32_e64 v25, s[2:3], v11, v25, s[2:3]
	v_add_u32_e32 v8, 0x800, v4
	v_add_co_u32_e64 v36, s[0:1], v10, v36
	v_add_u32_e32 v32, 0xc00, v6
	v_mov_b32_e32 v33, v9
	v_add_co_u32_e64 v34, s[2:3], v10, v34
	v_addc_co_u32_e64 v37, s[0:1], v11, v37, s[0:1]
	v_lshlrev_b64 v[38:39], 1, v[8:9]
	v_lshlrev_b64 v[32:33], 1, v[32:33]
	v_addc_co_u32_e64 v35, s[2:3], v11, v35, s[2:3]
	s_waitcnt lgkmcnt(12)
	global_store_short v[42:43], v46, off
	v_add_u32_e32 v8, 0xc00, v4
	s_waitcnt lgkmcnt(11)
	global_store_short v[36:37], v47, off
	s_waitcnt lgkmcnt(10)
	global_store_short v[22:23], v48, off
	;; [unrolled: 2-line block ×4, first 2 shown]
	v_add_co_u32_e64 v2, s[0:1], v10, v38
	v_add_u32_e32 v30, 0xc00, v7
	v_mov_b32_e32 v31, v9
	v_add_co_u32_e64 v32, s[2:3], v10, v32
	v_addc_co_u32_e64 v3, s[0:1], v11, v39, s[0:1]
	v_lshlrev_b64 v[20:21], 1, v[8:9]
	v_lshlrev_b64 v[30:31], 1, v[30:31]
	v_addc_co_u32_e64 v33, s[2:3], v11, v33, s[2:3]
	s_waitcnt lgkmcnt(7)
	global_store_short v[2:3], v51, off
	s_waitcnt lgkmcnt(6)
	global_store_short v[28:29], v52, off
	;; [unrolled: 2-line block ×4, first 2 shown]
	v_add_co_u32_e64 v2, s[0:1], v10, v20
	v_add_u32_e32 v18, 0x2000, v18
	v_add_u32_e32 v5, 0x1000, v5
	v_mov_b32_e32 v19, s14
	v_add_co_u32_e64 v30, s[2:3], v10, v30
	v_add_u32_e32 v6, 0x1000, v6
	v_add_u32_e32 v7, 0x1000, v7
	;; [unrolled: 1-line block ×3, first 2 shown]
	v_addc_co_u32_e64 v3, s[0:1], v11, v21, s[0:1]
	v_addc_co_u32_e64 v31, s[2:3], v11, v31, s[2:3]
	s_waitcnt lgkmcnt(3)
	global_store_short v[2:3], v55, off
	s_waitcnt lgkmcnt(2)
	global_store_short v[34:35], v56, off
	;; [unrolled: 2-line block ×4, first 2 shown]
	s_andn2_b64 exec, exec, s[12:13]
	s_cbranch_execnz .LBB826_229
; %bb.230:
	s_or_b64 exec, exec, s[12:13]
.LBB826_231:
	s_or_b64 exec, exec, s[10:11]
	v_and_b32_e32 v1, 3, v16
	v_cmp_ne_u32_e64 s[0:1], 0, v1
	s_and_saveexec_b64 s[10:11], s[0:1]
	s_cbranch_execz .LBB826_234
; %bb.232:
	v_lshl_or_b32 v8, v19, 9, v15
	s_mov_b64 s[12:13], 0
	v_mov_b32_e32 v3, 0
.LBB826_233:                            ; =>This Inner Loop Header: Depth=1
	v_mov_b32_e32 v2, v4
	v_add_u32_e32 v1, -1, v1
	v_lshlrev_b64 v[16:17], 1, v[2:3]
	v_mov_b32_e32 v2, v5
	v_cmp_eq_u32_e64 s[0:1], 0, v1
	v_lshlrev_b64 v[18:19], 1, v[2:3]
	ds_read_u16 v9, v8
	ds_read_u16 v15, v8 offset:512
	ds_read_u16 v24, v8 offset:1024
	;; [unrolled: 1-line block ×3, first 2 shown]
	v_mov_b32_e32 v2, v6
	s_or_b64 s[12:13], s[0:1], s[12:13]
	v_add_co_u32_e64 v18, s[0:1], v10, v18
	v_addc_co_u32_e64 v19, s[0:1], v11, v19, s[0:1]
	v_lshlrev_b64 v[20:21], 1, v[2:3]
	v_mov_b32_e32 v2, v7
	v_add_co_u32_e64 v20, s[0:1], v10, v20
	v_add_co_u32_e64 v16, s[2:3], v10, v16
	v_addc_co_u32_e64 v21, s[0:1], v11, v21, s[0:1]
	v_lshlrev_b64 v[22:23], 1, v[2:3]
	v_add_u32_e32 v4, 0x400, v4
	v_add_u32_e32 v8, 0x800, v8
	;; [unrolled: 1-line block ×3, first 2 shown]
	v_addc_co_u32_e64 v17, s[2:3], v11, v17, s[2:3]
	v_add_u32_e32 v6, 0x400, v6
	v_add_u32_e32 v7, 0x400, v7
	v_add_co_u32_e64 v22, s[0:1], v10, v22
	v_addc_co_u32_e64 v23, s[0:1], v11, v23, s[0:1]
	s_waitcnt lgkmcnt(3)
	global_store_short v[16:17], v9, off
	s_waitcnt lgkmcnt(2)
	global_store_short v[18:19], v15, off
	s_waitcnt lgkmcnt(1)
	global_store_short v[20:21], v24, off
	s_waitcnt lgkmcnt(0)
	global_store_short v[22:23], v25, off
	s_andn2_b64 exec, exec, s[12:13]
	s_cbranch_execnz .LBB826_233
.LBB826_234:
	s_or_b64 exec, exec, s[10:11]
	v_add_u32_e32 v1, 1, v13
	v_and_b32_e32 v3, 0x1fffffc, v1
	v_cmp_ne_u32_e64 s[0:1], v1, v3
	v_lshl_or_b32 v2, v3, 8, v0
	s_orn2_b64 s[2:3], s[0:1], exec
.LBB826_235:
	s_or_b64 exec, exec, s[8:9]
	s_andn2_b64 s[0:1], vcc, exec
	s_and_b64 s[2:3], s[2:3], exec
	s_or_b64 vcc, s[0:1], s[2:3]
.LBB826_236:
	s_or_b64 exec, exec, s[4:5]
	s_and_b64 exec, exec, vcc
	s_cbranch_execz .LBB826_239
; %bb.237:
	v_lshlrev_b32_e32 v1, 1, v2
	s_mov_b64 s[0:1], 0
	v_mov_b32_e32 v3, 0
.LBB826_238:                            ; =>This Inner Loop Header: Depth=1
	v_lshlrev_b64 v[4:5], 1, v[2:3]
	ds_read_u16 v6, v1
	v_add_co_u32_e32 v4, vcc, v10, v4
	v_add_u32_e32 v2, 0x100, v2
	v_addc_co_u32_e32 v5, vcc, v11, v5, vcc
	v_cmp_ge_u32_e32 vcc, v2, v12
	v_add_u32_e32 v1, 0x200, v1
	s_or_b64 s[0:1], vcc, s[0:1]
	s_waitcnt lgkmcnt(0)
	global_store_short v[4:5], v6, off
	s_andn2_b64 exec, exec, s[0:1]
	s_cbranch_execnz .LBB826_238
.LBB826_239:
	s_or_b64 exec, exec, s[6:7]
	v_cmp_eq_u32_e32 vcc, 0, v0
	s_and_b64 s[0:1], vcc, s[24:25]
	s_and_saveexec_b64 s[2:3], s[0:1]
	s_cbranch_execz .LBB826_112
.LBB826_240:
	v_mov_b32_e32 v0, s23
	v_add_co_u32_e32 v1, vcc, s22, v12
	v_addc_co_u32_e32 v3, vcc, 0, v0, vcc
	v_add_co_u32_e32 v0, vcc, v1, v14
	v_mov_b32_e32 v2, 0
	v_addc_co_u32_e32 v1, vcc, 0, v3, vcc
	global_store_dwordx2 v2, v[0:1], s[20:21]
	s_endpgm
	.section	.rodata,"a",@progbits
	.p2align	6, 0x0
	.amdhsa_kernel _ZN7rocprim17ROCPRIM_400000_NS6detail17trampoline_kernelINS0_14default_configENS1_25partition_config_selectorILNS1_17partition_subalgoE8EN3c108BFloat16ENS0_10empty_typeEbEEZZNS1_14partition_implILS5_8ELb0ES3_jPKS7_PS8_PKS8_NS0_5tupleIJPS7_S8_EEENSG_IJSD_SD_EEENS0_18inequality_wrapperIN6hipcub16HIPCUB_304000_NS8EqualityEEEPlJS8_EEE10hipError_tPvRmT3_T4_T5_T6_T7_T9_mT8_P12ihipStream_tbDpT10_ENKUlT_T0_E_clISt17integral_constantIbLb0EES19_EEDaS14_S15_EUlS14_E_NS1_11comp_targetILNS1_3genE4ELNS1_11target_archE910ELNS1_3gpuE8ELNS1_3repE0EEENS1_30default_config_static_selectorELNS0_4arch9wavefront6targetE1EEEvT1_
		.amdhsa_group_segment_fixed_size 11272
		.amdhsa_private_segment_fixed_size 0
		.amdhsa_kernarg_size 112
		.amdhsa_user_sgpr_count 6
		.amdhsa_user_sgpr_private_segment_buffer 1
		.amdhsa_user_sgpr_dispatch_ptr 0
		.amdhsa_user_sgpr_queue_ptr 0
		.amdhsa_user_sgpr_kernarg_segment_ptr 1
		.amdhsa_user_sgpr_dispatch_id 0
		.amdhsa_user_sgpr_flat_scratch_init 0
		.amdhsa_user_sgpr_kernarg_preload_length 0
		.amdhsa_user_sgpr_kernarg_preload_offset 0
		.amdhsa_user_sgpr_private_segment_size 0
		.amdhsa_uses_dynamic_stack 0
		.amdhsa_system_sgpr_private_segment_wavefront_offset 0
		.amdhsa_system_sgpr_workgroup_id_x 1
		.amdhsa_system_sgpr_workgroup_id_y 0
		.amdhsa_system_sgpr_workgroup_id_z 0
		.amdhsa_system_sgpr_workgroup_info 0
		.amdhsa_system_vgpr_workitem_id 0
		.amdhsa_next_free_vgpr 84
		.amdhsa_next_free_sgpr 40
		.amdhsa_accum_offset 84
		.amdhsa_reserve_vcc 1
		.amdhsa_reserve_flat_scratch 0
		.amdhsa_float_round_mode_32 0
		.amdhsa_float_round_mode_16_64 0
		.amdhsa_float_denorm_mode_32 3
		.amdhsa_float_denorm_mode_16_64 3
		.amdhsa_dx10_clamp 1
		.amdhsa_ieee_mode 1
		.amdhsa_fp16_overflow 0
		.amdhsa_tg_split 0
		.amdhsa_exception_fp_ieee_invalid_op 0
		.amdhsa_exception_fp_denorm_src 0
		.amdhsa_exception_fp_ieee_div_zero 0
		.amdhsa_exception_fp_ieee_overflow 0
		.amdhsa_exception_fp_ieee_underflow 0
		.amdhsa_exception_fp_ieee_inexact 0
		.amdhsa_exception_int_div_zero 0
	.end_amdhsa_kernel
	.section	.text._ZN7rocprim17ROCPRIM_400000_NS6detail17trampoline_kernelINS0_14default_configENS1_25partition_config_selectorILNS1_17partition_subalgoE8EN3c108BFloat16ENS0_10empty_typeEbEEZZNS1_14partition_implILS5_8ELb0ES3_jPKS7_PS8_PKS8_NS0_5tupleIJPS7_S8_EEENSG_IJSD_SD_EEENS0_18inequality_wrapperIN6hipcub16HIPCUB_304000_NS8EqualityEEEPlJS8_EEE10hipError_tPvRmT3_T4_T5_T6_T7_T9_mT8_P12ihipStream_tbDpT10_ENKUlT_T0_E_clISt17integral_constantIbLb0EES19_EEDaS14_S15_EUlS14_E_NS1_11comp_targetILNS1_3genE4ELNS1_11target_archE910ELNS1_3gpuE8ELNS1_3repE0EEENS1_30default_config_static_selectorELNS0_4arch9wavefront6targetE1EEEvT1_,"axG",@progbits,_ZN7rocprim17ROCPRIM_400000_NS6detail17trampoline_kernelINS0_14default_configENS1_25partition_config_selectorILNS1_17partition_subalgoE8EN3c108BFloat16ENS0_10empty_typeEbEEZZNS1_14partition_implILS5_8ELb0ES3_jPKS7_PS8_PKS8_NS0_5tupleIJPS7_S8_EEENSG_IJSD_SD_EEENS0_18inequality_wrapperIN6hipcub16HIPCUB_304000_NS8EqualityEEEPlJS8_EEE10hipError_tPvRmT3_T4_T5_T6_T7_T9_mT8_P12ihipStream_tbDpT10_ENKUlT_T0_E_clISt17integral_constantIbLb0EES19_EEDaS14_S15_EUlS14_E_NS1_11comp_targetILNS1_3genE4ELNS1_11target_archE910ELNS1_3gpuE8ELNS1_3repE0EEENS1_30default_config_static_selectorELNS0_4arch9wavefront6targetE1EEEvT1_,comdat
.Lfunc_end826:
	.size	_ZN7rocprim17ROCPRIM_400000_NS6detail17trampoline_kernelINS0_14default_configENS1_25partition_config_selectorILNS1_17partition_subalgoE8EN3c108BFloat16ENS0_10empty_typeEbEEZZNS1_14partition_implILS5_8ELb0ES3_jPKS7_PS8_PKS8_NS0_5tupleIJPS7_S8_EEENSG_IJSD_SD_EEENS0_18inequality_wrapperIN6hipcub16HIPCUB_304000_NS8EqualityEEEPlJS8_EEE10hipError_tPvRmT3_T4_T5_T6_T7_T9_mT8_P12ihipStream_tbDpT10_ENKUlT_T0_E_clISt17integral_constantIbLb0EES19_EEDaS14_S15_EUlS14_E_NS1_11comp_targetILNS1_3genE4ELNS1_11target_archE910ELNS1_3gpuE8ELNS1_3repE0EEENS1_30default_config_static_selectorELNS0_4arch9wavefront6targetE1EEEvT1_, .Lfunc_end826-_ZN7rocprim17ROCPRIM_400000_NS6detail17trampoline_kernelINS0_14default_configENS1_25partition_config_selectorILNS1_17partition_subalgoE8EN3c108BFloat16ENS0_10empty_typeEbEEZZNS1_14partition_implILS5_8ELb0ES3_jPKS7_PS8_PKS8_NS0_5tupleIJPS7_S8_EEENSG_IJSD_SD_EEENS0_18inequality_wrapperIN6hipcub16HIPCUB_304000_NS8EqualityEEEPlJS8_EEE10hipError_tPvRmT3_T4_T5_T6_T7_T9_mT8_P12ihipStream_tbDpT10_ENKUlT_T0_E_clISt17integral_constantIbLb0EES19_EEDaS14_S15_EUlS14_E_NS1_11comp_targetILNS1_3genE4ELNS1_11target_archE910ELNS1_3gpuE8ELNS1_3repE0EEENS1_30default_config_static_selectorELNS0_4arch9wavefront6targetE1EEEvT1_
                                        ; -- End function
	.section	.AMDGPU.csdata,"",@progbits
; Kernel info:
; codeLenInByte = 10764
; NumSgprs: 44
; NumVgprs: 84
; NumAgprs: 0
; TotalNumVgprs: 84
; ScratchSize: 0
; MemoryBound: 0
; FloatMode: 240
; IeeeMode: 1
; LDSByteSize: 11272 bytes/workgroup (compile time only)
; SGPRBlocks: 5
; VGPRBlocks: 10
; NumSGPRsForWavesPerEU: 44
; NumVGPRsForWavesPerEU: 84
; AccumOffset: 84
; Occupancy: 5
; WaveLimiterHint : 1
; COMPUTE_PGM_RSRC2:SCRATCH_EN: 0
; COMPUTE_PGM_RSRC2:USER_SGPR: 6
; COMPUTE_PGM_RSRC2:TRAP_HANDLER: 0
; COMPUTE_PGM_RSRC2:TGID_X_EN: 1
; COMPUTE_PGM_RSRC2:TGID_Y_EN: 0
; COMPUTE_PGM_RSRC2:TGID_Z_EN: 0
; COMPUTE_PGM_RSRC2:TIDIG_COMP_CNT: 0
; COMPUTE_PGM_RSRC3_GFX90A:ACCUM_OFFSET: 20
; COMPUTE_PGM_RSRC3_GFX90A:TG_SPLIT: 0
	.section	.text._ZN7rocprim17ROCPRIM_400000_NS6detail17trampoline_kernelINS0_14default_configENS1_25partition_config_selectorILNS1_17partition_subalgoE8EN3c108BFloat16ENS0_10empty_typeEbEEZZNS1_14partition_implILS5_8ELb0ES3_jPKS7_PS8_PKS8_NS0_5tupleIJPS7_S8_EEENSG_IJSD_SD_EEENS0_18inequality_wrapperIN6hipcub16HIPCUB_304000_NS8EqualityEEEPlJS8_EEE10hipError_tPvRmT3_T4_T5_T6_T7_T9_mT8_P12ihipStream_tbDpT10_ENKUlT_T0_E_clISt17integral_constantIbLb0EES19_EEDaS14_S15_EUlS14_E_NS1_11comp_targetILNS1_3genE3ELNS1_11target_archE908ELNS1_3gpuE7ELNS1_3repE0EEENS1_30default_config_static_selectorELNS0_4arch9wavefront6targetE1EEEvT1_,"axG",@progbits,_ZN7rocprim17ROCPRIM_400000_NS6detail17trampoline_kernelINS0_14default_configENS1_25partition_config_selectorILNS1_17partition_subalgoE8EN3c108BFloat16ENS0_10empty_typeEbEEZZNS1_14partition_implILS5_8ELb0ES3_jPKS7_PS8_PKS8_NS0_5tupleIJPS7_S8_EEENSG_IJSD_SD_EEENS0_18inequality_wrapperIN6hipcub16HIPCUB_304000_NS8EqualityEEEPlJS8_EEE10hipError_tPvRmT3_T4_T5_T6_T7_T9_mT8_P12ihipStream_tbDpT10_ENKUlT_T0_E_clISt17integral_constantIbLb0EES19_EEDaS14_S15_EUlS14_E_NS1_11comp_targetILNS1_3genE3ELNS1_11target_archE908ELNS1_3gpuE7ELNS1_3repE0EEENS1_30default_config_static_selectorELNS0_4arch9wavefront6targetE1EEEvT1_,comdat
	.protected	_ZN7rocprim17ROCPRIM_400000_NS6detail17trampoline_kernelINS0_14default_configENS1_25partition_config_selectorILNS1_17partition_subalgoE8EN3c108BFloat16ENS0_10empty_typeEbEEZZNS1_14partition_implILS5_8ELb0ES3_jPKS7_PS8_PKS8_NS0_5tupleIJPS7_S8_EEENSG_IJSD_SD_EEENS0_18inequality_wrapperIN6hipcub16HIPCUB_304000_NS8EqualityEEEPlJS8_EEE10hipError_tPvRmT3_T4_T5_T6_T7_T9_mT8_P12ihipStream_tbDpT10_ENKUlT_T0_E_clISt17integral_constantIbLb0EES19_EEDaS14_S15_EUlS14_E_NS1_11comp_targetILNS1_3genE3ELNS1_11target_archE908ELNS1_3gpuE7ELNS1_3repE0EEENS1_30default_config_static_selectorELNS0_4arch9wavefront6targetE1EEEvT1_ ; -- Begin function _ZN7rocprim17ROCPRIM_400000_NS6detail17trampoline_kernelINS0_14default_configENS1_25partition_config_selectorILNS1_17partition_subalgoE8EN3c108BFloat16ENS0_10empty_typeEbEEZZNS1_14partition_implILS5_8ELb0ES3_jPKS7_PS8_PKS8_NS0_5tupleIJPS7_S8_EEENSG_IJSD_SD_EEENS0_18inequality_wrapperIN6hipcub16HIPCUB_304000_NS8EqualityEEEPlJS8_EEE10hipError_tPvRmT3_T4_T5_T6_T7_T9_mT8_P12ihipStream_tbDpT10_ENKUlT_T0_E_clISt17integral_constantIbLb0EES19_EEDaS14_S15_EUlS14_E_NS1_11comp_targetILNS1_3genE3ELNS1_11target_archE908ELNS1_3gpuE7ELNS1_3repE0EEENS1_30default_config_static_selectorELNS0_4arch9wavefront6targetE1EEEvT1_
	.globl	_ZN7rocprim17ROCPRIM_400000_NS6detail17trampoline_kernelINS0_14default_configENS1_25partition_config_selectorILNS1_17partition_subalgoE8EN3c108BFloat16ENS0_10empty_typeEbEEZZNS1_14partition_implILS5_8ELb0ES3_jPKS7_PS8_PKS8_NS0_5tupleIJPS7_S8_EEENSG_IJSD_SD_EEENS0_18inequality_wrapperIN6hipcub16HIPCUB_304000_NS8EqualityEEEPlJS8_EEE10hipError_tPvRmT3_T4_T5_T6_T7_T9_mT8_P12ihipStream_tbDpT10_ENKUlT_T0_E_clISt17integral_constantIbLb0EES19_EEDaS14_S15_EUlS14_E_NS1_11comp_targetILNS1_3genE3ELNS1_11target_archE908ELNS1_3gpuE7ELNS1_3repE0EEENS1_30default_config_static_selectorELNS0_4arch9wavefront6targetE1EEEvT1_
	.p2align	8
	.type	_ZN7rocprim17ROCPRIM_400000_NS6detail17trampoline_kernelINS0_14default_configENS1_25partition_config_selectorILNS1_17partition_subalgoE8EN3c108BFloat16ENS0_10empty_typeEbEEZZNS1_14partition_implILS5_8ELb0ES3_jPKS7_PS8_PKS8_NS0_5tupleIJPS7_S8_EEENSG_IJSD_SD_EEENS0_18inequality_wrapperIN6hipcub16HIPCUB_304000_NS8EqualityEEEPlJS8_EEE10hipError_tPvRmT3_T4_T5_T6_T7_T9_mT8_P12ihipStream_tbDpT10_ENKUlT_T0_E_clISt17integral_constantIbLb0EES19_EEDaS14_S15_EUlS14_E_NS1_11comp_targetILNS1_3genE3ELNS1_11target_archE908ELNS1_3gpuE7ELNS1_3repE0EEENS1_30default_config_static_selectorELNS0_4arch9wavefront6targetE1EEEvT1_,@function
_ZN7rocprim17ROCPRIM_400000_NS6detail17trampoline_kernelINS0_14default_configENS1_25partition_config_selectorILNS1_17partition_subalgoE8EN3c108BFloat16ENS0_10empty_typeEbEEZZNS1_14partition_implILS5_8ELb0ES3_jPKS7_PS8_PKS8_NS0_5tupleIJPS7_S8_EEENSG_IJSD_SD_EEENS0_18inequality_wrapperIN6hipcub16HIPCUB_304000_NS8EqualityEEEPlJS8_EEE10hipError_tPvRmT3_T4_T5_T6_T7_T9_mT8_P12ihipStream_tbDpT10_ENKUlT_T0_E_clISt17integral_constantIbLb0EES19_EEDaS14_S15_EUlS14_E_NS1_11comp_targetILNS1_3genE3ELNS1_11target_archE908ELNS1_3gpuE7ELNS1_3repE0EEENS1_30default_config_static_selectorELNS0_4arch9wavefront6targetE1EEEvT1_: ; @_ZN7rocprim17ROCPRIM_400000_NS6detail17trampoline_kernelINS0_14default_configENS1_25partition_config_selectorILNS1_17partition_subalgoE8EN3c108BFloat16ENS0_10empty_typeEbEEZZNS1_14partition_implILS5_8ELb0ES3_jPKS7_PS8_PKS8_NS0_5tupleIJPS7_S8_EEENSG_IJSD_SD_EEENS0_18inequality_wrapperIN6hipcub16HIPCUB_304000_NS8EqualityEEEPlJS8_EEE10hipError_tPvRmT3_T4_T5_T6_T7_T9_mT8_P12ihipStream_tbDpT10_ENKUlT_T0_E_clISt17integral_constantIbLb0EES19_EEDaS14_S15_EUlS14_E_NS1_11comp_targetILNS1_3genE3ELNS1_11target_archE908ELNS1_3gpuE7ELNS1_3repE0EEENS1_30default_config_static_selectorELNS0_4arch9wavefront6targetE1EEEvT1_
; %bb.0:
	.section	.rodata,"a",@progbits
	.p2align	6, 0x0
	.amdhsa_kernel _ZN7rocprim17ROCPRIM_400000_NS6detail17trampoline_kernelINS0_14default_configENS1_25partition_config_selectorILNS1_17partition_subalgoE8EN3c108BFloat16ENS0_10empty_typeEbEEZZNS1_14partition_implILS5_8ELb0ES3_jPKS7_PS8_PKS8_NS0_5tupleIJPS7_S8_EEENSG_IJSD_SD_EEENS0_18inequality_wrapperIN6hipcub16HIPCUB_304000_NS8EqualityEEEPlJS8_EEE10hipError_tPvRmT3_T4_T5_T6_T7_T9_mT8_P12ihipStream_tbDpT10_ENKUlT_T0_E_clISt17integral_constantIbLb0EES19_EEDaS14_S15_EUlS14_E_NS1_11comp_targetILNS1_3genE3ELNS1_11target_archE908ELNS1_3gpuE7ELNS1_3repE0EEENS1_30default_config_static_selectorELNS0_4arch9wavefront6targetE1EEEvT1_
		.amdhsa_group_segment_fixed_size 0
		.amdhsa_private_segment_fixed_size 0
		.amdhsa_kernarg_size 112
		.amdhsa_user_sgpr_count 6
		.amdhsa_user_sgpr_private_segment_buffer 1
		.amdhsa_user_sgpr_dispatch_ptr 0
		.amdhsa_user_sgpr_queue_ptr 0
		.amdhsa_user_sgpr_kernarg_segment_ptr 1
		.amdhsa_user_sgpr_dispatch_id 0
		.amdhsa_user_sgpr_flat_scratch_init 0
		.amdhsa_user_sgpr_kernarg_preload_length 0
		.amdhsa_user_sgpr_kernarg_preload_offset 0
		.amdhsa_user_sgpr_private_segment_size 0
		.amdhsa_uses_dynamic_stack 0
		.amdhsa_system_sgpr_private_segment_wavefront_offset 0
		.amdhsa_system_sgpr_workgroup_id_x 1
		.amdhsa_system_sgpr_workgroup_id_y 0
		.amdhsa_system_sgpr_workgroup_id_z 0
		.amdhsa_system_sgpr_workgroup_info 0
		.amdhsa_system_vgpr_workitem_id 0
		.amdhsa_next_free_vgpr 1
		.amdhsa_next_free_sgpr 0
		.amdhsa_accum_offset 4
		.amdhsa_reserve_vcc 0
		.amdhsa_reserve_flat_scratch 0
		.amdhsa_float_round_mode_32 0
		.amdhsa_float_round_mode_16_64 0
		.amdhsa_float_denorm_mode_32 3
		.amdhsa_float_denorm_mode_16_64 3
		.amdhsa_dx10_clamp 1
		.amdhsa_ieee_mode 1
		.amdhsa_fp16_overflow 0
		.amdhsa_tg_split 0
		.amdhsa_exception_fp_ieee_invalid_op 0
		.amdhsa_exception_fp_denorm_src 0
		.amdhsa_exception_fp_ieee_div_zero 0
		.amdhsa_exception_fp_ieee_overflow 0
		.amdhsa_exception_fp_ieee_underflow 0
		.amdhsa_exception_fp_ieee_inexact 0
		.amdhsa_exception_int_div_zero 0
	.end_amdhsa_kernel
	.section	.text._ZN7rocprim17ROCPRIM_400000_NS6detail17trampoline_kernelINS0_14default_configENS1_25partition_config_selectorILNS1_17partition_subalgoE8EN3c108BFloat16ENS0_10empty_typeEbEEZZNS1_14partition_implILS5_8ELb0ES3_jPKS7_PS8_PKS8_NS0_5tupleIJPS7_S8_EEENSG_IJSD_SD_EEENS0_18inequality_wrapperIN6hipcub16HIPCUB_304000_NS8EqualityEEEPlJS8_EEE10hipError_tPvRmT3_T4_T5_T6_T7_T9_mT8_P12ihipStream_tbDpT10_ENKUlT_T0_E_clISt17integral_constantIbLb0EES19_EEDaS14_S15_EUlS14_E_NS1_11comp_targetILNS1_3genE3ELNS1_11target_archE908ELNS1_3gpuE7ELNS1_3repE0EEENS1_30default_config_static_selectorELNS0_4arch9wavefront6targetE1EEEvT1_,"axG",@progbits,_ZN7rocprim17ROCPRIM_400000_NS6detail17trampoline_kernelINS0_14default_configENS1_25partition_config_selectorILNS1_17partition_subalgoE8EN3c108BFloat16ENS0_10empty_typeEbEEZZNS1_14partition_implILS5_8ELb0ES3_jPKS7_PS8_PKS8_NS0_5tupleIJPS7_S8_EEENSG_IJSD_SD_EEENS0_18inequality_wrapperIN6hipcub16HIPCUB_304000_NS8EqualityEEEPlJS8_EEE10hipError_tPvRmT3_T4_T5_T6_T7_T9_mT8_P12ihipStream_tbDpT10_ENKUlT_T0_E_clISt17integral_constantIbLb0EES19_EEDaS14_S15_EUlS14_E_NS1_11comp_targetILNS1_3genE3ELNS1_11target_archE908ELNS1_3gpuE7ELNS1_3repE0EEENS1_30default_config_static_selectorELNS0_4arch9wavefront6targetE1EEEvT1_,comdat
.Lfunc_end827:
	.size	_ZN7rocprim17ROCPRIM_400000_NS6detail17trampoline_kernelINS0_14default_configENS1_25partition_config_selectorILNS1_17partition_subalgoE8EN3c108BFloat16ENS0_10empty_typeEbEEZZNS1_14partition_implILS5_8ELb0ES3_jPKS7_PS8_PKS8_NS0_5tupleIJPS7_S8_EEENSG_IJSD_SD_EEENS0_18inequality_wrapperIN6hipcub16HIPCUB_304000_NS8EqualityEEEPlJS8_EEE10hipError_tPvRmT3_T4_T5_T6_T7_T9_mT8_P12ihipStream_tbDpT10_ENKUlT_T0_E_clISt17integral_constantIbLb0EES19_EEDaS14_S15_EUlS14_E_NS1_11comp_targetILNS1_3genE3ELNS1_11target_archE908ELNS1_3gpuE7ELNS1_3repE0EEENS1_30default_config_static_selectorELNS0_4arch9wavefront6targetE1EEEvT1_, .Lfunc_end827-_ZN7rocprim17ROCPRIM_400000_NS6detail17trampoline_kernelINS0_14default_configENS1_25partition_config_selectorILNS1_17partition_subalgoE8EN3c108BFloat16ENS0_10empty_typeEbEEZZNS1_14partition_implILS5_8ELb0ES3_jPKS7_PS8_PKS8_NS0_5tupleIJPS7_S8_EEENSG_IJSD_SD_EEENS0_18inequality_wrapperIN6hipcub16HIPCUB_304000_NS8EqualityEEEPlJS8_EEE10hipError_tPvRmT3_T4_T5_T6_T7_T9_mT8_P12ihipStream_tbDpT10_ENKUlT_T0_E_clISt17integral_constantIbLb0EES19_EEDaS14_S15_EUlS14_E_NS1_11comp_targetILNS1_3genE3ELNS1_11target_archE908ELNS1_3gpuE7ELNS1_3repE0EEENS1_30default_config_static_selectorELNS0_4arch9wavefront6targetE1EEEvT1_
                                        ; -- End function
	.section	.AMDGPU.csdata,"",@progbits
; Kernel info:
; codeLenInByte = 0
; NumSgprs: 4
; NumVgprs: 0
; NumAgprs: 0
; TotalNumVgprs: 0
; ScratchSize: 0
; MemoryBound: 0
; FloatMode: 240
; IeeeMode: 1
; LDSByteSize: 0 bytes/workgroup (compile time only)
; SGPRBlocks: 0
; VGPRBlocks: 0
; NumSGPRsForWavesPerEU: 4
; NumVGPRsForWavesPerEU: 1
; AccumOffset: 4
; Occupancy: 8
; WaveLimiterHint : 0
; COMPUTE_PGM_RSRC2:SCRATCH_EN: 0
; COMPUTE_PGM_RSRC2:USER_SGPR: 6
; COMPUTE_PGM_RSRC2:TRAP_HANDLER: 0
; COMPUTE_PGM_RSRC2:TGID_X_EN: 1
; COMPUTE_PGM_RSRC2:TGID_Y_EN: 0
; COMPUTE_PGM_RSRC2:TGID_Z_EN: 0
; COMPUTE_PGM_RSRC2:TIDIG_COMP_CNT: 0
; COMPUTE_PGM_RSRC3_GFX90A:ACCUM_OFFSET: 0
; COMPUTE_PGM_RSRC3_GFX90A:TG_SPLIT: 0
	.section	.text._ZN7rocprim17ROCPRIM_400000_NS6detail17trampoline_kernelINS0_14default_configENS1_25partition_config_selectorILNS1_17partition_subalgoE8EN3c108BFloat16ENS0_10empty_typeEbEEZZNS1_14partition_implILS5_8ELb0ES3_jPKS7_PS8_PKS8_NS0_5tupleIJPS7_S8_EEENSG_IJSD_SD_EEENS0_18inequality_wrapperIN6hipcub16HIPCUB_304000_NS8EqualityEEEPlJS8_EEE10hipError_tPvRmT3_T4_T5_T6_T7_T9_mT8_P12ihipStream_tbDpT10_ENKUlT_T0_E_clISt17integral_constantIbLb0EES19_EEDaS14_S15_EUlS14_E_NS1_11comp_targetILNS1_3genE2ELNS1_11target_archE906ELNS1_3gpuE6ELNS1_3repE0EEENS1_30default_config_static_selectorELNS0_4arch9wavefront6targetE1EEEvT1_,"axG",@progbits,_ZN7rocprim17ROCPRIM_400000_NS6detail17trampoline_kernelINS0_14default_configENS1_25partition_config_selectorILNS1_17partition_subalgoE8EN3c108BFloat16ENS0_10empty_typeEbEEZZNS1_14partition_implILS5_8ELb0ES3_jPKS7_PS8_PKS8_NS0_5tupleIJPS7_S8_EEENSG_IJSD_SD_EEENS0_18inequality_wrapperIN6hipcub16HIPCUB_304000_NS8EqualityEEEPlJS8_EEE10hipError_tPvRmT3_T4_T5_T6_T7_T9_mT8_P12ihipStream_tbDpT10_ENKUlT_T0_E_clISt17integral_constantIbLb0EES19_EEDaS14_S15_EUlS14_E_NS1_11comp_targetILNS1_3genE2ELNS1_11target_archE906ELNS1_3gpuE6ELNS1_3repE0EEENS1_30default_config_static_selectorELNS0_4arch9wavefront6targetE1EEEvT1_,comdat
	.protected	_ZN7rocprim17ROCPRIM_400000_NS6detail17trampoline_kernelINS0_14default_configENS1_25partition_config_selectorILNS1_17partition_subalgoE8EN3c108BFloat16ENS0_10empty_typeEbEEZZNS1_14partition_implILS5_8ELb0ES3_jPKS7_PS8_PKS8_NS0_5tupleIJPS7_S8_EEENSG_IJSD_SD_EEENS0_18inequality_wrapperIN6hipcub16HIPCUB_304000_NS8EqualityEEEPlJS8_EEE10hipError_tPvRmT3_T4_T5_T6_T7_T9_mT8_P12ihipStream_tbDpT10_ENKUlT_T0_E_clISt17integral_constantIbLb0EES19_EEDaS14_S15_EUlS14_E_NS1_11comp_targetILNS1_3genE2ELNS1_11target_archE906ELNS1_3gpuE6ELNS1_3repE0EEENS1_30default_config_static_selectorELNS0_4arch9wavefront6targetE1EEEvT1_ ; -- Begin function _ZN7rocprim17ROCPRIM_400000_NS6detail17trampoline_kernelINS0_14default_configENS1_25partition_config_selectorILNS1_17partition_subalgoE8EN3c108BFloat16ENS0_10empty_typeEbEEZZNS1_14partition_implILS5_8ELb0ES3_jPKS7_PS8_PKS8_NS0_5tupleIJPS7_S8_EEENSG_IJSD_SD_EEENS0_18inequality_wrapperIN6hipcub16HIPCUB_304000_NS8EqualityEEEPlJS8_EEE10hipError_tPvRmT3_T4_T5_T6_T7_T9_mT8_P12ihipStream_tbDpT10_ENKUlT_T0_E_clISt17integral_constantIbLb0EES19_EEDaS14_S15_EUlS14_E_NS1_11comp_targetILNS1_3genE2ELNS1_11target_archE906ELNS1_3gpuE6ELNS1_3repE0EEENS1_30default_config_static_selectorELNS0_4arch9wavefront6targetE1EEEvT1_
	.globl	_ZN7rocprim17ROCPRIM_400000_NS6detail17trampoline_kernelINS0_14default_configENS1_25partition_config_selectorILNS1_17partition_subalgoE8EN3c108BFloat16ENS0_10empty_typeEbEEZZNS1_14partition_implILS5_8ELb0ES3_jPKS7_PS8_PKS8_NS0_5tupleIJPS7_S8_EEENSG_IJSD_SD_EEENS0_18inequality_wrapperIN6hipcub16HIPCUB_304000_NS8EqualityEEEPlJS8_EEE10hipError_tPvRmT3_T4_T5_T6_T7_T9_mT8_P12ihipStream_tbDpT10_ENKUlT_T0_E_clISt17integral_constantIbLb0EES19_EEDaS14_S15_EUlS14_E_NS1_11comp_targetILNS1_3genE2ELNS1_11target_archE906ELNS1_3gpuE6ELNS1_3repE0EEENS1_30default_config_static_selectorELNS0_4arch9wavefront6targetE1EEEvT1_
	.p2align	8
	.type	_ZN7rocprim17ROCPRIM_400000_NS6detail17trampoline_kernelINS0_14default_configENS1_25partition_config_selectorILNS1_17partition_subalgoE8EN3c108BFloat16ENS0_10empty_typeEbEEZZNS1_14partition_implILS5_8ELb0ES3_jPKS7_PS8_PKS8_NS0_5tupleIJPS7_S8_EEENSG_IJSD_SD_EEENS0_18inequality_wrapperIN6hipcub16HIPCUB_304000_NS8EqualityEEEPlJS8_EEE10hipError_tPvRmT3_T4_T5_T6_T7_T9_mT8_P12ihipStream_tbDpT10_ENKUlT_T0_E_clISt17integral_constantIbLb0EES19_EEDaS14_S15_EUlS14_E_NS1_11comp_targetILNS1_3genE2ELNS1_11target_archE906ELNS1_3gpuE6ELNS1_3repE0EEENS1_30default_config_static_selectorELNS0_4arch9wavefront6targetE1EEEvT1_,@function
_ZN7rocprim17ROCPRIM_400000_NS6detail17trampoline_kernelINS0_14default_configENS1_25partition_config_selectorILNS1_17partition_subalgoE8EN3c108BFloat16ENS0_10empty_typeEbEEZZNS1_14partition_implILS5_8ELb0ES3_jPKS7_PS8_PKS8_NS0_5tupleIJPS7_S8_EEENSG_IJSD_SD_EEENS0_18inequality_wrapperIN6hipcub16HIPCUB_304000_NS8EqualityEEEPlJS8_EEE10hipError_tPvRmT3_T4_T5_T6_T7_T9_mT8_P12ihipStream_tbDpT10_ENKUlT_T0_E_clISt17integral_constantIbLb0EES19_EEDaS14_S15_EUlS14_E_NS1_11comp_targetILNS1_3genE2ELNS1_11target_archE906ELNS1_3gpuE6ELNS1_3repE0EEENS1_30default_config_static_selectorELNS0_4arch9wavefront6targetE1EEEvT1_: ; @_ZN7rocprim17ROCPRIM_400000_NS6detail17trampoline_kernelINS0_14default_configENS1_25partition_config_selectorILNS1_17partition_subalgoE8EN3c108BFloat16ENS0_10empty_typeEbEEZZNS1_14partition_implILS5_8ELb0ES3_jPKS7_PS8_PKS8_NS0_5tupleIJPS7_S8_EEENSG_IJSD_SD_EEENS0_18inequality_wrapperIN6hipcub16HIPCUB_304000_NS8EqualityEEEPlJS8_EEE10hipError_tPvRmT3_T4_T5_T6_T7_T9_mT8_P12ihipStream_tbDpT10_ENKUlT_T0_E_clISt17integral_constantIbLb0EES19_EEDaS14_S15_EUlS14_E_NS1_11comp_targetILNS1_3genE2ELNS1_11target_archE906ELNS1_3gpuE6ELNS1_3repE0EEENS1_30default_config_static_selectorELNS0_4arch9wavefront6targetE1EEEvT1_
; %bb.0:
	.section	.rodata,"a",@progbits
	.p2align	6, 0x0
	.amdhsa_kernel _ZN7rocprim17ROCPRIM_400000_NS6detail17trampoline_kernelINS0_14default_configENS1_25partition_config_selectorILNS1_17partition_subalgoE8EN3c108BFloat16ENS0_10empty_typeEbEEZZNS1_14partition_implILS5_8ELb0ES3_jPKS7_PS8_PKS8_NS0_5tupleIJPS7_S8_EEENSG_IJSD_SD_EEENS0_18inequality_wrapperIN6hipcub16HIPCUB_304000_NS8EqualityEEEPlJS8_EEE10hipError_tPvRmT3_T4_T5_T6_T7_T9_mT8_P12ihipStream_tbDpT10_ENKUlT_T0_E_clISt17integral_constantIbLb0EES19_EEDaS14_S15_EUlS14_E_NS1_11comp_targetILNS1_3genE2ELNS1_11target_archE906ELNS1_3gpuE6ELNS1_3repE0EEENS1_30default_config_static_selectorELNS0_4arch9wavefront6targetE1EEEvT1_
		.amdhsa_group_segment_fixed_size 0
		.amdhsa_private_segment_fixed_size 0
		.amdhsa_kernarg_size 112
		.amdhsa_user_sgpr_count 6
		.amdhsa_user_sgpr_private_segment_buffer 1
		.amdhsa_user_sgpr_dispatch_ptr 0
		.amdhsa_user_sgpr_queue_ptr 0
		.amdhsa_user_sgpr_kernarg_segment_ptr 1
		.amdhsa_user_sgpr_dispatch_id 0
		.amdhsa_user_sgpr_flat_scratch_init 0
		.amdhsa_user_sgpr_kernarg_preload_length 0
		.amdhsa_user_sgpr_kernarg_preload_offset 0
		.amdhsa_user_sgpr_private_segment_size 0
		.amdhsa_uses_dynamic_stack 0
		.amdhsa_system_sgpr_private_segment_wavefront_offset 0
		.amdhsa_system_sgpr_workgroup_id_x 1
		.amdhsa_system_sgpr_workgroup_id_y 0
		.amdhsa_system_sgpr_workgroup_id_z 0
		.amdhsa_system_sgpr_workgroup_info 0
		.amdhsa_system_vgpr_workitem_id 0
		.amdhsa_next_free_vgpr 1
		.amdhsa_next_free_sgpr 0
		.amdhsa_accum_offset 4
		.amdhsa_reserve_vcc 0
		.amdhsa_reserve_flat_scratch 0
		.amdhsa_float_round_mode_32 0
		.amdhsa_float_round_mode_16_64 0
		.amdhsa_float_denorm_mode_32 3
		.amdhsa_float_denorm_mode_16_64 3
		.amdhsa_dx10_clamp 1
		.amdhsa_ieee_mode 1
		.amdhsa_fp16_overflow 0
		.amdhsa_tg_split 0
		.amdhsa_exception_fp_ieee_invalid_op 0
		.amdhsa_exception_fp_denorm_src 0
		.amdhsa_exception_fp_ieee_div_zero 0
		.amdhsa_exception_fp_ieee_overflow 0
		.amdhsa_exception_fp_ieee_underflow 0
		.amdhsa_exception_fp_ieee_inexact 0
		.amdhsa_exception_int_div_zero 0
	.end_amdhsa_kernel
	.section	.text._ZN7rocprim17ROCPRIM_400000_NS6detail17trampoline_kernelINS0_14default_configENS1_25partition_config_selectorILNS1_17partition_subalgoE8EN3c108BFloat16ENS0_10empty_typeEbEEZZNS1_14partition_implILS5_8ELb0ES3_jPKS7_PS8_PKS8_NS0_5tupleIJPS7_S8_EEENSG_IJSD_SD_EEENS0_18inequality_wrapperIN6hipcub16HIPCUB_304000_NS8EqualityEEEPlJS8_EEE10hipError_tPvRmT3_T4_T5_T6_T7_T9_mT8_P12ihipStream_tbDpT10_ENKUlT_T0_E_clISt17integral_constantIbLb0EES19_EEDaS14_S15_EUlS14_E_NS1_11comp_targetILNS1_3genE2ELNS1_11target_archE906ELNS1_3gpuE6ELNS1_3repE0EEENS1_30default_config_static_selectorELNS0_4arch9wavefront6targetE1EEEvT1_,"axG",@progbits,_ZN7rocprim17ROCPRIM_400000_NS6detail17trampoline_kernelINS0_14default_configENS1_25partition_config_selectorILNS1_17partition_subalgoE8EN3c108BFloat16ENS0_10empty_typeEbEEZZNS1_14partition_implILS5_8ELb0ES3_jPKS7_PS8_PKS8_NS0_5tupleIJPS7_S8_EEENSG_IJSD_SD_EEENS0_18inequality_wrapperIN6hipcub16HIPCUB_304000_NS8EqualityEEEPlJS8_EEE10hipError_tPvRmT3_T4_T5_T6_T7_T9_mT8_P12ihipStream_tbDpT10_ENKUlT_T0_E_clISt17integral_constantIbLb0EES19_EEDaS14_S15_EUlS14_E_NS1_11comp_targetILNS1_3genE2ELNS1_11target_archE906ELNS1_3gpuE6ELNS1_3repE0EEENS1_30default_config_static_selectorELNS0_4arch9wavefront6targetE1EEEvT1_,comdat
.Lfunc_end828:
	.size	_ZN7rocprim17ROCPRIM_400000_NS6detail17trampoline_kernelINS0_14default_configENS1_25partition_config_selectorILNS1_17partition_subalgoE8EN3c108BFloat16ENS0_10empty_typeEbEEZZNS1_14partition_implILS5_8ELb0ES3_jPKS7_PS8_PKS8_NS0_5tupleIJPS7_S8_EEENSG_IJSD_SD_EEENS0_18inequality_wrapperIN6hipcub16HIPCUB_304000_NS8EqualityEEEPlJS8_EEE10hipError_tPvRmT3_T4_T5_T6_T7_T9_mT8_P12ihipStream_tbDpT10_ENKUlT_T0_E_clISt17integral_constantIbLb0EES19_EEDaS14_S15_EUlS14_E_NS1_11comp_targetILNS1_3genE2ELNS1_11target_archE906ELNS1_3gpuE6ELNS1_3repE0EEENS1_30default_config_static_selectorELNS0_4arch9wavefront6targetE1EEEvT1_, .Lfunc_end828-_ZN7rocprim17ROCPRIM_400000_NS6detail17trampoline_kernelINS0_14default_configENS1_25partition_config_selectorILNS1_17partition_subalgoE8EN3c108BFloat16ENS0_10empty_typeEbEEZZNS1_14partition_implILS5_8ELb0ES3_jPKS7_PS8_PKS8_NS0_5tupleIJPS7_S8_EEENSG_IJSD_SD_EEENS0_18inequality_wrapperIN6hipcub16HIPCUB_304000_NS8EqualityEEEPlJS8_EEE10hipError_tPvRmT3_T4_T5_T6_T7_T9_mT8_P12ihipStream_tbDpT10_ENKUlT_T0_E_clISt17integral_constantIbLb0EES19_EEDaS14_S15_EUlS14_E_NS1_11comp_targetILNS1_3genE2ELNS1_11target_archE906ELNS1_3gpuE6ELNS1_3repE0EEENS1_30default_config_static_selectorELNS0_4arch9wavefront6targetE1EEEvT1_
                                        ; -- End function
	.section	.AMDGPU.csdata,"",@progbits
; Kernel info:
; codeLenInByte = 0
; NumSgprs: 4
; NumVgprs: 0
; NumAgprs: 0
; TotalNumVgprs: 0
; ScratchSize: 0
; MemoryBound: 0
; FloatMode: 240
; IeeeMode: 1
; LDSByteSize: 0 bytes/workgroup (compile time only)
; SGPRBlocks: 0
; VGPRBlocks: 0
; NumSGPRsForWavesPerEU: 4
; NumVGPRsForWavesPerEU: 1
; AccumOffset: 4
; Occupancy: 8
; WaveLimiterHint : 0
; COMPUTE_PGM_RSRC2:SCRATCH_EN: 0
; COMPUTE_PGM_RSRC2:USER_SGPR: 6
; COMPUTE_PGM_RSRC2:TRAP_HANDLER: 0
; COMPUTE_PGM_RSRC2:TGID_X_EN: 1
; COMPUTE_PGM_RSRC2:TGID_Y_EN: 0
; COMPUTE_PGM_RSRC2:TGID_Z_EN: 0
; COMPUTE_PGM_RSRC2:TIDIG_COMP_CNT: 0
; COMPUTE_PGM_RSRC3_GFX90A:ACCUM_OFFSET: 0
; COMPUTE_PGM_RSRC3_GFX90A:TG_SPLIT: 0
	.section	.text._ZN7rocprim17ROCPRIM_400000_NS6detail17trampoline_kernelINS0_14default_configENS1_25partition_config_selectorILNS1_17partition_subalgoE8EN3c108BFloat16ENS0_10empty_typeEbEEZZNS1_14partition_implILS5_8ELb0ES3_jPKS7_PS8_PKS8_NS0_5tupleIJPS7_S8_EEENSG_IJSD_SD_EEENS0_18inequality_wrapperIN6hipcub16HIPCUB_304000_NS8EqualityEEEPlJS8_EEE10hipError_tPvRmT3_T4_T5_T6_T7_T9_mT8_P12ihipStream_tbDpT10_ENKUlT_T0_E_clISt17integral_constantIbLb0EES19_EEDaS14_S15_EUlS14_E_NS1_11comp_targetILNS1_3genE10ELNS1_11target_archE1200ELNS1_3gpuE4ELNS1_3repE0EEENS1_30default_config_static_selectorELNS0_4arch9wavefront6targetE1EEEvT1_,"axG",@progbits,_ZN7rocprim17ROCPRIM_400000_NS6detail17trampoline_kernelINS0_14default_configENS1_25partition_config_selectorILNS1_17partition_subalgoE8EN3c108BFloat16ENS0_10empty_typeEbEEZZNS1_14partition_implILS5_8ELb0ES3_jPKS7_PS8_PKS8_NS0_5tupleIJPS7_S8_EEENSG_IJSD_SD_EEENS0_18inequality_wrapperIN6hipcub16HIPCUB_304000_NS8EqualityEEEPlJS8_EEE10hipError_tPvRmT3_T4_T5_T6_T7_T9_mT8_P12ihipStream_tbDpT10_ENKUlT_T0_E_clISt17integral_constantIbLb0EES19_EEDaS14_S15_EUlS14_E_NS1_11comp_targetILNS1_3genE10ELNS1_11target_archE1200ELNS1_3gpuE4ELNS1_3repE0EEENS1_30default_config_static_selectorELNS0_4arch9wavefront6targetE1EEEvT1_,comdat
	.protected	_ZN7rocprim17ROCPRIM_400000_NS6detail17trampoline_kernelINS0_14default_configENS1_25partition_config_selectorILNS1_17partition_subalgoE8EN3c108BFloat16ENS0_10empty_typeEbEEZZNS1_14partition_implILS5_8ELb0ES3_jPKS7_PS8_PKS8_NS0_5tupleIJPS7_S8_EEENSG_IJSD_SD_EEENS0_18inequality_wrapperIN6hipcub16HIPCUB_304000_NS8EqualityEEEPlJS8_EEE10hipError_tPvRmT3_T4_T5_T6_T7_T9_mT8_P12ihipStream_tbDpT10_ENKUlT_T0_E_clISt17integral_constantIbLb0EES19_EEDaS14_S15_EUlS14_E_NS1_11comp_targetILNS1_3genE10ELNS1_11target_archE1200ELNS1_3gpuE4ELNS1_3repE0EEENS1_30default_config_static_selectorELNS0_4arch9wavefront6targetE1EEEvT1_ ; -- Begin function _ZN7rocprim17ROCPRIM_400000_NS6detail17trampoline_kernelINS0_14default_configENS1_25partition_config_selectorILNS1_17partition_subalgoE8EN3c108BFloat16ENS0_10empty_typeEbEEZZNS1_14partition_implILS5_8ELb0ES3_jPKS7_PS8_PKS8_NS0_5tupleIJPS7_S8_EEENSG_IJSD_SD_EEENS0_18inequality_wrapperIN6hipcub16HIPCUB_304000_NS8EqualityEEEPlJS8_EEE10hipError_tPvRmT3_T4_T5_T6_T7_T9_mT8_P12ihipStream_tbDpT10_ENKUlT_T0_E_clISt17integral_constantIbLb0EES19_EEDaS14_S15_EUlS14_E_NS1_11comp_targetILNS1_3genE10ELNS1_11target_archE1200ELNS1_3gpuE4ELNS1_3repE0EEENS1_30default_config_static_selectorELNS0_4arch9wavefront6targetE1EEEvT1_
	.globl	_ZN7rocprim17ROCPRIM_400000_NS6detail17trampoline_kernelINS0_14default_configENS1_25partition_config_selectorILNS1_17partition_subalgoE8EN3c108BFloat16ENS0_10empty_typeEbEEZZNS1_14partition_implILS5_8ELb0ES3_jPKS7_PS8_PKS8_NS0_5tupleIJPS7_S8_EEENSG_IJSD_SD_EEENS0_18inequality_wrapperIN6hipcub16HIPCUB_304000_NS8EqualityEEEPlJS8_EEE10hipError_tPvRmT3_T4_T5_T6_T7_T9_mT8_P12ihipStream_tbDpT10_ENKUlT_T0_E_clISt17integral_constantIbLb0EES19_EEDaS14_S15_EUlS14_E_NS1_11comp_targetILNS1_3genE10ELNS1_11target_archE1200ELNS1_3gpuE4ELNS1_3repE0EEENS1_30default_config_static_selectorELNS0_4arch9wavefront6targetE1EEEvT1_
	.p2align	8
	.type	_ZN7rocprim17ROCPRIM_400000_NS6detail17trampoline_kernelINS0_14default_configENS1_25partition_config_selectorILNS1_17partition_subalgoE8EN3c108BFloat16ENS0_10empty_typeEbEEZZNS1_14partition_implILS5_8ELb0ES3_jPKS7_PS8_PKS8_NS0_5tupleIJPS7_S8_EEENSG_IJSD_SD_EEENS0_18inequality_wrapperIN6hipcub16HIPCUB_304000_NS8EqualityEEEPlJS8_EEE10hipError_tPvRmT3_T4_T5_T6_T7_T9_mT8_P12ihipStream_tbDpT10_ENKUlT_T0_E_clISt17integral_constantIbLb0EES19_EEDaS14_S15_EUlS14_E_NS1_11comp_targetILNS1_3genE10ELNS1_11target_archE1200ELNS1_3gpuE4ELNS1_3repE0EEENS1_30default_config_static_selectorELNS0_4arch9wavefront6targetE1EEEvT1_,@function
_ZN7rocprim17ROCPRIM_400000_NS6detail17trampoline_kernelINS0_14default_configENS1_25partition_config_selectorILNS1_17partition_subalgoE8EN3c108BFloat16ENS0_10empty_typeEbEEZZNS1_14partition_implILS5_8ELb0ES3_jPKS7_PS8_PKS8_NS0_5tupleIJPS7_S8_EEENSG_IJSD_SD_EEENS0_18inequality_wrapperIN6hipcub16HIPCUB_304000_NS8EqualityEEEPlJS8_EEE10hipError_tPvRmT3_T4_T5_T6_T7_T9_mT8_P12ihipStream_tbDpT10_ENKUlT_T0_E_clISt17integral_constantIbLb0EES19_EEDaS14_S15_EUlS14_E_NS1_11comp_targetILNS1_3genE10ELNS1_11target_archE1200ELNS1_3gpuE4ELNS1_3repE0EEENS1_30default_config_static_selectorELNS0_4arch9wavefront6targetE1EEEvT1_: ; @_ZN7rocprim17ROCPRIM_400000_NS6detail17trampoline_kernelINS0_14default_configENS1_25partition_config_selectorILNS1_17partition_subalgoE8EN3c108BFloat16ENS0_10empty_typeEbEEZZNS1_14partition_implILS5_8ELb0ES3_jPKS7_PS8_PKS8_NS0_5tupleIJPS7_S8_EEENSG_IJSD_SD_EEENS0_18inequality_wrapperIN6hipcub16HIPCUB_304000_NS8EqualityEEEPlJS8_EEE10hipError_tPvRmT3_T4_T5_T6_T7_T9_mT8_P12ihipStream_tbDpT10_ENKUlT_T0_E_clISt17integral_constantIbLb0EES19_EEDaS14_S15_EUlS14_E_NS1_11comp_targetILNS1_3genE10ELNS1_11target_archE1200ELNS1_3gpuE4ELNS1_3repE0EEENS1_30default_config_static_selectorELNS0_4arch9wavefront6targetE1EEEvT1_
; %bb.0:
	.section	.rodata,"a",@progbits
	.p2align	6, 0x0
	.amdhsa_kernel _ZN7rocprim17ROCPRIM_400000_NS6detail17trampoline_kernelINS0_14default_configENS1_25partition_config_selectorILNS1_17partition_subalgoE8EN3c108BFloat16ENS0_10empty_typeEbEEZZNS1_14partition_implILS5_8ELb0ES3_jPKS7_PS8_PKS8_NS0_5tupleIJPS7_S8_EEENSG_IJSD_SD_EEENS0_18inequality_wrapperIN6hipcub16HIPCUB_304000_NS8EqualityEEEPlJS8_EEE10hipError_tPvRmT3_T4_T5_T6_T7_T9_mT8_P12ihipStream_tbDpT10_ENKUlT_T0_E_clISt17integral_constantIbLb0EES19_EEDaS14_S15_EUlS14_E_NS1_11comp_targetILNS1_3genE10ELNS1_11target_archE1200ELNS1_3gpuE4ELNS1_3repE0EEENS1_30default_config_static_selectorELNS0_4arch9wavefront6targetE1EEEvT1_
		.amdhsa_group_segment_fixed_size 0
		.amdhsa_private_segment_fixed_size 0
		.amdhsa_kernarg_size 112
		.amdhsa_user_sgpr_count 6
		.amdhsa_user_sgpr_private_segment_buffer 1
		.amdhsa_user_sgpr_dispatch_ptr 0
		.amdhsa_user_sgpr_queue_ptr 0
		.amdhsa_user_sgpr_kernarg_segment_ptr 1
		.amdhsa_user_sgpr_dispatch_id 0
		.amdhsa_user_sgpr_flat_scratch_init 0
		.amdhsa_user_sgpr_kernarg_preload_length 0
		.amdhsa_user_sgpr_kernarg_preload_offset 0
		.amdhsa_user_sgpr_private_segment_size 0
		.amdhsa_uses_dynamic_stack 0
		.amdhsa_system_sgpr_private_segment_wavefront_offset 0
		.amdhsa_system_sgpr_workgroup_id_x 1
		.amdhsa_system_sgpr_workgroup_id_y 0
		.amdhsa_system_sgpr_workgroup_id_z 0
		.amdhsa_system_sgpr_workgroup_info 0
		.amdhsa_system_vgpr_workitem_id 0
		.amdhsa_next_free_vgpr 1
		.amdhsa_next_free_sgpr 0
		.amdhsa_accum_offset 4
		.amdhsa_reserve_vcc 0
		.amdhsa_reserve_flat_scratch 0
		.amdhsa_float_round_mode_32 0
		.amdhsa_float_round_mode_16_64 0
		.amdhsa_float_denorm_mode_32 3
		.amdhsa_float_denorm_mode_16_64 3
		.amdhsa_dx10_clamp 1
		.amdhsa_ieee_mode 1
		.amdhsa_fp16_overflow 0
		.amdhsa_tg_split 0
		.amdhsa_exception_fp_ieee_invalid_op 0
		.amdhsa_exception_fp_denorm_src 0
		.amdhsa_exception_fp_ieee_div_zero 0
		.amdhsa_exception_fp_ieee_overflow 0
		.amdhsa_exception_fp_ieee_underflow 0
		.amdhsa_exception_fp_ieee_inexact 0
		.amdhsa_exception_int_div_zero 0
	.end_amdhsa_kernel
	.section	.text._ZN7rocprim17ROCPRIM_400000_NS6detail17trampoline_kernelINS0_14default_configENS1_25partition_config_selectorILNS1_17partition_subalgoE8EN3c108BFloat16ENS0_10empty_typeEbEEZZNS1_14partition_implILS5_8ELb0ES3_jPKS7_PS8_PKS8_NS0_5tupleIJPS7_S8_EEENSG_IJSD_SD_EEENS0_18inequality_wrapperIN6hipcub16HIPCUB_304000_NS8EqualityEEEPlJS8_EEE10hipError_tPvRmT3_T4_T5_T6_T7_T9_mT8_P12ihipStream_tbDpT10_ENKUlT_T0_E_clISt17integral_constantIbLb0EES19_EEDaS14_S15_EUlS14_E_NS1_11comp_targetILNS1_3genE10ELNS1_11target_archE1200ELNS1_3gpuE4ELNS1_3repE0EEENS1_30default_config_static_selectorELNS0_4arch9wavefront6targetE1EEEvT1_,"axG",@progbits,_ZN7rocprim17ROCPRIM_400000_NS6detail17trampoline_kernelINS0_14default_configENS1_25partition_config_selectorILNS1_17partition_subalgoE8EN3c108BFloat16ENS0_10empty_typeEbEEZZNS1_14partition_implILS5_8ELb0ES3_jPKS7_PS8_PKS8_NS0_5tupleIJPS7_S8_EEENSG_IJSD_SD_EEENS0_18inequality_wrapperIN6hipcub16HIPCUB_304000_NS8EqualityEEEPlJS8_EEE10hipError_tPvRmT3_T4_T5_T6_T7_T9_mT8_P12ihipStream_tbDpT10_ENKUlT_T0_E_clISt17integral_constantIbLb0EES19_EEDaS14_S15_EUlS14_E_NS1_11comp_targetILNS1_3genE10ELNS1_11target_archE1200ELNS1_3gpuE4ELNS1_3repE0EEENS1_30default_config_static_selectorELNS0_4arch9wavefront6targetE1EEEvT1_,comdat
.Lfunc_end829:
	.size	_ZN7rocprim17ROCPRIM_400000_NS6detail17trampoline_kernelINS0_14default_configENS1_25partition_config_selectorILNS1_17partition_subalgoE8EN3c108BFloat16ENS0_10empty_typeEbEEZZNS1_14partition_implILS5_8ELb0ES3_jPKS7_PS8_PKS8_NS0_5tupleIJPS7_S8_EEENSG_IJSD_SD_EEENS0_18inequality_wrapperIN6hipcub16HIPCUB_304000_NS8EqualityEEEPlJS8_EEE10hipError_tPvRmT3_T4_T5_T6_T7_T9_mT8_P12ihipStream_tbDpT10_ENKUlT_T0_E_clISt17integral_constantIbLb0EES19_EEDaS14_S15_EUlS14_E_NS1_11comp_targetILNS1_3genE10ELNS1_11target_archE1200ELNS1_3gpuE4ELNS1_3repE0EEENS1_30default_config_static_selectorELNS0_4arch9wavefront6targetE1EEEvT1_, .Lfunc_end829-_ZN7rocprim17ROCPRIM_400000_NS6detail17trampoline_kernelINS0_14default_configENS1_25partition_config_selectorILNS1_17partition_subalgoE8EN3c108BFloat16ENS0_10empty_typeEbEEZZNS1_14partition_implILS5_8ELb0ES3_jPKS7_PS8_PKS8_NS0_5tupleIJPS7_S8_EEENSG_IJSD_SD_EEENS0_18inequality_wrapperIN6hipcub16HIPCUB_304000_NS8EqualityEEEPlJS8_EEE10hipError_tPvRmT3_T4_T5_T6_T7_T9_mT8_P12ihipStream_tbDpT10_ENKUlT_T0_E_clISt17integral_constantIbLb0EES19_EEDaS14_S15_EUlS14_E_NS1_11comp_targetILNS1_3genE10ELNS1_11target_archE1200ELNS1_3gpuE4ELNS1_3repE0EEENS1_30default_config_static_selectorELNS0_4arch9wavefront6targetE1EEEvT1_
                                        ; -- End function
	.section	.AMDGPU.csdata,"",@progbits
; Kernel info:
; codeLenInByte = 0
; NumSgprs: 4
; NumVgprs: 0
; NumAgprs: 0
; TotalNumVgprs: 0
; ScratchSize: 0
; MemoryBound: 0
; FloatMode: 240
; IeeeMode: 1
; LDSByteSize: 0 bytes/workgroup (compile time only)
; SGPRBlocks: 0
; VGPRBlocks: 0
; NumSGPRsForWavesPerEU: 4
; NumVGPRsForWavesPerEU: 1
; AccumOffset: 4
; Occupancy: 8
; WaveLimiterHint : 0
; COMPUTE_PGM_RSRC2:SCRATCH_EN: 0
; COMPUTE_PGM_RSRC2:USER_SGPR: 6
; COMPUTE_PGM_RSRC2:TRAP_HANDLER: 0
; COMPUTE_PGM_RSRC2:TGID_X_EN: 1
; COMPUTE_PGM_RSRC2:TGID_Y_EN: 0
; COMPUTE_PGM_RSRC2:TGID_Z_EN: 0
; COMPUTE_PGM_RSRC2:TIDIG_COMP_CNT: 0
; COMPUTE_PGM_RSRC3_GFX90A:ACCUM_OFFSET: 0
; COMPUTE_PGM_RSRC3_GFX90A:TG_SPLIT: 0
	.section	.text._ZN7rocprim17ROCPRIM_400000_NS6detail17trampoline_kernelINS0_14default_configENS1_25partition_config_selectorILNS1_17partition_subalgoE8EN3c108BFloat16ENS0_10empty_typeEbEEZZNS1_14partition_implILS5_8ELb0ES3_jPKS7_PS8_PKS8_NS0_5tupleIJPS7_S8_EEENSG_IJSD_SD_EEENS0_18inequality_wrapperIN6hipcub16HIPCUB_304000_NS8EqualityEEEPlJS8_EEE10hipError_tPvRmT3_T4_T5_T6_T7_T9_mT8_P12ihipStream_tbDpT10_ENKUlT_T0_E_clISt17integral_constantIbLb0EES19_EEDaS14_S15_EUlS14_E_NS1_11comp_targetILNS1_3genE9ELNS1_11target_archE1100ELNS1_3gpuE3ELNS1_3repE0EEENS1_30default_config_static_selectorELNS0_4arch9wavefront6targetE1EEEvT1_,"axG",@progbits,_ZN7rocprim17ROCPRIM_400000_NS6detail17trampoline_kernelINS0_14default_configENS1_25partition_config_selectorILNS1_17partition_subalgoE8EN3c108BFloat16ENS0_10empty_typeEbEEZZNS1_14partition_implILS5_8ELb0ES3_jPKS7_PS8_PKS8_NS0_5tupleIJPS7_S8_EEENSG_IJSD_SD_EEENS0_18inequality_wrapperIN6hipcub16HIPCUB_304000_NS8EqualityEEEPlJS8_EEE10hipError_tPvRmT3_T4_T5_T6_T7_T9_mT8_P12ihipStream_tbDpT10_ENKUlT_T0_E_clISt17integral_constantIbLb0EES19_EEDaS14_S15_EUlS14_E_NS1_11comp_targetILNS1_3genE9ELNS1_11target_archE1100ELNS1_3gpuE3ELNS1_3repE0EEENS1_30default_config_static_selectorELNS0_4arch9wavefront6targetE1EEEvT1_,comdat
	.protected	_ZN7rocprim17ROCPRIM_400000_NS6detail17trampoline_kernelINS0_14default_configENS1_25partition_config_selectorILNS1_17partition_subalgoE8EN3c108BFloat16ENS0_10empty_typeEbEEZZNS1_14partition_implILS5_8ELb0ES3_jPKS7_PS8_PKS8_NS0_5tupleIJPS7_S8_EEENSG_IJSD_SD_EEENS0_18inequality_wrapperIN6hipcub16HIPCUB_304000_NS8EqualityEEEPlJS8_EEE10hipError_tPvRmT3_T4_T5_T6_T7_T9_mT8_P12ihipStream_tbDpT10_ENKUlT_T0_E_clISt17integral_constantIbLb0EES19_EEDaS14_S15_EUlS14_E_NS1_11comp_targetILNS1_3genE9ELNS1_11target_archE1100ELNS1_3gpuE3ELNS1_3repE0EEENS1_30default_config_static_selectorELNS0_4arch9wavefront6targetE1EEEvT1_ ; -- Begin function _ZN7rocprim17ROCPRIM_400000_NS6detail17trampoline_kernelINS0_14default_configENS1_25partition_config_selectorILNS1_17partition_subalgoE8EN3c108BFloat16ENS0_10empty_typeEbEEZZNS1_14partition_implILS5_8ELb0ES3_jPKS7_PS8_PKS8_NS0_5tupleIJPS7_S8_EEENSG_IJSD_SD_EEENS0_18inequality_wrapperIN6hipcub16HIPCUB_304000_NS8EqualityEEEPlJS8_EEE10hipError_tPvRmT3_T4_T5_T6_T7_T9_mT8_P12ihipStream_tbDpT10_ENKUlT_T0_E_clISt17integral_constantIbLb0EES19_EEDaS14_S15_EUlS14_E_NS1_11comp_targetILNS1_3genE9ELNS1_11target_archE1100ELNS1_3gpuE3ELNS1_3repE0EEENS1_30default_config_static_selectorELNS0_4arch9wavefront6targetE1EEEvT1_
	.globl	_ZN7rocprim17ROCPRIM_400000_NS6detail17trampoline_kernelINS0_14default_configENS1_25partition_config_selectorILNS1_17partition_subalgoE8EN3c108BFloat16ENS0_10empty_typeEbEEZZNS1_14partition_implILS5_8ELb0ES3_jPKS7_PS8_PKS8_NS0_5tupleIJPS7_S8_EEENSG_IJSD_SD_EEENS0_18inequality_wrapperIN6hipcub16HIPCUB_304000_NS8EqualityEEEPlJS8_EEE10hipError_tPvRmT3_T4_T5_T6_T7_T9_mT8_P12ihipStream_tbDpT10_ENKUlT_T0_E_clISt17integral_constantIbLb0EES19_EEDaS14_S15_EUlS14_E_NS1_11comp_targetILNS1_3genE9ELNS1_11target_archE1100ELNS1_3gpuE3ELNS1_3repE0EEENS1_30default_config_static_selectorELNS0_4arch9wavefront6targetE1EEEvT1_
	.p2align	8
	.type	_ZN7rocprim17ROCPRIM_400000_NS6detail17trampoline_kernelINS0_14default_configENS1_25partition_config_selectorILNS1_17partition_subalgoE8EN3c108BFloat16ENS0_10empty_typeEbEEZZNS1_14partition_implILS5_8ELb0ES3_jPKS7_PS8_PKS8_NS0_5tupleIJPS7_S8_EEENSG_IJSD_SD_EEENS0_18inequality_wrapperIN6hipcub16HIPCUB_304000_NS8EqualityEEEPlJS8_EEE10hipError_tPvRmT3_T4_T5_T6_T7_T9_mT8_P12ihipStream_tbDpT10_ENKUlT_T0_E_clISt17integral_constantIbLb0EES19_EEDaS14_S15_EUlS14_E_NS1_11comp_targetILNS1_3genE9ELNS1_11target_archE1100ELNS1_3gpuE3ELNS1_3repE0EEENS1_30default_config_static_selectorELNS0_4arch9wavefront6targetE1EEEvT1_,@function
_ZN7rocprim17ROCPRIM_400000_NS6detail17trampoline_kernelINS0_14default_configENS1_25partition_config_selectorILNS1_17partition_subalgoE8EN3c108BFloat16ENS0_10empty_typeEbEEZZNS1_14partition_implILS5_8ELb0ES3_jPKS7_PS8_PKS8_NS0_5tupleIJPS7_S8_EEENSG_IJSD_SD_EEENS0_18inequality_wrapperIN6hipcub16HIPCUB_304000_NS8EqualityEEEPlJS8_EEE10hipError_tPvRmT3_T4_T5_T6_T7_T9_mT8_P12ihipStream_tbDpT10_ENKUlT_T0_E_clISt17integral_constantIbLb0EES19_EEDaS14_S15_EUlS14_E_NS1_11comp_targetILNS1_3genE9ELNS1_11target_archE1100ELNS1_3gpuE3ELNS1_3repE0EEENS1_30default_config_static_selectorELNS0_4arch9wavefront6targetE1EEEvT1_: ; @_ZN7rocprim17ROCPRIM_400000_NS6detail17trampoline_kernelINS0_14default_configENS1_25partition_config_selectorILNS1_17partition_subalgoE8EN3c108BFloat16ENS0_10empty_typeEbEEZZNS1_14partition_implILS5_8ELb0ES3_jPKS7_PS8_PKS8_NS0_5tupleIJPS7_S8_EEENSG_IJSD_SD_EEENS0_18inequality_wrapperIN6hipcub16HIPCUB_304000_NS8EqualityEEEPlJS8_EEE10hipError_tPvRmT3_T4_T5_T6_T7_T9_mT8_P12ihipStream_tbDpT10_ENKUlT_T0_E_clISt17integral_constantIbLb0EES19_EEDaS14_S15_EUlS14_E_NS1_11comp_targetILNS1_3genE9ELNS1_11target_archE1100ELNS1_3gpuE3ELNS1_3repE0EEENS1_30default_config_static_selectorELNS0_4arch9wavefront6targetE1EEEvT1_
; %bb.0:
	.section	.rodata,"a",@progbits
	.p2align	6, 0x0
	.amdhsa_kernel _ZN7rocprim17ROCPRIM_400000_NS6detail17trampoline_kernelINS0_14default_configENS1_25partition_config_selectorILNS1_17partition_subalgoE8EN3c108BFloat16ENS0_10empty_typeEbEEZZNS1_14partition_implILS5_8ELb0ES3_jPKS7_PS8_PKS8_NS0_5tupleIJPS7_S8_EEENSG_IJSD_SD_EEENS0_18inequality_wrapperIN6hipcub16HIPCUB_304000_NS8EqualityEEEPlJS8_EEE10hipError_tPvRmT3_T4_T5_T6_T7_T9_mT8_P12ihipStream_tbDpT10_ENKUlT_T0_E_clISt17integral_constantIbLb0EES19_EEDaS14_S15_EUlS14_E_NS1_11comp_targetILNS1_3genE9ELNS1_11target_archE1100ELNS1_3gpuE3ELNS1_3repE0EEENS1_30default_config_static_selectorELNS0_4arch9wavefront6targetE1EEEvT1_
		.amdhsa_group_segment_fixed_size 0
		.amdhsa_private_segment_fixed_size 0
		.amdhsa_kernarg_size 112
		.amdhsa_user_sgpr_count 6
		.amdhsa_user_sgpr_private_segment_buffer 1
		.amdhsa_user_sgpr_dispatch_ptr 0
		.amdhsa_user_sgpr_queue_ptr 0
		.amdhsa_user_sgpr_kernarg_segment_ptr 1
		.amdhsa_user_sgpr_dispatch_id 0
		.amdhsa_user_sgpr_flat_scratch_init 0
		.amdhsa_user_sgpr_kernarg_preload_length 0
		.amdhsa_user_sgpr_kernarg_preload_offset 0
		.amdhsa_user_sgpr_private_segment_size 0
		.amdhsa_uses_dynamic_stack 0
		.amdhsa_system_sgpr_private_segment_wavefront_offset 0
		.amdhsa_system_sgpr_workgroup_id_x 1
		.amdhsa_system_sgpr_workgroup_id_y 0
		.amdhsa_system_sgpr_workgroup_id_z 0
		.amdhsa_system_sgpr_workgroup_info 0
		.amdhsa_system_vgpr_workitem_id 0
		.amdhsa_next_free_vgpr 1
		.amdhsa_next_free_sgpr 0
		.amdhsa_accum_offset 4
		.amdhsa_reserve_vcc 0
		.amdhsa_reserve_flat_scratch 0
		.amdhsa_float_round_mode_32 0
		.amdhsa_float_round_mode_16_64 0
		.amdhsa_float_denorm_mode_32 3
		.amdhsa_float_denorm_mode_16_64 3
		.amdhsa_dx10_clamp 1
		.amdhsa_ieee_mode 1
		.amdhsa_fp16_overflow 0
		.amdhsa_tg_split 0
		.amdhsa_exception_fp_ieee_invalid_op 0
		.amdhsa_exception_fp_denorm_src 0
		.amdhsa_exception_fp_ieee_div_zero 0
		.amdhsa_exception_fp_ieee_overflow 0
		.amdhsa_exception_fp_ieee_underflow 0
		.amdhsa_exception_fp_ieee_inexact 0
		.amdhsa_exception_int_div_zero 0
	.end_amdhsa_kernel
	.section	.text._ZN7rocprim17ROCPRIM_400000_NS6detail17trampoline_kernelINS0_14default_configENS1_25partition_config_selectorILNS1_17partition_subalgoE8EN3c108BFloat16ENS0_10empty_typeEbEEZZNS1_14partition_implILS5_8ELb0ES3_jPKS7_PS8_PKS8_NS0_5tupleIJPS7_S8_EEENSG_IJSD_SD_EEENS0_18inequality_wrapperIN6hipcub16HIPCUB_304000_NS8EqualityEEEPlJS8_EEE10hipError_tPvRmT3_T4_T5_T6_T7_T9_mT8_P12ihipStream_tbDpT10_ENKUlT_T0_E_clISt17integral_constantIbLb0EES19_EEDaS14_S15_EUlS14_E_NS1_11comp_targetILNS1_3genE9ELNS1_11target_archE1100ELNS1_3gpuE3ELNS1_3repE0EEENS1_30default_config_static_selectorELNS0_4arch9wavefront6targetE1EEEvT1_,"axG",@progbits,_ZN7rocprim17ROCPRIM_400000_NS6detail17trampoline_kernelINS0_14default_configENS1_25partition_config_selectorILNS1_17partition_subalgoE8EN3c108BFloat16ENS0_10empty_typeEbEEZZNS1_14partition_implILS5_8ELb0ES3_jPKS7_PS8_PKS8_NS0_5tupleIJPS7_S8_EEENSG_IJSD_SD_EEENS0_18inequality_wrapperIN6hipcub16HIPCUB_304000_NS8EqualityEEEPlJS8_EEE10hipError_tPvRmT3_T4_T5_T6_T7_T9_mT8_P12ihipStream_tbDpT10_ENKUlT_T0_E_clISt17integral_constantIbLb0EES19_EEDaS14_S15_EUlS14_E_NS1_11comp_targetILNS1_3genE9ELNS1_11target_archE1100ELNS1_3gpuE3ELNS1_3repE0EEENS1_30default_config_static_selectorELNS0_4arch9wavefront6targetE1EEEvT1_,comdat
.Lfunc_end830:
	.size	_ZN7rocprim17ROCPRIM_400000_NS6detail17trampoline_kernelINS0_14default_configENS1_25partition_config_selectorILNS1_17partition_subalgoE8EN3c108BFloat16ENS0_10empty_typeEbEEZZNS1_14partition_implILS5_8ELb0ES3_jPKS7_PS8_PKS8_NS0_5tupleIJPS7_S8_EEENSG_IJSD_SD_EEENS0_18inequality_wrapperIN6hipcub16HIPCUB_304000_NS8EqualityEEEPlJS8_EEE10hipError_tPvRmT3_T4_T5_T6_T7_T9_mT8_P12ihipStream_tbDpT10_ENKUlT_T0_E_clISt17integral_constantIbLb0EES19_EEDaS14_S15_EUlS14_E_NS1_11comp_targetILNS1_3genE9ELNS1_11target_archE1100ELNS1_3gpuE3ELNS1_3repE0EEENS1_30default_config_static_selectorELNS0_4arch9wavefront6targetE1EEEvT1_, .Lfunc_end830-_ZN7rocprim17ROCPRIM_400000_NS6detail17trampoline_kernelINS0_14default_configENS1_25partition_config_selectorILNS1_17partition_subalgoE8EN3c108BFloat16ENS0_10empty_typeEbEEZZNS1_14partition_implILS5_8ELb0ES3_jPKS7_PS8_PKS8_NS0_5tupleIJPS7_S8_EEENSG_IJSD_SD_EEENS0_18inequality_wrapperIN6hipcub16HIPCUB_304000_NS8EqualityEEEPlJS8_EEE10hipError_tPvRmT3_T4_T5_T6_T7_T9_mT8_P12ihipStream_tbDpT10_ENKUlT_T0_E_clISt17integral_constantIbLb0EES19_EEDaS14_S15_EUlS14_E_NS1_11comp_targetILNS1_3genE9ELNS1_11target_archE1100ELNS1_3gpuE3ELNS1_3repE0EEENS1_30default_config_static_selectorELNS0_4arch9wavefront6targetE1EEEvT1_
                                        ; -- End function
	.section	.AMDGPU.csdata,"",@progbits
; Kernel info:
; codeLenInByte = 0
; NumSgprs: 4
; NumVgprs: 0
; NumAgprs: 0
; TotalNumVgprs: 0
; ScratchSize: 0
; MemoryBound: 0
; FloatMode: 240
; IeeeMode: 1
; LDSByteSize: 0 bytes/workgroup (compile time only)
; SGPRBlocks: 0
; VGPRBlocks: 0
; NumSGPRsForWavesPerEU: 4
; NumVGPRsForWavesPerEU: 1
; AccumOffset: 4
; Occupancy: 8
; WaveLimiterHint : 0
; COMPUTE_PGM_RSRC2:SCRATCH_EN: 0
; COMPUTE_PGM_RSRC2:USER_SGPR: 6
; COMPUTE_PGM_RSRC2:TRAP_HANDLER: 0
; COMPUTE_PGM_RSRC2:TGID_X_EN: 1
; COMPUTE_PGM_RSRC2:TGID_Y_EN: 0
; COMPUTE_PGM_RSRC2:TGID_Z_EN: 0
; COMPUTE_PGM_RSRC2:TIDIG_COMP_CNT: 0
; COMPUTE_PGM_RSRC3_GFX90A:ACCUM_OFFSET: 0
; COMPUTE_PGM_RSRC3_GFX90A:TG_SPLIT: 0
	.section	.text._ZN7rocprim17ROCPRIM_400000_NS6detail17trampoline_kernelINS0_14default_configENS1_25partition_config_selectorILNS1_17partition_subalgoE8EN3c108BFloat16ENS0_10empty_typeEbEEZZNS1_14partition_implILS5_8ELb0ES3_jPKS7_PS8_PKS8_NS0_5tupleIJPS7_S8_EEENSG_IJSD_SD_EEENS0_18inequality_wrapperIN6hipcub16HIPCUB_304000_NS8EqualityEEEPlJS8_EEE10hipError_tPvRmT3_T4_T5_T6_T7_T9_mT8_P12ihipStream_tbDpT10_ENKUlT_T0_E_clISt17integral_constantIbLb0EES19_EEDaS14_S15_EUlS14_E_NS1_11comp_targetILNS1_3genE8ELNS1_11target_archE1030ELNS1_3gpuE2ELNS1_3repE0EEENS1_30default_config_static_selectorELNS0_4arch9wavefront6targetE1EEEvT1_,"axG",@progbits,_ZN7rocprim17ROCPRIM_400000_NS6detail17trampoline_kernelINS0_14default_configENS1_25partition_config_selectorILNS1_17partition_subalgoE8EN3c108BFloat16ENS0_10empty_typeEbEEZZNS1_14partition_implILS5_8ELb0ES3_jPKS7_PS8_PKS8_NS0_5tupleIJPS7_S8_EEENSG_IJSD_SD_EEENS0_18inequality_wrapperIN6hipcub16HIPCUB_304000_NS8EqualityEEEPlJS8_EEE10hipError_tPvRmT3_T4_T5_T6_T7_T9_mT8_P12ihipStream_tbDpT10_ENKUlT_T0_E_clISt17integral_constantIbLb0EES19_EEDaS14_S15_EUlS14_E_NS1_11comp_targetILNS1_3genE8ELNS1_11target_archE1030ELNS1_3gpuE2ELNS1_3repE0EEENS1_30default_config_static_selectorELNS0_4arch9wavefront6targetE1EEEvT1_,comdat
	.protected	_ZN7rocprim17ROCPRIM_400000_NS6detail17trampoline_kernelINS0_14default_configENS1_25partition_config_selectorILNS1_17partition_subalgoE8EN3c108BFloat16ENS0_10empty_typeEbEEZZNS1_14partition_implILS5_8ELb0ES3_jPKS7_PS8_PKS8_NS0_5tupleIJPS7_S8_EEENSG_IJSD_SD_EEENS0_18inequality_wrapperIN6hipcub16HIPCUB_304000_NS8EqualityEEEPlJS8_EEE10hipError_tPvRmT3_T4_T5_T6_T7_T9_mT8_P12ihipStream_tbDpT10_ENKUlT_T0_E_clISt17integral_constantIbLb0EES19_EEDaS14_S15_EUlS14_E_NS1_11comp_targetILNS1_3genE8ELNS1_11target_archE1030ELNS1_3gpuE2ELNS1_3repE0EEENS1_30default_config_static_selectorELNS0_4arch9wavefront6targetE1EEEvT1_ ; -- Begin function _ZN7rocprim17ROCPRIM_400000_NS6detail17trampoline_kernelINS0_14default_configENS1_25partition_config_selectorILNS1_17partition_subalgoE8EN3c108BFloat16ENS0_10empty_typeEbEEZZNS1_14partition_implILS5_8ELb0ES3_jPKS7_PS8_PKS8_NS0_5tupleIJPS7_S8_EEENSG_IJSD_SD_EEENS0_18inequality_wrapperIN6hipcub16HIPCUB_304000_NS8EqualityEEEPlJS8_EEE10hipError_tPvRmT3_T4_T5_T6_T7_T9_mT8_P12ihipStream_tbDpT10_ENKUlT_T0_E_clISt17integral_constantIbLb0EES19_EEDaS14_S15_EUlS14_E_NS1_11comp_targetILNS1_3genE8ELNS1_11target_archE1030ELNS1_3gpuE2ELNS1_3repE0EEENS1_30default_config_static_selectorELNS0_4arch9wavefront6targetE1EEEvT1_
	.globl	_ZN7rocprim17ROCPRIM_400000_NS6detail17trampoline_kernelINS0_14default_configENS1_25partition_config_selectorILNS1_17partition_subalgoE8EN3c108BFloat16ENS0_10empty_typeEbEEZZNS1_14partition_implILS5_8ELb0ES3_jPKS7_PS8_PKS8_NS0_5tupleIJPS7_S8_EEENSG_IJSD_SD_EEENS0_18inequality_wrapperIN6hipcub16HIPCUB_304000_NS8EqualityEEEPlJS8_EEE10hipError_tPvRmT3_T4_T5_T6_T7_T9_mT8_P12ihipStream_tbDpT10_ENKUlT_T0_E_clISt17integral_constantIbLb0EES19_EEDaS14_S15_EUlS14_E_NS1_11comp_targetILNS1_3genE8ELNS1_11target_archE1030ELNS1_3gpuE2ELNS1_3repE0EEENS1_30default_config_static_selectorELNS0_4arch9wavefront6targetE1EEEvT1_
	.p2align	8
	.type	_ZN7rocprim17ROCPRIM_400000_NS6detail17trampoline_kernelINS0_14default_configENS1_25partition_config_selectorILNS1_17partition_subalgoE8EN3c108BFloat16ENS0_10empty_typeEbEEZZNS1_14partition_implILS5_8ELb0ES3_jPKS7_PS8_PKS8_NS0_5tupleIJPS7_S8_EEENSG_IJSD_SD_EEENS0_18inequality_wrapperIN6hipcub16HIPCUB_304000_NS8EqualityEEEPlJS8_EEE10hipError_tPvRmT3_T4_T5_T6_T7_T9_mT8_P12ihipStream_tbDpT10_ENKUlT_T0_E_clISt17integral_constantIbLb0EES19_EEDaS14_S15_EUlS14_E_NS1_11comp_targetILNS1_3genE8ELNS1_11target_archE1030ELNS1_3gpuE2ELNS1_3repE0EEENS1_30default_config_static_selectorELNS0_4arch9wavefront6targetE1EEEvT1_,@function
_ZN7rocprim17ROCPRIM_400000_NS6detail17trampoline_kernelINS0_14default_configENS1_25partition_config_selectorILNS1_17partition_subalgoE8EN3c108BFloat16ENS0_10empty_typeEbEEZZNS1_14partition_implILS5_8ELb0ES3_jPKS7_PS8_PKS8_NS0_5tupleIJPS7_S8_EEENSG_IJSD_SD_EEENS0_18inequality_wrapperIN6hipcub16HIPCUB_304000_NS8EqualityEEEPlJS8_EEE10hipError_tPvRmT3_T4_T5_T6_T7_T9_mT8_P12ihipStream_tbDpT10_ENKUlT_T0_E_clISt17integral_constantIbLb0EES19_EEDaS14_S15_EUlS14_E_NS1_11comp_targetILNS1_3genE8ELNS1_11target_archE1030ELNS1_3gpuE2ELNS1_3repE0EEENS1_30default_config_static_selectorELNS0_4arch9wavefront6targetE1EEEvT1_: ; @_ZN7rocprim17ROCPRIM_400000_NS6detail17trampoline_kernelINS0_14default_configENS1_25partition_config_selectorILNS1_17partition_subalgoE8EN3c108BFloat16ENS0_10empty_typeEbEEZZNS1_14partition_implILS5_8ELb0ES3_jPKS7_PS8_PKS8_NS0_5tupleIJPS7_S8_EEENSG_IJSD_SD_EEENS0_18inequality_wrapperIN6hipcub16HIPCUB_304000_NS8EqualityEEEPlJS8_EEE10hipError_tPvRmT3_T4_T5_T6_T7_T9_mT8_P12ihipStream_tbDpT10_ENKUlT_T0_E_clISt17integral_constantIbLb0EES19_EEDaS14_S15_EUlS14_E_NS1_11comp_targetILNS1_3genE8ELNS1_11target_archE1030ELNS1_3gpuE2ELNS1_3repE0EEENS1_30default_config_static_selectorELNS0_4arch9wavefront6targetE1EEEvT1_
; %bb.0:
	.section	.rodata,"a",@progbits
	.p2align	6, 0x0
	.amdhsa_kernel _ZN7rocprim17ROCPRIM_400000_NS6detail17trampoline_kernelINS0_14default_configENS1_25partition_config_selectorILNS1_17partition_subalgoE8EN3c108BFloat16ENS0_10empty_typeEbEEZZNS1_14partition_implILS5_8ELb0ES3_jPKS7_PS8_PKS8_NS0_5tupleIJPS7_S8_EEENSG_IJSD_SD_EEENS0_18inequality_wrapperIN6hipcub16HIPCUB_304000_NS8EqualityEEEPlJS8_EEE10hipError_tPvRmT3_T4_T5_T6_T7_T9_mT8_P12ihipStream_tbDpT10_ENKUlT_T0_E_clISt17integral_constantIbLb0EES19_EEDaS14_S15_EUlS14_E_NS1_11comp_targetILNS1_3genE8ELNS1_11target_archE1030ELNS1_3gpuE2ELNS1_3repE0EEENS1_30default_config_static_selectorELNS0_4arch9wavefront6targetE1EEEvT1_
		.amdhsa_group_segment_fixed_size 0
		.amdhsa_private_segment_fixed_size 0
		.amdhsa_kernarg_size 112
		.amdhsa_user_sgpr_count 6
		.amdhsa_user_sgpr_private_segment_buffer 1
		.amdhsa_user_sgpr_dispatch_ptr 0
		.amdhsa_user_sgpr_queue_ptr 0
		.amdhsa_user_sgpr_kernarg_segment_ptr 1
		.amdhsa_user_sgpr_dispatch_id 0
		.amdhsa_user_sgpr_flat_scratch_init 0
		.amdhsa_user_sgpr_kernarg_preload_length 0
		.amdhsa_user_sgpr_kernarg_preload_offset 0
		.amdhsa_user_sgpr_private_segment_size 0
		.amdhsa_uses_dynamic_stack 0
		.amdhsa_system_sgpr_private_segment_wavefront_offset 0
		.amdhsa_system_sgpr_workgroup_id_x 1
		.amdhsa_system_sgpr_workgroup_id_y 0
		.amdhsa_system_sgpr_workgroup_id_z 0
		.amdhsa_system_sgpr_workgroup_info 0
		.amdhsa_system_vgpr_workitem_id 0
		.amdhsa_next_free_vgpr 1
		.amdhsa_next_free_sgpr 0
		.amdhsa_accum_offset 4
		.amdhsa_reserve_vcc 0
		.amdhsa_reserve_flat_scratch 0
		.amdhsa_float_round_mode_32 0
		.amdhsa_float_round_mode_16_64 0
		.amdhsa_float_denorm_mode_32 3
		.amdhsa_float_denorm_mode_16_64 3
		.amdhsa_dx10_clamp 1
		.amdhsa_ieee_mode 1
		.amdhsa_fp16_overflow 0
		.amdhsa_tg_split 0
		.amdhsa_exception_fp_ieee_invalid_op 0
		.amdhsa_exception_fp_denorm_src 0
		.amdhsa_exception_fp_ieee_div_zero 0
		.amdhsa_exception_fp_ieee_overflow 0
		.amdhsa_exception_fp_ieee_underflow 0
		.amdhsa_exception_fp_ieee_inexact 0
		.amdhsa_exception_int_div_zero 0
	.end_amdhsa_kernel
	.section	.text._ZN7rocprim17ROCPRIM_400000_NS6detail17trampoline_kernelINS0_14default_configENS1_25partition_config_selectorILNS1_17partition_subalgoE8EN3c108BFloat16ENS0_10empty_typeEbEEZZNS1_14partition_implILS5_8ELb0ES3_jPKS7_PS8_PKS8_NS0_5tupleIJPS7_S8_EEENSG_IJSD_SD_EEENS0_18inequality_wrapperIN6hipcub16HIPCUB_304000_NS8EqualityEEEPlJS8_EEE10hipError_tPvRmT3_T4_T5_T6_T7_T9_mT8_P12ihipStream_tbDpT10_ENKUlT_T0_E_clISt17integral_constantIbLb0EES19_EEDaS14_S15_EUlS14_E_NS1_11comp_targetILNS1_3genE8ELNS1_11target_archE1030ELNS1_3gpuE2ELNS1_3repE0EEENS1_30default_config_static_selectorELNS0_4arch9wavefront6targetE1EEEvT1_,"axG",@progbits,_ZN7rocprim17ROCPRIM_400000_NS6detail17trampoline_kernelINS0_14default_configENS1_25partition_config_selectorILNS1_17partition_subalgoE8EN3c108BFloat16ENS0_10empty_typeEbEEZZNS1_14partition_implILS5_8ELb0ES3_jPKS7_PS8_PKS8_NS0_5tupleIJPS7_S8_EEENSG_IJSD_SD_EEENS0_18inequality_wrapperIN6hipcub16HIPCUB_304000_NS8EqualityEEEPlJS8_EEE10hipError_tPvRmT3_T4_T5_T6_T7_T9_mT8_P12ihipStream_tbDpT10_ENKUlT_T0_E_clISt17integral_constantIbLb0EES19_EEDaS14_S15_EUlS14_E_NS1_11comp_targetILNS1_3genE8ELNS1_11target_archE1030ELNS1_3gpuE2ELNS1_3repE0EEENS1_30default_config_static_selectorELNS0_4arch9wavefront6targetE1EEEvT1_,comdat
.Lfunc_end831:
	.size	_ZN7rocprim17ROCPRIM_400000_NS6detail17trampoline_kernelINS0_14default_configENS1_25partition_config_selectorILNS1_17partition_subalgoE8EN3c108BFloat16ENS0_10empty_typeEbEEZZNS1_14partition_implILS5_8ELb0ES3_jPKS7_PS8_PKS8_NS0_5tupleIJPS7_S8_EEENSG_IJSD_SD_EEENS0_18inequality_wrapperIN6hipcub16HIPCUB_304000_NS8EqualityEEEPlJS8_EEE10hipError_tPvRmT3_T4_T5_T6_T7_T9_mT8_P12ihipStream_tbDpT10_ENKUlT_T0_E_clISt17integral_constantIbLb0EES19_EEDaS14_S15_EUlS14_E_NS1_11comp_targetILNS1_3genE8ELNS1_11target_archE1030ELNS1_3gpuE2ELNS1_3repE0EEENS1_30default_config_static_selectorELNS0_4arch9wavefront6targetE1EEEvT1_, .Lfunc_end831-_ZN7rocprim17ROCPRIM_400000_NS6detail17trampoline_kernelINS0_14default_configENS1_25partition_config_selectorILNS1_17partition_subalgoE8EN3c108BFloat16ENS0_10empty_typeEbEEZZNS1_14partition_implILS5_8ELb0ES3_jPKS7_PS8_PKS8_NS0_5tupleIJPS7_S8_EEENSG_IJSD_SD_EEENS0_18inequality_wrapperIN6hipcub16HIPCUB_304000_NS8EqualityEEEPlJS8_EEE10hipError_tPvRmT3_T4_T5_T6_T7_T9_mT8_P12ihipStream_tbDpT10_ENKUlT_T0_E_clISt17integral_constantIbLb0EES19_EEDaS14_S15_EUlS14_E_NS1_11comp_targetILNS1_3genE8ELNS1_11target_archE1030ELNS1_3gpuE2ELNS1_3repE0EEENS1_30default_config_static_selectorELNS0_4arch9wavefront6targetE1EEEvT1_
                                        ; -- End function
	.section	.AMDGPU.csdata,"",@progbits
; Kernel info:
; codeLenInByte = 0
; NumSgprs: 4
; NumVgprs: 0
; NumAgprs: 0
; TotalNumVgprs: 0
; ScratchSize: 0
; MemoryBound: 0
; FloatMode: 240
; IeeeMode: 1
; LDSByteSize: 0 bytes/workgroup (compile time only)
; SGPRBlocks: 0
; VGPRBlocks: 0
; NumSGPRsForWavesPerEU: 4
; NumVGPRsForWavesPerEU: 1
; AccumOffset: 4
; Occupancy: 8
; WaveLimiterHint : 0
; COMPUTE_PGM_RSRC2:SCRATCH_EN: 0
; COMPUTE_PGM_RSRC2:USER_SGPR: 6
; COMPUTE_PGM_RSRC2:TRAP_HANDLER: 0
; COMPUTE_PGM_RSRC2:TGID_X_EN: 1
; COMPUTE_PGM_RSRC2:TGID_Y_EN: 0
; COMPUTE_PGM_RSRC2:TGID_Z_EN: 0
; COMPUTE_PGM_RSRC2:TIDIG_COMP_CNT: 0
; COMPUTE_PGM_RSRC3_GFX90A:ACCUM_OFFSET: 0
; COMPUTE_PGM_RSRC3_GFX90A:TG_SPLIT: 0
	.section	.text._ZN7rocprim17ROCPRIM_400000_NS6detail17trampoline_kernelINS0_14default_configENS1_25partition_config_selectorILNS1_17partition_subalgoE8EN3c108BFloat16ENS0_10empty_typeEbEEZZNS1_14partition_implILS5_8ELb0ES3_jPKS7_PS8_PKS8_NS0_5tupleIJPS7_S8_EEENSG_IJSD_SD_EEENS0_18inequality_wrapperIN6hipcub16HIPCUB_304000_NS8EqualityEEEPlJS8_EEE10hipError_tPvRmT3_T4_T5_T6_T7_T9_mT8_P12ihipStream_tbDpT10_ENKUlT_T0_E_clISt17integral_constantIbLb1EES19_EEDaS14_S15_EUlS14_E_NS1_11comp_targetILNS1_3genE0ELNS1_11target_archE4294967295ELNS1_3gpuE0ELNS1_3repE0EEENS1_30default_config_static_selectorELNS0_4arch9wavefront6targetE1EEEvT1_,"axG",@progbits,_ZN7rocprim17ROCPRIM_400000_NS6detail17trampoline_kernelINS0_14default_configENS1_25partition_config_selectorILNS1_17partition_subalgoE8EN3c108BFloat16ENS0_10empty_typeEbEEZZNS1_14partition_implILS5_8ELb0ES3_jPKS7_PS8_PKS8_NS0_5tupleIJPS7_S8_EEENSG_IJSD_SD_EEENS0_18inequality_wrapperIN6hipcub16HIPCUB_304000_NS8EqualityEEEPlJS8_EEE10hipError_tPvRmT3_T4_T5_T6_T7_T9_mT8_P12ihipStream_tbDpT10_ENKUlT_T0_E_clISt17integral_constantIbLb1EES19_EEDaS14_S15_EUlS14_E_NS1_11comp_targetILNS1_3genE0ELNS1_11target_archE4294967295ELNS1_3gpuE0ELNS1_3repE0EEENS1_30default_config_static_selectorELNS0_4arch9wavefront6targetE1EEEvT1_,comdat
	.protected	_ZN7rocprim17ROCPRIM_400000_NS6detail17trampoline_kernelINS0_14default_configENS1_25partition_config_selectorILNS1_17partition_subalgoE8EN3c108BFloat16ENS0_10empty_typeEbEEZZNS1_14partition_implILS5_8ELb0ES3_jPKS7_PS8_PKS8_NS0_5tupleIJPS7_S8_EEENSG_IJSD_SD_EEENS0_18inequality_wrapperIN6hipcub16HIPCUB_304000_NS8EqualityEEEPlJS8_EEE10hipError_tPvRmT3_T4_T5_T6_T7_T9_mT8_P12ihipStream_tbDpT10_ENKUlT_T0_E_clISt17integral_constantIbLb1EES19_EEDaS14_S15_EUlS14_E_NS1_11comp_targetILNS1_3genE0ELNS1_11target_archE4294967295ELNS1_3gpuE0ELNS1_3repE0EEENS1_30default_config_static_selectorELNS0_4arch9wavefront6targetE1EEEvT1_ ; -- Begin function _ZN7rocprim17ROCPRIM_400000_NS6detail17trampoline_kernelINS0_14default_configENS1_25partition_config_selectorILNS1_17partition_subalgoE8EN3c108BFloat16ENS0_10empty_typeEbEEZZNS1_14partition_implILS5_8ELb0ES3_jPKS7_PS8_PKS8_NS0_5tupleIJPS7_S8_EEENSG_IJSD_SD_EEENS0_18inequality_wrapperIN6hipcub16HIPCUB_304000_NS8EqualityEEEPlJS8_EEE10hipError_tPvRmT3_T4_T5_T6_T7_T9_mT8_P12ihipStream_tbDpT10_ENKUlT_T0_E_clISt17integral_constantIbLb1EES19_EEDaS14_S15_EUlS14_E_NS1_11comp_targetILNS1_3genE0ELNS1_11target_archE4294967295ELNS1_3gpuE0ELNS1_3repE0EEENS1_30default_config_static_selectorELNS0_4arch9wavefront6targetE1EEEvT1_
	.globl	_ZN7rocprim17ROCPRIM_400000_NS6detail17trampoline_kernelINS0_14default_configENS1_25partition_config_selectorILNS1_17partition_subalgoE8EN3c108BFloat16ENS0_10empty_typeEbEEZZNS1_14partition_implILS5_8ELb0ES3_jPKS7_PS8_PKS8_NS0_5tupleIJPS7_S8_EEENSG_IJSD_SD_EEENS0_18inequality_wrapperIN6hipcub16HIPCUB_304000_NS8EqualityEEEPlJS8_EEE10hipError_tPvRmT3_T4_T5_T6_T7_T9_mT8_P12ihipStream_tbDpT10_ENKUlT_T0_E_clISt17integral_constantIbLb1EES19_EEDaS14_S15_EUlS14_E_NS1_11comp_targetILNS1_3genE0ELNS1_11target_archE4294967295ELNS1_3gpuE0ELNS1_3repE0EEENS1_30default_config_static_selectorELNS0_4arch9wavefront6targetE1EEEvT1_
	.p2align	8
	.type	_ZN7rocprim17ROCPRIM_400000_NS6detail17trampoline_kernelINS0_14default_configENS1_25partition_config_selectorILNS1_17partition_subalgoE8EN3c108BFloat16ENS0_10empty_typeEbEEZZNS1_14partition_implILS5_8ELb0ES3_jPKS7_PS8_PKS8_NS0_5tupleIJPS7_S8_EEENSG_IJSD_SD_EEENS0_18inequality_wrapperIN6hipcub16HIPCUB_304000_NS8EqualityEEEPlJS8_EEE10hipError_tPvRmT3_T4_T5_T6_T7_T9_mT8_P12ihipStream_tbDpT10_ENKUlT_T0_E_clISt17integral_constantIbLb1EES19_EEDaS14_S15_EUlS14_E_NS1_11comp_targetILNS1_3genE0ELNS1_11target_archE4294967295ELNS1_3gpuE0ELNS1_3repE0EEENS1_30default_config_static_selectorELNS0_4arch9wavefront6targetE1EEEvT1_,@function
_ZN7rocprim17ROCPRIM_400000_NS6detail17trampoline_kernelINS0_14default_configENS1_25partition_config_selectorILNS1_17partition_subalgoE8EN3c108BFloat16ENS0_10empty_typeEbEEZZNS1_14partition_implILS5_8ELb0ES3_jPKS7_PS8_PKS8_NS0_5tupleIJPS7_S8_EEENSG_IJSD_SD_EEENS0_18inequality_wrapperIN6hipcub16HIPCUB_304000_NS8EqualityEEEPlJS8_EEE10hipError_tPvRmT3_T4_T5_T6_T7_T9_mT8_P12ihipStream_tbDpT10_ENKUlT_T0_E_clISt17integral_constantIbLb1EES19_EEDaS14_S15_EUlS14_E_NS1_11comp_targetILNS1_3genE0ELNS1_11target_archE4294967295ELNS1_3gpuE0ELNS1_3repE0EEENS1_30default_config_static_selectorELNS0_4arch9wavefront6targetE1EEEvT1_: ; @_ZN7rocprim17ROCPRIM_400000_NS6detail17trampoline_kernelINS0_14default_configENS1_25partition_config_selectorILNS1_17partition_subalgoE8EN3c108BFloat16ENS0_10empty_typeEbEEZZNS1_14partition_implILS5_8ELb0ES3_jPKS7_PS8_PKS8_NS0_5tupleIJPS7_S8_EEENSG_IJSD_SD_EEENS0_18inequality_wrapperIN6hipcub16HIPCUB_304000_NS8EqualityEEEPlJS8_EEE10hipError_tPvRmT3_T4_T5_T6_T7_T9_mT8_P12ihipStream_tbDpT10_ENKUlT_T0_E_clISt17integral_constantIbLb1EES19_EEDaS14_S15_EUlS14_E_NS1_11comp_targetILNS1_3genE0ELNS1_11target_archE4294967295ELNS1_3gpuE0ELNS1_3repE0EEENS1_30default_config_static_selectorELNS0_4arch9wavefront6targetE1EEEvT1_
; %bb.0:
	.section	.rodata,"a",@progbits
	.p2align	6, 0x0
	.amdhsa_kernel _ZN7rocprim17ROCPRIM_400000_NS6detail17trampoline_kernelINS0_14default_configENS1_25partition_config_selectorILNS1_17partition_subalgoE8EN3c108BFloat16ENS0_10empty_typeEbEEZZNS1_14partition_implILS5_8ELb0ES3_jPKS7_PS8_PKS8_NS0_5tupleIJPS7_S8_EEENSG_IJSD_SD_EEENS0_18inequality_wrapperIN6hipcub16HIPCUB_304000_NS8EqualityEEEPlJS8_EEE10hipError_tPvRmT3_T4_T5_T6_T7_T9_mT8_P12ihipStream_tbDpT10_ENKUlT_T0_E_clISt17integral_constantIbLb1EES19_EEDaS14_S15_EUlS14_E_NS1_11comp_targetILNS1_3genE0ELNS1_11target_archE4294967295ELNS1_3gpuE0ELNS1_3repE0EEENS1_30default_config_static_selectorELNS0_4arch9wavefront6targetE1EEEvT1_
		.amdhsa_group_segment_fixed_size 0
		.amdhsa_private_segment_fixed_size 0
		.amdhsa_kernarg_size 128
		.amdhsa_user_sgpr_count 6
		.amdhsa_user_sgpr_private_segment_buffer 1
		.amdhsa_user_sgpr_dispatch_ptr 0
		.amdhsa_user_sgpr_queue_ptr 0
		.amdhsa_user_sgpr_kernarg_segment_ptr 1
		.amdhsa_user_sgpr_dispatch_id 0
		.amdhsa_user_sgpr_flat_scratch_init 0
		.amdhsa_user_sgpr_kernarg_preload_length 0
		.amdhsa_user_sgpr_kernarg_preload_offset 0
		.amdhsa_user_sgpr_private_segment_size 0
		.amdhsa_uses_dynamic_stack 0
		.amdhsa_system_sgpr_private_segment_wavefront_offset 0
		.amdhsa_system_sgpr_workgroup_id_x 1
		.amdhsa_system_sgpr_workgroup_id_y 0
		.amdhsa_system_sgpr_workgroup_id_z 0
		.amdhsa_system_sgpr_workgroup_info 0
		.amdhsa_system_vgpr_workitem_id 0
		.amdhsa_next_free_vgpr 1
		.amdhsa_next_free_sgpr 0
		.amdhsa_accum_offset 4
		.amdhsa_reserve_vcc 0
		.amdhsa_reserve_flat_scratch 0
		.amdhsa_float_round_mode_32 0
		.amdhsa_float_round_mode_16_64 0
		.amdhsa_float_denorm_mode_32 3
		.amdhsa_float_denorm_mode_16_64 3
		.amdhsa_dx10_clamp 1
		.amdhsa_ieee_mode 1
		.amdhsa_fp16_overflow 0
		.amdhsa_tg_split 0
		.amdhsa_exception_fp_ieee_invalid_op 0
		.amdhsa_exception_fp_denorm_src 0
		.amdhsa_exception_fp_ieee_div_zero 0
		.amdhsa_exception_fp_ieee_overflow 0
		.amdhsa_exception_fp_ieee_underflow 0
		.amdhsa_exception_fp_ieee_inexact 0
		.amdhsa_exception_int_div_zero 0
	.end_amdhsa_kernel
	.section	.text._ZN7rocprim17ROCPRIM_400000_NS6detail17trampoline_kernelINS0_14default_configENS1_25partition_config_selectorILNS1_17partition_subalgoE8EN3c108BFloat16ENS0_10empty_typeEbEEZZNS1_14partition_implILS5_8ELb0ES3_jPKS7_PS8_PKS8_NS0_5tupleIJPS7_S8_EEENSG_IJSD_SD_EEENS0_18inequality_wrapperIN6hipcub16HIPCUB_304000_NS8EqualityEEEPlJS8_EEE10hipError_tPvRmT3_T4_T5_T6_T7_T9_mT8_P12ihipStream_tbDpT10_ENKUlT_T0_E_clISt17integral_constantIbLb1EES19_EEDaS14_S15_EUlS14_E_NS1_11comp_targetILNS1_3genE0ELNS1_11target_archE4294967295ELNS1_3gpuE0ELNS1_3repE0EEENS1_30default_config_static_selectorELNS0_4arch9wavefront6targetE1EEEvT1_,"axG",@progbits,_ZN7rocprim17ROCPRIM_400000_NS6detail17trampoline_kernelINS0_14default_configENS1_25partition_config_selectorILNS1_17partition_subalgoE8EN3c108BFloat16ENS0_10empty_typeEbEEZZNS1_14partition_implILS5_8ELb0ES3_jPKS7_PS8_PKS8_NS0_5tupleIJPS7_S8_EEENSG_IJSD_SD_EEENS0_18inequality_wrapperIN6hipcub16HIPCUB_304000_NS8EqualityEEEPlJS8_EEE10hipError_tPvRmT3_T4_T5_T6_T7_T9_mT8_P12ihipStream_tbDpT10_ENKUlT_T0_E_clISt17integral_constantIbLb1EES19_EEDaS14_S15_EUlS14_E_NS1_11comp_targetILNS1_3genE0ELNS1_11target_archE4294967295ELNS1_3gpuE0ELNS1_3repE0EEENS1_30default_config_static_selectorELNS0_4arch9wavefront6targetE1EEEvT1_,comdat
.Lfunc_end832:
	.size	_ZN7rocprim17ROCPRIM_400000_NS6detail17trampoline_kernelINS0_14default_configENS1_25partition_config_selectorILNS1_17partition_subalgoE8EN3c108BFloat16ENS0_10empty_typeEbEEZZNS1_14partition_implILS5_8ELb0ES3_jPKS7_PS8_PKS8_NS0_5tupleIJPS7_S8_EEENSG_IJSD_SD_EEENS0_18inequality_wrapperIN6hipcub16HIPCUB_304000_NS8EqualityEEEPlJS8_EEE10hipError_tPvRmT3_T4_T5_T6_T7_T9_mT8_P12ihipStream_tbDpT10_ENKUlT_T0_E_clISt17integral_constantIbLb1EES19_EEDaS14_S15_EUlS14_E_NS1_11comp_targetILNS1_3genE0ELNS1_11target_archE4294967295ELNS1_3gpuE0ELNS1_3repE0EEENS1_30default_config_static_selectorELNS0_4arch9wavefront6targetE1EEEvT1_, .Lfunc_end832-_ZN7rocprim17ROCPRIM_400000_NS6detail17trampoline_kernelINS0_14default_configENS1_25partition_config_selectorILNS1_17partition_subalgoE8EN3c108BFloat16ENS0_10empty_typeEbEEZZNS1_14partition_implILS5_8ELb0ES3_jPKS7_PS8_PKS8_NS0_5tupleIJPS7_S8_EEENSG_IJSD_SD_EEENS0_18inequality_wrapperIN6hipcub16HIPCUB_304000_NS8EqualityEEEPlJS8_EEE10hipError_tPvRmT3_T4_T5_T6_T7_T9_mT8_P12ihipStream_tbDpT10_ENKUlT_T0_E_clISt17integral_constantIbLb1EES19_EEDaS14_S15_EUlS14_E_NS1_11comp_targetILNS1_3genE0ELNS1_11target_archE4294967295ELNS1_3gpuE0ELNS1_3repE0EEENS1_30default_config_static_selectorELNS0_4arch9wavefront6targetE1EEEvT1_
                                        ; -- End function
	.section	.AMDGPU.csdata,"",@progbits
; Kernel info:
; codeLenInByte = 0
; NumSgprs: 4
; NumVgprs: 0
; NumAgprs: 0
; TotalNumVgprs: 0
; ScratchSize: 0
; MemoryBound: 0
; FloatMode: 240
; IeeeMode: 1
; LDSByteSize: 0 bytes/workgroup (compile time only)
; SGPRBlocks: 0
; VGPRBlocks: 0
; NumSGPRsForWavesPerEU: 4
; NumVGPRsForWavesPerEU: 1
; AccumOffset: 4
; Occupancy: 8
; WaveLimiterHint : 0
; COMPUTE_PGM_RSRC2:SCRATCH_EN: 0
; COMPUTE_PGM_RSRC2:USER_SGPR: 6
; COMPUTE_PGM_RSRC2:TRAP_HANDLER: 0
; COMPUTE_PGM_RSRC2:TGID_X_EN: 1
; COMPUTE_PGM_RSRC2:TGID_Y_EN: 0
; COMPUTE_PGM_RSRC2:TGID_Z_EN: 0
; COMPUTE_PGM_RSRC2:TIDIG_COMP_CNT: 0
; COMPUTE_PGM_RSRC3_GFX90A:ACCUM_OFFSET: 0
; COMPUTE_PGM_RSRC3_GFX90A:TG_SPLIT: 0
	.section	.text._ZN7rocprim17ROCPRIM_400000_NS6detail17trampoline_kernelINS0_14default_configENS1_25partition_config_selectorILNS1_17partition_subalgoE8EN3c108BFloat16ENS0_10empty_typeEbEEZZNS1_14partition_implILS5_8ELb0ES3_jPKS7_PS8_PKS8_NS0_5tupleIJPS7_S8_EEENSG_IJSD_SD_EEENS0_18inequality_wrapperIN6hipcub16HIPCUB_304000_NS8EqualityEEEPlJS8_EEE10hipError_tPvRmT3_T4_T5_T6_T7_T9_mT8_P12ihipStream_tbDpT10_ENKUlT_T0_E_clISt17integral_constantIbLb1EES19_EEDaS14_S15_EUlS14_E_NS1_11comp_targetILNS1_3genE5ELNS1_11target_archE942ELNS1_3gpuE9ELNS1_3repE0EEENS1_30default_config_static_selectorELNS0_4arch9wavefront6targetE1EEEvT1_,"axG",@progbits,_ZN7rocprim17ROCPRIM_400000_NS6detail17trampoline_kernelINS0_14default_configENS1_25partition_config_selectorILNS1_17partition_subalgoE8EN3c108BFloat16ENS0_10empty_typeEbEEZZNS1_14partition_implILS5_8ELb0ES3_jPKS7_PS8_PKS8_NS0_5tupleIJPS7_S8_EEENSG_IJSD_SD_EEENS0_18inequality_wrapperIN6hipcub16HIPCUB_304000_NS8EqualityEEEPlJS8_EEE10hipError_tPvRmT3_T4_T5_T6_T7_T9_mT8_P12ihipStream_tbDpT10_ENKUlT_T0_E_clISt17integral_constantIbLb1EES19_EEDaS14_S15_EUlS14_E_NS1_11comp_targetILNS1_3genE5ELNS1_11target_archE942ELNS1_3gpuE9ELNS1_3repE0EEENS1_30default_config_static_selectorELNS0_4arch9wavefront6targetE1EEEvT1_,comdat
	.protected	_ZN7rocprim17ROCPRIM_400000_NS6detail17trampoline_kernelINS0_14default_configENS1_25partition_config_selectorILNS1_17partition_subalgoE8EN3c108BFloat16ENS0_10empty_typeEbEEZZNS1_14partition_implILS5_8ELb0ES3_jPKS7_PS8_PKS8_NS0_5tupleIJPS7_S8_EEENSG_IJSD_SD_EEENS0_18inequality_wrapperIN6hipcub16HIPCUB_304000_NS8EqualityEEEPlJS8_EEE10hipError_tPvRmT3_T4_T5_T6_T7_T9_mT8_P12ihipStream_tbDpT10_ENKUlT_T0_E_clISt17integral_constantIbLb1EES19_EEDaS14_S15_EUlS14_E_NS1_11comp_targetILNS1_3genE5ELNS1_11target_archE942ELNS1_3gpuE9ELNS1_3repE0EEENS1_30default_config_static_selectorELNS0_4arch9wavefront6targetE1EEEvT1_ ; -- Begin function _ZN7rocprim17ROCPRIM_400000_NS6detail17trampoline_kernelINS0_14default_configENS1_25partition_config_selectorILNS1_17partition_subalgoE8EN3c108BFloat16ENS0_10empty_typeEbEEZZNS1_14partition_implILS5_8ELb0ES3_jPKS7_PS8_PKS8_NS0_5tupleIJPS7_S8_EEENSG_IJSD_SD_EEENS0_18inequality_wrapperIN6hipcub16HIPCUB_304000_NS8EqualityEEEPlJS8_EEE10hipError_tPvRmT3_T4_T5_T6_T7_T9_mT8_P12ihipStream_tbDpT10_ENKUlT_T0_E_clISt17integral_constantIbLb1EES19_EEDaS14_S15_EUlS14_E_NS1_11comp_targetILNS1_3genE5ELNS1_11target_archE942ELNS1_3gpuE9ELNS1_3repE0EEENS1_30default_config_static_selectorELNS0_4arch9wavefront6targetE1EEEvT1_
	.globl	_ZN7rocprim17ROCPRIM_400000_NS6detail17trampoline_kernelINS0_14default_configENS1_25partition_config_selectorILNS1_17partition_subalgoE8EN3c108BFloat16ENS0_10empty_typeEbEEZZNS1_14partition_implILS5_8ELb0ES3_jPKS7_PS8_PKS8_NS0_5tupleIJPS7_S8_EEENSG_IJSD_SD_EEENS0_18inequality_wrapperIN6hipcub16HIPCUB_304000_NS8EqualityEEEPlJS8_EEE10hipError_tPvRmT3_T4_T5_T6_T7_T9_mT8_P12ihipStream_tbDpT10_ENKUlT_T0_E_clISt17integral_constantIbLb1EES19_EEDaS14_S15_EUlS14_E_NS1_11comp_targetILNS1_3genE5ELNS1_11target_archE942ELNS1_3gpuE9ELNS1_3repE0EEENS1_30default_config_static_selectorELNS0_4arch9wavefront6targetE1EEEvT1_
	.p2align	8
	.type	_ZN7rocprim17ROCPRIM_400000_NS6detail17trampoline_kernelINS0_14default_configENS1_25partition_config_selectorILNS1_17partition_subalgoE8EN3c108BFloat16ENS0_10empty_typeEbEEZZNS1_14partition_implILS5_8ELb0ES3_jPKS7_PS8_PKS8_NS0_5tupleIJPS7_S8_EEENSG_IJSD_SD_EEENS0_18inequality_wrapperIN6hipcub16HIPCUB_304000_NS8EqualityEEEPlJS8_EEE10hipError_tPvRmT3_T4_T5_T6_T7_T9_mT8_P12ihipStream_tbDpT10_ENKUlT_T0_E_clISt17integral_constantIbLb1EES19_EEDaS14_S15_EUlS14_E_NS1_11comp_targetILNS1_3genE5ELNS1_11target_archE942ELNS1_3gpuE9ELNS1_3repE0EEENS1_30default_config_static_selectorELNS0_4arch9wavefront6targetE1EEEvT1_,@function
_ZN7rocprim17ROCPRIM_400000_NS6detail17trampoline_kernelINS0_14default_configENS1_25partition_config_selectorILNS1_17partition_subalgoE8EN3c108BFloat16ENS0_10empty_typeEbEEZZNS1_14partition_implILS5_8ELb0ES3_jPKS7_PS8_PKS8_NS0_5tupleIJPS7_S8_EEENSG_IJSD_SD_EEENS0_18inequality_wrapperIN6hipcub16HIPCUB_304000_NS8EqualityEEEPlJS8_EEE10hipError_tPvRmT3_T4_T5_T6_T7_T9_mT8_P12ihipStream_tbDpT10_ENKUlT_T0_E_clISt17integral_constantIbLb1EES19_EEDaS14_S15_EUlS14_E_NS1_11comp_targetILNS1_3genE5ELNS1_11target_archE942ELNS1_3gpuE9ELNS1_3repE0EEENS1_30default_config_static_selectorELNS0_4arch9wavefront6targetE1EEEvT1_: ; @_ZN7rocprim17ROCPRIM_400000_NS6detail17trampoline_kernelINS0_14default_configENS1_25partition_config_selectorILNS1_17partition_subalgoE8EN3c108BFloat16ENS0_10empty_typeEbEEZZNS1_14partition_implILS5_8ELb0ES3_jPKS7_PS8_PKS8_NS0_5tupleIJPS7_S8_EEENSG_IJSD_SD_EEENS0_18inequality_wrapperIN6hipcub16HIPCUB_304000_NS8EqualityEEEPlJS8_EEE10hipError_tPvRmT3_T4_T5_T6_T7_T9_mT8_P12ihipStream_tbDpT10_ENKUlT_T0_E_clISt17integral_constantIbLb1EES19_EEDaS14_S15_EUlS14_E_NS1_11comp_targetILNS1_3genE5ELNS1_11target_archE942ELNS1_3gpuE9ELNS1_3repE0EEENS1_30default_config_static_selectorELNS0_4arch9wavefront6targetE1EEEvT1_
; %bb.0:
	.section	.rodata,"a",@progbits
	.p2align	6, 0x0
	.amdhsa_kernel _ZN7rocprim17ROCPRIM_400000_NS6detail17trampoline_kernelINS0_14default_configENS1_25partition_config_selectorILNS1_17partition_subalgoE8EN3c108BFloat16ENS0_10empty_typeEbEEZZNS1_14partition_implILS5_8ELb0ES3_jPKS7_PS8_PKS8_NS0_5tupleIJPS7_S8_EEENSG_IJSD_SD_EEENS0_18inequality_wrapperIN6hipcub16HIPCUB_304000_NS8EqualityEEEPlJS8_EEE10hipError_tPvRmT3_T4_T5_T6_T7_T9_mT8_P12ihipStream_tbDpT10_ENKUlT_T0_E_clISt17integral_constantIbLb1EES19_EEDaS14_S15_EUlS14_E_NS1_11comp_targetILNS1_3genE5ELNS1_11target_archE942ELNS1_3gpuE9ELNS1_3repE0EEENS1_30default_config_static_selectorELNS0_4arch9wavefront6targetE1EEEvT1_
		.amdhsa_group_segment_fixed_size 0
		.amdhsa_private_segment_fixed_size 0
		.amdhsa_kernarg_size 128
		.amdhsa_user_sgpr_count 6
		.amdhsa_user_sgpr_private_segment_buffer 1
		.amdhsa_user_sgpr_dispatch_ptr 0
		.amdhsa_user_sgpr_queue_ptr 0
		.amdhsa_user_sgpr_kernarg_segment_ptr 1
		.amdhsa_user_sgpr_dispatch_id 0
		.amdhsa_user_sgpr_flat_scratch_init 0
		.amdhsa_user_sgpr_kernarg_preload_length 0
		.amdhsa_user_sgpr_kernarg_preload_offset 0
		.amdhsa_user_sgpr_private_segment_size 0
		.amdhsa_uses_dynamic_stack 0
		.amdhsa_system_sgpr_private_segment_wavefront_offset 0
		.amdhsa_system_sgpr_workgroup_id_x 1
		.amdhsa_system_sgpr_workgroup_id_y 0
		.amdhsa_system_sgpr_workgroup_id_z 0
		.amdhsa_system_sgpr_workgroup_info 0
		.amdhsa_system_vgpr_workitem_id 0
		.amdhsa_next_free_vgpr 1
		.amdhsa_next_free_sgpr 0
		.amdhsa_accum_offset 4
		.amdhsa_reserve_vcc 0
		.amdhsa_reserve_flat_scratch 0
		.amdhsa_float_round_mode_32 0
		.amdhsa_float_round_mode_16_64 0
		.amdhsa_float_denorm_mode_32 3
		.amdhsa_float_denorm_mode_16_64 3
		.amdhsa_dx10_clamp 1
		.amdhsa_ieee_mode 1
		.amdhsa_fp16_overflow 0
		.amdhsa_tg_split 0
		.amdhsa_exception_fp_ieee_invalid_op 0
		.amdhsa_exception_fp_denorm_src 0
		.amdhsa_exception_fp_ieee_div_zero 0
		.amdhsa_exception_fp_ieee_overflow 0
		.amdhsa_exception_fp_ieee_underflow 0
		.amdhsa_exception_fp_ieee_inexact 0
		.amdhsa_exception_int_div_zero 0
	.end_amdhsa_kernel
	.section	.text._ZN7rocprim17ROCPRIM_400000_NS6detail17trampoline_kernelINS0_14default_configENS1_25partition_config_selectorILNS1_17partition_subalgoE8EN3c108BFloat16ENS0_10empty_typeEbEEZZNS1_14partition_implILS5_8ELb0ES3_jPKS7_PS8_PKS8_NS0_5tupleIJPS7_S8_EEENSG_IJSD_SD_EEENS0_18inequality_wrapperIN6hipcub16HIPCUB_304000_NS8EqualityEEEPlJS8_EEE10hipError_tPvRmT3_T4_T5_T6_T7_T9_mT8_P12ihipStream_tbDpT10_ENKUlT_T0_E_clISt17integral_constantIbLb1EES19_EEDaS14_S15_EUlS14_E_NS1_11comp_targetILNS1_3genE5ELNS1_11target_archE942ELNS1_3gpuE9ELNS1_3repE0EEENS1_30default_config_static_selectorELNS0_4arch9wavefront6targetE1EEEvT1_,"axG",@progbits,_ZN7rocprim17ROCPRIM_400000_NS6detail17trampoline_kernelINS0_14default_configENS1_25partition_config_selectorILNS1_17partition_subalgoE8EN3c108BFloat16ENS0_10empty_typeEbEEZZNS1_14partition_implILS5_8ELb0ES3_jPKS7_PS8_PKS8_NS0_5tupleIJPS7_S8_EEENSG_IJSD_SD_EEENS0_18inequality_wrapperIN6hipcub16HIPCUB_304000_NS8EqualityEEEPlJS8_EEE10hipError_tPvRmT3_T4_T5_T6_T7_T9_mT8_P12ihipStream_tbDpT10_ENKUlT_T0_E_clISt17integral_constantIbLb1EES19_EEDaS14_S15_EUlS14_E_NS1_11comp_targetILNS1_3genE5ELNS1_11target_archE942ELNS1_3gpuE9ELNS1_3repE0EEENS1_30default_config_static_selectorELNS0_4arch9wavefront6targetE1EEEvT1_,comdat
.Lfunc_end833:
	.size	_ZN7rocprim17ROCPRIM_400000_NS6detail17trampoline_kernelINS0_14default_configENS1_25partition_config_selectorILNS1_17partition_subalgoE8EN3c108BFloat16ENS0_10empty_typeEbEEZZNS1_14partition_implILS5_8ELb0ES3_jPKS7_PS8_PKS8_NS0_5tupleIJPS7_S8_EEENSG_IJSD_SD_EEENS0_18inequality_wrapperIN6hipcub16HIPCUB_304000_NS8EqualityEEEPlJS8_EEE10hipError_tPvRmT3_T4_T5_T6_T7_T9_mT8_P12ihipStream_tbDpT10_ENKUlT_T0_E_clISt17integral_constantIbLb1EES19_EEDaS14_S15_EUlS14_E_NS1_11comp_targetILNS1_3genE5ELNS1_11target_archE942ELNS1_3gpuE9ELNS1_3repE0EEENS1_30default_config_static_selectorELNS0_4arch9wavefront6targetE1EEEvT1_, .Lfunc_end833-_ZN7rocprim17ROCPRIM_400000_NS6detail17trampoline_kernelINS0_14default_configENS1_25partition_config_selectorILNS1_17partition_subalgoE8EN3c108BFloat16ENS0_10empty_typeEbEEZZNS1_14partition_implILS5_8ELb0ES3_jPKS7_PS8_PKS8_NS0_5tupleIJPS7_S8_EEENSG_IJSD_SD_EEENS0_18inequality_wrapperIN6hipcub16HIPCUB_304000_NS8EqualityEEEPlJS8_EEE10hipError_tPvRmT3_T4_T5_T6_T7_T9_mT8_P12ihipStream_tbDpT10_ENKUlT_T0_E_clISt17integral_constantIbLb1EES19_EEDaS14_S15_EUlS14_E_NS1_11comp_targetILNS1_3genE5ELNS1_11target_archE942ELNS1_3gpuE9ELNS1_3repE0EEENS1_30default_config_static_selectorELNS0_4arch9wavefront6targetE1EEEvT1_
                                        ; -- End function
	.section	.AMDGPU.csdata,"",@progbits
; Kernel info:
; codeLenInByte = 0
; NumSgprs: 4
; NumVgprs: 0
; NumAgprs: 0
; TotalNumVgprs: 0
; ScratchSize: 0
; MemoryBound: 0
; FloatMode: 240
; IeeeMode: 1
; LDSByteSize: 0 bytes/workgroup (compile time only)
; SGPRBlocks: 0
; VGPRBlocks: 0
; NumSGPRsForWavesPerEU: 4
; NumVGPRsForWavesPerEU: 1
; AccumOffset: 4
; Occupancy: 8
; WaveLimiterHint : 0
; COMPUTE_PGM_RSRC2:SCRATCH_EN: 0
; COMPUTE_PGM_RSRC2:USER_SGPR: 6
; COMPUTE_PGM_RSRC2:TRAP_HANDLER: 0
; COMPUTE_PGM_RSRC2:TGID_X_EN: 1
; COMPUTE_PGM_RSRC2:TGID_Y_EN: 0
; COMPUTE_PGM_RSRC2:TGID_Z_EN: 0
; COMPUTE_PGM_RSRC2:TIDIG_COMP_CNT: 0
; COMPUTE_PGM_RSRC3_GFX90A:ACCUM_OFFSET: 0
; COMPUTE_PGM_RSRC3_GFX90A:TG_SPLIT: 0
	.section	.text._ZN7rocprim17ROCPRIM_400000_NS6detail17trampoline_kernelINS0_14default_configENS1_25partition_config_selectorILNS1_17partition_subalgoE8EN3c108BFloat16ENS0_10empty_typeEbEEZZNS1_14partition_implILS5_8ELb0ES3_jPKS7_PS8_PKS8_NS0_5tupleIJPS7_S8_EEENSG_IJSD_SD_EEENS0_18inequality_wrapperIN6hipcub16HIPCUB_304000_NS8EqualityEEEPlJS8_EEE10hipError_tPvRmT3_T4_T5_T6_T7_T9_mT8_P12ihipStream_tbDpT10_ENKUlT_T0_E_clISt17integral_constantIbLb1EES19_EEDaS14_S15_EUlS14_E_NS1_11comp_targetILNS1_3genE4ELNS1_11target_archE910ELNS1_3gpuE8ELNS1_3repE0EEENS1_30default_config_static_selectorELNS0_4arch9wavefront6targetE1EEEvT1_,"axG",@progbits,_ZN7rocprim17ROCPRIM_400000_NS6detail17trampoline_kernelINS0_14default_configENS1_25partition_config_selectorILNS1_17partition_subalgoE8EN3c108BFloat16ENS0_10empty_typeEbEEZZNS1_14partition_implILS5_8ELb0ES3_jPKS7_PS8_PKS8_NS0_5tupleIJPS7_S8_EEENSG_IJSD_SD_EEENS0_18inequality_wrapperIN6hipcub16HIPCUB_304000_NS8EqualityEEEPlJS8_EEE10hipError_tPvRmT3_T4_T5_T6_T7_T9_mT8_P12ihipStream_tbDpT10_ENKUlT_T0_E_clISt17integral_constantIbLb1EES19_EEDaS14_S15_EUlS14_E_NS1_11comp_targetILNS1_3genE4ELNS1_11target_archE910ELNS1_3gpuE8ELNS1_3repE0EEENS1_30default_config_static_selectorELNS0_4arch9wavefront6targetE1EEEvT1_,comdat
	.protected	_ZN7rocprim17ROCPRIM_400000_NS6detail17trampoline_kernelINS0_14default_configENS1_25partition_config_selectorILNS1_17partition_subalgoE8EN3c108BFloat16ENS0_10empty_typeEbEEZZNS1_14partition_implILS5_8ELb0ES3_jPKS7_PS8_PKS8_NS0_5tupleIJPS7_S8_EEENSG_IJSD_SD_EEENS0_18inequality_wrapperIN6hipcub16HIPCUB_304000_NS8EqualityEEEPlJS8_EEE10hipError_tPvRmT3_T4_T5_T6_T7_T9_mT8_P12ihipStream_tbDpT10_ENKUlT_T0_E_clISt17integral_constantIbLb1EES19_EEDaS14_S15_EUlS14_E_NS1_11comp_targetILNS1_3genE4ELNS1_11target_archE910ELNS1_3gpuE8ELNS1_3repE0EEENS1_30default_config_static_selectorELNS0_4arch9wavefront6targetE1EEEvT1_ ; -- Begin function _ZN7rocprim17ROCPRIM_400000_NS6detail17trampoline_kernelINS0_14default_configENS1_25partition_config_selectorILNS1_17partition_subalgoE8EN3c108BFloat16ENS0_10empty_typeEbEEZZNS1_14partition_implILS5_8ELb0ES3_jPKS7_PS8_PKS8_NS0_5tupleIJPS7_S8_EEENSG_IJSD_SD_EEENS0_18inequality_wrapperIN6hipcub16HIPCUB_304000_NS8EqualityEEEPlJS8_EEE10hipError_tPvRmT3_T4_T5_T6_T7_T9_mT8_P12ihipStream_tbDpT10_ENKUlT_T0_E_clISt17integral_constantIbLb1EES19_EEDaS14_S15_EUlS14_E_NS1_11comp_targetILNS1_3genE4ELNS1_11target_archE910ELNS1_3gpuE8ELNS1_3repE0EEENS1_30default_config_static_selectorELNS0_4arch9wavefront6targetE1EEEvT1_
	.globl	_ZN7rocprim17ROCPRIM_400000_NS6detail17trampoline_kernelINS0_14default_configENS1_25partition_config_selectorILNS1_17partition_subalgoE8EN3c108BFloat16ENS0_10empty_typeEbEEZZNS1_14partition_implILS5_8ELb0ES3_jPKS7_PS8_PKS8_NS0_5tupleIJPS7_S8_EEENSG_IJSD_SD_EEENS0_18inequality_wrapperIN6hipcub16HIPCUB_304000_NS8EqualityEEEPlJS8_EEE10hipError_tPvRmT3_T4_T5_T6_T7_T9_mT8_P12ihipStream_tbDpT10_ENKUlT_T0_E_clISt17integral_constantIbLb1EES19_EEDaS14_S15_EUlS14_E_NS1_11comp_targetILNS1_3genE4ELNS1_11target_archE910ELNS1_3gpuE8ELNS1_3repE0EEENS1_30default_config_static_selectorELNS0_4arch9wavefront6targetE1EEEvT1_
	.p2align	8
	.type	_ZN7rocprim17ROCPRIM_400000_NS6detail17trampoline_kernelINS0_14default_configENS1_25partition_config_selectorILNS1_17partition_subalgoE8EN3c108BFloat16ENS0_10empty_typeEbEEZZNS1_14partition_implILS5_8ELb0ES3_jPKS7_PS8_PKS8_NS0_5tupleIJPS7_S8_EEENSG_IJSD_SD_EEENS0_18inequality_wrapperIN6hipcub16HIPCUB_304000_NS8EqualityEEEPlJS8_EEE10hipError_tPvRmT3_T4_T5_T6_T7_T9_mT8_P12ihipStream_tbDpT10_ENKUlT_T0_E_clISt17integral_constantIbLb1EES19_EEDaS14_S15_EUlS14_E_NS1_11comp_targetILNS1_3genE4ELNS1_11target_archE910ELNS1_3gpuE8ELNS1_3repE0EEENS1_30default_config_static_selectorELNS0_4arch9wavefront6targetE1EEEvT1_,@function
_ZN7rocprim17ROCPRIM_400000_NS6detail17trampoline_kernelINS0_14default_configENS1_25partition_config_selectorILNS1_17partition_subalgoE8EN3c108BFloat16ENS0_10empty_typeEbEEZZNS1_14partition_implILS5_8ELb0ES3_jPKS7_PS8_PKS8_NS0_5tupleIJPS7_S8_EEENSG_IJSD_SD_EEENS0_18inequality_wrapperIN6hipcub16HIPCUB_304000_NS8EqualityEEEPlJS8_EEE10hipError_tPvRmT3_T4_T5_T6_T7_T9_mT8_P12ihipStream_tbDpT10_ENKUlT_T0_E_clISt17integral_constantIbLb1EES19_EEDaS14_S15_EUlS14_E_NS1_11comp_targetILNS1_3genE4ELNS1_11target_archE910ELNS1_3gpuE8ELNS1_3repE0EEENS1_30default_config_static_selectorELNS0_4arch9wavefront6targetE1EEEvT1_: ; @_ZN7rocprim17ROCPRIM_400000_NS6detail17trampoline_kernelINS0_14default_configENS1_25partition_config_selectorILNS1_17partition_subalgoE8EN3c108BFloat16ENS0_10empty_typeEbEEZZNS1_14partition_implILS5_8ELb0ES3_jPKS7_PS8_PKS8_NS0_5tupleIJPS7_S8_EEENSG_IJSD_SD_EEENS0_18inequality_wrapperIN6hipcub16HIPCUB_304000_NS8EqualityEEEPlJS8_EEE10hipError_tPvRmT3_T4_T5_T6_T7_T9_mT8_P12ihipStream_tbDpT10_ENKUlT_T0_E_clISt17integral_constantIbLb1EES19_EEDaS14_S15_EUlS14_E_NS1_11comp_targetILNS1_3genE4ELNS1_11target_archE910ELNS1_3gpuE8ELNS1_3repE0EEENS1_30default_config_static_selectorELNS0_4arch9wavefront6targetE1EEEvT1_
; %bb.0:
	s_load_dwordx2 s[24:25], s[4:5], 0x28
	s_load_dwordx4 s[20:23], s[4:5], 0x40
	s_load_dwordx2 s[6:7], s[4:5], 0x50
	s_load_dwordx2 s[26:27], s[4:5], 0x60
	v_cmp_ne_u32_e64 s[2:3], 0, v0
	v_cmp_eq_u32_e64 s[0:1], 0, v0
	s_and_saveexec_b64 s[8:9], s[0:1]
	s_cbranch_execz .LBB834_4
; %bb.1:
	s_mov_b64 s[12:13], exec
	v_mbcnt_lo_u32_b32 v1, s12, 0
	v_mbcnt_hi_u32_b32 v1, s13, v1
	v_cmp_eq_u32_e32 vcc, 0, v1
                                        ; implicit-def: $vgpr2
	s_and_saveexec_b64 s[10:11], vcc
	s_cbranch_execz .LBB834_3
; %bb.2:
	s_load_dwordx2 s[14:15], s[4:5], 0x70
	s_bcnt1_i32_b64 s12, s[12:13]
	v_mov_b32_e32 v2, 0
	v_mov_b32_e32 v3, s12
	s_waitcnt lgkmcnt(0)
	global_atomic_add v2, v2, v3, s[14:15] glc
.LBB834_3:
	s_or_b64 exec, exec, s[10:11]
	s_waitcnt vmcnt(0)
	v_readfirstlane_b32 s10, v2
	v_add_u32_e32 v1, s10, v1
	v_mov_b32_e32 v2, 0
	ds_write_b32 v2, v1
.LBB834_4:
	s_or_b64 exec, exec, s[8:9]
	v_mov_b32_e32 v3, 0
	s_load_dwordx4 s[8:11], s[4:5], 0x8
	s_load_dword s12, s[4:5], 0x68
	s_waitcnt lgkmcnt(0)
	s_barrier
	ds_read_b32 v1, v3
	s_waitcnt lgkmcnt(0)
	s_barrier
	global_load_dwordx2 v[8:9], v3, s[22:23]
	s_lshl_b64 s[4:5], s[10:11], 1
	v_mov_b32_e32 v5, s7
	s_add_u32 s7, s8, s4
	s_movk_i32 s4, 0x1600
	v_mul_lo_u32 v2, v1, s4
	s_mul_i32 s4, s12, 0x1600
	s_addc_u32 s13, s9, s5
	s_add_i32 s5, s4, s10
	s_add_i32 s8, s12, -1
	s_sub_i32 s14, s6, s5
	s_add_u32 s4, s10, s4
	v_readfirstlane_b32 s33, v1
	s_addc_u32 s5, s11, 0
	v_mov_b32_e32 v4, s6
	s_cmp_eq_u32 s33, s8
	v_cmp_ge_u64_e32 vcc, s[4:5], v[4:5]
	s_cselect_b64 s[18:19], -1, 0
	v_lshlrev_b64 v[2:3], 1, v[2:3]
	s_and_b64 s[8:9], vcc, s[18:19]
	v_mov_b32_e32 v1, s13
	v_add_co_u32_e32 v14, vcc, s7, v2
	s_xor_b64 s[22:23], s[8:9], -1
	v_addc_co_u32_e32 v15, vcc, v1, v3, vcc
	s_mov_b64 s[4:5], -1
	s_and_b64 vcc, exec, s[22:23]
	s_cbranch_vccz .LBB834_6
; %bb.5:
	v_lshlrev_b32_e32 v1, 1, v0
	v_add_co_u32_e32 v4, vcc, v14, v1
	v_addc_co_u32_e32 v5, vcc, 0, v15, vcc
	v_add_co_u32_e32 v2, vcc, 0x1000, v4
	v_readfirstlane_b32 s4, v14
	v_readfirstlane_b32 s5, v15
	v_addc_co_u32_e32 v3, vcc, 0, v5, vcc
	s_nop 3
	global_load_ushort v6, v1, s[4:5]
	global_load_ushort v7, v1, s[4:5] offset:512
	global_load_ushort v10, v1, s[4:5] offset:1024
	;; [unrolled: 1-line block ×7, first 2 shown]
	global_load_ushort v18, v[2:3], off
	global_load_ushort v19, v[2:3], off offset:512
	global_load_ushort v20, v[2:3], off offset:1024
	;; [unrolled: 1-line block ×7, first 2 shown]
	v_add_co_u32_e32 v2, vcc, 0x2000, v4
	v_addc_co_u32_e32 v3, vcc, 0, v5, vcc
	global_load_ushort v4, v[2:3], off
	global_load_ushort v5, v[2:3], off offset:512
	global_load_ushort v26, v[2:3], off offset:1024
	;; [unrolled: 1-line block ×5, first 2 shown]
	s_mov_b64 s[4:5], 0
	s_waitcnt vmcnt(21)
	ds_write_b16 v1, v6
	s_waitcnt vmcnt(20)
	ds_write_b16 v1, v7 offset:512
	s_waitcnt vmcnt(19)
	ds_write_b16 v1, v10 offset:1024
	s_waitcnt vmcnt(18)
	ds_write_b16 v1, v11 offset:1536
	s_waitcnt vmcnt(17)
	ds_write_b16 v1, v12 offset:2048
	s_waitcnt vmcnt(16)
	ds_write_b16 v1, v13 offset:2560
	s_waitcnt vmcnt(15)
	ds_write_b16 v1, v16 offset:3072
	s_waitcnt vmcnt(14)
	ds_write_b16 v1, v17 offset:3584
	s_waitcnt vmcnt(13)
	ds_write_b16 v1, v18 offset:4096
	s_waitcnt vmcnt(12)
	ds_write_b16 v1, v19 offset:4608
	s_waitcnt vmcnt(11)
	ds_write_b16 v1, v20 offset:5120
	s_waitcnt vmcnt(10)
	ds_write_b16 v1, v21 offset:5632
	s_waitcnt vmcnt(9)
	ds_write_b16 v1, v22 offset:6144
	s_waitcnt vmcnt(8)
	ds_write_b16 v1, v23 offset:6656
	s_waitcnt vmcnt(7)
	ds_write_b16 v1, v24 offset:7168
	s_waitcnt vmcnt(6)
	ds_write_b16 v1, v25 offset:7680
	s_waitcnt vmcnt(5)
	ds_write_b16 v1, v4 offset:8192
	s_waitcnt vmcnt(4)
	ds_write_b16 v1, v5 offset:8704
	s_waitcnt vmcnt(3)
	ds_write_b16 v1, v26 offset:9216
	s_waitcnt vmcnt(2)
	ds_write_b16 v1, v27 offset:9728
	s_waitcnt vmcnt(1)
	ds_write_b16 v1, v28 offset:10240
	s_waitcnt vmcnt(0)
	ds_write_b16 v1, v29 offset:10752
	s_waitcnt lgkmcnt(0)
	s_barrier
.LBB834_6:
	s_andn2_b64 vcc, exec, s[4:5]
	s_addk_i32 s14, 0x1600
	s_cbranch_vccnz .LBB834_52
; %bb.7:
	v_cmp_gt_u32_e32 vcc, s14, v0
                                        ; implicit-def: $vgpr1
	s_and_saveexec_b64 s[4:5], vcc
	s_cbranch_execz .LBB834_9
; %bb.8:
	v_lshlrev_b32_e32 v1, 1, v0
	v_readfirstlane_b32 s6, v14
	v_readfirstlane_b32 s7, v15
	s_nop 4
	global_load_ushort v1, v1, s[6:7]
.LBB834_9:
	s_or_b64 exec, exec, s[4:5]
	v_or_b32_e32 v2, 0x100, v0
	v_cmp_gt_u32_e32 vcc, s14, v2
                                        ; implicit-def: $vgpr2
	s_and_saveexec_b64 s[4:5], vcc
	s_cbranch_execz .LBB834_11
; %bb.10:
	v_lshlrev_b32_e32 v2, 1, v0
	v_readfirstlane_b32 s6, v14
	v_readfirstlane_b32 s7, v15
	s_nop 4
	global_load_ushort v2, v2, s[6:7] offset:512
.LBB834_11:
	s_or_b64 exec, exec, s[4:5]
	v_or_b32_e32 v3, 0x200, v0
	v_cmp_gt_u32_e32 vcc, s14, v3
                                        ; implicit-def: $vgpr3
	s_and_saveexec_b64 s[4:5], vcc
	s_cbranch_execz .LBB834_13
; %bb.12:
	v_lshlrev_b32_e32 v3, 1, v0
	v_readfirstlane_b32 s6, v14
	v_readfirstlane_b32 s7, v15
	s_nop 4
	global_load_ushort v3, v3, s[6:7] offset:1024
.LBB834_13:
	s_or_b64 exec, exec, s[4:5]
	v_or_b32_e32 v4, 0x300, v0
	v_cmp_gt_u32_e32 vcc, s14, v4
                                        ; implicit-def: $vgpr4
	s_and_saveexec_b64 s[4:5], vcc
	s_cbranch_execz .LBB834_15
; %bb.14:
	v_lshlrev_b32_e32 v4, 1, v0
	v_readfirstlane_b32 s6, v14
	v_readfirstlane_b32 s7, v15
	s_nop 4
	global_load_ushort v4, v4, s[6:7] offset:1536
.LBB834_15:
	s_or_b64 exec, exec, s[4:5]
	v_or_b32_e32 v5, 0x400, v0
	v_cmp_gt_u32_e32 vcc, s14, v5
                                        ; implicit-def: $vgpr5
	s_and_saveexec_b64 s[4:5], vcc
	s_cbranch_execz .LBB834_17
; %bb.16:
	v_lshlrev_b32_e32 v5, 1, v0
	v_readfirstlane_b32 s6, v14
	v_readfirstlane_b32 s7, v15
	s_nop 4
	global_load_ushort v5, v5, s[6:7] offset:2048
.LBB834_17:
	s_or_b64 exec, exec, s[4:5]
	v_or_b32_e32 v6, 0x500, v0
	v_cmp_gt_u32_e32 vcc, s14, v6
                                        ; implicit-def: $vgpr6
	s_and_saveexec_b64 s[4:5], vcc
	s_cbranch_execz .LBB834_19
; %bb.18:
	v_lshlrev_b32_e32 v6, 1, v0
	v_readfirstlane_b32 s6, v14
	v_readfirstlane_b32 s7, v15
	s_nop 4
	global_load_ushort v6, v6, s[6:7] offset:2560
.LBB834_19:
	s_or_b64 exec, exec, s[4:5]
	v_or_b32_e32 v7, 0x600, v0
	v_cmp_gt_u32_e32 vcc, s14, v7
                                        ; implicit-def: $vgpr7
	s_and_saveexec_b64 s[4:5], vcc
	s_cbranch_execz .LBB834_21
; %bb.20:
	v_lshlrev_b32_e32 v7, 1, v0
	v_readfirstlane_b32 s6, v14
	v_readfirstlane_b32 s7, v15
	s_nop 4
	global_load_ushort v7, v7, s[6:7] offset:3072
.LBB834_21:
	s_or_b64 exec, exec, s[4:5]
	v_or_b32_e32 v10, 0x700, v0
	v_cmp_gt_u32_e32 vcc, s14, v10
                                        ; implicit-def: $vgpr10
	s_and_saveexec_b64 s[4:5], vcc
	s_cbranch_execz .LBB834_23
; %bb.22:
	v_lshlrev_b32_e32 v10, 1, v0
	v_readfirstlane_b32 s6, v14
	v_readfirstlane_b32 s7, v15
	s_nop 4
	global_load_ushort v10, v10, s[6:7] offset:3584
.LBB834_23:
	s_or_b64 exec, exec, s[4:5]
	v_or_b32_e32 v12, 0x800, v0
	v_cmp_gt_u32_e32 vcc, s14, v12
                                        ; implicit-def: $vgpr11
	s_and_saveexec_b64 s[4:5], vcc
	s_cbranch_execz .LBB834_25
; %bb.24:
	v_lshlrev_b32_e32 v11, 1, v12
	v_readfirstlane_b32 s6, v14
	v_readfirstlane_b32 s7, v15
	s_nop 4
	global_load_ushort v11, v11, s[6:7]
.LBB834_25:
	s_or_b64 exec, exec, s[4:5]
	v_or_b32_e32 v13, 0x900, v0
	v_cmp_gt_u32_e32 vcc, s14, v13
                                        ; implicit-def: $vgpr12
	s_and_saveexec_b64 s[4:5], vcc
	s_cbranch_execz .LBB834_27
; %bb.26:
	v_lshlrev_b32_e32 v12, 1, v13
	v_readfirstlane_b32 s6, v14
	v_readfirstlane_b32 s7, v15
	s_nop 4
	global_load_ushort v12, v12, s[6:7]
.LBB834_27:
	s_or_b64 exec, exec, s[4:5]
	v_or_b32_e32 v16, 0xa00, v0
	v_cmp_gt_u32_e32 vcc, s14, v16
                                        ; implicit-def: $vgpr13
	s_and_saveexec_b64 s[4:5], vcc
	s_cbranch_execz .LBB834_29
; %bb.28:
	v_lshlrev_b32_e32 v13, 1, v16
	v_readfirstlane_b32 s6, v14
	v_readfirstlane_b32 s7, v15
	s_nop 4
	global_load_ushort v13, v13, s[6:7]
.LBB834_29:
	s_or_b64 exec, exec, s[4:5]
	v_or_b32_e32 v17, 0xb00, v0
	v_cmp_gt_u32_e32 vcc, s14, v17
                                        ; implicit-def: $vgpr16
	s_and_saveexec_b64 s[4:5], vcc
	s_cbranch_execz .LBB834_31
; %bb.30:
	v_lshlrev_b32_e32 v16, 1, v17
	v_readfirstlane_b32 s6, v14
	v_readfirstlane_b32 s7, v15
	s_nop 4
	global_load_ushort v16, v16, s[6:7]
.LBB834_31:
	s_or_b64 exec, exec, s[4:5]
	v_or_b32_e32 v18, 0xc00, v0
	v_cmp_gt_u32_e32 vcc, s14, v18
                                        ; implicit-def: $vgpr17
	s_and_saveexec_b64 s[4:5], vcc
	s_cbranch_execz .LBB834_33
; %bb.32:
	v_lshlrev_b32_e32 v17, 1, v18
	v_readfirstlane_b32 s6, v14
	v_readfirstlane_b32 s7, v15
	s_nop 4
	global_load_ushort v17, v17, s[6:7]
.LBB834_33:
	s_or_b64 exec, exec, s[4:5]
	v_or_b32_e32 v19, 0xd00, v0
	v_cmp_gt_u32_e32 vcc, s14, v19
                                        ; implicit-def: $vgpr18
	s_and_saveexec_b64 s[4:5], vcc
	s_cbranch_execz .LBB834_35
; %bb.34:
	v_lshlrev_b32_e32 v18, 1, v19
	v_readfirstlane_b32 s6, v14
	v_readfirstlane_b32 s7, v15
	s_nop 4
	global_load_ushort v18, v18, s[6:7]
.LBB834_35:
	s_or_b64 exec, exec, s[4:5]
	v_or_b32_e32 v20, 0xe00, v0
	v_cmp_gt_u32_e32 vcc, s14, v20
                                        ; implicit-def: $vgpr19
	s_and_saveexec_b64 s[4:5], vcc
	s_cbranch_execz .LBB834_37
; %bb.36:
	v_lshlrev_b32_e32 v19, 1, v20
	v_readfirstlane_b32 s6, v14
	v_readfirstlane_b32 s7, v15
	s_nop 4
	global_load_ushort v19, v19, s[6:7]
.LBB834_37:
	s_or_b64 exec, exec, s[4:5]
	v_or_b32_e32 v21, 0xf00, v0
	v_cmp_gt_u32_e32 vcc, s14, v21
                                        ; implicit-def: $vgpr20
	s_and_saveexec_b64 s[4:5], vcc
	s_cbranch_execz .LBB834_39
; %bb.38:
	v_lshlrev_b32_e32 v20, 1, v21
	v_readfirstlane_b32 s6, v14
	v_readfirstlane_b32 s7, v15
	s_nop 4
	global_load_ushort v20, v20, s[6:7]
.LBB834_39:
	s_or_b64 exec, exec, s[4:5]
	v_or_b32_e32 v22, 0x1000, v0
	v_cmp_gt_u32_e32 vcc, s14, v22
                                        ; implicit-def: $vgpr21
	s_and_saveexec_b64 s[4:5], vcc
	s_cbranch_execz .LBB834_41
; %bb.40:
	v_lshlrev_b32_e32 v21, 1, v22
	v_readfirstlane_b32 s6, v14
	v_readfirstlane_b32 s7, v15
	s_nop 4
	global_load_ushort v21, v21, s[6:7]
.LBB834_41:
	s_or_b64 exec, exec, s[4:5]
	v_or_b32_e32 v23, 0x1100, v0
	v_cmp_gt_u32_e32 vcc, s14, v23
                                        ; implicit-def: $vgpr22
	s_and_saveexec_b64 s[4:5], vcc
	s_cbranch_execz .LBB834_43
; %bb.42:
	v_lshlrev_b32_e32 v22, 1, v23
	v_readfirstlane_b32 s6, v14
	v_readfirstlane_b32 s7, v15
	s_nop 4
	global_load_ushort v22, v22, s[6:7]
.LBB834_43:
	s_or_b64 exec, exec, s[4:5]
	v_or_b32_e32 v24, 0x1200, v0
	v_cmp_gt_u32_e32 vcc, s14, v24
                                        ; implicit-def: $vgpr23
	s_and_saveexec_b64 s[4:5], vcc
	s_cbranch_execz .LBB834_45
; %bb.44:
	v_lshlrev_b32_e32 v23, 1, v24
	v_readfirstlane_b32 s6, v14
	v_readfirstlane_b32 s7, v15
	s_nop 4
	global_load_ushort v23, v23, s[6:7]
.LBB834_45:
	s_or_b64 exec, exec, s[4:5]
	v_or_b32_e32 v25, 0x1300, v0
	v_cmp_gt_u32_e32 vcc, s14, v25
                                        ; implicit-def: $vgpr24
	s_and_saveexec_b64 s[4:5], vcc
	s_cbranch_execz .LBB834_47
; %bb.46:
	v_lshlrev_b32_e32 v24, 1, v25
	v_readfirstlane_b32 s6, v14
	v_readfirstlane_b32 s7, v15
	s_nop 4
	global_load_ushort v24, v24, s[6:7]
.LBB834_47:
	s_or_b64 exec, exec, s[4:5]
	v_or_b32_e32 v26, 0x1400, v0
	v_cmp_gt_u32_e32 vcc, s14, v26
                                        ; implicit-def: $vgpr25
	s_and_saveexec_b64 s[4:5], vcc
	s_cbranch_execz .LBB834_49
; %bb.48:
	v_lshlrev_b32_e32 v25, 1, v26
	v_readfirstlane_b32 s6, v14
	v_readfirstlane_b32 s7, v15
	s_nop 4
	global_load_ushort v25, v25, s[6:7]
.LBB834_49:
	s_or_b64 exec, exec, s[4:5]
	v_or_b32_e32 v27, 0x1500, v0
	v_cmp_gt_u32_e32 vcc, s14, v27
                                        ; implicit-def: $vgpr26
	s_and_saveexec_b64 s[4:5], vcc
	s_cbranch_execz .LBB834_51
; %bb.50:
	v_lshlrev_b32_e32 v26, 1, v27
	v_readfirstlane_b32 s6, v14
	v_readfirstlane_b32 s7, v15
	s_nop 4
	global_load_ushort v26, v26, s[6:7]
.LBB834_51:
	s_or_b64 exec, exec, s[4:5]
	v_lshlrev_b32_e32 v27, 1, v0
	s_waitcnt vmcnt(0)
	ds_write_b16 v27, v1
	ds_write_b16 v27, v2 offset:512
	ds_write_b16 v27, v3 offset:1024
	;; [unrolled: 1-line block ×21, first 2 shown]
	s_waitcnt lgkmcnt(0)
	s_barrier
.LBB834_52:
	v_mul_u32_u24_e32 v24, 22, v0
	v_lshlrev_b32_e32 v38, 1, v24
	ds_read_b32 v1, v38 offset:40
	ds_read2_b32 v[2:3], v38 offset0:8 offset1:9
	ds_read2_b32 v[12:13], v38 offset1:1
	ds_read2_b32 v[10:11], v38 offset0:2 offset1:3
	ds_read2_b32 v[4:5], v38 offset0:6 offset1:7
	;; [unrolled: 1-line block ×3, first 2 shown]
	s_cmp_lg_u32 s33, 0
	s_cselect_b64 s[16:17], -1, 0
	s_cmp_lg_u64 s[10:11], 0
	s_cselect_b64 s[4:5], -1, 0
	s_or_b64 s[4:5], s[4:5], s[16:17]
	v_mad_u32_u24 v16, v0, 22, 21
	v_mad_u32_u24 v17, v0, 22, 20
	;; [unrolled: 1-line block ×8, first 2 shown]
	v_or_b32_e32 v36, 1, v24
	v_mad_u32_u24 v37, v0, 22, 2
	v_mad_u32_u24 v35, v0, 22, 3
	;; [unrolled: 1-line block ×12, first 2 shown]
	s_mov_b64 s[12:13], 0
	s_and_b64 vcc, exec, s[4:5]
	s_waitcnt lgkmcnt(0)
	s_barrier
	s_cbranch_vccz .LBB834_57
; %bb.53:
	global_load_ushort v14, v[14:15], off offset:-2
	v_lshlrev_b32_e32 v15, 1, v0
	s_and_b64 vcc, exec, s[22:23]
	ds_write_b16_d16_hi v15, v1
	s_cbranch_vccz .LBB834_59
; %bb.54:
	s_waitcnt vmcnt(0)
	v_mov_b32_e32 v39, v14
	s_waitcnt lgkmcnt(0)
	s_barrier
	s_and_saveexec_b64 s[4:5], s[2:3]
	s_cbranch_execz .LBB834_56
; %bb.55:
	v_add_u32_e32 v39, -2, v15
	ds_read_u16 v39, v39
.LBB834_56:
	s_or_b64 exec, exec, s[4:5]
	v_and_b32_e32 v40, 0xffff0000, v1
	v_lshlrev_b32_e32 v41, 16, v1
	v_cmp_neq_f32_e32 vcc, v41, v40
	v_and_b32_e32 v40, 0xffff0000, v3
	v_cndmask_b32_e64 v62, 0, 1, vcc
	v_lshlrev_b32_e32 v42, 16, v3
	v_cmp_neq_f32_e32 vcc, v40, v41
	v_cndmask_b32_e64 v63, 0, 1, vcc
	v_cmp_neq_f32_e32 vcc, v42, v40
	v_and_b32_e32 v40, 0xffff0000, v2
	v_cndmask_b32_e64 v64, 0, 1, vcc
	v_lshlrev_b32_e32 v41, 16, v2
	v_cmp_neq_f32_e32 vcc, v40, v42
	v_cndmask_b32_e64 v65, 0, 1, vcc
	v_cmp_neq_f32_e32 vcc, v41, v40
	v_and_b32_e32 v40, 0xffff0000, v5
	v_cndmask_b32_e64 v66, 0, 1, vcc
	v_lshlrev_b32_e32 v42, 16, v5
	v_cmp_neq_f32_e32 vcc, v40, v41
	v_cndmask_b32_e64 v67, 0, 1, vcc
	v_cmp_neq_f32_e32 vcc, v42, v40
	v_and_b32_e32 v40, 0xffff0000, v4
	v_cndmask_b32_e64 v68, 0, 1, vcc
	v_lshlrev_b32_e32 v41, 16, v4
	v_cmp_neq_f32_e32 vcc, v40, v42
	v_cndmask_b32_e64 v69, 0, 1, vcc
	v_cmp_neq_f32_e32 vcc, v41, v40
	v_and_b32_e32 v40, 0xffff0000, v7
	v_cndmask_b32_e64 v70, 0, 1, vcc
	v_lshlrev_b32_e32 v42, 16, v7
	v_cmp_neq_f32_e32 vcc, v40, v41
	v_cndmask_b32_e64 v71, 0, 1, vcc
	v_cmp_neq_f32_e32 vcc, v42, v40
	v_and_b32_e32 v40, 0xffff0000, v6
	v_cndmask_b32_e64 v72, 0, 1, vcc
	v_lshlrev_b32_e32 v41, 16, v6
	v_cmp_neq_f32_e32 vcc, v40, v42
	v_cndmask_b32_e64 v73, 0, 1, vcc
	v_cmp_neq_f32_e32 vcc, v41, v40
	v_and_b32_e32 v40, 0xffff0000, v11
	v_cndmask_b32_e64 v74, 0, 1, vcc
	v_lshlrev_b32_e32 v42, 16, v11
	v_cmp_neq_f32_e32 vcc, v40, v41
	v_cndmask_b32_e64 v75, 0, 1, vcc
	v_cmp_neq_f32_e32 vcc, v42, v40
	v_and_b32_e32 v40, 0xffff0000, v10
	v_cndmask_b32_e64 v76, 0, 1, vcc
	v_lshlrev_b32_e32 v41, 16, v10
	v_cmp_neq_f32_e32 vcc, v40, v42
	v_cndmask_b32_e64 v77, 0, 1, vcc
	v_cmp_neq_f32_e32 vcc, v41, v40
	v_and_b32_e32 v40, 0xffff0000, v13
	v_cndmask_b32_e64 v78, 0, 1, vcc
	v_lshlrev_b32_e32 v42, 16, v13
	v_cmp_neq_f32_e32 vcc, v40, v41
	v_cndmask_b32_e64 v79, 0, 1, vcc
	v_cmp_neq_f32_e32 vcc, v42, v40
	v_and_b32_e32 v40, 0xffff0000, v12
	v_cndmask_b32_e64 v80, 0, 1, vcc
	v_lshlrev_b32_e32 v41, 16, v12
	v_cmp_neq_f32_e32 vcc, v40, v42
	v_cndmask_b32_e64 v81, 0, 1, vcc
	v_cmp_neq_f32_e32 vcc, v41, v40
	s_waitcnt lgkmcnt(0)
	v_lshlrev_b32_e32 v39, 16, v39
	v_cndmask_b32_e64 v82, 0, 1, vcc
	v_cmp_neq_f32_e64 s[4:5], v41, v39
	s_branch .LBB834_63
.LBB834_57:
                                        ; implicit-def: $sgpr4_sgpr5
                                        ; implicit-def: $vgpr82
                                        ; implicit-def: $vgpr81
                                        ; implicit-def: $vgpr80
                                        ; implicit-def: $vgpr79
                                        ; implicit-def: $vgpr78
                                        ; implicit-def: $vgpr77
                                        ; implicit-def: $vgpr76
                                        ; implicit-def: $vgpr75
                                        ; implicit-def: $vgpr74
                                        ; implicit-def: $vgpr73
                                        ; implicit-def: $vgpr72
                                        ; implicit-def: $vgpr71
                                        ; implicit-def: $vgpr70
                                        ; implicit-def: $vgpr69
                                        ; implicit-def: $vgpr68
                                        ; implicit-def: $vgpr67
                                        ; implicit-def: $vgpr66
                                        ; implicit-def: $vgpr65
                                        ; implicit-def: $vgpr64
                                        ; implicit-def: $vgpr63
                                        ; implicit-def: $vgpr62
	s_branch .LBB834_64
.LBB834_58:
                                        ; implicit-def: $sgpr10
	s_branch .LBB834_72
.LBB834_59:
                                        ; implicit-def: $sgpr4_sgpr5
                                        ; implicit-def: $vgpr82
                                        ; implicit-def: $vgpr81
                                        ; implicit-def: $vgpr80
                                        ; implicit-def: $vgpr79
                                        ; implicit-def: $vgpr78
                                        ; implicit-def: $vgpr77
                                        ; implicit-def: $vgpr76
                                        ; implicit-def: $vgpr75
                                        ; implicit-def: $vgpr74
                                        ; implicit-def: $vgpr73
                                        ; implicit-def: $vgpr72
                                        ; implicit-def: $vgpr71
                                        ; implicit-def: $vgpr70
                                        ; implicit-def: $vgpr69
                                        ; implicit-def: $vgpr68
                                        ; implicit-def: $vgpr67
                                        ; implicit-def: $vgpr66
                                        ; implicit-def: $vgpr65
                                        ; implicit-def: $vgpr64
                                        ; implicit-def: $vgpr63
                                        ; implicit-def: $vgpr62
	s_cbranch_execz .LBB834_63
; %bb.60:
	s_waitcnt lgkmcnt(0)
	s_barrier
	s_and_saveexec_b64 s[4:5], s[2:3]
	s_cbranch_execz .LBB834_62
; %bb.61:
	s_waitcnt vmcnt(0)
	v_add_u32_e32 v14, -2, v15
	ds_read_u16 v14, v14
.LBB834_62:
	s_or_b64 exec, exec, s[4:5]
	v_and_b32_e32 v15, 0xffff0000, v1
	v_lshlrev_b32_e32 v39, 16, v1
	v_cmp_gt_u32_e32 vcc, s14, v16
	v_cmp_neq_f32_e64 s[4:5], v39, v15
	v_and_b32_e32 v15, 0xffff0000, v3
	s_and_b64 s[4:5], vcc, s[4:5]
	v_cmp_gt_u32_e32 vcc, s14, v17
	v_lshlrev_b32_e32 v40, 16, v3
	v_cmp_neq_f32_e64 s[6:7], v15, v39
	v_cndmask_b32_e64 v62, 0, 1, s[4:5]
	v_cmp_gt_u32_e64 s[4:5], s14, v18
	s_and_b64 s[6:7], vcc, s[6:7]
	v_cmp_neq_f32_e32 vcc, v40, v15
	v_and_b32_e32 v15, 0xffff0000, v2
	v_cndmask_b32_e64 v63, 0, 1, s[6:7]
	s_and_b64 s[4:5], s[4:5], vcc
	v_cmp_gt_u32_e32 vcc, s14, v19
	v_lshlrev_b32_e32 v39, 16, v2
	v_cmp_neq_f32_e64 s[6:7], v15, v40
	v_cndmask_b32_e64 v64, 0, 1, s[4:5]
	v_cmp_gt_u32_e64 s[4:5], s14, v20
	s_and_b64 s[6:7], vcc, s[6:7]
	v_cmp_neq_f32_e32 vcc, v39, v15
	v_and_b32_e32 v15, 0xffff0000, v5
	v_cndmask_b32_e64 v65, 0, 1, s[6:7]
	s_and_b64 s[4:5], s[4:5], vcc
	v_cmp_gt_u32_e32 vcc, s14, v21
	v_lshlrev_b32_e32 v40, 16, v5
	v_cmp_neq_f32_e64 s[6:7], v15, v39
	v_cndmask_b32_e64 v66, 0, 1, s[4:5]
	v_cmp_gt_u32_e64 s[4:5], s14, v22
	s_and_b64 s[6:7], vcc, s[6:7]
	v_cmp_neq_f32_e32 vcc, v40, v15
	v_and_b32_e32 v15, 0xffff0000, v4
	v_cndmask_b32_e64 v67, 0, 1, s[6:7]
	s_and_b64 s[4:5], s[4:5], vcc
	v_cmp_gt_u32_e32 vcc, s14, v23
	v_lshlrev_b32_e32 v39, 16, v4
	v_cmp_neq_f32_e64 s[6:7], v15, v40
	v_cndmask_b32_e64 v68, 0, 1, s[4:5]
	v_cmp_gt_u32_e64 s[4:5], s14, v25
	s_and_b64 s[6:7], vcc, s[6:7]
	v_cmp_neq_f32_e32 vcc, v39, v15
	v_and_b32_e32 v15, 0xffff0000, v7
	v_cndmask_b32_e64 v69, 0, 1, s[6:7]
	s_and_b64 s[4:5], s[4:5], vcc
	v_cmp_gt_u32_e32 vcc, s14, v26
	v_lshlrev_b32_e32 v40, 16, v7
	v_cmp_neq_f32_e64 s[6:7], v15, v39
	v_cndmask_b32_e64 v70, 0, 1, s[4:5]
	v_cmp_gt_u32_e64 s[4:5], s14, v28
	s_and_b64 s[6:7], vcc, s[6:7]
	v_cmp_neq_f32_e32 vcc, v40, v15
	v_and_b32_e32 v15, 0xffff0000, v6
	v_cndmask_b32_e64 v71, 0, 1, s[6:7]
	s_and_b64 s[4:5], s[4:5], vcc
	v_cmp_gt_u32_e32 vcc, s14, v30
	v_lshlrev_b32_e32 v39, 16, v6
	v_cmp_neq_f32_e64 s[6:7], v15, v40
	v_cndmask_b32_e64 v72, 0, 1, s[4:5]
	v_cmp_gt_u32_e64 s[4:5], s14, v27
	s_and_b64 s[6:7], vcc, s[6:7]
	v_cmp_neq_f32_e32 vcc, v39, v15
	v_and_b32_e32 v15, 0xffff0000, v11
	v_cndmask_b32_e64 v73, 0, 1, s[6:7]
	s_and_b64 s[4:5], s[4:5], vcc
	v_cmp_gt_u32_e32 vcc, s14, v29
	v_lshlrev_b32_e32 v40, 16, v11
	v_cmp_neq_f32_e64 s[6:7], v15, v39
	v_cndmask_b32_e64 v74, 0, 1, s[4:5]
	v_cmp_gt_u32_e64 s[4:5], s14, v32
	s_and_b64 s[6:7], vcc, s[6:7]
	v_cmp_neq_f32_e32 vcc, v40, v15
	v_and_b32_e32 v15, 0xffff0000, v10
	v_cndmask_b32_e64 v75, 0, 1, s[6:7]
	s_and_b64 s[4:5], s[4:5], vcc
	v_cmp_gt_u32_e32 vcc, s14, v34
	v_lshlrev_b32_e32 v39, 16, v10
	v_cmp_neq_f32_e64 s[6:7], v15, v40
	v_cndmask_b32_e64 v76, 0, 1, s[4:5]
	v_cmp_gt_u32_e64 s[4:5], s14, v31
	s_and_b64 s[6:7], vcc, s[6:7]
	v_cmp_neq_f32_e32 vcc, v39, v15
	v_and_b32_e32 v15, 0xffff0000, v13
	v_cndmask_b32_e64 v77, 0, 1, s[6:7]
	s_and_b64 s[4:5], s[4:5], vcc
	v_cmp_gt_u32_e32 vcc, s14, v33
	v_lshlrev_b32_e32 v40, 16, v13
	v_cmp_neq_f32_e64 s[6:7], v15, v39
	v_cndmask_b32_e64 v78, 0, 1, s[4:5]
	v_cmp_gt_u32_e64 s[4:5], s14, v35
	s_and_b64 s[6:7], vcc, s[6:7]
	v_cmp_neq_f32_e32 vcc, v40, v15
	v_and_b32_e32 v15, 0xffff0000, v12
	v_cndmask_b32_e64 v79, 0, 1, s[6:7]
	s_and_b64 s[4:5], s[4:5], vcc
	v_cmp_gt_u32_e32 vcc, s14, v37
	v_lshlrev_b32_e32 v39, 16, v12
	v_cmp_neq_f32_e64 s[6:7], v15, v40
	v_cndmask_b32_e64 v80, 0, 1, s[4:5]
	v_cmp_gt_u32_e64 s[4:5], s14, v36
	s_and_b64 s[6:7], vcc, s[6:7]
	v_cmp_neq_f32_e32 vcc, v39, v15
	s_and_b64 s[4:5], s[4:5], vcc
	s_waitcnt vmcnt(0) lgkmcnt(0)
	v_lshlrev_b32_e32 v14, 16, v14
	v_cndmask_b32_e64 v82, 0, 1, s[4:5]
	v_cmp_gt_u32_e32 vcc, s14, v24
	v_cmp_neq_f32_e64 s[4:5], v39, v14
	v_cndmask_b32_e64 v81, 0, 1, s[6:7]
	s_and_b64 s[4:5], vcc, s[4:5]
.LBB834_63:
	s_mov_b64 s[12:13], -1
	s_cbranch_execnz .LBB834_58
.LBB834_64:
	s_movk_i32 s4, 0xffd6
	s_waitcnt vmcnt(0)
	v_mad_i32_i24 v14, v0, s4, v38
	s_and_b64 vcc, exec, s[22:23]
	v_lshlrev_b32_e32 v47, 16, v1
	v_lshlrev_b32_e32 v46, 16, v3
	;; [unrolled: 1-line block ×11, first 2 shown]
	ds_write_b16_d16_hi v14, v1
	s_cbranch_vccz .LBB834_68
; %bb.65:
	v_and_b32_e32 v48, 0xffff0000, v1
	v_cmp_neq_f32_e32 vcc, v47, v48
	v_and_b32_e32 v48, 0xffff0000, v3
	v_cndmask_b32_e64 v62, 0, 1, vcc
	v_cmp_neq_f32_e32 vcc, v48, v47
	v_cndmask_b32_e64 v63, 0, 1, vcc
	v_cmp_neq_f32_e32 vcc, v46, v48
	v_and_b32_e32 v48, 0xffff0000, v2
	v_cndmask_b32_e64 v64, 0, 1, vcc
	v_cmp_neq_f32_e32 vcc, v48, v46
	v_cndmask_b32_e64 v65, 0, 1, vcc
	;; [unrolled: 5-line block ×10, first 2 shown]
	v_cmp_neq_f32_e32 vcc, v15, v48
	v_cndmask_b32_e64 v82, 0, 1, vcc
	s_waitcnt lgkmcnt(0)
	s_barrier
	s_waitcnt lgkmcnt(0)
                                        ; implicit-def: $sgpr4_sgpr5
	s_and_saveexec_b64 s[6:7], s[2:3]
	s_xor_b64 s[6:7], exec, s[6:7]
	s_cbranch_execz .LBB834_67
; %bb.66:
	v_add_u32_e32 v48, -2, v14
	ds_read_u16 v48, v48
	s_or_b64 s[12:13], s[12:13], exec
	s_waitcnt lgkmcnt(0)
	v_lshlrev_b32_e32 v48, 16, v48
	v_cmp_neq_f32_e32 vcc, v15, v48
	s_and_b64 s[4:5], vcc, exec
.LBB834_67:
	s_or_b64 exec, exec, s[6:7]
	s_mov_b32 s10, 1
	s_branch .LBB834_72
.LBB834_68:
                                        ; implicit-def: $sgpr4_sgpr5
                                        ; implicit-def: $vgpr82
                                        ; implicit-def: $vgpr81
                                        ; implicit-def: $vgpr80
                                        ; implicit-def: $vgpr79
                                        ; implicit-def: $vgpr78
                                        ; implicit-def: $vgpr77
                                        ; implicit-def: $vgpr76
                                        ; implicit-def: $vgpr75
                                        ; implicit-def: $vgpr74
                                        ; implicit-def: $vgpr73
                                        ; implicit-def: $vgpr72
                                        ; implicit-def: $vgpr71
                                        ; implicit-def: $vgpr70
                                        ; implicit-def: $vgpr69
                                        ; implicit-def: $vgpr68
                                        ; implicit-def: $vgpr67
                                        ; implicit-def: $vgpr66
                                        ; implicit-def: $vgpr65
                                        ; implicit-def: $vgpr64
                                        ; implicit-def: $vgpr63
                                        ; implicit-def: $vgpr62
                                        ; implicit-def: $sgpr10
	s_cbranch_execz .LBB834_72
; %bb.69:
	v_and_b32_e32 v48, 0xffff0000, v1
	v_cmp_gt_u32_e32 vcc, s14, v16
	v_cmp_neq_f32_e64 s[4:5], v47, v48
	v_and_b32_e32 v48, 0xffff0000, v3
	s_and_b64 s[4:5], vcc, s[4:5]
	v_cmp_gt_u32_e32 vcc, s14, v17
	v_cmp_neq_f32_e64 s[6:7], v48, v47
	v_cndmask_b32_e64 v62, 0, 1, s[4:5]
	v_cmp_gt_u32_e64 s[4:5], s14, v18
	s_and_b64 s[6:7], vcc, s[6:7]
	v_cmp_neq_f32_e32 vcc, v46, v48
	v_and_b32_e32 v47, 0xffff0000, v2
	v_cndmask_b32_e64 v63, 0, 1, s[6:7]
	s_and_b64 s[4:5], s[4:5], vcc
	v_cmp_gt_u32_e32 vcc, s14, v19
	v_cmp_neq_f32_e64 s[6:7], v47, v46
	v_cndmask_b32_e64 v64, 0, 1, s[4:5]
	v_cmp_gt_u32_e64 s[4:5], s14, v20
	s_and_b64 s[6:7], vcc, s[6:7]
	v_cmp_neq_f32_e32 vcc, v45, v47
	v_and_b32_e32 v46, 0xffff0000, v5
	v_cndmask_b32_e64 v65, 0, 1, s[6:7]
	s_and_b64 s[4:5], s[4:5], vcc
	;; [unrolled: 9-line block ×9, first 2 shown]
	v_cmp_gt_u32_e32 vcc, s14, v37
	v_cmp_neq_f32_e64 s[6:7], v39, v38
	v_cndmask_b32_e64 v80, 0, 1, s[4:5]
	v_cmp_gt_u32_e64 s[4:5], s14, v36
	s_and_b64 s[6:7], vcc, s[6:7]
	v_cmp_neq_f32_e32 vcc, v15, v39
	s_and_b64 s[4:5], s[4:5], vcc
	v_cndmask_b32_e64 v81, 0, 1, s[6:7]
	v_cndmask_b32_e64 v82, 0, 1, s[4:5]
	s_waitcnt lgkmcnt(0)
	s_barrier
	s_waitcnt lgkmcnt(0)
                                        ; implicit-def: $sgpr4_sgpr5
	s_and_saveexec_b64 s[6:7], s[2:3]
	s_cbranch_execz .LBB834_71
; %bb.70:
	v_add_u32_e32 v14, -2, v14
	ds_read_u16 v14, v14
	v_cmp_gt_u32_e32 vcc, s14, v24
	s_or_b64 s[12:13], s[12:13], exec
	s_waitcnt lgkmcnt(0)
	v_lshlrev_b32_e32 v14, 16, v14
	v_cmp_neq_f32_e64 s[2:3], v15, v14
	s_and_b64 s[2:3], vcc, s[2:3]
	s_and_b64 s[4:5], s[2:3], exec
.LBB834_71:
	s_or_b64 exec, exec, s[6:7]
	s_mov_b32 s10, 1
.LBB834_72:
	v_mov_b32_e32 v83, s10
	s_and_saveexec_b64 s[2:3], s[12:13]
; %bb.73:
	v_cndmask_b32_e64 v83, 0, 1, s[4:5]
; %bb.74:
	s_or_b64 exec, exec, s[2:3]
	s_andn2_b64 vcc, exec, s[8:9]
	s_cbranch_vccnz .LBB834_76
; %bb.75:
	v_cmp_gt_u32_e32 vcc, s14, v24
	v_cndmask_b32_e32 v83, 0, v83, vcc
	v_cmp_gt_u32_e32 vcc, s14, v36
	v_cndmask_b32_e32 v82, 0, v82, vcc
	;; [unrolled: 2-line block ×22, first 2 shown]
.LBB834_76:
	v_and_b32_e32 v49, 0xff, v65
	v_and_b32_e32 v51, 0xff, v64
	s_waitcnt vmcnt(0)
	v_add_u32_sdwa v14, v63, v62 dst_sel:DWORD dst_unused:UNUSED_PAD src0_sel:BYTE_0 src1_sel:BYTE_0
	v_and_b32_e32 v45, 0xff, v67
	v_and_b32_e32 v47, 0xff, v66
	v_add3_u32 v14, v14, v51, v49
	v_and_b32_e32 v41, 0xff, v69
	v_and_b32_e32 v43, 0xff, v68
	v_add3_u32 v14, v14, v47, v45
	v_and_b32_e32 v37, 0xff, v71
	v_and_b32_e32 v39, 0xff, v70
	v_add3_u32 v14, v14, v43, v41
	v_and_b32_e32 v34, 0xff, v73
	v_and_b32_e32 v35, 0xff, v72
	v_add3_u32 v14, v14, v39, v37
	v_and_b32_e32 v32, 0xff, v75
	v_and_b32_e32 v33, 0xff, v74
	v_add3_u32 v14, v14, v35, v34
	v_and_b32_e32 v30, 0xff, v77
	v_and_b32_e32 v31, 0xff, v76
	v_add3_u32 v14, v14, v33, v32
	v_and_b32_e32 v28, 0xff, v79
	v_and_b32_e32 v29, 0xff, v78
	v_add3_u32 v14, v14, v31, v30
	v_and_b32_e32 v26, 0xff, v81
	v_and_b32_e32 v27, 0xff, v80
	v_add3_u32 v14, v14, v29, v28
	v_and_b32_e32 v24, 0xff, v83
	v_and_b32_e32 v25, 0xff, v82
	v_add3_u32 v14, v14, v27, v26
	v_add3_u32 v40, v14, v25, v24
	v_mbcnt_lo_u32_b32 v14, -1, 0
	v_mbcnt_hi_u32_b32 v36, -1, v14
	v_and_b32_e32 v14, 15, v36
	v_cmp_eq_u32_e64 s[14:15], 0, v14
	v_cmp_lt_u32_e64 s[12:13], 1, v14
	v_cmp_lt_u32_e64 s[10:11], 3, v14
	;; [unrolled: 1-line block ×3, first 2 shown]
	v_and_b32_e32 v14, 16, v36
	v_cmp_eq_u32_e64 s[6:7], 0, v14
	v_or_b32_e32 v14, 63, v0
	v_cmp_lt_u32_e64 s[2:3], 31, v36
	v_lshrrev_b32_e32 v38, 6, v0
	v_cmp_eq_u32_e64 s[4:5], v14, v0
	s_and_b64 vcc, exec, s[16:17]
	s_waitcnt lgkmcnt(0)
	s_barrier
	s_cbranch_vccz .LBB834_107
; %bb.77:
	v_mov_b32_dpp v14, v40 row_shr:1 row_mask:0xf bank_mask:0xf
	v_cndmask_b32_e64 v14, v14, 0, s[14:15]
	v_add_u32_e32 v14, v14, v40
	s_nop 1
	v_mov_b32_dpp v15, v14 row_shr:2 row_mask:0xf bank_mask:0xf
	v_cndmask_b32_e64 v15, 0, v15, s[12:13]
	v_add_u32_e32 v14, v14, v15
	s_nop 1
	;; [unrolled: 4-line block ×4, first 2 shown]
	v_mov_b32_dpp v15, v14 row_bcast:15 row_mask:0xf bank_mask:0xf
	v_cndmask_b32_e64 v15, v15, 0, s[6:7]
	v_add_u32_e32 v14, v14, v15
	s_nop 1
	v_mov_b32_dpp v15, v14 row_bcast:31 row_mask:0xf bank_mask:0xf
	v_cndmask_b32_e64 v15, 0, v15, s[2:3]
	v_add_u32_e32 v14, v14, v15
	s_and_saveexec_b64 s[16:17], s[4:5]
	s_cbranch_execz .LBB834_79
; %bb.78:
	v_lshlrev_b32_e32 v15, 2, v38
	ds_write_b32 v15, v14
.LBB834_79:
	s_or_b64 exec, exec, s[16:17]
	v_cmp_gt_u32_e32 vcc, 4, v0
	s_waitcnt lgkmcnt(0)
	s_barrier
	s_and_saveexec_b64 s[16:17], vcc
	s_cbranch_execz .LBB834_81
; %bb.80:
	v_lshlrev_b32_e32 v15, 2, v0
	ds_read_b32 v16, v15
	v_and_b32_e32 v17, 3, v36
	v_cmp_ne_u32_e32 vcc, 0, v17
	s_waitcnt lgkmcnt(0)
	v_mov_b32_dpp v18, v16 row_shr:1 row_mask:0xf bank_mask:0xf
	v_cndmask_b32_e32 v18, 0, v18, vcc
	v_add_u32_e32 v16, v18, v16
	v_cmp_lt_u32_e32 vcc, 1, v17
	s_nop 0
	v_mov_b32_dpp v18, v16 row_shr:2 row_mask:0xf bank_mask:0xf
	v_cndmask_b32_e32 v17, 0, v18, vcc
	v_add_u32_e32 v16, v16, v17
	ds_write_b32 v15, v16
.LBB834_81:
	s_or_b64 exec, exec, s[16:17]
	v_cmp_gt_u32_e32 vcc, 64, v0
	v_cmp_lt_u32_e64 s[16:17], 63, v0
	s_waitcnt lgkmcnt(0)
	s_barrier
	s_waitcnt lgkmcnt(0)
                                        ; implicit-def: $vgpr42
	s_and_saveexec_b64 s[28:29], s[16:17]
	s_cbranch_execz .LBB834_83
; %bb.82:
	v_lshl_add_u32 v15, v38, 2, -4
	ds_read_b32 v42, v15
	s_waitcnt lgkmcnt(0)
	v_add_u32_e32 v14, v42, v14
.LBB834_83:
	s_or_b64 exec, exec, s[28:29]
	v_add_u32_e32 v15, -1, v36
	v_and_b32_e32 v16, 64, v36
	v_cmp_lt_i32_e64 s[16:17], v15, v16
	v_cndmask_b32_e64 v15, v15, v36, s[16:17]
	v_lshlrev_b32_e32 v15, 2, v15
	ds_bpermute_b32 v44, v15, v14
	v_cmp_eq_u32_e64 s[16:17], 0, v36
	s_and_saveexec_b64 s[28:29], vcc
	s_cbranch_execz .LBB834_106
; %bb.84:
	v_mov_b32_e32 v23, 0
	ds_read_b32 v14, v23 offset:12
	s_and_saveexec_b64 s[30:31], s[16:17]
	s_cbranch_execz .LBB834_86
; %bb.85:
	s_add_i32 s34, s33, 64
	s_mov_b32 s35, 0
	s_lshl_b64 s[34:35], s[34:35], 3
	s_add_u32 s34, s26, s34
	v_mov_b32_e32 v15, 1
	s_addc_u32 s35, s27, s35
	s_waitcnt lgkmcnt(0)
	global_store_dwordx2 v23, v[14:15], s[34:35]
.LBB834_86:
	s_or_b64 exec, exec, s[30:31]
	v_xad_u32 v16, v36, -1, s33
	v_add_u32_e32 v22, 64, v16
	v_lshlrev_b64 v[18:19], 3, v[22:23]
	v_mov_b32_e32 v15, s27
	v_add_co_u32_e32 v18, vcc, s26, v18
	v_addc_co_u32_e32 v19, vcc, v15, v19, vcc
	global_load_dwordx2 v[20:21], v[18:19], off glc
	s_waitcnt vmcnt(0)
	v_cmp_eq_u16_sdwa s[34:35], v21, v23 src0_sel:BYTE_0 src1_sel:DWORD
	s_and_saveexec_b64 s[30:31], s[34:35]
	s_cbranch_execz .LBB834_92
; %bb.87:
	s_mov_b32 s36, 1
	s_mov_b64 s[34:35], 0
	v_mov_b32_e32 v15, 0
.LBB834_88:                             ; =>This Loop Header: Depth=1
                                        ;     Child Loop BB834_89 Depth 2
	s_max_u32 s37, s36, 1
.LBB834_89:                             ;   Parent Loop BB834_88 Depth=1
                                        ; =>  This Inner Loop Header: Depth=2
	s_add_i32 s37, s37, -1
	s_cmp_eq_u32 s37, 0
	s_sleep 1
	s_cbranch_scc0 .LBB834_89
; %bb.90:                               ;   in Loop: Header=BB834_88 Depth=1
	global_load_dwordx2 v[20:21], v[18:19], off glc
	s_cmp_lt_u32 s36, 32
	s_cselect_b64 s[38:39], -1, 0
	s_cmp_lg_u64 s[38:39], 0
	s_addc_u32 s36, s36, 0
	s_waitcnt vmcnt(0)
	v_cmp_ne_u16_sdwa s[38:39], v21, v15 src0_sel:BYTE_0 src1_sel:DWORD
	s_or_b64 s[34:35], s[38:39], s[34:35]
	s_andn2_b64 exec, exec, s[34:35]
	s_cbranch_execnz .LBB834_88
; %bb.91:
	s_or_b64 exec, exec, s[34:35]
.LBB834_92:
	s_or_b64 exec, exec, s[30:31]
	v_and_b32_e32 v48, 63, v36
	v_mov_b32_e32 v46, 2
	v_cmp_ne_u32_e32 vcc, 63, v48
	v_cmp_eq_u16_sdwa s[30:31], v21, v46 src0_sel:BYTE_0 src1_sel:DWORD
	v_lshlrev_b64 v[18:19], v36, -1
	v_addc_co_u32_e32 v22, vcc, 0, v36, vcc
	v_and_b32_e32 v15, s31, v19
	v_lshlrev_b32_e32 v50, 2, v22
	v_or_b32_e32 v15, 0x80000000, v15
	ds_bpermute_b32 v22, v50, v20
	v_and_b32_e32 v17, s30, v18
	v_ffbl_b32_e32 v15, v15
	v_add_u32_e32 v15, 32, v15
	v_ffbl_b32_e32 v17, v17
	v_min_u32_e32 v15, v17, v15
	v_cmp_lt_u32_e32 vcc, v48, v15
	s_waitcnt lgkmcnt(0)
	v_cndmask_b32_e32 v17, 0, v22, vcc
	v_cmp_gt_u32_e32 vcc, 62, v48
	v_add_u32_e32 v17, v17, v20
	v_cndmask_b32_e64 v20, 0, 1, vcc
	v_lshlrev_b32_e32 v20, 1, v20
	v_add_lshl_u32 v52, v20, v36, 2
	ds_bpermute_b32 v20, v52, v17
	v_add_u32_e32 v53, 2, v48
	v_cmp_le_u32_e32 vcc, v53, v15
	v_add_u32_e32 v55, 4, v48
	v_add_u32_e32 v57, 8, v48
	s_waitcnt lgkmcnt(0)
	v_cndmask_b32_e32 v20, 0, v20, vcc
	v_cmp_gt_u32_e32 vcc, 60, v48
	v_add_u32_e32 v17, v17, v20
	v_cndmask_b32_e64 v20, 0, 1, vcc
	v_lshlrev_b32_e32 v20, 2, v20
	v_add_lshl_u32 v54, v20, v36, 2
	ds_bpermute_b32 v20, v54, v17
	v_cmp_le_u32_e32 vcc, v55, v15
	v_add_u32_e32 v59, 16, v48
	v_add_u32_e32 v61, 32, v48
	s_waitcnt lgkmcnt(0)
	v_cndmask_b32_e32 v20, 0, v20, vcc
	v_cmp_gt_u32_e32 vcc, 56, v48
	v_add_u32_e32 v17, v17, v20
	v_cndmask_b32_e64 v20, 0, 1, vcc
	v_lshlrev_b32_e32 v20, 3, v20
	v_add_lshl_u32 v56, v20, v36, 2
	ds_bpermute_b32 v20, v56, v17
	v_cmp_le_u32_e32 vcc, v57, v15
	s_waitcnt lgkmcnt(0)
	v_cndmask_b32_e32 v20, 0, v20, vcc
	v_cmp_gt_u32_e32 vcc, 48, v48
	v_add_u32_e32 v17, v17, v20
	v_cndmask_b32_e64 v20, 0, 1, vcc
	v_lshlrev_b32_e32 v20, 4, v20
	v_add_lshl_u32 v58, v20, v36, 2
	ds_bpermute_b32 v20, v58, v17
	v_cmp_le_u32_e32 vcc, v59, v15
	;; [unrolled: 9-line block ×3, first 2 shown]
	s_waitcnt lgkmcnt(0)
	v_cndmask_b32_e32 v15, 0, v20, vcc
	v_add_u32_e32 v20, v17, v15
	v_mov_b32_e32 v17, 0
	s_branch .LBB834_94
.LBB834_93:                             ;   in Loop: Header=BB834_94 Depth=1
	s_or_b64 exec, exec, s[30:31]
	v_cmp_eq_u16_sdwa s[30:31], v21, v46 src0_sel:BYTE_0 src1_sel:DWORD
	v_and_b32_e32 v22, s31, v19
	v_or_b32_e32 v22, 0x80000000, v22
	ds_bpermute_b32 v84, v50, v20
	v_and_b32_e32 v23, s30, v18
	v_ffbl_b32_e32 v22, v22
	v_add_u32_e32 v22, 32, v22
	v_ffbl_b32_e32 v23, v23
	v_min_u32_e32 v22, v23, v22
	v_cmp_lt_u32_e32 vcc, v48, v22
	s_waitcnt lgkmcnt(0)
	v_cndmask_b32_e32 v23, 0, v84, vcc
	v_add_u32_e32 v20, v23, v20
	ds_bpermute_b32 v23, v52, v20
	v_cmp_le_u32_e32 vcc, v53, v22
	v_subrev_u32_e32 v16, 64, v16
	s_waitcnt lgkmcnt(0)
	v_cndmask_b32_e32 v23, 0, v23, vcc
	v_add_u32_e32 v20, v20, v23
	ds_bpermute_b32 v23, v54, v20
	v_cmp_le_u32_e32 vcc, v55, v22
	s_waitcnt lgkmcnt(0)
	v_cndmask_b32_e32 v23, 0, v23, vcc
	v_add_u32_e32 v20, v20, v23
	ds_bpermute_b32 v23, v56, v20
	v_cmp_le_u32_e32 vcc, v57, v22
	;; [unrolled: 5-line block ×4, first 2 shown]
	s_waitcnt lgkmcnt(0)
	v_cndmask_b32_e32 v22, 0, v23, vcc
	v_add3_u32 v20, v22, v15, v20
.LBB834_94:                             ; =>This Loop Header: Depth=1
                                        ;     Child Loop BB834_97 Depth 2
                                        ;       Child Loop BB834_98 Depth 3
	v_cmp_ne_u16_sdwa s[30:31], v21, v46 src0_sel:BYTE_0 src1_sel:DWORD
	v_cndmask_b32_e64 v15, 0, 1, s[30:31]
	;;#ASMSTART
	;;#ASMEND
	v_cmp_ne_u32_e32 vcc, 0, v15
	s_cmp_lg_u64 vcc, exec
	v_mov_b32_e32 v15, v20
	s_cbranch_scc1 .LBB834_101
; %bb.95:                               ;   in Loop: Header=BB834_94 Depth=1
	v_lshlrev_b64 v[20:21], 3, v[16:17]
	v_mov_b32_e32 v23, s27
	v_add_co_u32_e32 v22, vcc, s26, v20
	v_addc_co_u32_e32 v23, vcc, v23, v21, vcc
	global_load_dwordx2 v[20:21], v[22:23], off glc
	s_waitcnt vmcnt(0)
	v_cmp_eq_u16_sdwa s[34:35], v21, v17 src0_sel:BYTE_0 src1_sel:DWORD
	s_and_saveexec_b64 s[30:31], s[34:35]
	s_cbranch_execz .LBB834_93
; %bb.96:                               ;   in Loop: Header=BB834_94 Depth=1
	s_mov_b32 s36, 1
	s_mov_b64 s[34:35], 0
.LBB834_97:                             ;   Parent Loop BB834_94 Depth=1
                                        ; =>  This Loop Header: Depth=2
                                        ;       Child Loop BB834_98 Depth 3
	s_max_u32 s37, s36, 1
.LBB834_98:                             ;   Parent Loop BB834_94 Depth=1
                                        ;     Parent Loop BB834_97 Depth=2
                                        ; =>    This Inner Loop Header: Depth=3
	s_add_i32 s37, s37, -1
	s_cmp_eq_u32 s37, 0
	s_sleep 1
	s_cbranch_scc0 .LBB834_98
; %bb.99:                               ;   in Loop: Header=BB834_97 Depth=2
	global_load_dwordx2 v[20:21], v[22:23], off glc
	s_cmp_lt_u32 s36, 32
	s_cselect_b64 s[38:39], -1, 0
	s_cmp_lg_u64 s[38:39], 0
	s_addc_u32 s36, s36, 0
	s_waitcnt vmcnt(0)
	v_cmp_ne_u16_sdwa s[38:39], v21, v17 src0_sel:BYTE_0 src1_sel:DWORD
	s_or_b64 s[34:35], s[38:39], s[34:35]
	s_andn2_b64 exec, exec, s[34:35]
	s_cbranch_execnz .LBB834_97
; %bb.100:                              ;   in Loop: Header=BB834_94 Depth=1
	s_or_b64 exec, exec, s[34:35]
	s_branch .LBB834_93
.LBB834_101:                            ;   in Loop: Header=BB834_94 Depth=1
                                        ; implicit-def: $vgpr20
                                        ; implicit-def: $vgpr21
	s_cbranch_execz .LBB834_94
; %bb.102:
	s_and_saveexec_b64 s[30:31], s[16:17]
	s_cbranch_execz .LBB834_104
; %bb.103:
	s_add_i32 s34, s33, 64
	s_mov_b32 s35, 0
	s_lshl_b64 s[34:35], s[34:35], 3
	s_add_u32 s34, s26, s34
	v_add_u32_e32 v16, v15, v14
	v_mov_b32_e32 v17, 2
	s_addc_u32 s35, s27, s35
	v_mov_b32_e32 v18, 0
	global_store_dwordx2 v18, v[16:17], s[34:35]
	ds_write_b64 v18, v[14:15] offset:11264
.LBB834_104:
	s_or_b64 exec, exec, s[30:31]
	s_and_b64 exec, exec, s[0:1]
	s_cbranch_execz .LBB834_106
; %bb.105:
	v_mov_b32_e32 v14, 0
	ds_write_b32 v14, v15 offset:12
.LBB834_106:
	s_or_b64 exec, exec, s[28:29]
	v_mov_b32_e32 v14, 0
	s_waitcnt lgkmcnt(0)
	s_barrier
	ds_read_b32 v16, v14 offset:12
	s_waitcnt lgkmcnt(0)
	s_barrier
	ds_read_b64 v[14:15], v14 offset:11264
	v_cndmask_b32_e64 v17, v44, v42, s[16:17]
	v_cndmask_b32_e64 v17, v17, 0, s[0:1]
	v_add_u32_e32 v56, v16, v17
	s_waitcnt lgkmcnt(0)
	v_mov_b32_e32 v16, v15
	s_branch .LBB834_117
.LBB834_107:
                                        ; implicit-def: $vgpr16
                                        ; implicit-def: $vgpr14
                                        ; implicit-def: $vgpr56
	s_cbranch_execz .LBB834_117
; %bb.108:
	s_nop 0
	v_mov_b32_dpp v14, v40 row_shr:1 row_mask:0xf bank_mask:0xf
	v_cndmask_b32_e64 v14, v14, 0, s[14:15]
	v_add_u32_e32 v14, v14, v40
	s_nop 1
	v_mov_b32_dpp v15, v14 row_shr:2 row_mask:0xf bank_mask:0xf
	v_cndmask_b32_e64 v15, 0, v15, s[12:13]
	v_add_u32_e32 v14, v14, v15
	;; [unrolled: 4-line block ×4, first 2 shown]
	s_nop 1
	v_mov_b32_dpp v15, v14 row_bcast:15 row_mask:0xf bank_mask:0xf
	v_cndmask_b32_e64 v15, v15, 0, s[6:7]
	v_add_u32_e32 v14, v14, v15
	s_nop 1
	v_mov_b32_dpp v15, v14 row_bcast:31 row_mask:0xf bank_mask:0xf
	v_cndmask_b32_e64 v15, 0, v15, s[2:3]
	v_add_u32_e32 v14, v14, v15
	s_and_saveexec_b64 s[2:3], s[4:5]
	s_cbranch_execz .LBB834_110
; %bb.109:
	v_lshlrev_b32_e32 v15, 2, v38
	ds_write_b32 v15, v14
.LBB834_110:
	s_or_b64 exec, exec, s[2:3]
	v_cmp_gt_u32_e32 vcc, 4, v0
	s_waitcnt lgkmcnt(0)
	s_barrier
	s_and_saveexec_b64 s[2:3], vcc
	s_cbranch_execz .LBB834_112
; %bb.111:
	v_lshlrev_b32_e32 v15, 2, v0
	ds_read_b32 v16, v15
	v_and_b32_e32 v17, 3, v36
	v_cmp_ne_u32_e32 vcc, 0, v17
	s_waitcnt lgkmcnt(0)
	v_mov_b32_dpp v18, v16 row_shr:1 row_mask:0xf bank_mask:0xf
	v_cndmask_b32_e32 v18, 0, v18, vcc
	v_add_u32_e32 v16, v18, v16
	v_cmp_lt_u32_e32 vcc, 1, v17
	s_nop 0
	v_mov_b32_dpp v18, v16 row_shr:2 row_mask:0xf bank_mask:0xf
	v_cndmask_b32_e32 v17, 0, v18, vcc
	v_add_u32_e32 v16, v16, v17
	ds_write_b32 v15, v16
.LBB834_112:
	s_or_b64 exec, exec, s[2:3]
	v_cmp_lt_u32_e32 vcc, 63, v0
	v_mov_b32_e32 v15, 0
	v_mov_b32_e32 v16, 0
	s_waitcnt lgkmcnt(0)
	s_barrier
	s_and_saveexec_b64 s[2:3], vcc
	s_cbranch_execz .LBB834_114
; %bb.113:
	v_lshl_add_u32 v16, v38, 2, -4
	ds_read_b32 v16, v16
.LBB834_114:
	s_or_b64 exec, exec, s[2:3]
	v_add_u32_e32 v17, -1, v36
	v_and_b32_e32 v18, 64, v36
	v_cmp_lt_i32_e32 vcc, v17, v18
	v_cndmask_b32_e32 v17, v17, v36, vcc
	s_waitcnt lgkmcnt(0)
	v_add_u32_e32 v14, v16, v14
	v_lshlrev_b32_e32 v17, 2, v17
	ds_bpermute_b32 v17, v17, v14
	ds_read_b32 v14, v15 offset:12
	s_and_saveexec_b64 s[2:3], s[0:1]
	s_cbranch_execz .LBB834_116
; %bb.115:
	v_mov_b32_e32 v18, 0
	v_mov_b32_e32 v15, 2
	s_waitcnt lgkmcnt(0)
	global_store_dwordx2 v18, v[14:15], s[26:27] offset:512
.LBB834_116:
	s_or_b64 exec, exec, s[2:3]
	v_cmp_eq_u32_e32 vcc, 0, v36
	s_waitcnt lgkmcnt(1)
	v_cndmask_b32_e32 v15, v17, v16, vcc
	v_mov_b32_e32 v16, 0
	v_cndmask_b32_e64 v56, v15, 0, s[0:1]
	s_waitcnt lgkmcnt(0)
	s_barrier
.LBB834_117:
	v_add_u32_e32 v60, v56, v24
	v_add_u32_e32 v58, v60, v25
	;; [unrolled: 1-line block ×19, first 2 shown]
	s_movk_i32 s2, 0x101
	v_add_u32_e32 v20, v22, v51
	v_cmp_gt_u32_e32 vcc, s2, v14
	v_add_u32_sdwa v18, v20, v63 dst_sel:DWORD dst_unused:UNUSED_PAD src0_sel:DWORD src1_sel:BYTE_0
	s_mov_b64 s[2:3], -1
	s_cbranch_vccnz .LBB834_121
; %bb.118:
	s_and_b64 vcc, exec, s[2:3]
	s_cbranch_vccnz .LBB834_188
.LBB834_119:
	s_and_b64 s[0:1], s[0:1], s[18:19]
	s_and_saveexec_b64 s[2:3], s[0:1]
	s_cbranch_execnz .LBB834_248
.LBB834_120:
	s_endpgm
.LBB834_121:
	v_lshlrev_b64 v[84:85], 1, v[8:9]
	v_mov_b32_e32 v17, s25
	v_add_co_u32_e32 v15, vcc, s24, v84
	v_add_u32_e32 v19, v16, v14
	v_addc_co_u32_e32 v17, vcc, v17, v85, vcc
	v_cmp_lt_u32_e32 vcc, v56, v19
	s_or_b64 s[4:5], s[22:23], vcc
	s_and_saveexec_b64 s[2:3], s[4:5]
	s_cbranch_execz .LBB834_124
; %bb.122:
	v_and_b32_e32 v21, 1, v83
	v_cmp_eq_u32_e32 vcc, 1, v21
	s_and_b64 exec, exec, vcc
	s_cbranch_execz .LBB834_124
; %bb.123:
	v_mov_b32_e32 v57, 0
	v_lshlrev_b64 v[84:85], 1, v[56:57]
	v_add_co_u32_e32 v84, vcc, v15, v84
	v_addc_co_u32_e32 v85, vcc, v17, v85, vcc
	global_store_short v[84:85], v12, off
.LBB834_124:
	s_or_b64 exec, exec, s[2:3]
	v_cmp_lt_u32_e32 vcc, v60, v19
	s_or_b64 s[4:5], s[22:23], vcc
	s_and_saveexec_b64 s[2:3], s[4:5]
	s_cbranch_execz .LBB834_127
; %bb.125:
	v_and_b32_e32 v21, 1, v82
	v_cmp_eq_u32_e32 vcc, 1, v21
	s_and_b64 exec, exec, vcc
	s_cbranch_execz .LBB834_127
; %bb.126:
	v_mov_b32_e32 v61, 0
	v_lshlrev_b64 v[84:85], 1, v[60:61]
	v_add_co_u32_e32 v84, vcc, v15, v84
	v_addc_co_u32_e32 v85, vcc, v17, v85, vcc
	global_store_short_d16_hi v[84:85], v12, off
.LBB834_127:
	s_or_b64 exec, exec, s[2:3]
	v_cmp_lt_u32_e32 vcc, v58, v19
	s_or_b64 s[4:5], s[22:23], vcc
	s_and_saveexec_b64 s[2:3], s[4:5]
	s_cbranch_execz .LBB834_130
; %bb.128:
	v_and_b32_e32 v21, 1, v81
	v_cmp_eq_u32_e32 vcc, 1, v21
	s_and_b64 exec, exec, vcc
	s_cbranch_execz .LBB834_130
; %bb.129:
	v_mov_b32_e32 v59, 0
	v_lshlrev_b64 v[84:85], 1, v[58:59]
	v_add_co_u32_e32 v84, vcc, v15, v84
	v_addc_co_u32_e32 v85, vcc, v17, v85, vcc
	global_store_short v[84:85], v13, off
.LBB834_130:
	s_or_b64 exec, exec, s[2:3]
	v_cmp_lt_u32_e32 vcc, v54, v19
	s_or_b64 s[4:5], s[22:23], vcc
	s_and_saveexec_b64 s[2:3], s[4:5]
	s_cbranch_execz .LBB834_133
; %bb.131:
	v_and_b32_e32 v21, 1, v80
	v_cmp_eq_u32_e32 vcc, 1, v21
	s_and_b64 exec, exec, vcc
	s_cbranch_execz .LBB834_133
; %bb.132:
	v_mov_b32_e32 v55, 0
	v_lshlrev_b64 v[84:85], 1, v[54:55]
	v_add_co_u32_e32 v84, vcc, v15, v84
	v_addc_co_u32_e32 v85, vcc, v17, v85, vcc
	global_store_short_d16_hi v[84:85], v13, off
.LBB834_133:
	s_or_b64 exec, exec, s[2:3]
	;; [unrolled: 34-line block ×11, first 2 shown]
	s_branch .LBB834_119
.LBB834_188:
	v_and_b32_e32 v15, 1, v83
	v_cmp_eq_u32_e32 vcc, 1, v15
	s_and_saveexec_b64 s[2:3], vcc
	s_cbranch_execz .LBB834_190
; %bb.189:
	v_sub_u32_e32 v15, v56, v16
	v_lshlrev_b32_e32 v15, 1, v15
	ds_write_b16 v15, v12
.LBB834_190:
	s_or_b64 exec, exec, s[2:3]
	v_and_b32_e32 v15, 1, v82
	v_cmp_eq_u32_e32 vcc, 1, v15
	s_and_saveexec_b64 s[2:3], vcc
	s_cbranch_execz .LBB834_192
; %bb.191:
	v_sub_u32_e32 v15, v60, v16
	v_lshlrev_b32_e32 v15, 1, v15
	ds_write_b16_d16_hi v15, v12
.LBB834_192:
	s_or_b64 exec, exec, s[2:3]
	v_and_b32_e32 v12, 1, v81
	v_cmp_eq_u32_e32 vcc, 1, v12
	s_and_saveexec_b64 s[2:3], vcc
	s_cbranch_execz .LBB834_194
; %bb.193:
	v_sub_u32_e32 v12, v58, v16
	v_lshlrev_b32_e32 v12, 1, v12
	ds_write_b16 v12, v13
.LBB834_194:
	s_or_b64 exec, exec, s[2:3]
	v_and_b32_e32 v12, 1, v80
	v_cmp_eq_u32_e32 vcc, 1, v12
	s_and_saveexec_b64 s[2:3], vcc
	s_cbranch_execz .LBB834_196
; %bb.195:
	v_sub_u32_e32 v12, v54, v16
	v_lshlrev_b32_e32 v12, 1, v12
	ds_write_b16_d16_hi v12, v13
.LBB834_196:
	s_or_b64 exec, exec, s[2:3]
	;; [unrolled: 20-line block ×11, first 2 shown]
	v_cmp_lt_u32_e32 vcc, v0, v14
	s_waitcnt lgkmcnt(0)
	s_barrier
	s_and_saveexec_b64 s[6:7], vcc
	s_cbranch_execz .LBB834_247
; %bb.233:
	v_lshlrev_b64 v[2:3], 1, v[8:9]
	v_mov_b32_e32 v17, 0
	v_mov_b32_e32 v1, s25
	v_add_co_u32_e32 v4, vcc, s24, v2
	v_addc_co_u32_e32 v1, vcc, v1, v3, vcc
	v_lshlrev_b64 v[2:3], 1, v[16:17]
	v_add_co_u32_e32 v12, vcc, v4, v2
	v_addc_co_u32_e32 v13, vcc, v1, v3, vcc
	v_xad_u32 v1, v0, -1, v14
	s_movk_i32 s2, 0x1700
	v_cmp_gt_u32_e32 vcc, s2, v1
	s_movk_i32 s2, 0x16ff
	v_cmp_lt_u32_e64 s[2:3], s2, v1
	s_and_saveexec_b64 s[8:9], s[2:3]
	s_cbranch_execz .LBB834_244
; %bb.234:
	v_sub_u32_e32 v2, v0, v14
	v_or_b32_e32 v2, 0xff, v2
	v_cmp_ge_u32_e64 s[2:3], v2, v0
	s_mov_b64 s[4:5], -1
	s_and_saveexec_b64 s[10:11], s[2:3]
	s_cbranch_execz .LBB834_243
; %bb.235:
	v_lshrrev_b32_e32 v15, 8, v1
	v_add_u32_e32 v4, -3, v15
	v_or_b32_e32 v3, 0x300, v0
	v_or_b32_e32 v2, 0x200, v0
	v_lshrrev_b32_e32 v5, 2, v4
	v_or_b32_e32 v1, 0x100, v0
	v_add_u32_e32 v18, 1, v5
	v_cmp_lt_u32_e64 s[2:3], 11, v4
	v_pk_mov_b32 v[6:7], v[2:3], v[2:3] op_sel:[0,1]
	v_mov_b32_e32 v21, 0
	v_lshlrev_b32_e32 v17, 1, v0
	v_pk_mov_b32 v[4:5], v[0:1], v[0:1] op_sel:[0,1]
	s_and_saveexec_b64 s[12:13], s[2:3]
	s_cbranch_execz .LBB834_239
; %bb.236:
	v_pk_mov_b32 v[6:7], v[2:3], v[2:3] op_sel:[0,1]
	v_and_b32_e32 v19, 0x7ffffffc, v18
	s_mov_b32 s16, 0
	s_mov_b64 s[14:15], 0
	v_mov_b32_e32 v11, 0
	v_mov_b32_e32 v20, v17
	v_pk_mov_b32 v[4:5], v[0:1], v[0:1] op_sel:[0,1]
.LBB834_237:                            ; =>This Inner Loop Header: Depth=1
	v_mov_b32_e32 v10, v4
	v_lshlrev_b64 v[38:39], 1, v[10:11]
	v_add_u32_e32 v24, 0x400, v5
	v_mov_b32_e32 v25, v11
	v_add_co_u32_e64 v38, s[4:5], v12, v38
	v_lshlrev_b64 v[24:25], 1, v[24:25]
	v_addc_co_u32_e64 v39, s[4:5], v13, v39, s[4:5]
	v_add_u32_e32 v22, 0x400, v6
	v_mov_b32_e32 v23, v11
	v_add_co_u32_e64 v24, s[4:5], v12, v24
	v_lshlrev_b64 v[22:23], 1, v[22:23]
	v_addc_co_u32_e64 v25, s[4:5], v13, v25, s[4:5]
	v_add_u32_e32 v2, 0x400, v7
	v_mov_b32_e32 v3, v11
	v_add_co_u32_e64 v22, s[4:5], v12, v22
	v_add_u32_e32 v19, -4, v19
	v_mov_b32_e32 v10, v5
	v_lshlrev_b64 v[2:3], 1, v[2:3]
	v_addc_co_u32_e64 v23, s[4:5], v13, v23, s[4:5]
	v_add_u32_e32 v30, 0x800, v5
	v_mov_b32_e32 v31, v11
	s_add_i32 s16, s16, 16
	v_cmp_eq_u32_e64 s[2:3], 0, v19
	v_lshlrev_b64 v[40:41], 1, v[10:11]
	v_add_co_u32_e64 v2, s[4:5], v12, v2
	v_lshlrev_b64 v[30:31], 1, v[30:31]
	v_mov_b32_e32 v10, v6
	v_addc_co_u32_e64 v3, s[4:5], v13, v3, s[4:5]
	s_or_b64 s[14:15], s[2:3], s[14:15]
	v_add_co_u32_e64 v40, s[2:3], v12, v40
	v_add_u32_e32 v28, 0x800, v6
	v_mov_b32_e32 v29, v11
	v_add_co_u32_e64 v30, s[4:5], v12, v30
	v_addc_co_u32_e64 v41, s[2:3], v13, v41, s[2:3]
	v_lshlrev_b64 v[42:43], 1, v[10:11]
	v_lshlrev_b64 v[28:29], 1, v[28:29]
	v_addc_co_u32_e64 v31, s[4:5], v13, v31, s[4:5]
	v_mov_b32_e32 v10, v7
	v_add_co_u32_e64 v42, s[2:3], v12, v42
	ds_read_u16 v1, v20
	ds_read_u16 v46, v20 offset:512
	ds_read_u16 v47, v20 offset:1024
	;; [unrolled: 1-line block ×7, first 2 shown]
	v_add_u32_e32 v26, 0x800, v7
	v_mov_b32_e32 v27, v11
	v_add_co_u32_e64 v28, s[4:5], v12, v28
	v_addc_co_u32_e64 v43, s[2:3], v13, v43, s[2:3]
	v_lshlrev_b64 v[44:45], 1, v[10:11]
	v_lshlrev_b64 v[26:27], 1, v[26:27]
	v_addc_co_u32_e64 v29, s[4:5], v13, v29, s[4:5]
	v_add_u32_e32 v10, 0x400, v4
	v_add_co_u32_e64 v44, s[2:3], v12, v44
	v_add_u32_e32 v36, 0xc00, v5
	v_mov_b32_e32 v37, v11
	ds_read_u16 v53, v20 offset:4096
	ds_read_u16 v54, v20 offset:4608
	;; [unrolled: 1-line block ×8, first 2 shown]
	v_add_co_u32_e64 v26, s[4:5], v12, v26
	v_addc_co_u32_e64 v45, s[2:3], v13, v45, s[2:3]
	s_waitcnt lgkmcnt(14)
	global_store_short v[38:39], v1, off
	global_store_short v[40:41], v46, off
	s_waitcnt lgkmcnt(13)
	global_store_short v[42:43], v47, off
	v_lshlrev_b64 v[38:39], 1, v[10:11]
	v_lshlrev_b64 v[36:37], 1, v[36:37]
	v_addc_co_u32_e64 v27, s[4:5], v13, v27, s[4:5]
	v_add_u32_e32 v10, 0x800, v4
	v_add_co_u32_e64 v38, s[2:3], v12, v38
	v_add_u32_e32 v34, 0xc00, v6
	v_mov_b32_e32 v35, v11
	v_add_co_u32_e64 v36, s[4:5], v12, v36
	v_addc_co_u32_e64 v39, s[2:3], v13, v39, s[2:3]
	v_lshlrev_b64 v[40:41], 1, v[10:11]
	v_lshlrev_b64 v[34:35], 1, v[34:35]
	v_addc_co_u32_e64 v37, s[4:5], v13, v37, s[4:5]
	s_waitcnt lgkmcnt(12)
	global_store_short v[44:45], v48, off
	v_add_u32_e32 v10, 0xc00, v4
	s_waitcnt lgkmcnt(11)
	global_store_short v[38:39], v49, off
	s_waitcnt lgkmcnt(10)
	global_store_short v[24:25], v50, off
	;; [unrolled: 2-line block ×4, first 2 shown]
	v_add_co_u32_e64 v2, s[2:3], v12, v40
	v_add_u32_e32 v32, 0xc00, v7
	v_mov_b32_e32 v33, v11
	v_add_co_u32_e64 v34, s[4:5], v12, v34
	v_addc_co_u32_e64 v3, s[2:3], v13, v41, s[2:3]
	v_lshlrev_b64 v[22:23], 1, v[10:11]
	v_lshlrev_b64 v[32:33], 1, v[32:33]
	v_addc_co_u32_e64 v35, s[4:5], v13, v35, s[4:5]
	s_waitcnt lgkmcnt(7)
	global_store_short v[2:3], v53, off
	s_waitcnt lgkmcnt(6)
	global_store_short v[30:31], v54, off
	;; [unrolled: 2-line block ×4, first 2 shown]
	v_add_co_u32_e64 v2, s[2:3], v12, v22
	v_add_u32_e32 v20, 0x2000, v20
	v_add_u32_e32 v5, 0x1000, v5
	v_mov_b32_e32 v21, s16
	v_add_co_u32_e64 v32, s[4:5], v12, v32
	v_add_u32_e32 v6, 0x1000, v6
	v_add_u32_e32 v7, 0x1000, v7
	;; [unrolled: 1-line block ×3, first 2 shown]
	v_addc_co_u32_e64 v3, s[2:3], v13, v23, s[2:3]
	v_addc_co_u32_e64 v33, s[4:5], v13, v33, s[4:5]
	s_waitcnt lgkmcnt(3)
	global_store_short v[2:3], v57, off
	s_waitcnt lgkmcnt(2)
	global_store_short v[36:37], v58, off
	;; [unrolled: 2-line block ×4, first 2 shown]
	s_andn2_b64 exec, exec, s[14:15]
	s_cbranch_execnz .LBB834_237
; %bb.238:
	s_or_b64 exec, exec, s[14:15]
.LBB834_239:
	s_or_b64 exec, exec, s[12:13]
	v_and_b32_e32 v1, 3, v18
	v_cmp_ne_u32_e64 s[2:3], 0, v1
	s_and_saveexec_b64 s[12:13], s[2:3]
	s_cbranch_execz .LBB834_242
; %bb.240:
	v_lshl_or_b32 v10, v21, 9, v17
	s_mov_b64 s[14:15], 0
	v_mov_b32_e32 v3, 0
.LBB834_241:                            ; =>This Inner Loop Header: Depth=1
	v_mov_b32_e32 v2, v4
	v_add_u32_e32 v1, -1, v1
	v_lshlrev_b64 v[18:19], 1, v[2:3]
	v_mov_b32_e32 v2, v5
	v_cmp_eq_u32_e64 s[2:3], 0, v1
	v_lshlrev_b64 v[20:21], 1, v[2:3]
	ds_read_u16 v11, v10
	ds_read_u16 v17, v10 offset:512
	ds_read_u16 v26, v10 offset:1024
	ds_read_u16 v27, v10 offset:1536
	v_mov_b32_e32 v2, v6
	s_or_b64 s[14:15], s[2:3], s[14:15]
	v_add_co_u32_e64 v20, s[2:3], v12, v20
	v_addc_co_u32_e64 v21, s[2:3], v13, v21, s[2:3]
	v_lshlrev_b64 v[22:23], 1, v[2:3]
	v_mov_b32_e32 v2, v7
	v_add_co_u32_e64 v22, s[2:3], v12, v22
	v_add_co_u32_e64 v18, s[4:5], v12, v18
	v_addc_co_u32_e64 v23, s[2:3], v13, v23, s[2:3]
	v_lshlrev_b64 v[24:25], 1, v[2:3]
	v_add_u32_e32 v4, 0x400, v4
	v_add_u32_e32 v10, 0x800, v10
	;; [unrolled: 1-line block ×3, first 2 shown]
	v_addc_co_u32_e64 v19, s[4:5], v13, v19, s[4:5]
	v_add_u32_e32 v6, 0x400, v6
	v_add_u32_e32 v7, 0x400, v7
	v_add_co_u32_e64 v24, s[2:3], v12, v24
	v_addc_co_u32_e64 v25, s[2:3], v13, v25, s[2:3]
	s_waitcnt lgkmcnt(3)
	global_store_short v[18:19], v11, off
	s_waitcnt lgkmcnt(2)
	global_store_short v[20:21], v17, off
	;; [unrolled: 2-line block ×4, first 2 shown]
	s_andn2_b64 exec, exec, s[14:15]
	s_cbranch_execnz .LBB834_241
.LBB834_242:
	s_or_b64 exec, exec, s[12:13]
	v_add_u32_e32 v1, 1, v15
	v_and_b32_e32 v2, 0x1fffffc, v1
	v_cmp_ne_u32_e64 s[2:3], v1, v2
	v_lshl_or_b32 v0, v2, 8, v0
	s_orn2_b64 s[4:5], s[2:3], exec
.LBB834_243:
	s_or_b64 exec, exec, s[10:11]
	s_andn2_b64 s[2:3], vcc, exec
	s_and_b64 s[4:5], s[4:5], exec
	s_or_b64 vcc, s[2:3], s[4:5]
.LBB834_244:
	s_or_b64 exec, exec, s[8:9]
	s_and_b64 exec, exec, vcc
	s_cbranch_execz .LBB834_247
; %bb.245:
	v_lshlrev_b32_e32 v2, 1, v0
	s_mov_b64 s[2:3], 0
	v_mov_b32_e32 v1, 0
.LBB834_246:                            ; =>This Inner Loop Header: Depth=1
	v_lshlrev_b64 v[4:5], 1, v[0:1]
	ds_read_u16 v3, v2
	v_add_co_u32_e32 v4, vcc, v12, v4
	v_add_u32_e32 v0, 0x100, v0
	v_addc_co_u32_e32 v5, vcc, v13, v5, vcc
	v_cmp_ge_u32_e32 vcc, v0, v14
	v_add_u32_e32 v2, 0x200, v2
	s_or_b64 s[2:3], vcc, s[2:3]
	s_waitcnt lgkmcnt(0)
	global_store_short v[4:5], v3, off
	s_andn2_b64 exec, exec, s[2:3]
	s_cbranch_execnz .LBB834_246
.LBB834_247:
	s_or_b64 exec, exec, s[6:7]
	s_and_b64 s[0:1], s[0:1], s[18:19]
	s_and_saveexec_b64 s[2:3], s[0:1]
	s_cbranch_execz .LBB834_120
.LBB834_248:
	v_add_co_u32_e32 v0, vcc, v8, v14
	v_addc_co_u32_e32 v1, vcc, 0, v9, vcc
	v_add_co_u32_e32 v0, vcc, v0, v16
	v_mov_b32_e32 v2, 0
	v_addc_co_u32_e32 v1, vcc, 0, v1, vcc
	global_store_dwordx2 v2, v[0:1], s[20:21]
	s_endpgm
	.section	.rodata,"a",@progbits
	.p2align	6, 0x0
	.amdhsa_kernel _ZN7rocprim17ROCPRIM_400000_NS6detail17trampoline_kernelINS0_14default_configENS1_25partition_config_selectorILNS1_17partition_subalgoE8EN3c108BFloat16ENS0_10empty_typeEbEEZZNS1_14partition_implILS5_8ELb0ES3_jPKS7_PS8_PKS8_NS0_5tupleIJPS7_S8_EEENSG_IJSD_SD_EEENS0_18inequality_wrapperIN6hipcub16HIPCUB_304000_NS8EqualityEEEPlJS8_EEE10hipError_tPvRmT3_T4_T5_T6_T7_T9_mT8_P12ihipStream_tbDpT10_ENKUlT_T0_E_clISt17integral_constantIbLb1EES19_EEDaS14_S15_EUlS14_E_NS1_11comp_targetILNS1_3genE4ELNS1_11target_archE910ELNS1_3gpuE8ELNS1_3repE0EEENS1_30default_config_static_selectorELNS0_4arch9wavefront6targetE1EEEvT1_
		.amdhsa_group_segment_fixed_size 11272
		.amdhsa_private_segment_fixed_size 0
		.amdhsa_kernarg_size 128
		.amdhsa_user_sgpr_count 6
		.amdhsa_user_sgpr_private_segment_buffer 1
		.amdhsa_user_sgpr_dispatch_ptr 0
		.amdhsa_user_sgpr_queue_ptr 0
		.amdhsa_user_sgpr_kernarg_segment_ptr 1
		.amdhsa_user_sgpr_dispatch_id 0
		.amdhsa_user_sgpr_flat_scratch_init 0
		.amdhsa_user_sgpr_kernarg_preload_length 0
		.amdhsa_user_sgpr_kernarg_preload_offset 0
		.amdhsa_user_sgpr_private_segment_size 0
		.amdhsa_uses_dynamic_stack 0
		.amdhsa_system_sgpr_private_segment_wavefront_offset 0
		.amdhsa_system_sgpr_workgroup_id_x 1
		.amdhsa_system_sgpr_workgroup_id_y 0
		.amdhsa_system_sgpr_workgroup_id_z 0
		.amdhsa_system_sgpr_workgroup_info 0
		.amdhsa_system_vgpr_workitem_id 0
		.amdhsa_next_free_vgpr 86
		.amdhsa_next_free_sgpr 40
		.amdhsa_accum_offset 88
		.amdhsa_reserve_vcc 1
		.amdhsa_reserve_flat_scratch 0
		.amdhsa_float_round_mode_32 0
		.amdhsa_float_round_mode_16_64 0
		.amdhsa_float_denorm_mode_32 3
		.amdhsa_float_denorm_mode_16_64 3
		.amdhsa_dx10_clamp 1
		.amdhsa_ieee_mode 1
		.amdhsa_fp16_overflow 0
		.amdhsa_tg_split 0
		.amdhsa_exception_fp_ieee_invalid_op 0
		.amdhsa_exception_fp_denorm_src 0
		.amdhsa_exception_fp_ieee_div_zero 0
		.amdhsa_exception_fp_ieee_overflow 0
		.amdhsa_exception_fp_ieee_underflow 0
		.amdhsa_exception_fp_ieee_inexact 0
		.amdhsa_exception_int_div_zero 0
	.end_amdhsa_kernel
	.section	.text._ZN7rocprim17ROCPRIM_400000_NS6detail17trampoline_kernelINS0_14default_configENS1_25partition_config_selectorILNS1_17partition_subalgoE8EN3c108BFloat16ENS0_10empty_typeEbEEZZNS1_14partition_implILS5_8ELb0ES3_jPKS7_PS8_PKS8_NS0_5tupleIJPS7_S8_EEENSG_IJSD_SD_EEENS0_18inequality_wrapperIN6hipcub16HIPCUB_304000_NS8EqualityEEEPlJS8_EEE10hipError_tPvRmT3_T4_T5_T6_T7_T9_mT8_P12ihipStream_tbDpT10_ENKUlT_T0_E_clISt17integral_constantIbLb1EES19_EEDaS14_S15_EUlS14_E_NS1_11comp_targetILNS1_3genE4ELNS1_11target_archE910ELNS1_3gpuE8ELNS1_3repE0EEENS1_30default_config_static_selectorELNS0_4arch9wavefront6targetE1EEEvT1_,"axG",@progbits,_ZN7rocprim17ROCPRIM_400000_NS6detail17trampoline_kernelINS0_14default_configENS1_25partition_config_selectorILNS1_17partition_subalgoE8EN3c108BFloat16ENS0_10empty_typeEbEEZZNS1_14partition_implILS5_8ELb0ES3_jPKS7_PS8_PKS8_NS0_5tupleIJPS7_S8_EEENSG_IJSD_SD_EEENS0_18inequality_wrapperIN6hipcub16HIPCUB_304000_NS8EqualityEEEPlJS8_EEE10hipError_tPvRmT3_T4_T5_T6_T7_T9_mT8_P12ihipStream_tbDpT10_ENKUlT_T0_E_clISt17integral_constantIbLb1EES19_EEDaS14_S15_EUlS14_E_NS1_11comp_targetILNS1_3genE4ELNS1_11target_archE910ELNS1_3gpuE8ELNS1_3repE0EEENS1_30default_config_static_selectorELNS0_4arch9wavefront6targetE1EEEvT1_,comdat
.Lfunc_end834:
	.size	_ZN7rocprim17ROCPRIM_400000_NS6detail17trampoline_kernelINS0_14default_configENS1_25partition_config_selectorILNS1_17partition_subalgoE8EN3c108BFloat16ENS0_10empty_typeEbEEZZNS1_14partition_implILS5_8ELb0ES3_jPKS7_PS8_PKS8_NS0_5tupleIJPS7_S8_EEENSG_IJSD_SD_EEENS0_18inequality_wrapperIN6hipcub16HIPCUB_304000_NS8EqualityEEEPlJS8_EEE10hipError_tPvRmT3_T4_T5_T6_T7_T9_mT8_P12ihipStream_tbDpT10_ENKUlT_T0_E_clISt17integral_constantIbLb1EES19_EEDaS14_S15_EUlS14_E_NS1_11comp_targetILNS1_3genE4ELNS1_11target_archE910ELNS1_3gpuE8ELNS1_3repE0EEENS1_30default_config_static_selectorELNS0_4arch9wavefront6targetE1EEEvT1_, .Lfunc_end834-_ZN7rocprim17ROCPRIM_400000_NS6detail17trampoline_kernelINS0_14default_configENS1_25partition_config_selectorILNS1_17partition_subalgoE8EN3c108BFloat16ENS0_10empty_typeEbEEZZNS1_14partition_implILS5_8ELb0ES3_jPKS7_PS8_PKS8_NS0_5tupleIJPS7_S8_EEENSG_IJSD_SD_EEENS0_18inequality_wrapperIN6hipcub16HIPCUB_304000_NS8EqualityEEEPlJS8_EEE10hipError_tPvRmT3_T4_T5_T6_T7_T9_mT8_P12ihipStream_tbDpT10_ENKUlT_T0_E_clISt17integral_constantIbLb1EES19_EEDaS14_S15_EUlS14_E_NS1_11comp_targetILNS1_3genE4ELNS1_11target_archE910ELNS1_3gpuE8ELNS1_3repE0EEENS1_30default_config_static_selectorELNS0_4arch9wavefront6targetE1EEEvT1_
                                        ; -- End function
	.section	.AMDGPU.csdata,"",@progbits
; Kernel info:
; codeLenInByte = 11128
; NumSgprs: 44
; NumVgprs: 86
; NumAgprs: 0
; TotalNumVgprs: 86
; ScratchSize: 0
; MemoryBound: 0
; FloatMode: 240
; IeeeMode: 1
; LDSByteSize: 11272 bytes/workgroup (compile time only)
; SGPRBlocks: 5
; VGPRBlocks: 10
; NumSGPRsForWavesPerEU: 44
; NumVGPRsForWavesPerEU: 86
; AccumOffset: 88
; Occupancy: 5
; WaveLimiterHint : 1
; COMPUTE_PGM_RSRC2:SCRATCH_EN: 0
; COMPUTE_PGM_RSRC2:USER_SGPR: 6
; COMPUTE_PGM_RSRC2:TRAP_HANDLER: 0
; COMPUTE_PGM_RSRC2:TGID_X_EN: 1
; COMPUTE_PGM_RSRC2:TGID_Y_EN: 0
; COMPUTE_PGM_RSRC2:TGID_Z_EN: 0
; COMPUTE_PGM_RSRC2:TIDIG_COMP_CNT: 0
; COMPUTE_PGM_RSRC3_GFX90A:ACCUM_OFFSET: 21
; COMPUTE_PGM_RSRC3_GFX90A:TG_SPLIT: 0
	.section	.text._ZN7rocprim17ROCPRIM_400000_NS6detail17trampoline_kernelINS0_14default_configENS1_25partition_config_selectorILNS1_17partition_subalgoE8EN3c108BFloat16ENS0_10empty_typeEbEEZZNS1_14partition_implILS5_8ELb0ES3_jPKS7_PS8_PKS8_NS0_5tupleIJPS7_S8_EEENSG_IJSD_SD_EEENS0_18inequality_wrapperIN6hipcub16HIPCUB_304000_NS8EqualityEEEPlJS8_EEE10hipError_tPvRmT3_T4_T5_T6_T7_T9_mT8_P12ihipStream_tbDpT10_ENKUlT_T0_E_clISt17integral_constantIbLb1EES19_EEDaS14_S15_EUlS14_E_NS1_11comp_targetILNS1_3genE3ELNS1_11target_archE908ELNS1_3gpuE7ELNS1_3repE0EEENS1_30default_config_static_selectorELNS0_4arch9wavefront6targetE1EEEvT1_,"axG",@progbits,_ZN7rocprim17ROCPRIM_400000_NS6detail17trampoline_kernelINS0_14default_configENS1_25partition_config_selectorILNS1_17partition_subalgoE8EN3c108BFloat16ENS0_10empty_typeEbEEZZNS1_14partition_implILS5_8ELb0ES3_jPKS7_PS8_PKS8_NS0_5tupleIJPS7_S8_EEENSG_IJSD_SD_EEENS0_18inequality_wrapperIN6hipcub16HIPCUB_304000_NS8EqualityEEEPlJS8_EEE10hipError_tPvRmT3_T4_T5_T6_T7_T9_mT8_P12ihipStream_tbDpT10_ENKUlT_T0_E_clISt17integral_constantIbLb1EES19_EEDaS14_S15_EUlS14_E_NS1_11comp_targetILNS1_3genE3ELNS1_11target_archE908ELNS1_3gpuE7ELNS1_3repE0EEENS1_30default_config_static_selectorELNS0_4arch9wavefront6targetE1EEEvT1_,comdat
	.protected	_ZN7rocprim17ROCPRIM_400000_NS6detail17trampoline_kernelINS0_14default_configENS1_25partition_config_selectorILNS1_17partition_subalgoE8EN3c108BFloat16ENS0_10empty_typeEbEEZZNS1_14partition_implILS5_8ELb0ES3_jPKS7_PS8_PKS8_NS0_5tupleIJPS7_S8_EEENSG_IJSD_SD_EEENS0_18inequality_wrapperIN6hipcub16HIPCUB_304000_NS8EqualityEEEPlJS8_EEE10hipError_tPvRmT3_T4_T5_T6_T7_T9_mT8_P12ihipStream_tbDpT10_ENKUlT_T0_E_clISt17integral_constantIbLb1EES19_EEDaS14_S15_EUlS14_E_NS1_11comp_targetILNS1_3genE3ELNS1_11target_archE908ELNS1_3gpuE7ELNS1_3repE0EEENS1_30default_config_static_selectorELNS0_4arch9wavefront6targetE1EEEvT1_ ; -- Begin function _ZN7rocprim17ROCPRIM_400000_NS6detail17trampoline_kernelINS0_14default_configENS1_25partition_config_selectorILNS1_17partition_subalgoE8EN3c108BFloat16ENS0_10empty_typeEbEEZZNS1_14partition_implILS5_8ELb0ES3_jPKS7_PS8_PKS8_NS0_5tupleIJPS7_S8_EEENSG_IJSD_SD_EEENS0_18inequality_wrapperIN6hipcub16HIPCUB_304000_NS8EqualityEEEPlJS8_EEE10hipError_tPvRmT3_T4_T5_T6_T7_T9_mT8_P12ihipStream_tbDpT10_ENKUlT_T0_E_clISt17integral_constantIbLb1EES19_EEDaS14_S15_EUlS14_E_NS1_11comp_targetILNS1_3genE3ELNS1_11target_archE908ELNS1_3gpuE7ELNS1_3repE0EEENS1_30default_config_static_selectorELNS0_4arch9wavefront6targetE1EEEvT1_
	.globl	_ZN7rocprim17ROCPRIM_400000_NS6detail17trampoline_kernelINS0_14default_configENS1_25partition_config_selectorILNS1_17partition_subalgoE8EN3c108BFloat16ENS0_10empty_typeEbEEZZNS1_14partition_implILS5_8ELb0ES3_jPKS7_PS8_PKS8_NS0_5tupleIJPS7_S8_EEENSG_IJSD_SD_EEENS0_18inequality_wrapperIN6hipcub16HIPCUB_304000_NS8EqualityEEEPlJS8_EEE10hipError_tPvRmT3_T4_T5_T6_T7_T9_mT8_P12ihipStream_tbDpT10_ENKUlT_T0_E_clISt17integral_constantIbLb1EES19_EEDaS14_S15_EUlS14_E_NS1_11comp_targetILNS1_3genE3ELNS1_11target_archE908ELNS1_3gpuE7ELNS1_3repE0EEENS1_30default_config_static_selectorELNS0_4arch9wavefront6targetE1EEEvT1_
	.p2align	8
	.type	_ZN7rocprim17ROCPRIM_400000_NS6detail17trampoline_kernelINS0_14default_configENS1_25partition_config_selectorILNS1_17partition_subalgoE8EN3c108BFloat16ENS0_10empty_typeEbEEZZNS1_14partition_implILS5_8ELb0ES3_jPKS7_PS8_PKS8_NS0_5tupleIJPS7_S8_EEENSG_IJSD_SD_EEENS0_18inequality_wrapperIN6hipcub16HIPCUB_304000_NS8EqualityEEEPlJS8_EEE10hipError_tPvRmT3_T4_T5_T6_T7_T9_mT8_P12ihipStream_tbDpT10_ENKUlT_T0_E_clISt17integral_constantIbLb1EES19_EEDaS14_S15_EUlS14_E_NS1_11comp_targetILNS1_3genE3ELNS1_11target_archE908ELNS1_3gpuE7ELNS1_3repE0EEENS1_30default_config_static_selectorELNS0_4arch9wavefront6targetE1EEEvT1_,@function
_ZN7rocprim17ROCPRIM_400000_NS6detail17trampoline_kernelINS0_14default_configENS1_25partition_config_selectorILNS1_17partition_subalgoE8EN3c108BFloat16ENS0_10empty_typeEbEEZZNS1_14partition_implILS5_8ELb0ES3_jPKS7_PS8_PKS8_NS0_5tupleIJPS7_S8_EEENSG_IJSD_SD_EEENS0_18inequality_wrapperIN6hipcub16HIPCUB_304000_NS8EqualityEEEPlJS8_EEE10hipError_tPvRmT3_T4_T5_T6_T7_T9_mT8_P12ihipStream_tbDpT10_ENKUlT_T0_E_clISt17integral_constantIbLb1EES19_EEDaS14_S15_EUlS14_E_NS1_11comp_targetILNS1_3genE3ELNS1_11target_archE908ELNS1_3gpuE7ELNS1_3repE0EEENS1_30default_config_static_selectorELNS0_4arch9wavefront6targetE1EEEvT1_: ; @_ZN7rocprim17ROCPRIM_400000_NS6detail17trampoline_kernelINS0_14default_configENS1_25partition_config_selectorILNS1_17partition_subalgoE8EN3c108BFloat16ENS0_10empty_typeEbEEZZNS1_14partition_implILS5_8ELb0ES3_jPKS7_PS8_PKS8_NS0_5tupleIJPS7_S8_EEENSG_IJSD_SD_EEENS0_18inequality_wrapperIN6hipcub16HIPCUB_304000_NS8EqualityEEEPlJS8_EEE10hipError_tPvRmT3_T4_T5_T6_T7_T9_mT8_P12ihipStream_tbDpT10_ENKUlT_T0_E_clISt17integral_constantIbLb1EES19_EEDaS14_S15_EUlS14_E_NS1_11comp_targetILNS1_3genE3ELNS1_11target_archE908ELNS1_3gpuE7ELNS1_3repE0EEENS1_30default_config_static_selectorELNS0_4arch9wavefront6targetE1EEEvT1_
; %bb.0:
	.section	.rodata,"a",@progbits
	.p2align	6, 0x0
	.amdhsa_kernel _ZN7rocprim17ROCPRIM_400000_NS6detail17trampoline_kernelINS0_14default_configENS1_25partition_config_selectorILNS1_17partition_subalgoE8EN3c108BFloat16ENS0_10empty_typeEbEEZZNS1_14partition_implILS5_8ELb0ES3_jPKS7_PS8_PKS8_NS0_5tupleIJPS7_S8_EEENSG_IJSD_SD_EEENS0_18inequality_wrapperIN6hipcub16HIPCUB_304000_NS8EqualityEEEPlJS8_EEE10hipError_tPvRmT3_T4_T5_T6_T7_T9_mT8_P12ihipStream_tbDpT10_ENKUlT_T0_E_clISt17integral_constantIbLb1EES19_EEDaS14_S15_EUlS14_E_NS1_11comp_targetILNS1_3genE3ELNS1_11target_archE908ELNS1_3gpuE7ELNS1_3repE0EEENS1_30default_config_static_selectorELNS0_4arch9wavefront6targetE1EEEvT1_
		.amdhsa_group_segment_fixed_size 0
		.amdhsa_private_segment_fixed_size 0
		.amdhsa_kernarg_size 128
		.amdhsa_user_sgpr_count 6
		.amdhsa_user_sgpr_private_segment_buffer 1
		.amdhsa_user_sgpr_dispatch_ptr 0
		.amdhsa_user_sgpr_queue_ptr 0
		.amdhsa_user_sgpr_kernarg_segment_ptr 1
		.amdhsa_user_sgpr_dispatch_id 0
		.amdhsa_user_sgpr_flat_scratch_init 0
		.amdhsa_user_sgpr_kernarg_preload_length 0
		.amdhsa_user_sgpr_kernarg_preload_offset 0
		.amdhsa_user_sgpr_private_segment_size 0
		.amdhsa_uses_dynamic_stack 0
		.amdhsa_system_sgpr_private_segment_wavefront_offset 0
		.amdhsa_system_sgpr_workgroup_id_x 1
		.amdhsa_system_sgpr_workgroup_id_y 0
		.amdhsa_system_sgpr_workgroup_id_z 0
		.amdhsa_system_sgpr_workgroup_info 0
		.amdhsa_system_vgpr_workitem_id 0
		.amdhsa_next_free_vgpr 1
		.amdhsa_next_free_sgpr 0
		.amdhsa_accum_offset 4
		.amdhsa_reserve_vcc 0
		.amdhsa_reserve_flat_scratch 0
		.amdhsa_float_round_mode_32 0
		.amdhsa_float_round_mode_16_64 0
		.amdhsa_float_denorm_mode_32 3
		.amdhsa_float_denorm_mode_16_64 3
		.amdhsa_dx10_clamp 1
		.amdhsa_ieee_mode 1
		.amdhsa_fp16_overflow 0
		.amdhsa_tg_split 0
		.amdhsa_exception_fp_ieee_invalid_op 0
		.amdhsa_exception_fp_denorm_src 0
		.amdhsa_exception_fp_ieee_div_zero 0
		.amdhsa_exception_fp_ieee_overflow 0
		.amdhsa_exception_fp_ieee_underflow 0
		.amdhsa_exception_fp_ieee_inexact 0
		.amdhsa_exception_int_div_zero 0
	.end_amdhsa_kernel
	.section	.text._ZN7rocprim17ROCPRIM_400000_NS6detail17trampoline_kernelINS0_14default_configENS1_25partition_config_selectorILNS1_17partition_subalgoE8EN3c108BFloat16ENS0_10empty_typeEbEEZZNS1_14partition_implILS5_8ELb0ES3_jPKS7_PS8_PKS8_NS0_5tupleIJPS7_S8_EEENSG_IJSD_SD_EEENS0_18inequality_wrapperIN6hipcub16HIPCUB_304000_NS8EqualityEEEPlJS8_EEE10hipError_tPvRmT3_T4_T5_T6_T7_T9_mT8_P12ihipStream_tbDpT10_ENKUlT_T0_E_clISt17integral_constantIbLb1EES19_EEDaS14_S15_EUlS14_E_NS1_11comp_targetILNS1_3genE3ELNS1_11target_archE908ELNS1_3gpuE7ELNS1_3repE0EEENS1_30default_config_static_selectorELNS0_4arch9wavefront6targetE1EEEvT1_,"axG",@progbits,_ZN7rocprim17ROCPRIM_400000_NS6detail17trampoline_kernelINS0_14default_configENS1_25partition_config_selectorILNS1_17partition_subalgoE8EN3c108BFloat16ENS0_10empty_typeEbEEZZNS1_14partition_implILS5_8ELb0ES3_jPKS7_PS8_PKS8_NS0_5tupleIJPS7_S8_EEENSG_IJSD_SD_EEENS0_18inequality_wrapperIN6hipcub16HIPCUB_304000_NS8EqualityEEEPlJS8_EEE10hipError_tPvRmT3_T4_T5_T6_T7_T9_mT8_P12ihipStream_tbDpT10_ENKUlT_T0_E_clISt17integral_constantIbLb1EES19_EEDaS14_S15_EUlS14_E_NS1_11comp_targetILNS1_3genE3ELNS1_11target_archE908ELNS1_3gpuE7ELNS1_3repE0EEENS1_30default_config_static_selectorELNS0_4arch9wavefront6targetE1EEEvT1_,comdat
.Lfunc_end835:
	.size	_ZN7rocprim17ROCPRIM_400000_NS6detail17trampoline_kernelINS0_14default_configENS1_25partition_config_selectorILNS1_17partition_subalgoE8EN3c108BFloat16ENS0_10empty_typeEbEEZZNS1_14partition_implILS5_8ELb0ES3_jPKS7_PS8_PKS8_NS0_5tupleIJPS7_S8_EEENSG_IJSD_SD_EEENS0_18inequality_wrapperIN6hipcub16HIPCUB_304000_NS8EqualityEEEPlJS8_EEE10hipError_tPvRmT3_T4_T5_T6_T7_T9_mT8_P12ihipStream_tbDpT10_ENKUlT_T0_E_clISt17integral_constantIbLb1EES19_EEDaS14_S15_EUlS14_E_NS1_11comp_targetILNS1_3genE3ELNS1_11target_archE908ELNS1_3gpuE7ELNS1_3repE0EEENS1_30default_config_static_selectorELNS0_4arch9wavefront6targetE1EEEvT1_, .Lfunc_end835-_ZN7rocprim17ROCPRIM_400000_NS6detail17trampoline_kernelINS0_14default_configENS1_25partition_config_selectorILNS1_17partition_subalgoE8EN3c108BFloat16ENS0_10empty_typeEbEEZZNS1_14partition_implILS5_8ELb0ES3_jPKS7_PS8_PKS8_NS0_5tupleIJPS7_S8_EEENSG_IJSD_SD_EEENS0_18inequality_wrapperIN6hipcub16HIPCUB_304000_NS8EqualityEEEPlJS8_EEE10hipError_tPvRmT3_T4_T5_T6_T7_T9_mT8_P12ihipStream_tbDpT10_ENKUlT_T0_E_clISt17integral_constantIbLb1EES19_EEDaS14_S15_EUlS14_E_NS1_11comp_targetILNS1_3genE3ELNS1_11target_archE908ELNS1_3gpuE7ELNS1_3repE0EEENS1_30default_config_static_selectorELNS0_4arch9wavefront6targetE1EEEvT1_
                                        ; -- End function
	.section	.AMDGPU.csdata,"",@progbits
; Kernel info:
; codeLenInByte = 0
; NumSgprs: 4
; NumVgprs: 0
; NumAgprs: 0
; TotalNumVgprs: 0
; ScratchSize: 0
; MemoryBound: 0
; FloatMode: 240
; IeeeMode: 1
; LDSByteSize: 0 bytes/workgroup (compile time only)
; SGPRBlocks: 0
; VGPRBlocks: 0
; NumSGPRsForWavesPerEU: 4
; NumVGPRsForWavesPerEU: 1
; AccumOffset: 4
; Occupancy: 8
; WaveLimiterHint : 0
; COMPUTE_PGM_RSRC2:SCRATCH_EN: 0
; COMPUTE_PGM_RSRC2:USER_SGPR: 6
; COMPUTE_PGM_RSRC2:TRAP_HANDLER: 0
; COMPUTE_PGM_RSRC2:TGID_X_EN: 1
; COMPUTE_PGM_RSRC2:TGID_Y_EN: 0
; COMPUTE_PGM_RSRC2:TGID_Z_EN: 0
; COMPUTE_PGM_RSRC2:TIDIG_COMP_CNT: 0
; COMPUTE_PGM_RSRC3_GFX90A:ACCUM_OFFSET: 0
; COMPUTE_PGM_RSRC3_GFX90A:TG_SPLIT: 0
	.section	.text._ZN7rocprim17ROCPRIM_400000_NS6detail17trampoline_kernelINS0_14default_configENS1_25partition_config_selectorILNS1_17partition_subalgoE8EN3c108BFloat16ENS0_10empty_typeEbEEZZNS1_14partition_implILS5_8ELb0ES3_jPKS7_PS8_PKS8_NS0_5tupleIJPS7_S8_EEENSG_IJSD_SD_EEENS0_18inequality_wrapperIN6hipcub16HIPCUB_304000_NS8EqualityEEEPlJS8_EEE10hipError_tPvRmT3_T4_T5_T6_T7_T9_mT8_P12ihipStream_tbDpT10_ENKUlT_T0_E_clISt17integral_constantIbLb1EES19_EEDaS14_S15_EUlS14_E_NS1_11comp_targetILNS1_3genE2ELNS1_11target_archE906ELNS1_3gpuE6ELNS1_3repE0EEENS1_30default_config_static_selectorELNS0_4arch9wavefront6targetE1EEEvT1_,"axG",@progbits,_ZN7rocprim17ROCPRIM_400000_NS6detail17trampoline_kernelINS0_14default_configENS1_25partition_config_selectorILNS1_17partition_subalgoE8EN3c108BFloat16ENS0_10empty_typeEbEEZZNS1_14partition_implILS5_8ELb0ES3_jPKS7_PS8_PKS8_NS0_5tupleIJPS7_S8_EEENSG_IJSD_SD_EEENS0_18inequality_wrapperIN6hipcub16HIPCUB_304000_NS8EqualityEEEPlJS8_EEE10hipError_tPvRmT3_T4_T5_T6_T7_T9_mT8_P12ihipStream_tbDpT10_ENKUlT_T0_E_clISt17integral_constantIbLb1EES19_EEDaS14_S15_EUlS14_E_NS1_11comp_targetILNS1_3genE2ELNS1_11target_archE906ELNS1_3gpuE6ELNS1_3repE0EEENS1_30default_config_static_selectorELNS0_4arch9wavefront6targetE1EEEvT1_,comdat
	.protected	_ZN7rocprim17ROCPRIM_400000_NS6detail17trampoline_kernelINS0_14default_configENS1_25partition_config_selectorILNS1_17partition_subalgoE8EN3c108BFloat16ENS0_10empty_typeEbEEZZNS1_14partition_implILS5_8ELb0ES3_jPKS7_PS8_PKS8_NS0_5tupleIJPS7_S8_EEENSG_IJSD_SD_EEENS0_18inequality_wrapperIN6hipcub16HIPCUB_304000_NS8EqualityEEEPlJS8_EEE10hipError_tPvRmT3_T4_T5_T6_T7_T9_mT8_P12ihipStream_tbDpT10_ENKUlT_T0_E_clISt17integral_constantIbLb1EES19_EEDaS14_S15_EUlS14_E_NS1_11comp_targetILNS1_3genE2ELNS1_11target_archE906ELNS1_3gpuE6ELNS1_3repE0EEENS1_30default_config_static_selectorELNS0_4arch9wavefront6targetE1EEEvT1_ ; -- Begin function _ZN7rocprim17ROCPRIM_400000_NS6detail17trampoline_kernelINS0_14default_configENS1_25partition_config_selectorILNS1_17partition_subalgoE8EN3c108BFloat16ENS0_10empty_typeEbEEZZNS1_14partition_implILS5_8ELb0ES3_jPKS7_PS8_PKS8_NS0_5tupleIJPS7_S8_EEENSG_IJSD_SD_EEENS0_18inequality_wrapperIN6hipcub16HIPCUB_304000_NS8EqualityEEEPlJS8_EEE10hipError_tPvRmT3_T4_T5_T6_T7_T9_mT8_P12ihipStream_tbDpT10_ENKUlT_T0_E_clISt17integral_constantIbLb1EES19_EEDaS14_S15_EUlS14_E_NS1_11comp_targetILNS1_3genE2ELNS1_11target_archE906ELNS1_3gpuE6ELNS1_3repE0EEENS1_30default_config_static_selectorELNS0_4arch9wavefront6targetE1EEEvT1_
	.globl	_ZN7rocprim17ROCPRIM_400000_NS6detail17trampoline_kernelINS0_14default_configENS1_25partition_config_selectorILNS1_17partition_subalgoE8EN3c108BFloat16ENS0_10empty_typeEbEEZZNS1_14partition_implILS5_8ELb0ES3_jPKS7_PS8_PKS8_NS0_5tupleIJPS7_S8_EEENSG_IJSD_SD_EEENS0_18inequality_wrapperIN6hipcub16HIPCUB_304000_NS8EqualityEEEPlJS8_EEE10hipError_tPvRmT3_T4_T5_T6_T7_T9_mT8_P12ihipStream_tbDpT10_ENKUlT_T0_E_clISt17integral_constantIbLb1EES19_EEDaS14_S15_EUlS14_E_NS1_11comp_targetILNS1_3genE2ELNS1_11target_archE906ELNS1_3gpuE6ELNS1_3repE0EEENS1_30default_config_static_selectorELNS0_4arch9wavefront6targetE1EEEvT1_
	.p2align	8
	.type	_ZN7rocprim17ROCPRIM_400000_NS6detail17trampoline_kernelINS0_14default_configENS1_25partition_config_selectorILNS1_17partition_subalgoE8EN3c108BFloat16ENS0_10empty_typeEbEEZZNS1_14partition_implILS5_8ELb0ES3_jPKS7_PS8_PKS8_NS0_5tupleIJPS7_S8_EEENSG_IJSD_SD_EEENS0_18inequality_wrapperIN6hipcub16HIPCUB_304000_NS8EqualityEEEPlJS8_EEE10hipError_tPvRmT3_T4_T5_T6_T7_T9_mT8_P12ihipStream_tbDpT10_ENKUlT_T0_E_clISt17integral_constantIbLb1EES19_EEDaS14_S15_EUlS14_E_NS1_11comp_targetILNS1_3genE2ELNS1_11target_archE906ELNS1_3gpuE6ELNS1_3repE0EEENS1_30default_config_static_selectorELNS0_4arch9wavefront6targetE1EEEvT1_,@function
_ZN7rocprim17ROCPRIM_400000_NS6detail17trampoline_kernelINS0_14default_configENS1_25partition_config_selectorILNS1_17partition_subalgoE8EN3c108BFloat16ENS0_10empty_typeEbEEZZNS1_14partition_implILS5_8ELb0ES3_jPKS7_PS8_PKS8_NS0_5tupleIJPS7_S8_EEENSG_IJSD_SD_EEENS0_18inequality_wrapperIN6hipcub16HIPCUB_304000_NS8EqualityEEEPlJS8_EEE10hipError_tPvRmT3_T4_T5_T6_T7_T9_mT8_P12ihipStream_tbDpT10_ENKUlT_T0_E_clISt17integral_constantIbLb1EES19_EEDaS14_S15_EUlS14_E_NS1_11comp_targetILNS1_3genE2ELNS1_11target_archE906ELNS1_3gpuE6ELNS1_3repE0EEENS1_30default_config_static_selectorELNS0_4arch9wavefront6targetE1EEEvT1_: ; @_ZN7rocprim17ROCPRIM_400000_NS6detail17trampoline_kernelINS0_14default_configENS1_25partition_config_selectorILNS1_17partition_subalgoE8EN3c108BFloat16ENS0_10empty_typeEbEEZZNS1_14partition_implILS5_8ELb0ES3_jPKS7_PS8_PKS8_NS0_5tupleIJPS7_S8_EEENSG_IJSD_SD_EEENS0_18inequality_wrapperIN6hipcub16HIPCUB_304000_NS8EqualityEEEPlJS8_EEE10hipError_tPvRmT3_T4_T5_T6_T7_T9_mT8_P12ihipStream_tbDpT10_ENKUlT_T0_E_clISt17integral_constantIbLb1EES19_EEDaS14_S15_EUlS14_E_NS1_11comp_targetILNS1_3genE2ELNS1_11target_archE906ELNS1_3gpuE6ELNS1_3repE0EEENS1_30default_config_static_selectorELNS0_4arch9wavefront6targetE1EEEvT1_
; %bb.0:
	.section	.rodata,"a",@progbits
	.p2align	6, 0x0
	.amdhsa_kernel _ZN7rocprim17ROCPRIM_400000_NS6detail17trampoline_kernelINS0_14default_configENS1_25partition_config_selectorILNS1_17partition_subalgoE8EN3c108BFloat16ENS0_10empty_typeEbEEZZNS1_14partition_implILS5_8ELb0ES3_jPKS7_PS8_PKS8_NS0_5tupleIJPS7_S8_EEENSG_IJSD_SD_EEENS0_18inequality_wrapperIN6hipcub16HIPCUB_304000_NS8EqualityEEEPlJS8_EEE10hipError_tPvRmT3_T4_T5_T6_T7_T9_mT8_P12ihipStream_tbDpT10_ENKUlT_T0_E_clISt17integral_constantIbLb1EES19_EEDaS14_S15_EUlS14_E_NS1_11comp_targetILNS1_3genE2ELNS1_11target_archE906ELNS1_3gpuE6ELNS1_3repE0EEENS1_30default_config_static_selectorELNS0_4arch9wavefront6targetE1EEEvT1_
		.amdhsa_group_segment_fixed_size 0
		.amdhsa_private_segment_fixed_size 0
		.amdhsa_kernarg_size 128
		.amdhsa_user_sgpr_count 6
		.amdhsa_user_sgpr_private_segment_buffer 1
		.amdhsa_user_sgpr_dispatch_ptr 0
		.amdhsa_user_sgpr_queue_ptr 0
		.amdhsa_user_sgpr_kernarg_segment_ptr 1
		.amdhsa_user_sgpr_dispatch_id 0
		.amdhsa_user_sgpr_flat_scratch_init 0
		.amdhsa_user_sgpr_kernarg_preload_length 0
		.amdhsa_user_sgpr_kernarg_preload_offset 0
		.amdhsa_user_sgpr_private_segment_size 0
		.amdhsa_uses_dynamic_stack 0
		.amdhsa_system_sgpr_private_segment_wavefront_offset 0
		.amdhsa_system_sgpr_workgroup_id_x 1
		.amdhsa_system_sgpr_workgroup_id_y 0
		.amdhsa_system_sgpr_workgroup_id_z 0
		.amdhsa_system_sgpr_workgroup_info 0
		.amdhsa_system_vgpr_workitem_id 0
		.amdhsa_next_free_vgpr 1
		.amdhsa_next_free_sgpr 0
		.amdhsa_accum_offset 4
		.amdhsa_reserve_vcc 0
		.amdhsa_reserve_flat_scratch 0
		.amdhsa_float_round_mode_32 0
		.amdhsa_float_round_mode_16_64 0
		.amdhsa_float_denorm_mode_32 3
		.amdhsa_float_denorm_mode_16_64 3
		.amdhsa_dx10_clamp 1
		.amdhsa_ieee_mode 1
		.amdhsa_fp16_overflow 0
		.amdhsa_tg_split 0
		.amdhsa_exception_fp_ieee_invalid_op 0
		.amdhsa_exception_fp_denorm_src 0
		.amdhsa_exception_fp_ieee_div_zero 0
		.amdhsa_exception_fp_ieee_overflow 0
		.amdhsa_exception_fp_ieee_underflow 0
		.amdhsa_exception_fp_ieee_inexact 0
		.amdhsa_exception_int_div_zero 0
	.end_amdhsa_kernel
	.section	.text._ZN7rocprim17ROCPRIM_400000_NS6detail17trampoline_kernelINS0_14default_configENS1_25partition_config_selectorILNS1_17partition_subalgoE8EN3c108BFloat16ENS0_10empty_typeEbEEZZNS1_14partition_implILS5_8ELb0ES3_jPKS7_PS8_PKS8_NS0_5tupleIJPS7_S8_EEENSG_IJSD_SD_EEENS0_18inequality_wrapperIN6hipcub16HIPCUB_304000_NS8EqualityEEEPlJS8_EEE10hipError_tPvRmT3_T4_T5_T6_T7_T9_mT8_P12ihipStream_tbDpT10_ENKUlT_T0_E_clISt17integral_constantIbLb1EES19_EEDaS14_S15_EUlS14_E_NS1_11comp_targetILNS1_3genE2ELNS1_11target_archE906ELNS1_3gpuE6ELNS1_3repE0EEENS1_30default_config_static_selectorELNS0_4arch9wavefront6targetE1EEEvT1_,"axG",@progbits,_ZN7rocprim17ROCPRIM_400000_NS6detail17trampoline_kernelINS0_14default_configENS1_25partition_config_selectorILNS1_17partition_subalgoE8EN3c108BFloat16ENS0_10empty_typeEbEEZZNS1_14partition_implILS5_8ELb0ES3_jPKS7_PS8_PKS8_NS0_5tupleIJPS7_S8_EEENSG_IJSD_SD_EEENS0_18inequality_wrapperIN6hipcub16HIPCUB_304000_NS8EqualityEEEPlJS8_EEE10hipError_tPvRmT3_T4_T5_T6_T7_T9_mT8_P12ihipStream_tbDpT10_ENKUlT_T0_E_clISt17integral_constantIbLb1EES19_EEDaS14_S15_EUlS14_E_NS1_11comp_targetILNS1_3genE2ELNS1_11target_archE906ELNS1_3gpuE6ELNS1_3repE0EEENS1_30default_config_static_selectorELNS0_4arch9wavefront6targetE1EEEvT1_,comdat
.Lfunc_end836:
	.size	_ZN7rocprim17ROCPRIM_400000_NS6detail17trampoline_kernelINS0_14default_configENS1_25partition_config_selectorILNS1_17partition_subalgoE8EN3c108BFloat16ENS0_10empty_typeEbEEZZNS1_14partition_implILS5_8ELb0ES3_jPKS7_PS8_PKS8_NS0_5tupleIJPS7_S8_EEENSG_IJSD_SD_EEENS0_18inequality_wrapperIN6hipcub16HIPCUB_304000_NS8EqualityEEEPlJS8_EEE10hipError_tPvRmT3_T4_T5_T6_T7_T9_mT8_P12ihipStream_tbDpT10_ENKUlT_T0_E_clISt17integral_constantIbLb1EES19_EEDaS14_S15_EUlS14_E_NS1_11comp_targetILNS1_3genE2ELNS1_11target_archE906ELNS1_3gpuE6ELNS1_3repE0EEENS1_30default_config_static_selectorELNS0_4arch9wavefront6targetE1EEEvT1_, .Lfunc_end836-_ZN7rocprim17ROCPRIM_400000_NS6detail17trampoline_kernelINS0_14default_configENS1_25partition_config_selectorILNS1_17partition_subalgoE8EN3c108BFloat16ENS0_10empty_typeEbEEZZNS1_14partition_implILS5_8ELb0ES3_jPKS7_PS8_PKS8_NS0_5tupleIJPS7_S8_EEENSG_IJSD_SD_EEENS0_18inequality_wrapperIN6hipcub16HIPCUB_304000_NS8EqualityEEEPlJS8_EEE10hipError_tPvRmT3_T4_T5_T6_T7_T9_mT8_P12ihipStream_tbDpT10_ENKUlT_T0_E_clISt17integral_constantIbLb1EES19_EEDaS14_S15_EUlS14_E_NS1_11comp_targetILNS1_3genE2ELNS1_11target_archE906ELNS1_3gpuE6ELNS1_3repE0EEENS1_30default_config_static_selectorELNS0_4arch9wavefront6targetE1EEEvT1_
                                        ; -- End function
	.section	.AMDGPU.csdata,"",@progbits
; Kernel info:
; codeLenInByte = 0
; NumSgprs: 4
; NumVgprs: 0
; NumAgprs: 0
; TotalNumVgprs: 0
; ScratchSize: 0
; MemoryBound: 0
; FloatMode: 240
; IeeeMode: 1
; LDSByteSize: 0 bytes/workgroup (compile time only)
; SGPRBlocks: 0
; VGPRBlocks: 0
; NumSGPRsForWavesPerEU: 4
; NumVGPRsForWavesPerEU: 1
; AccumOffset: 4
; Occupancy: 8
; WaveLimiterHint : 0
; COMPUTE_PGM_RSRC2:SCRATCH_EN: 0
; COMPUTE_PGM_RSRC2:USER_SGPR: 6
; COMPUTE_PGM_RSRC2:TRAP_HANDLER: 0
; COMPUTE_PGM_RSRC2:TGID_X_EN: 1
; COMPUTE_PGM_RSRC2:TGID_Y_EN: 0
; COMPUTE_PGM_RSRC2:TGID_Z_EN: 0
; COMPUTE_PGM_RSRC2:TIDIG_COMP_CNT: 0
; COMPUTE_PGM_RSRC3_GFX90A:ACCUM_OFFSET: 0
; COMPUTE_PGM_RSRC3_GFX90A:TG_SPLIT: 0
	.section	.text._ZN7rocprim17ROCPRIM_400000_NS6detail17trampoline_kernelINS0_14default_configENS1_25partition_config_selectorILNS1_17partition_subalgoE8EN3c108BFloat16ENS0_10empty_typeEbEEZZNS1_14partition_implILS5_8ELb0ES3_jPKS7_PS8_PKS8_NS0_5tupleIJPS7_S8_EEENSG_IJSD_SD_EEENS0_18inequality_wrapperIN6hipcub16HIPCUB_304000_NS8EqualityEEEPlJS8_EEE10hipError_tPvRmT3_T4_T5_T6_T7_T9_mT8_P12ihipStream_tbDpT10_ENKUlT_T0_E_clISt17integral_constantIbLb1EES19_EEDaS14_S15_EUlS14_E_NS1_11comp_targetILNS1_3genE10ELNS1_11target_archE1200ELNS1_3gpuE4ELNS1_3repE0EEENS1_30default_config_static_selectorELNS0_4arch9wavefront6targetE1EEEvT1_,"axG",@progbits,_ZN7rocprim17ROCPRIM_400000_NS6detail17trampoline_kernelINS0_14default_configENS1_25partition_config_selectorILNS1_17partition_subalgoE8EN3c108BFloat16ENS0_10empty_typeEbEEZZNS1_14partition_implILS5_8ELb0ES3_jPKS7_PS8_PKS8_NS0_5tupleIJPS7_S8_EEENSG_IJSD_SD_EEENS0_18inequality_wrapperIN6hipcub16HIPCUB_304000_NS8EqualityEEEPlJS8_EEE10hipError_tPvRmT3_T4_T5_T6_T7_T9_mT8_P12ihipStream_tbDpT10_ENKUlT_T0_E_clISt17integral_constantIbLb1EES19_EEDaS14_S15_EUlS14_E_NS1_11comp_targetILNS1_3genE10ELNS1_11target_archE1200ELNS1_3gpuE4ELNS1_3repE0EEENS1_30default_config_static_selectorELNS0_4arch9wavefront6targetE1EEEvT1_,comdat
	.protected	_ZN7rocprim17ROCPRIM_400000_NS6detail17trampoline_kernelINS0_14default_configENS1_25partition_config_selectorILNS1_17partition_subalgoE8EN3c108BFloat16ENS0_10empty_typeEbEEZZNS1_14partition_implILS5_8ELb0ES3_jPKS7_PS8_PKS8_NS0_5tupleIJPS7_S8_EEENSG_IJSD_SD_EEENS0_18inequality_wrapperIN6hipcub16HIPCUB_304000_NS8EqualityEEEPlJS8_EEE10hipError_tPvRmT3_T4_T5_T6_T7_T9_mT8_P12ihipStream_tbDpT10_ENKUlT_T0_E_clISt17integral_constantIbLb1EES19_EEDaS14_S15_EUlS14_E_NS1_11comp_targetILNS1_3genE10ELNS1_11target_archE1200ELNS1_3gpuE4ELNS1_3repE0EEENS1_30default_config_static_selectorELNS0_4arch9wavefront6targetE1EEEvT1_ ; -- Begin function _ZN7rocprim17ROCPRIM_400000_NS6detail17trampoline_kernelINS0_14default_configENS1_25partition_config_selectorILNS1_17partition_subalgoE8EN3c108BFloat16ENS0_10empty_typeEbEEZZNS1_14partition_implILS5_8ELb0ES3_jPKS7_PS8_PKS8_NS0_5tupleIJPS7_S8_EEENSG_IJSD_SD_EEENS0_18inequality_wrapperIN6hipcub16HIPCUB_304000_NS8EqualityEEEPlJS8_EEE10hipError_tPvRmT3_T4_T5_T6_T7_T9_mT8_P12ihipStream_tbDpT10_ENKUlT_T0_E_clISt17integral_constantIbLb1EES19_EEDaS14_S15_EUlS14_E_NS1_11comp_targetILNS1_3genE10ELNS1_11target_archE1200ELNS1_3gpuE4ELNS1_3repE0EEENS1_30default_config_static_selectorELNS0_4arch9wavefront6targetE1EEEvT1_
	.globl	_ZN7rocprim17ROCPRIM_400000_NS6detail17trampoline_kernelINS0_14default_configENS1_25partition_config_selectorILNS1_17partition_subalgoE8EN3c108BFloat16ENS0_10empty_typeEbEEZZNS1_14partition_implILS5_8ELb0ES3_jPKS7_PS8_PKS8_NS0_5tupleIJPS7_S8_EEENSG_IJSD_SD_EEENS0_18inequality_wrapperIN6hipcub16HIPCUB_304000_NS8EqualityEEEPlJS8_EEE10hipError_tPvRmT3_T4_T5_T6_T7_T9_mT8_P12ihipStream_tbDpT10_ENKUlT_T0_E_clISt17integral_constantIbLb1EES19_EEDaS14_S15_EUlS14_E_NS1_11comp_targetILNS1_3genE10ELNS1_11target_archE1200ELNS1_3gpuE4ELNS1_3repE0EEENS1_30default_config_static_selectorELNS0_4arch9wavefront6targetE1EEEvT1_
	.p2align	8
	.type	_ZN7rocprim17ROCPRIM_400000_NS6detail17trampoline_kernelINS0_14default_configENS1_25partition_config_selectorILNS1_17partition_subalgoE8EN3c108BFloat16ENS0_10empty_typeEbEEZZNS1_14partition_implILS5_8ELb0ES3_jPKS7_PS8_PKS8_NS0_5tupleIJPS7_S8_EEENSG_IJSD_SD_EEENS0_18inequality_wrapperIN6hipcub16HIPCUB_304000_NS8EqualityEEEPlJS8_EEE10hipError_tPvRmT3_T4_T5_T6_T7_T9_mT8_P12ihipStream_tbDpT10_ENKUlT_T0_E_clISt17integral_constantIbLb1EES19_EEDaS14_S15_EUlS14_E_NS1_11comp_targetILNS1_3genE10ELNS1_11target_archE1200ELNS1_3gpuE4ELNS1_3repE0EEENS1_30default_config_static_selectorELNS0_4arch9wavefront6targetE1EEEvT1_,@function
_ZN7rocprim17ROCPRIM_400000_NS6detail17trampoline_kernelINS0_14default_configENS1_25partition_config_selectorILNS1_17partition_subalgoE8EN3c108BFloat16ENS0_10empty_typeEbEEZZNS1_14partition_implILS5_8ELb0ES3_jPKS7_PS8_PKS8_NS0_5tupleIJPS7_S8_EEENSG_IJSD_SD_EEENS0_18inequality_wrapperIN6hipcub16HIPCUB_304000_NS8EqualityEEEPlJS8_EEE10hipError_tPvRmT3_T4_T5_T6_T7_T9_mT8_P12ihipStream_tbDpT10_ENKUlT_T0_E_clISt17integral_constantIbLb1EES19_EEDaS14_S15_EUlS14_E_NS1_11comp_targetILNS1_3genE10ELNS1_11target_archE1200ELNS1_3gpuE4ELNS1_3repE0EEENS1_30default_config_static_selectorELNS0_4arch9wavefront6targetE1EEEvT1_: ; @_ZN7rocprim17ROCPRIM_400000_NS6detail17trampoline_kernelINS0_14default_configENS1_25partition_config_selectorILNS1_17partition_subalgoE8EN3c108BFloat16ENS0_10empty_typeEbEEZZNS1_14partition_implILS5_8ELb0ES3_jPKS7_PS8_PKS8_NS0_5tupleIJPS7_S8_EEENSG_IJSD_SD_EEENS0_18inequality_wrapperIN6hipcub16HIPCUB_304000_NS8EqualityEEEPlJS8_EEE10hipError_tPvRmT3_T4_T5_T6_T7_T9_mT8_P12ihipStream_tbDpT10_ENKUlT_T0_E_clISt17integral_constantIbLb1EES19_EEDaS14_S15_EUlS14_E_NS1_11comp_targetILNS1_3genE10ELNS1_11target_archE1200ELNS1_3gpuE4ELNS1_3repE0EEENS1_30default_config_static_selectorELNS0_4arch9wavefront6targetE1EEEvT1_
; %bb.0:
	.section	.rodata,"a",@progbits
	.p2align	6, 0x0
	.amdhsa_kernel _ZN7rocprim17ROCPRIM_400000_NS6detail17trampoline_kernelINS0_14default_configENS1_25partition_config_selectorILNS1_17partition_subalgoE8EN3c108BFloat16ENS0_10empty_typeEbEEZZNS1_14partition_implILS5_8ELb0ES3_jPKS7_PS8_PKS8_NS0_5tupleIJPS7_S8_EEENSG_IJSD_SD_EEENS0_18inequality_wrapperIN6hipcub16HIPCUB_304000_NS8EqualityEEEPlJS8_EEE10hipError_tPvRmT3_T4_T5_T6_T7_T9_mT8_P12ihipStream_tbDpT10_ENKUlT_T0_E_clISt17integral_constantIbLb1EES19_EEDaS14_S15_EUlS14_E_NS1_11comp_targetILNS1_3genE10ELNS1_11target_archE1200ELNS1_3gpuE4ELNS1_3repE0EEENS1_30default_config_static_selectorELNS0_4arch9wavefront6targetE1EEEvT1_
		.amdhsa_group_segment_fixed_size 0
		.amdhsa_private_segment_fixed_size 0
		.amdhsa_kernarg_size 128
		.amdhsa_user_sgpr_count 6
		.amdhsa_user_sgpr_private_segment_buffer 1
		.amdhsa_user_sgpr_dispatch_ptr 0
		.amdhsa_user_sgpr_queue_ptr 0
		.amdhsa_user_sgpr_kernarg_segment_ptr 1
		.amdhsa_user_sgpr_dispatch_id 0
		.amdhsa_user_sgpr_flat_scratch_init 0
		.amdhsa_user_sgpr_kernarg_preload_length 0
		.amdhsa_user_sgpr_kernarg_preload_offset 0
		.amdhsa_user_sgpr_private_segment_size 0
		.amdhsa_uses_dynamic_stack 0
		.amdhsa_system_sgpr_private_segment_wavefront_offset 0
		.amdhsa_system_sgpr_workgroup_id_x 1
		.amdhsa_system_sgpr_workgroup_id_y 0
		.amdhsa_system_sgpr_workgroup_id_z 0
		.amdhsa_system_sgpr_workgroup_info 0
		.amdhsa_system_vgpr_workitem_id 0
		.amdhsa_next_free_vgpr 1
		.amdhsa_next_free_sgpr 0
		.amdhsa_accum_offset 4
		.amdhsa_reserve_vcc 0
		.amdhsa_reserve_flat_scratch 0
		.amdhsa_float_round_mode_32 0
		.amdhsa_float_round_mode_16_64 0
		.amdhsa_float_denorm_mode_32 3
		.amdhsa_float_denorm_mode_16_64 3
		.amdhsa_dx10_clamp 1
		.amdhsa_ieee_mode 1
		.amdhsa_fp16_overflow 0
		.amdhsa_tg_split 0
		.amdhsa_exception_fp_ieee_invalid_op 0
		.amdhsa_exception_fp_denorm_src 0
		.amdhsa_exception_fp_ieee_div_zero 0
		.amdhsa_exception_fp_ieee_overflow 0
		.amdhsa_exception_fp_ieee_underflow 0
		.amdhsa_exception_fp_ieee_inexact 0
		.amdhsa_exception_int_div_zero 0
	.end_amdhsa_kernel
	.section	.text._ZN7rocprim17ROCPRIM_400000_NS6detail17trampoline_kernelINS0_14default_configENS1_25partition_config_selectorILNS1_17partition_subalgoE8EN3c108BFloat16ENS0_10empty_typeEbEEZZNS1_14partition_implILS5_8ELb0ES3_jPKS7_PS8_PKS8_NS0_5tupleIJPS7_S8_EEENSG_IJSD_SD_EEENS0_18inequality_wrapperIN6hipcub16HIPCUB_304000_NS8EqualityEEEPlJS8_EEE10hipError_tPvRmT3_T4_T5_T6_T7_T9_mT8_P12ihipStream_tbDpT10_ENKUlT_T0_E_clISt17integral_constantIbLb1EES19_EEDaS14_S15_EUlS14_E_NS1_11comp_targetILNS1_3genE10ELNS1_11target_archE1200ELNS1_3gpuE4ELNS1_3repE0EEENS1_30default_config_static_selectorELNS0_4arch9wavefront6targetE1EEEvT1_,"axG",@progbits,_ZN7rocprim17ROCPRIM_400000_NS6detail17trampoline_kernelINS0_14default_configENS1_25partition_config_selectorILNS1_17partition_subalgoE8EN3c108BFloat16ENS0_10empty_typeEbEEZZNS1_14partition_implILS5_8ELb0ES3_jPKS7_PS8_PKS8_NS0_5tupleIJPS7_S8_EEENSG_IJSD_SD_EEENS0_18inequality_wrapperIN6hipcub16HIPCUB_304000_NS8EqualityEEEPlJS8_EEE10hipError_tPvRmT3_T4_T5_T6_T7_T9_mT8_P12ihipStream_tbDpT10_ENKUlT_T0_E_clISt17integral_constantIbLb1EES19_EEDaS14_S15_EUlS14_E_NS1_11comp_targetILNS1_3genE10ELNS1_11target_archE1200ELNS1_3gpuE4ELNS1_3repE0EEENS1_30default_config_static_selectorELNS0_4arch9wavefront6targetE1EEEvT1_,comdat
.Lfunc_end837:
	.size	_ZN7rocprim17ROCPRIM_400000_NS6detail17trampoline_kernelINS0_14default_configENS1_25partition_config_selectorILNS1_17partition_subalgoE8EN3c108BFloat16ENS0_10empty_typeEbEEZZNS1_14partition_implILS5_8ELb0ES3_jPKS7_PS8_PKS8_NS0_5tupleIJPS7_S8_EEENSG_IJSD_SD_EEENS0_18inequality_wrapperIN6hipcub16HIPCUB_304000_NS8EqualityEEEPlJS8_EEE10hipError_tPvRmT3_T4_T5_T6_T7_T9_mT8_P12ihipStream_tbDpT10_ENKUlT_T0_E_clISt17integral_constantIbLb1EES19_EEDaS14_S15_EUlS14_E_NS1_11comp_targetILNS1_3genE10ELNS1_11target_archE1200ELNS1_3gpuE4ELNS1_3repE0EEENS1_30default_config_static_selectorELNS0_4arch9wavefront6targetE1EEEvT1_, .Lfunc_end837-_ZN7rocprim17ROCPRIM_400000_NS6detail17trampoline_kernelINS0_14default_configENS1_25partition_config_selectorILNS1_17partition_subalgoE8EN3c108BFloat16ENS0_10empty_typeEbEEZZNS1_14partition_implILS5_8ELb0ES3_jPKS7_PS8_PKS8_NS0_5tupleIJPS7_S8_EEENSG_IJSD_SD_EEENS0_18inequality_wrapperIN6hipcub16HIPCUB_304000_NS8EqualityEEEPlJS8_EEE10hipError_tPvRmT3_T4_T5_T6_T7_T9_mT8_P12ihipStream_tbDpT10_ENKUlT_T0_E_clISt17integral_constantIbLb1EES19_EEDaS14_S15_EUlS14_E_NS1_11comp_targetILNS1_3genE10ELNS1_11target_archE1200ELNS1_3gpuE4ELNS1_3repE0EEENS1_30default_config_static_selectorELNS0_4arch9wavefront6targetE1EEEvT1_
                                        ; -- End function
	.section	.AMDGPU.csdata,"",@progbits
; Kernel info:
; codeLenInByte = 0
; NumSgprs: 4
; NumVgprs: 0
; NumAgprs: 0
; TotalNumVgprs: 0
; ScratchSize: 0
; MemoryBound: 0
; FloatMode: 240
; IeeeMode: 1
; LDSByteSize: 0 bytes/workgroup (compile time only)
; SGPRBlocks: 0
; VGPRBlocks: 0
; NumSGPRsForWavesPerEU: 4
; NumVGPRsForWavesPerEU: 1
; AccumOffset: 4
; Occupancy: 8
; WaveLimiterHint : 0
; COMPUTE_PGM_RSRC2:SCRATCH_EN: 0
; COMPUTE_PGM_RSRC2:USER_SGPR: 6
; COMPUTE_PGM_RSRC2:TRAP_HANDLER: 0
; COMPUTE_PGM_RSRC2:TGID_X_EN: 1
; COMPUTE_PGM_RSRC2:TGID_Y_EN: 0
; COMPUTE_PGM_RSRC2:TGID_Z_EN: 0
; COMPUTE_PGM_RSRC2:TIDIG_COMP_CNT: 0
; COMPUTE_PGM_RSRC3_GFX90A:ACCUM_OFFSET: 0
; COMPUTE_PGM_RSRC3_GFX90A:TG_SPLIT: 0
	.section	.text._ZN7rocprim17ROCPRIM_400000_NS6detail17trampoline_kernelINS0_14default_configENS1_25partition_config_selectorILNS1_17partition_subalgoE8EN3c108BFloat16ENS0_10empty_typeEbEEZZNS1_14partition_implILS5_8ELb0ES3_jPKS7_PS8_PKS8_NS0_5tupleIJPS7_S8_EEENSG_IJSD_SD_EEENS0_18inequality_wrapperIN6hipcub16HIPCUB_304000_NS8EqualityEEEPlJS8_EEE10hipError_tPvRmT3_T4_T5_T6_T7_T9_mT8_P12ihipStream_tbDpT10_ENKUlT_T0_E_clISt17integral_constantIbLb1EES19_EEDaS14_S15_EUlS14_E_NS1_11comp_targetILNS1_3genE9ELNS1_11target_archE1100ELNS1_3gpuE3ELNS1_3repE0EEENS1_30default_config_static_selectorELNS0_4arch9wavefront6targetE1EEEvT1_,"axG",@progbits,_ZN7rocprim17ROCPRIM_400000_NS6detail17trampoline_kernelINS0_14default_configENS1_25partition_config_selectorILNS1_17partition_subalgoE8EN3c108BFloat16ENS0_10empty_typeEbEEZZNS1_14partition_implILS5_8ELb0ES3_jPKS7_PS8_PKS8_NS0_5tupleIJPS7_S8_EEENSG_IJSD_SD_EEENS0_18inequality_wrapperIN6hipcub16HIPCUB_304000_NS8EqualityEEEPlJS8_EEE10hipError_tPvRmT3_T4_T5_T6_T7_T9_mT8_P12ihipStream_tbDpT10_ENKUlT_T0_E_clISt17integral_constantIbLb1EES19_EEDaS14_S15_EUlS14_E_NS1_11comp_targetILNS1_3genE9ELNS1_11target_archE1100ELNS1_3gpuE3ELNS1_3repE0EEENS1_30default_config_static_selectorELNS0_4arch9wavefront6targetE1EEEvT1_,comdat
	.protected	_ZN7rocprim17ROCPRIM_400000_NS6detail17trampoline_kernelINS0_14default_configENS1_25partition_config_selectorILNS1_17partition_subalgoE8EN3c108BFloat16ENS0_10empty_typeEbEEZZNS1_14partition_implILS5_8ELb0ES3_jPKS7_PS8_PKS8_NS0_5tupleIJPS7_S8_EEENSG_IJSD_SD_EEENS0_18inequality_wrapperIN6hipcub16HIPCUB_304000_NS8EqualityEEEPlJS8_EEE10hipError_tPvRmT3_T4_T5_T6_T7_T9_mT8_P12ihipStream_tbDpT10_ENKUlT_T0_E_clISt17integral_constantIbLb1EES19_EEDaS14_S15_EUlS14_E_NS1_11comp_targetILNS1_3genE9ELNS1_11target_archE1100ELNS1_3gpuE3ELNS1_3repE0EEENS1_30default_config_static_selectorELNS0_4arch9wavefront6targetE1EEEvT1_ ; -- Begin function _ZN7rocprim17ROCPRIM_400000_NS6detail17trampoline_kernelINS0_14default_configENS1_25partition_config_selectorILNS1_17partition_subalgoE8EN3c108BFloat16ENS0_10empty_typeEbEEZZNS1_14partition_implILS5_8ELb0ES3_jPKS7_PS8_PKS8_NS0_5tupleIJPS7_S8_EEENSG_IJSD_SD_EEENS0_18inequality_wrapperIN6hipcub16HIPCUB_304000_NS8EqualityEEEPlJS8_EEE10hipError_tPvRmT3_T4_T5_T6_T7_T9_mT8_P12ihipStream_tbDpT10_ENKUlT_T0_E_clISt17integral_constantIbLb1EES19_EEDaS14_S15_EUlS14_E_NS1_11comp_targetILNS1_3genE9ELNS1_11target_archE1100ELNS1_3gpuE3ELNS1_3repE0EEENS1_30default_config_static_selectorELNS0_4arch9wavefront6targetE1EEEvT1_
	.globl	_ZN7rocprim17ROCPRIM_400000_NS6detail17trampoline_kernelINS0_14default_configENS1_25partition_config_selectorILNS1_17partition_subalgoE8EN3c108BFloat16ENS0_10empty_typeEbEEZZNS1_14partition_implILS5_8ELb0ES3_jPKS7_PS8_PKS8_NS0_5tupleIJPS7_S8_EEENSG_IJSD_SD_EEENS0_18inequality_wrapperIN6hipcub16HIPCUB_304000_NS8EqualityEEEPlJS8_EEE10hipError_tPvRmT3_T4_T5_T6_T7_T9_mT8_P12ihipStream_tbDpT10_ENKUlT_T0_E_clISt17integral_constantIbLb1EES19_EEDaS14_S15_EUlS14_E_NS1_11comp_targetILNS1_3genE9ELNS1_11target_archE1100ELNS1_3gpuE3ELNS1_3repE0EEENS1_30default_config_static_selectorELNS0_4arch9wavefront6targetE1EEEvT1_
	.p2align	8
	.type	_ZN7rocprim17ROCPRIM_400000_NS6detail17trampoline_kernelINS0_14default_configENS1_25partition_config_selectorILNS1_17partition_subalgoE8EN3c108BFloat16ENS0_10empty_typeEbEEZZNS1_14partition_implILS5_8ELb0ES3_jPKS7_PS8_PKS8_NS0_5tupleIJPS7_S8_EEENSG_IJSD_SD_EEENS0_18inequality_wrapperIN6hipcub16HIPCUB_304000_NS8EqualityEEEPlJS8_EEE10hipError_tPvRmT3_T4_T5_T6_T7_T9_mT8_P12ihipStream_tbDpT10_ENKUlT_T0_E_clISt17integral_constantIbLb1EES19_EEDaS14_S15_EUlS14_E_NS1_11comp_targetILNS1_3genE9ELNS1_11target_archE1100ELNS1_3gpuE3ELNS1_3repE0EEENS1_30default_config_static_selectorELNS0_4arch9wavefront6targetE1EEEvT1_,@function
_ZN7rocprim17ROCPRIM_400000_NS6detail17trampoline_kernelINS0_14default_configENS1_25partition_config_selectorILNS1_17partition_subalgoE8EN3c108BFloat16ENS0_10empty_typeEbEEZZNS1_14partition_implILS5_8ELb0ES3_jPKS7_PS8_PKS8_NS0_5tupleIJPS7_S8_EEENSG_IJSD_SD_EEENS0_18inequality_wrapperIN6hipcub16HIPCUB_304000_NS8EqualityEEEPlJS8_EEE10hipError_tPvRmT3_T4_T5_T6_T7_T9_mT8_P12ihipStream_tbDpT10_ENKUlT_T0_E_clISt17integral_constantIbLb1EES19_EEDaS14_S15_EUlS14_E_NS1_11comp_targetILNS1_3genE9ELNS1_11target_archE1100ELNS1_3gpuE3ELNS1_3repE0EEENS1_30default_config_static_selectorELNS0_4arch9wavefront6targetE1EEEvT1_: ; @_ZN7rocprim17ROCPRIM_400000_NS6detail17trampoline_kernelINS0_14default_configENS1_25partition_config_selectorILNS1_17partition_subalgoE8EN3c108BFloat16ENS0_10empty_typeEbEEZZNS1_14partition_implILS5_8ELb0ES3_jPKS7_PS8_PKS8_NS0_5tupleIJPS7_S8_EEENSG_IJSD_SD_EEENS0_18inequality_wrapperIN6hipcub16HIPCUB_304000_NS8EqualityEEEPlJS8_EEE10hipError_tPvRmT3_T4_T5_T6_T7_T9_mT8_P12ihipStream_tbDpT10_ENKUlT_T0_E_clISt17integral_constantIbLb1EES19_EEDaS14_S15_EUlS14_E_NS1_11comp_targetILNS1_3genE9ELNS1_11target_archE1100ELNS1_3gpuE3ELNS1_3repE0EEENS1_30default_config_static_selectorELNS0_4arch9wavefront6targetE1EEEvT1_
; %bb.0:
	.section	.rodata,"a",@progbits
	.p2align	6, 0x0
	.amdhsa_kernel _ZN7rocprim17ROCPRIM_400000_NS6detail17trampoline_kernelINS0_14default_configENS1_25partition_config_selectorILNS1_17partition_subalgoE8EN3c108BFloat16ENS0_10empty_typeEbEEZZNS1_14partition_implILS5_8ELb0ES3_jPKS7_PS8_PKS8_NS0_5tupleIJPS7_S8_EEENSG_IJSD_SD_EEENS0_18inequality_wrapperIN6hipcub16HIPCUB_304000_NS8EqualityEEEPlJS8_EEE10hipError_tPvRmT3_T4_T5_T6_T7_T9_mT8_P12ihipStream_tbDpT10_ENKUlT_T0_E_clISt17integral_constantIbLb1EES19_EEDaS14_S15_EUlS14_E_NS1_11comp_targetILNS1_3genE9ELNS1_11target_archE1100ELNS1_3gpuE3ELNS1_3repE0EEENS1_30default_config_static_selectorELNS0_4arch9wavefront6targetE1EEEvT1_
		.amdhsa_group_segment_fixed_size 0
		.amdhsa_private_segment_fixed_size 0
		.amdhsa_kernarg_size 128
		.amdhsa_user_sgpr_count 6
		.amdhsa_user_sgpr_private_segment_buffer 1
		.amdhsa_user_sgpr_dispatch_ptr 0
		.amdhsa_user_sgpr_queue_ptr 0
		.amdhsa_user_sgpr_kernarg_segment_ptr 1
		.amdhsa_user_sgpr_dispatch_id 0
		.amdhsa_user_sgpr_flat_scratch_init 0
		.amdhsa_user_sgpr_kernarg_preload_length 0
		.amdhsa_user_sgpr_kernarg_preload_offset 0
		.amdhsa_user_sgpr_private_segment_size 0
		.amdhsa_uses_dynamic_stack 0
		.amdhsa_system_sgpr_private_segment_wavefront_offset 0
		.amdhsa_system_sgpr_workgroup_id_x 1
		.amdhsa_system_sgpr_workgroup_id_y 0
		.amdhsa_system_sgpr_workgroup_id_z 0
		.amdhsa_system_sgpr_workgroup_info 0
		.amdhsa_system_vgpr_workitem_id 0
		.amdhsa_next_free_vgpr 1
		.amdhsa_next_free_sgpr 0
		.amdhsa_accum_offset 4
		.amdhsa_reserve_vcc 0
		.amdhsa_reserve_flat_scratch 0
		.amdhsa_float_round_mode_32 0
		.amdhsa_float_round_mode_16_64 0
		.amdhsa_float_denorm_mode_32 3
		.amdhsa_float_denorm_mode_16_64 3
		.amdhsa_dx10_clamp 1
		.amdhsa_ieee_mode 1
		.amdhsa_fp16_overflow 0
		.amdhsa_tg_split 0
		.amdhsa_exception_fp_ieee_invalid_op 0
		.amdhsa_exception_fp_denorm_src 0
		.amdhsa_exception_fp_ieee_div_zero 0
		.amdhsa_exception_fp_ieee_overflow 0
		.amdhsa_exception_fp_ieee_underflow 0
		.amdhsa_exception_fp_ieee_inexact 0
		.amdhsa_exception_int_div_zero 0
	.end_amdhsa_kernel
	.section	.text._ZN7rocprim17ROCPRIM_400000_NS6detail17trampoline_kernelINS0_14default_configENS1_25partition_config_selectorILNS1_17partition_subalgoE8EN3c108BFloat16ENS0_10empty_typeEbEEZZNS1_14partition_implILS5_8ELb0ES3_jPKS7_PS8_PKS8_NS0_5tupleIJPS7_S8_EEENSG_IJSD_SD_EEENS0_18inequality_wrapperIN6hipcub16HIPCUB_304000_NS8EqualityEEEPlJS8_EEE10hipError_tPvRmT3_T4_T5_T6_T7_T9_mT8_P12ihipStream_tbDpT10_ENKUlT_T0_E_clISt17integral_constantIbLb1EES19_EEDaS14_S15_EUlS14_E_NS1_11comp_targetILNS1_3genE9ELNS1_11target_archE1100ELNS1_3gpuE3ELNS1_3repE0EEENS1_30default_config_static_selectorELNS0_4arch9wavefront6targetE1EEEvT1_,"axG",@progbits,_ZN7rocprim17ROCPRIM_400000_NS6detail17trampoline_kernelINS0_14default_configENS1_25partition_config_selectorILNS1_17partition_subalgoE8EN3c108BFloat16ENS0_10empty_typeEbEEZZNS1_14partition_implILS5_8ELb0ES3_jPKS7_PS8_PKS8_NS0_5tupleIJPS7_S8_EEENSG_IJSD_SD_EEENS0_18inequality_wrapperIN6hipcub16HIPCUB_304000_NS8EqualityEEEPlJS8_EEE10hipError_tPvRmT3_T4_T5_T6_T7_T9_mT8_P12ihipStream_tbDpT10_ENKUlT_T0_E_clISt17integral_constantIbLb1EES19_EEDaS14_S15_EUlS14_E_NS1_11comp_targetILNS1_3genE9ELNS1_11target_archE1100ELNS1_3gpuE3ELNS1_3repE0EEENS1_30default_config_static_selectorELNS0_4arch9wavefront6targetE1EEEvT1_,comdat
.Lfunc_end838:
	.size	_ZN7rocprim17ROCPRIM_400000_NS6detail17trampoline_kernelINS0_14default_configENS1_25partition_config_selectorILNS1_17partition_subalgoE8EN3c108BFloat16ENS0_10empty_typeEbEEZZNS1_14partition_implILS5_8ELb0ES3_jPKS7_PS8_PKS8_NS0_5tupleIJPS7_S8_EEENSG_IJSD_SD_EEENS0_18inequality_wrapperIN6hipcub16HIPCUB_304000_NS8EqualityEEEPlJS8_EEE10hipError_tPvRmT3_T4_T5_T6_T7_T9_mT8_P12ihipStream_tbDpT10_ENKUlT_T0_E_clISt17integral_constantIbLb1EES19_EEDaS14_S15_EUlS14_E_NS1_11comp_targetILNS1_3genE9ELNS1_11target_archE1100ELNS1_3gpuE3ELNS1_3repE0EEENS1_30default_config_static_selectorELNS0_4arch9wavefront6targetE1EEEvT1_, .Lfunc_end838-_ZN7rocprim17ROCPRIM_400000_NS6detail17trampoline_kernelINS0_14default_configENS1_25partition_config_selectorILNS1_17partition_subalgoE8EN3c108BFloat16ENS0_10empty_typeEbEEZZNS1_14partition_implILS5_8ELb0ES3_jPKS7_PS8_PKS8_NS0_5tupleIJPS7_S8_EEENSG_IJSD_SD_EEENS0_18inequality_wrapperIN6hipcub16HIPCUB_304000_NS8EqualityEEEPlJS8_EEE10hipError_tPvRmT3_T4_T5_T6_T7_T9_mT8_P12ihipStream_tbDpT10_ENKUlT_T0_E_clISt17integral_constantIbLb1EES19_EEDaS14_S15_EUlS14_E_NS1_11comp_targetILNS1_3genE9ELNS1_11target_archE1100ELNS1_3gpuE3ELNS1_3repE0EEENS1_30default_config_static_selectorELNS0_4arch9wavefront6targetE1EEEvT1_
                                        ; -- End function
	.section	.AMDGPU.csdata,"",@progbits
; Kernel info:
; codeLenInByte = 0
; NumSgprs: 4
; NumVgprs: 0
; NumAgprs: 0
; TotalNumVgprs: 0
; ScratchSize: 0
; MemoryBound: 0
; FloatMode: 240
; IeeeMode: 1
; LDSByteSize: 0 bytes/workgroup (compile time only)
; SGPRBlocks: 0
; VGPRBlocks: 0
; NumSGPRsForWavesPerEU: 4
; NumVGPRsForWavesPerEU: 1
; AccumOffset: 4
; Occupancy: 8
; WaveLimiterHint : 0
; COMPUTE_PGM_RSRC2:SCRATCH_EN: 0
; COMPUTE_PGM_RSRC2:USER_SGPR: 6
; COMPUTE_PGM_RSRC2:TRAP_HANDLER: 0
; COMPUTE_PGM_RSRC2:TGID_X_EN: 1
; COMPUTE_PGM_RSRC2:TGID_Y_EN: 0
; COMPUTE_PGM_RSRC2:TGID_Z_EN: 0
; COMPUTE_PGM_RSRC2:TIDIG_COMP_CNT: 0
; COMPUTE_PGM_RSRC3_GFX90A:ACCUM_OFFSET: 0
; COMPUTE_PGM_RSRC3_GFX90A:TG_SPLIT: 0
	.section	.text._ZN7rocprim17ROCPRIM_400000_NS6detail17trampoline_kernelINS0_14default_configENS1_25partition_config_selectorILNS1_17partition_subalgoE8EN3c108BFloat16ENS0_10empty_typeEbEEZZNS1_14partition_implILS5_8ELb0ES3_jPKS7_PS8_PKS8_NS0_5tupleIJPS7_S8_EEENSG_IJSD_SD_EEENS0_18inequality_wrapperIN6hipcub16HIPCUB_304000_NS8EqualityEEEPlJS8_EEE10hipError_tPvRmT3_T4_T5_T6_T7_T9_mT8_P12ihipStream_tbDpT10_ENKUlT_T0_E_clISt17integral_constantIbLb1EES19_EEDaS14_S15_EUlS14_E_NS1_11comp_targetILNS1_3genE8ELNS1_11target_archE1030ELNS1_3gpuE2ELNS1_3repE0EEENS1_30default_config_static_selectorELNS0_4arch9wavefront6targetE1EEEvT1_,"axG",@progbits,_ZN7rocprim17ROCPRIM_400000_NS6detail17trampoline_kernelINS0_14default_configENS1_25partition_config_selectorILNS1_17partition_subalgoE8EN3c108BFloat16ENS0_10empty_typeEbEEZZNS1_14partition_implILS5_8ELb0ES3_jPKS7_PS8_PKS8_NS0_5tupleIJPS7_S8_EEENSG_IJSD_SD_EEENS0_18inequality_wrapperIN6hipcub16HIPCUB_304000_NS8EqualityEEEPlJS8_EEE10hipError_tPvRmT3_T4_T5_T6_T7_T9_mT8_P12ihipStream_tbDpT10_ENKUlT_T0_E_clISt17integral_constantIbLb1EES19_EEDaS14_S15_EUlS14_E_NS1_11comp_targetILNS1_3genE8ELNS1_11target_archE1030ELNS1_3gpuE2ELNS1_3repE0EEENS1_30default_config_static_selectorELNS0_4arch9wavefront6targetE1EEEvT1_,comdat
	.protected	_ZN7rocprim17ROCPRIM_400000_NS6detail17trampoline_kernelINS0_14default_configENS1_25partition_config_selectorILNS1_17partition_subalgoE8EN3c108BFloat16ENS0_10empty_typeEbEEZZNS1_14partition_implILS5_8ELb0ES3_jPKS7_PS8_PKS8_NS0_5tupleIJPS7_S8_EEENSG_IJSD_SD_EEENS0_18inequality_wrapperIN6hipcub16HIPCUB_304000_NS8EqualityEEEPlJS8_EEE10hipError_tPvRmT3_T4_T5_T6_T7_T9_mT8_P12ihipStream_tbDpT10_ENKUlT_T0_E_clISt17integral_constantIbLb1EES19_EEDaS14_S15_EUlS14_E_NS1_11comp_targetILNS1_3genE8ELNS1_11target_archE1030ELNS1_3gpuE2ELNS1_3repE0EEENS1_30default_config_static_selectorELNS0_4arch9wavefront6targetE1EEEvT1_ ; -- Begin function _ZN7rocprim17ROCPRIM_400000_NS6detail17trampoline_kernelINS0_14default_configENS1_25partition_config_selectorILNS1_17partition_subalgoE8EN3c108BFloat16ENS0_10empty_typeEbEEZZNS1_14partition_implILS5_8ELb0ES3_jPKS7_PS8_PKS8_NS0_5tupleIJPS7_S8_EEENSG_IJSD_SD_EEENS0_18inequality_wrapperIN6hipcub16HIPCUB_304000_NS8EqualityEEEPlJS8_EEE10hipError_tPvRmT3_T4_T5_T6_T7_T9_mT8_P12ihipStream_tbDpT10_ENKUlT_T0_E_clISt17integral_constantIbLb1EES19_EEDaS14_S15_EUlS14_E_NS1_11comp_targetILNS1_3genE8ELNS1_11target_archE1030ELNS1_3gpuE2ELNS1_3repE0EEENS1_30default_config_static_selectorELNS0_4arch9wavefront6targetE1EEEvT1_
	.globl	_ZN7rocprim17ROCPRIM_400000_NS6detail17trampoline_kernelINS0_14default_configENS1_25partition_config_selectorILNS1_17partition_subalgoE8EN3c108BFloat16ENS0_10empty_typeEbEEZZNS1_14partition_implILS5_8ELb0ES3_jPKS7_PS8_PKS8_NS0_5tupleIJPS7_S8_EEENSG_IJSD_SD_EEENS0_18inequality_wrapperIN6hipcub16HIPCUB_304000_NS8EqualityEEEPlJS8_EEE10hipError_tPvRmT3_T4_T5_T6_T7_T9_mT8_P12ihipStream_tbDpT10_ENKUlT_T0_E_clISt17integral_constantIbLb1EES19_EEDaS14_S15_EUlS14_E_NS1_11comp_targetILNS1_3genE8ELNS1_11target_archE1030ELNS1_3gpuE2ELNS1_3repE0EEENS1_30default_config_static_selectorELNS0_4arch9wavefront6targetE1EEEvT1_
	.p2align	8
	.type	_ZN7rocprim17ROCPRIM_400000_NS6detail17trampoline_kernelINS0_14default_configENS1_25partition_config_selectorILNS1_17partition_subalgoE8EN3c108BFloat16ENS0_10empty_typeEbEEZZNS1_14partition_implILS5_8ELb0ES3_jPKS7_PS8_PKS8_NS0_5tupleIJPS7_S8_EEENSG_IJSD_SD_EEENS0_18inequality_wrapperIN6hipcub16HIPCUB_304000_NS8EqualityEEEPlJS8_EEE10hipError_tPvRmT3_T4_T5_T6_T7_T9_mT8_P12ihipStream_tbDpT10_ENKUlT_T0_E_clISt17integral_constantIbLb1EES19_EEDaS14_S15_EUlS14_E_NS1_11comp_targetILNS1_3genE8ELNS1_11target_archE1030ELNS1_3gpuE2ELNS1_3repE0EEENS1_30default_config_static_selectorELNS0_4arch9wavefront6targetE1EEEvT1_,@function
_ZN7rocprim17ROCPRIM_400000_NS6detail17trampoline_kernelINS0_14default_configENS1_25partition_config_selectorILNS1_17partition_subalgoE8EN3c108BFloat16ENS0_10empty_typeEbEEZZNS1_14partition_implILS5_8ELb0ES3_jPKS7_PS8_PKS8_NS0_5tupleIJPS7_S8_EEENSG_IJSD_SD_EEENS0_18inequality_wrapperIN6hipcub16HIPCUB_304000_NS8EqualityEEEPlJS8_EEE10hipError_tPvRmT3_T4_T5_T6_T7_T9_mT8_P12ihipStream_tbDpT10_ENKUlT_T0_E_clISt17integral_constantIbLb1EES19_EEDaS14_S15_EUlS14_E_NS1_11comp_targetILNS1_3genE8ELNS1_11target_archE1030ELNS1_3gpuE2ELNS1_3repE0EEENS1_30default_config_static_selectorELNS0_4arch9wavefront6targetE1EEEvT1_: ; @_ZN7rocprim17ROCPRIM_400000_NS6detail17trampoline_kernelINS0_14default_configENS1_25partition_config_selectorILNS1_17partition_subalgoE8EN3c108BFloat16ENS0_10empty_typeEbEEZZNS1_14partition_implILS5_8ELb0ES3_jPKS7_PS8_PKS8_NS0_5tupleIJPS7_S8_EEENSG_IJSD_SD_EEENS0_18inequality_wrapperIN6hipcub16HIPCUB_304000_NS8EqualityEEEPlJS8_EEE10hipError_tPvRmT3_T4_T5_T6_T7_T9_mT8_P12ihipStream_tbDpT10_ENKUlT_T0_E_clISt17integral_constantIbLb1EES19_EEDaS14_S15_EUlS14_E_NS1_11comp_targetILNS1_3genE8ELNS1_11target_archE1030ELNS1_3gpuE2ELNS1_3repE0EEENS1_30default_config_static_selectorELNS0_4arch9wavefront6targetE1EEEvT1_
; %bb.0:
	.section	.rodata,"a",@progbits
	.p2align	6, 0x0
	.amdhsa_kernel _ZN7rocprim17ROCPRIM_400000_NS6detail17trampoline_kernelINS0_14default_configENS1_25partition_config_selectorILNS1_17partition_subalgoE8EN3c108BFloat16ENS0_10empty_typeEbEEZZNS1_14partition_implILS5_8ELb0ES3_jPKS7_PS8_PKS8_NS0_5tupleIJPS7_S8_EEENSG_IJSD_SD_EEENS0_18inequality_wrapperIN6hipcub16HIPCUB_304000_NS8EqualityEEEPlJS8_EEE10hipError_tPvRmT3_T4_T5_T6_T7_T9_mT8_P12ihipStream_tbDpT10_ENKUlT_T0_E_clISt17integral_constantIbLb1EES19_EEDaS14_S15_EUlS14_E_NS1_11comp_targetILNS1_3genE8ELNS1_11target_archE1030ELNS1_3gpuE2ELNS1_3repE0EEENS1_30default_config_static_selectorELNS0_4arch9wavefront6targetE1EEEvT1_
		.amdhsa_group_segment_fixed_size 0
		.amdhsa_private_segment_fixed_size 0
		.amdhsa_kernarg_size 128
		.amdhsa_user_sgpr_count 6
		.amdhsa_user_sgpr_private_segment_buffer 1
		.amdhsa_user_sgpr_dispatch_ptr 0
		.amdhsa_user_sgpr_queue_ptr 0
		.amdhsa_user_sgpr_kernarg_segment_ptr 1
		.amdhsa_user_sgpr_dispatch_id 0
		.amdhsa_user_sgpr_flat_scratch_init 0
		.amdhsa_user_sgpr_kernarg_preload_length 0
		.amdhsa_user_sgpr_kernarg_preload_offset 0
		.amdhsa_user_sgpr_private_segment_size 0
		.amdhsa_uses_dynamic_stack 0
		.amdhsa_system_sgpr_private_segment_wavefront_offset 0
		.amdhsa_system_sgpr_workgroup_id_x 1
		.amdhsa_system_sgpr_workgroup_id_y 0
		.amdhsa_system_sgpr_workgroup_id_z 0
		.amdhsa_system_sgpr_workgroup_info 0
		.amdhsa_system_vgpr_workitem_id 0
		.amdhsa_next_free_vgpr 1
		.amdhsa_next_free_sgpr 0
		.amdhsa_accum_offset 4
		.amdhsa_reserve_vcc 0
		.amdhsa_reserve_flat_scratch 0
		.amdhsa_float_round_mode_32 0
		.amdhsa_float_round_mode_16_64 0
		.amdhsa_float_denorm_mode_32 3
		.amdhsa_float_denorm_mode_16_64 3
		.amdhsa_dx10_clamp 1
		.amdhsa_ieee_mode 1
		.amdhsa_fp16_overflow 0
		.amdhsa_tg_split 0
		.amdhsa_exception_fp_ieee_invalid_op 0
		.amdhsa_exception_fp_denorm_src 0
		.amdhsa_exception_fp_ieee_div_zero 0
		.amdhsa_exception_fp_ieee_overflow 0
		.amdhsa_exception_fp_ieee_underflow 0
		.amdhsa_exception_fp_ieee_inexact 0
		.amdhsa_exception_int_div_zero 0
	.end_amdhsa_kernel
	.section	.text._ZN7rocprim17ROCPRIM_400000_NS6detail17trampoline_kernelINS0_14default_configENS1_25partition_config_selectorILNS1_17partition_subalgoE8EN3c108BFloat16ENS0_10empty_typeEbEEZZNS1_14partition_implILS5_8ELb0ES3_jPKS7_PS8_PKS8_NS0_5tupleIJPS7_S8_EEENSG_IJSD_SD_EEENS0_18inequality_wrapperIN6hipcub16HIPCUB_304000_NS8EqualityEEEPlJS8_EEE10hipError_tPvRmT3_T4_T5_T6_T7_T9_mT8_P12ihipStream_tbDpT10_ENKUlT_T0_E_clISt17integral_constantIbLb1EES19_EEDaS14_S15_EUlS14_E_NS1_11comp_targetILNS1_3genE8ELNS1_11target_archE1030ELNS1_3gpuE2ELNS1_3repE0EEENS1_30default_config_static_selectorELNS0_4arch9wavefront6targetE1EEEvT1_,"axG",@progbits,_ZN7rocprim17ROCPRIM_400000_NS6detail17trampoline_kernelINS0_14default_configENS1_25partition_config_selectorILNS1_17partition_subalgoE8EN3c108BFloat16ENS0_10empty_typeEbEEZZNS1_14partition_implILS5_8ELb0ES3_jPKS7_PS8_PKS8_NS0_5tupleIJPS7_S8_EEENSG_IJSD_SD_EEENS0_18inequality_wrapperIN6hipcub16HIPCUB_304000_NS8EqualityEEEPlJS8_EEE10hipError_tPvRmT3_T4_T5_T6_T7_T9_mT8_P12ihipStream_tbDpT10_ENKUlT_T0_E_clISt17integral_constantIbLb1EES19_EEDaS14_S15_EUlS14_E_NS1_11comp_targetILNS1_3genE8ELNS1_11target_archE1030ELNS1_3gpuE2ELNS1_3repE0EEENS1_30default_config_static_selectorELNS0_4arch9wavefront6targetE1EEEvT1_,comdat
.Lfunc_end839:
	.size	_ZN7rocprim17ROCPRIM_400000_NS6detail17trampoline_kernelINS0_14default_configENS1_25partition_config_selectorILNS1_17partition_subalgoE8EN3c108BFloat16ENS0_10empty_typeEbEEZZNS1_14partition_implILS5_8ELb0ES3_jPKS7_PS8_PKS8_NS0_5tupleIJPS7_S8_EEENSG_IJSD_SD_EEENS0_18inequality_wrapperIN6hipcub16HIPCUB_304000_NS8EqualityEEEPlJS8_EEE10hipError_tPvRmT3_T4_T5_T6_T7_T9_mT8_P12ihipStream_tbDpT10_ENKUlT_T0_E_clISt17integral_constantIbLb1EES19_EEDaS14_S15_EUlS14_E_NS1_11comp_targetILNS1_3genE8ELNS1_11target_archE1030ELNS1_3gpuE2ELNS1_3repE0EEENS1_30default_config_static_selectorELNS0_4arch9wavefront6targetE1EEEvT1_, .Lfunc_end839-_ZN7rocprim17ROCPRIM_400000_NS6detail17trampoline_kernelINS0_14default_configENS1_25partition_config_selectorILNS1_17partition_subalgoE8EN3c108BFloat16ENS0_10empty_typeEbEEZZNS1_14partition_implILS5_8ELb0ES3_jPKS7_PS8_PKS8_NS0_5tupleIJPS7_S8_EEENSG_IJSD_SD_EEENS0_18inequality_wrapperIN6hipcub16HIPCUB_304000_NS8EqualityEEEPlJS8_EEE10hipError_tPvRmT3_T4_T5_T6_T7_T9_mT8_P12ihipStream_tbDpT10_ENKUlT_T0_E_clISt17integral_constantIbLb1EES19_EEDaS14_S15_EUlS14_E_NS1_11comp_targetILNS1_3genE8ELNS1_11target_archE1030ELNS1_3gpuE2ELNS1_3repE0EEENS1_30default_config_static_selectorELNS0_4arch9wavefront6targetE1EEEvT1_
                                        ; -- End function
	.section	.AMDGPU.csdata,"",@progbits
; Kernel info:
; codeLenInByte = 0
; NumSgprs: 4
; NumVgprs: 0
; NumAgprs: 0
; TotalNumVgprs: 0
; ScratchSize: 0
; MemoryBound: 0
; FloatMode: 240
; IeeeMode: 1
; LDSByteSize: 0 bytes/workgroup (compile time only)
; SGPRBlocks: 0
; VGPRBlocks: 0
; NumSGPRsForWavesPerEU: 4
; NumVGPRsForWavesPerEU: 1
; AccumOffset: 4
; Occupancy: 8
; WaveLimiterHint : 0
; COMPUTE_PGM_RSRC2:SCRATCH_EN: 0
; COMPUTE_PGM_RSRC2:USER_SGPR: 6
; COMPUTE_PGM_RSRC2:TRAP_HANDLER: 0
; COMPUTE_PGM_RSRC2:TGID_X_EN: 1
; COMPUTE_PGM_RSRC2:TGID_Y_EN: 0
; COMPUTE_PGM_RSRC2:TGID_Z_EN: 0
; COMPUTE_PGM_RSRC2:TIDIG_COMP_CNT: 0
; COMPUTE_PGM_RSRC3_GFX90A:ACCUM_OFFSET: 0
; COMPUTE_PGM_RSRC3_GFX90A:TG_SPLIT: 0
	.section	.text._ZN7rocprim17ROCPRIM_400000_NS6detail17trampoline_kernelINS0_14default_configENS1_25partition_config_selectorILNS1_17partition_subalgoE8EN3c108BFloat16ENS0_10empty_typeEbEEZZNS1_14partition_implILS5_8ELb0ES3_jPKS7_PS8_PKS8_NS0_5tupleIJPS7_S8_EEENSG_IJSD_SD_EEENS0_18inequality_wrapperIN6hipcub16HIPCUB_304000_NS8EqualityEEEPlJS8_EEE10hipError_tPvRmT3_T4_T5_T6_T7_T9_mT8_P12ihipStream_tbDpT10_ENKUlT_T0_E_clISt17integral_constantIbLb1EES18_IbLb0EEEEDaS14_S15_EUlS14_E_NS1_11comp_targetILNS1_3genE0ELNS1_11target_archE4294967295ELNS1_3gpuE0ELNS1_3repE0EEENS1_30default_config_static_selectorELNS0_4arch9wavefront6targetE1EEEvT1_,"axG",@progbits,_ZN7rocprim17ROCPRIM_400000_NS6detail17trampoline_kernelINS0_14default_configENS1_25partition_config_selectorILNS1_17partition_subalgoE8EN3c108BFloat16ENS0_10empty_typeEbEEZZNS1_14partition_implILS5_8ELb0ES3_jPKS7_PS8_PKS8_NS0_5tupleIJPS7_S8_EEENSG_IJSD_SD_EEENS0_18inequality_wrapperIN6hipcub16HIPCUB_304000_NS8EqualityEEEPlJS8_EEE10hipError_tPvRmT3_T4_T5_T6_T7_T9_mT8_P12ihipStream_tbDpT10_ENKUlT_T0_E_clISt17integral_constantIbLb1EES18_IbLb0EEEEDaS14_S15_EUlS14_E_NS1_11comp_targetILNS1_3genE0ELNS1_11target_archE4294967295ELNS1_3gpuE0ELNS1_3repE0EEENS1_30default_config_static_selectorELNS0_4arch9wavefront6targetE1EEEvT1_,comdat
	.protected	_ZN7rocprim17ROCPRIM_400000_NS6detail17trampoline_kernelINS0_14default_configENS1_25partition_config_selectorILNS1_17partition_subalgoE8EN3c108BFloat16ENS0_10empty_typeEbEEZZNS1_14partition_implILS5_8ELb0ES3_jPKS7_PS8_PKS8_NS0_5tupleIJPS7_S8_EEENSG_IJSD_SD_EEENS0_18inequality_wrapperIN6hipcub16HIPCUB_304000_NS8EqualityEEEPlJS8_EEE10hipError_tPvRmT3_T4_T5_T6_T7_T9_mT8_P12ihipStream_tbDpT10_ENKUlT_T0_E_clISt17integral_constantIbLb1EES18_IbLb0EEEEDaS14_S15_EUlS14_E_NS1_11comp_targetILNS1_3genE0ELNS1_11target_archE4294967295ELNS1_3gpuE0ELNS1_3repE0EEENS1_30default_config_static_selectorELNS0_4arch9wavefront6targetE1EEEvT1_ ; -- Begin function _ZN7rocprim17ROCPRIM_400000_NS6detail17trampoline_kernelINS0_14default_configENS1_25partition_config_selectorILNS1_17partition_subalgoE8EN3c108BFloat16ENS0_10empty_typeEbEEZZNS1_14partition_implILS5_8ELb0ES3_jPKS7_PS8_PKS8_NS0_5tupleIJPS7_S8_EEENSG_IJSD_SD_EEENS0_18inequality_wrapperIN6hipcub16HIPCUB_304000_NS8EqualityEEEPlJS8_EEE10hipError_tPvRmT3_T4_T5_T6_T7_T9_mT8_P12ihipStream_tbDpT10_ENKUlT_T0_E_clISt17integral_constantIbLb1EES18_IbLb0EEEEDaS14_S15_EUlS14_E_NS1_11comp_targetILNS1_3genE0ELNS1_11target_archE4294967295ELNS1_3gpuE0ELNS1_3repE0EEENS1_30default_config_static_selectorELNS0_4arch9wavefront6targetE1EEEvT1_
	.globl	_ZN7rocprim17ROCPRIM_400000_NS6detail17trampoline_kernelINS0_14default_configENS1_25partition_config_selectorILNS1_17partition_subalgoE8EN3c108BFloat16ENS0_10empty_typeEbEEZZNS1_14partition_implILS5_8ELb0ES3_jPKS7_PS8_PKS8_NS0_5tupleIJPS7_S8_EEENSG_IJSD_SD_EEENS0_18inequality_wrapperIN6hipcub16HIPCUB_304000_NS8EqualityEEEPlJS8_EEE10hipError_tPvRmT3_T4_T5_T6_T7_T9_mT8_P12ihipStream_tbDpT10_ENKUlT_T0_E_clISt17integral_constantIbLb1EES18_IbLb0EEEEDaS14_S15_EUlS14_E_NS1_11comp_targetILNS1_3genE0ELNS1_11target_archE4294967295ELNS1_3gpuE0ELNS1_3repE0EEENS1_30default_config_static_selectorELNS0_4arch9wavefront6targetE1EEEvT1_
	.p2align	8
	.type	_ZN7rocprim17ROCPRIM_400000_NS6detail17trampoline_kernelINS0_14default_configENS1_25partition_config_selectorILNS1_17partition_subalgoE8EN3c108BFloat16ENS0_10empty_typeEbEEZZNS1_14partition_implILS5_8ELb0ES3_jPKS7_PS8_PKS8_NS0_5tupleIJPS7_S8_EEENSG_IJSD_SD_EEENS0_18inequality_wrapperIN6hipcub16HIPCUB_304000_NS8EqualityEEEPlJS8_EEE10hipError_tPvRmT3_T4_T5_T6_T7_T9_mT8_P12ihipStream_tbDpT10_ENKUlT_T0_E_clISt17integral_constantIbLb1EES18_IbLb0EEEEDaS14_S15_EUlS14_E_NS1_11comp_targetILNS1_3genE0ELNS1_11target_archE4294967295ELNS1_3gpuE0ELNS1_3repE0EEENS1_30default_config_static_selectorELNS0_4arch9wavefront6targetE1EEEvT1_,@function
_ZN7rocprim17ROCPRIM_400000_NS6detail17trampoline_kernelINS0_14default_configENS1_25partition_config_selectorILNS1_17partition_subalgoE8EN3c108BFloat16ENS0_10empty_typeEbEEZZNS1_14partition_implILS5_8ELb0ES3_jPKS7_PS8_PKS8_NS0_5tupleIJPS7_S8_EEENSG_IJSD_SD_EEENS0_18inequality_wrapperIN6hipcub16HIPCUB_304000_NS8EqualityEEEPlJS8_EEE10hipError_tPvRmT3_T4_T5_T6_T7_T9_mT8_P12ihipStream_tbDpT10_ENKUlT_T0_E_clISt17integral_constantIbLb1EES18_IbLb0EEEEDaS14_S15_EUlS14_E_NS1_11comp_targetILNS1_3genE0ELNS1_11target_archE4294967295ELNS1_3gpuE0ELNS1_3repE0EEENS1_30default_config_static_selectorELNS0_4arch9wavefront6targetE1EEEvT1_: ; @_ZN7rocprim17ROCPRIM_400000_NS6detail17trampoline_kernelINS0_14default_configENS1_25partition_config_selectorILNS1_17partition_subalgoE8EN3c108BFloat16ENS0_10empty_typeEbEEZZNS1_14partition_implILS5_8ELb0ES3_jPKS7_PS8_PKS8_NS0_5tupleIJPS7_S8_EEENSG_IJSD_SD_EEENS0_18inequality_wrapperIN6hipcub16HIPCUB_304000_NS8EqualityEEEPlJS8_EEE10hipError_tPvRmT3_T4_T5_T6_T7_T9_mT8_P12ihipStream_tbDpT10_ENKUlT_T0_E_clISt17integral_constantIbLb1EES18_IbLb0EEEEDaS14_S15_EUlS14_E_NS1_11comp_targetILNS1_3genE0ELNS1_11target_archE4294967295ELNS1_3gpuE0ELNS1_3repE0EEENS1_30default_config_static_selectorELNS0_4arch9wavefront6targetE1EEEvT1_
; %bb.0:
	.section	.rodata,"a",@progbits
	.p2align	6, 0x0
	.amdhsa_kernel _ZN7rocprim17ROCPRIM_400000_NS6detail17trampoline_kernelINS0_14default_configENS1_25partition_config_selectorILNS1_17partition_subalgoE8EN3c108BFloat16ENS0_10empty_typeEbEEZZNS1_14partition_implILS5_8ELb0ES3_jPKS7_PS8_PKS8_NS0_5tupleIJPS7_S8_EEENSG_IJSD_SD_EEENS0_18inequality_wrapperIN6hipcub16HIPCUB_304000_NS8EqualityEEEPlJS8_EEE10hipError_tPvRmT3_T4_T5_T6_T7_T9_mT8_P12ihipStream_tbDpT10_ENKUlT_T0_E_clISt17integral_constantIbLb1EES18_IbLb0EEEEDaS14_S15_EUlS14_E_NS1_11comp_targetILNS1_3genE0ELNS1_11target_archE4294967295ELNS1_3gpuE0ELNS1_3repE0EEENS1_30default_config_static_selectorELNS0_4arch9wavefront6targetE1EEEvT1_
		.amdhsa_group_segment_fixed_size 0
		.amdhsa_private_segment_fixed_size 0
		.amdhsa_kernarg_size 112
		.amdhsa_user_sgpr_count 6
		.amdhsa_user_sgpr_private_segment_buffer 1
		.amdhsa_user_sgpr_dispatch_ptr 0
		.amdhsa_user_sgpr_queue_ptr 0
		.amdhsa_user_sgpr_kernarg_segment_ptr 1
		.amdhsa_user_sgpr_dispatch_id 0
		.amdhsa_user_sgpr_flat_scratch_init 0
		.amdhsa_user_sgpr_kernarg_preload_length 0
		.amdhsa_user_sgpr_kernarg_preload_offset 0
		.amdhsa_user_sgpr_private_segment_size 0
		.amdhsa_uses_dynamic_stack 0
		.amdhsa_system_sgpr_private_segment_wavefront_offset 0
		.amdhsa_system_sgpr_workgroup_id_x 1
		.amdhsa_system_sgpr_workgroup_id_y 0
		.amdhsa_system_sgpr_workgroup_id_z 0
		.amdhsa_system_sgpr_workgroup_info 0
		.amdhsa_system_vgpr_workitem_id 0
		.amdhsa_next_free_vgpr 1
		.amdhsa_next_free_sgpr 0
		.amdhsa_accum_offset 4
		.amdhsa_reserve_vcc 0
		.amdhsa_reserve_flat_scratch 0
		.amdhsa_float_round_mode_32 0
		.amdhsa_float_round_mode_16_64 0
		.amdhsa_float_denorm_mode_32 3
		.amdhsa_float_denorm_mode_16_64 3
		.amdhsa_dx10_clamp 1
		.amdhsa_ieee_mode 1
		.amdhsa_fp16_overflow 0
		.amdhsa_tg_split 0
		.amdhsa_exception_fp_ieee_invalid_op 0
		.amdhsa_exception_fp_denorm_src 0
		.amdhsa_exception_fp_ieee_div_zero 0
		.amdhsa_exception_fp_ieee_overflow 0
		.amdhsa_exception_fp_ieee_underflow 0
		.amdhsa_exception_fp_ieee_inexact 0
		.amdhsa_exception_int_div_zero 0
	.end_amdhsa_kernel
	.section	.text._ZN7rocprim17ROCPRIM_400000_NS6detail17trampoline_kernelINS0_14default_configENS1_25partition_config_selectorILNS1_17partition_subalgoE8EN3c108BFloat16ENS0_10empty_typeEbEEZZNS1_14partition_implILS5_8ELb0ES3_jPKS7_PS8_PKS8_NS0_5tupleIJPS7_S8_EEENSG_IJSD_SD_EEENS0_18inequality_wrapperIN6hipcub16HIPCUB_304000_NS8EqualityEEEPlJS8_EEE10hipError_tPvRmT3_T4_T5_T6_T7_T9_mT8_P12ihipStream_tbDpT10_ENKUlT_T0_E_clISt17integral_constantIbLb1EES18_IbLb0EEEEDaS14_S15_EUlS14_E_NS1_11comp_targetILNS1_3genE0ELNS1_11target_archE4294967295ELNS1_3gpuE0ELNS1_3repE0EEENS1_30default_config_static_selectorELNS0_4arch9wavefront6targetE1EEEvT1_,"axG",@progbits,_ZN7rocprim17ROCPRIM_400000_NS6detail17trampoline_kernelINS0_14default_configENS1_25partition_config_selectorILNS1_17partition_subalgoE8EN3c108BFloat16ENS0_10empty_typeEbEEZZNS1_14partition_implILS5_8ELb0ES3_jPKS7_PS8_PKS8_NS0_5tupleIJPS7_S8_EEENSG_IJSD_SD_EEENS0_18inequality_wrapperIN6hipcub16HIPCUB_304000_NS8EqualityEEEPlJS8_EEE10hipError_tPvRmT3_T4_T5_T6_T7_T9_mT8_P12ihipStream_tbDpT10_ENKUlT_T0_E_clISt17integral_constantIbLb1EES18_IbLb0EEEEDaS14_S15_EUlS14_E_NS1_11comp_targetILNS1_3genE0ELNS1_11target_archE4294967295ELNS1_3gpuE0ELNS1_3repE0EEENS1_30default_config_static_selectorELNS0_4arch9wavefront6targetE1EEEvT1_,comdat
.Lfunc_end840:
	.size	_ZN7rocprim17ROCPRIM_400000_NS6detail17trampoline_kernelINS0_14default_configENS1_25partition_config_selectorILNS1_17partition_subalgoE8EN3c108BFloat16ENS0_10empty_typeEbEEZZNS1_14partition_implILS5_8ELb0ES3_jPKS7_PS8_PKS8_NS0_5tupleIJPS7_S8_EEENSG_IJSD_SD_EEENS0_18inequality_wrapperIN6hipcub16HIPCUB_304000_NS8EqualityEEEPlJS8_EEE10hipError_tPvRmT3_T4_T5_T6_T7_T9_mT8_P12ihipStream_tbDpT10_ENKUlT_T0_E_clISt17integral_constantIbLb1EES18_IbLb0EEEEDaS14_S15_EUlS14_E_NS1_11comp_targetILNS1_3genE0ELNS1_11target_archE4294967295ELNS1_3gpuE0ELNS1_3repE0EEENS1_30default_config_static_selectorELNS0_4arch9wavefront6targetE1EEEvT1_, .Lfunc_end840-_ZN7rocprim17ROCPRIM_400000_NS6detail17trampoline_kernelINS0_14default_configENS1_25partition_config_selectorILNS1_17partition_subalgoE8EN3c108BFloat16ENS0_10empty_typeEbEEZZNS1_14partition_implILS5_8ELb0ES3_jPKS7_PS8_PKS8_NS0_5tupleIJPS7_S8_EEENSG_IJSD_SD_EEENS0_18inequality_wrapperIN6hipcub16HIPCUB_304000_NS8EqualityEEEPlJS8_EEE10hipError_tPvRmT3_T4_T5_T6_T7_T9_mT8_P12ihipStream_tbDpT10_ENKUlT_T0_E_clISt17integral_constantIbLb1EES18_IbLb0EEEEDaS14_S15_EUlS14_E_NS1_11comp_targetILNS1_3genE0ELNS1_11target_archE4294967295ELNS1_3gpuE0ELNS1_3repE0EEENS1_30default_config_static_selectorELNS0_4arch9wavefront6targetE1EEEvT1_
                                        ; -- End function
	.section	.AMDGPU.csdata,"",@progbits
; Kernel info:
; codeLenInByte = 0
; NumSgprs: 4
; NumVgprs: 0
; NumAgprs: 0
; TotalNumVgprs: 0
; ScratchSize: 0
; MemoryBound: 0
; FloatMode: 240
; IeeeMode: 1
; LDSByteSize: 0 bytes/workgroup (compile time only)
; SGPRBlocks: 0
; VGPRBlocks: 0
; NumSGPRsForWavesPerEU: 4
; NumVGPRsForWavesPerEU: 1
; AccumOffset: 4
; Occupancy: 8
; WaveLimiterHint : 0
; COMPUTE_PGM_RSRC2:SCRATCH_EN: 0
; COMPUTE_PGM_RSRC2:USER_SGPR: 6
; COMPUTE_PGM_RSRC2:TRAP_HANDLER: 0
; COMPUTE_PGM_RSRC2:TGID_X_EN: 1
; COMPUTE_PGM_RSRC2:TGID_Y_EN: 0
; COMPUTE_PGM_RSRC2:TGID_Z_EN: 0
; COMPUTE_PGM_RSRC2:TIDIG_COMP_CNT: 0
; COMPUTE_PGM_RSRC3_GFX90A:ACCUM_OFFSET: 0
; COMPUTE_PGM_RSRC3_GFX90A:TG_SPLIT: 0
	.section	.text._ZN7rocprim17ROCPRIM_400000_NS6detail17trampoline_kernelINS0_14default_configENS1_25partition_config_selectorILNS1_17partition_subalgoE8EN3c108BFloat16ENS0_10empty_typeEbEEZZNS1_14partition_implILS5_8ELb0ES3_jPKS7_PS8_PKS8_NS0_5tupleIJPS7_S8_EEENSG_IJSD_SD_EEENS0_18inequality_wrapperIN6hipcub16HIPCUB_304000_NS8EqualityEEEPlJS8_EEE10hipError_tPvRmT3_T4_T5_T6_T7_T9_mT8_P12ihipStream_tbDpT10_ENKUlT_T0_E_clISt17integral_constantIbLb1EES18_IbLb0EEEEDaS14_S15_EUlS14_E_NS1_11comp_targetILNS1_3genE5ELNS1_11target_archE942ELNS1_3gpuE9ELNS1_3repE0EEENS1_30default_config_static_selectorELNS0_4arch9wavefront6targetE1EEEvT1_,"axG",@progbits,_ZN7rocprim17ROCPRIM_400000_NS6detail17trampoline_kernelINS0_14default_configENS1_25partition_config_selectorILNS1_17partition_subalgoE8EN3c108BFloat16ENS0_10empty_typeEbEEZZNS1_14partition_implILS5_8ELb0ES3_jPKS7_PS8_PKS8_NS0_5tupleIJPS7_S8_EEENSG_IJSD_SD_EEENS0_18inequality_wrapperIN6hipcub16HIPCUB_304000_NS8EqualityEEEPlJS8_EEE10hipError_tPvRmT3_T4_T5_T6_T7_T9_mT8_P12ihipStream_tbDpT10_ENKUlT_T0_E_clISt17integral_constantIbLb1EES18_IbLb0EEEEDaS14_S15_EUlS14_E_NS1_11comp_targetILNS1_3genE5ELNS1_11target_archE942ELNS1_3gpuE9ELNS1_3repE0EEENS1_30default_config_static_selectorELNS0_4arch9wavefront6targetE1EEEvT1_,comdat
	.protected	_ZN7rocprim17ROCPRIM_400000_NS6detail17trampoline_kernelINS0_14default_configENS1_25partition_config_selectorILNS1_17partition_subalgoE8EN3c108BFloat16ENS0_10empty_typeEbEEZZNS1_14partition_implILS5_8ELb0ES3_jPKS7_PS8_PKS8_NS0_5tupleIJPS7_S8_EEENSG_IJSD_SD_EEENS0_18inequality_wrapperIN6hipcub16HIPCUB_304000_NS8EqualityEEEPlJS8_EEE10hipError_tPvRmT3_T4_T5_T6_T7_T9_mT8_P12ihipStream_tbDpT10_ENKUlT_T0_E_clISt17integral_constantIbLb1EES18_IbLb0EEEEDaS14_S15_EUlS14_E_NS1_11comp_targetILNS1_3genE5ELNS1_11target_archE942ELNS1_3gpuE9ELNS1_3repE0EEENS1_30default_config_static_selectorELNS0_4arch9wavefront6targetE1EEEvT1_ ; -- Begin function _ZN7rocprim17ROCPRIM_400000_NS6detail17trampoline_kernelINS0_14default_configENS1_25partition_config_selectorILNS1_17partition_subalgoE8EN3c108BFloat16ENS0_10empty_typeEbEEZZNS1_14partition_implILS5_8ELb0ES3_jPKS7_PS8_PKS8_NS0_5tupleIJPS7_S8_EEENSG_IJSD_SD_EEENS0_18inequality_wrapperIN6hipcub16HIPCUB_304000_NS8EqualityEEEPlJS8_EEE10hipError_tPvRmT3_T4_T5_T6_T7_T9_mT8_P12ihipStream_tbDpT10_ENKUlT_T0_E_clISt17integral_constantIbLb1EES18_IbLb0EEEEDaS14_S15_EUlS14_E_NS1_11comp_targetILNS1_3genE5ELNS1_11target_archE942ELNS1_3gpuE9ELNS1_3repE0EEENS1_30default_config_static_selectorELNS0_4arch9wavefront6targetE1EEEvT1_
	.globl	_ZN7rocprim17ROCPRIM_400000_NS6detail17trampoline_kernelINS0_14default_configENS1_25partition_config_selectorILNS1_17partition_subalgoE8EN3c108BFloat16ENS0_10empty_typeEbEEZZNS1_14partition_implILS5_8ELb0ES3_jPKS7_PS8_PKS8_NS0_5tupleIJPS7_S8_EEENSG_IJSD_SD_EEENS0_18inequality_wrapperIN6hipcub16HIPCUB_304000_NS8EqualityEEEPlJS8_EEE10hipError_tPvRmT3_T4_T5_T6_T7_T9_mT8_P12ihipStream_tbDpT10_ENKUlT_T0_E_clISt17integral_constantIbLb1EES18_IbLb0EEEEDaS14_S15_EUlS14_E_NS1_11comp_targetILNS1_3genE5ELNS1_11target_archE942ELNS1_3gpuE9ELNS1_3repE0EEENS1_30default_config_static_selectorELNS0_4arch9wavefront6targetE1EEEvT1_
	.p2align	8
	.type	_ZN7rocprim17ROCPRIM_400000_NS6detail17trampoline_kernelINS0_14default_configENS1_25partition_config_selectorILNS1_17partition_subalgoE8EN3c108BFloat16ENS0_10empty_typeEbEEZZNS1_14partition_implILS5_8ELb0ES3_jPKS7_PS8_PKS8_NS0_5tupleIJPS7_S8_EEENSG_IJSD_SD_EEENS0_18inequality_wrapperIN6hipcub16HIPCUB_304000_NS8EqualityEEEPlJS8_EEE10hipError_tPvRmT3_T4_T5_T6_T7_T9_mT8_P12ihipStream_tbDpT10_ENKUlT_T0_E_clISt17integral_constantIbLb1EES18_IbLb0EEEEDaS14_S15_EUlS14_E_NS1_11comp_targetILNS1_3genE5ELNS1_11target_archE942ELNS1_3gpuE9ELNS1_3repE0EEENS1_30default_config_static_selectorELNS0_4arch9wavefront6targetE1EEEvT1_,@function
_ZN7rocprim17ROCPRIM_400000_NS6detail17trampoline_kernelINS0_14default_configENS1_25partition_config_selectorILNS1_17partition_subalgoE8EN3c108BFloat16ENS0_10empty_typeEbEEZZNS1_14partition_implILS5_8ELb0ES3_jPKS7_PS8_PKS8_NS0_5tupleIJPS7_S8_EEENSG_IJSD_SD_EEENS0_18inequality_wrapperIN6hipcub16HIPCUB_304000_NS8EqualityEEEPlJS8_EEE10hipError_tPvRmT3_T4_T5_T6_T7_T9_mT8_P12ihipStream_tbDpT10_ENKUlT_T0_E_clISt17integral_constantIbLb1EES18_IbLb0EEEEDaS14_S15_EUlS14_E_NS1_11comp_targetILNS1_3genE5ELNS1_11target_archE942ELNS1_3gpuE9ELNS1_3repE0EEENS1_30default_config_static_selectorELNS0_4arch9wavefront6targetE1EEEvT1_: ; @_ZN7rocprim17ROCPRIM_400000_NS6detail17trampoline_kernelINS0_14default_configENS1_25partition_config_selectorILNS1_17partition_subalgoE8EN3c108BFloat16ENS0_10empty_typeEbEEZZNS1_14partition_implILS5_8ELb0ES3_jPKS7_PS8_PKS8_NS0_5tupleIJPS7_S8_EEENSG_IJSD_SD_EEENS0_18inequality_wrapperIN6hipcub16HIPCUB_304000_NS8EqualityEEEPlJS8_EEE10hipError_tPvRmT3_T4_T5_T6_T7_T9_mT8_P12ihipStream_tbDpT10_ENKUlT_T0_E_clISt17integral_constantIbLb1EES18_IbLb0EEEEDaS14_S15_EUlS14_E_NS1_11comp_targetILNS1_3genE5ELNS1_11target_archE942ELNS1_3gpuE9ELNS1_3repE0EEENS1_30default_config_static_selectorELNS0_4arch9wavefront6targetE1EEEvT1_
; %bb.0:
	.section	.rodata,"a",@progbits
	.p2align	6, 0x0
	.amdhsa_kernel _ZN7rocprim17ROCPRIM_400000_NS6detail17trampoline_kernelINS0_14default_configENS1_25partition_config_selectorILNS1_17partition_subalgoE8EN3c108BFloat16ENS0_10empty_typeEbEEZZNS1_14partition_implILS5_8ELb0ES3_jPKS7_PS8_PKS8_NS0_5tupleIJPS7_S8_EEENSG_IJSD_SD_EEENS0_18inequality_wrapperIN6hipcub16HIPCUB_304000_NS8EqualityEEEPlJS8_EEE10hipError_tPvRmT3_T4_T5_T6_T7_T9_mT8_P12ihipStream_tbDpT10_ENKUlT_T0_E_clISt17integral_constantIbLb1EES18_IbLb0EEEEDaS14_S15_EUlS14_E_NS1_11comp_targetILNS1_3genE5ELNS1_11target_archE942ELNS1_3gpuE9ELNS1_3repE0EEENS1_30default_config_static_selectorELNS0_4arch9wavefront6targetE1EEEvT1_
		.amdhsa_group_segment_fixed_size 0
		.amdhsa_private_segment_fixed_size 0
		.amdhsa_kernarg_size 112
		.amdhsa_user_sgpr_count 6
		.amdhsa_user_sgpr_private_segment_buffer 1
		.amdhsa_user_sgpr_dispatch_ptr 0
		.amdhsa_user_sgpr_queue_ptr 0
		.amdhsa_user_sgpr_kernarg_segment_ptr 1
		.amdhsa_user_sgpr_dispatch_id 0
		.amdhsa_user_sgpr_flat_scratch_init 0
		.amdhsa_user_sgpr_kernarg_preload_length 0
		.amdhsa_user_sgpr_kernarg_preload_offset 0
		.amdhsa_user_sgpr_private_segment_size 0
		.amdhsa_uses_dynamic_stack 0
		.amdhsa_system_sgpr_private_segment_wavefront_offset 0
		.amdhsa_system_sgpr_workgroup_id_x 1
		.amdhsa_system_sgpr_workgroup_id_y 0
		.amdhsa_system_sgpr_workgroup_id_z 0
		.amdhsa_system_sgpr_workgroup_info 0
		.amdhsa_system_vgpr_workitem_id 0
		.amdhsa_next_free_vgpr 1
		.amdhsa_next_free_sgpr 0
		.amdhsa_accum_offset 4
		.amdhsa_reserve_vcc 0
		.amdhsa_reserve_flat_scratch 0
		.amdhsa_float_round_mode_32 0
		.amdhsa_float_round_mode_16_64 0
		.amdhsa_float_denorm_mode_32 3
		.amdhsa_float_denorm_mode_16_64 3
		.amdhsa_dx10_clamp 1
		.amdhsa_ieee_mode 1
		.amdhsa_fp16_overflow 0
		.amdhsa_tg_split 0
		.amdhsa_exception_fp_ieee_invalid_op 0
		.amdhsa_exception_fp_denorm_src 0
		.amdhsa_exception_fp_ieee_div_zero 0
		.amdhsa_exception_fp_ieee_overflow 0
		.amdhsa_exception_fp_ieee_underflow 0
		.amdhsa_exception_fp_ieee_inexact 0
		.amdhsa_exception_int_div_zero 0
	.end_amdhsa_kernel
	.section	.text._ZN7rocprim17ROCPRIM_400000_NS6detail17trampoline_kernelINS0_14default_configENS1_25partition_config_selectorILNS1_17partition_subalgoE8EN3c108BFloat16ENS0_10empty_typeEbEEZZNS1_14partition_implILS5_8ELb0ES3_jPKS7_PS8_PKS8_NS0_5tupleIJPS7_S8_EEENSG_IJSD_SD_EEENS0_18inequality_wrapperIN6hipcub16HIPCUB_304000_NS8EqualityEEEPlJS8_EEE10hipError_tPvRmT3_T4_T5_T6_T7_T9_mT8_P12ihipStream_tbDpT10_ENKUlT_T0_E_clISt17integral_constantIbLb1EES18_IbLb0EEEEDaS14_S15_EUlS14_E_NS1_11comp_targetILNS1_3genE5ELNS1_11target_archE942ELNS1_3gpuE9ELNS1_3repE0EEENS1_30default_config_static_selectorELNS0_4arch9wavefront6targetE1EEEvT1_,"axG",@progbits,_ZN7rocprim17ROCPRIM_400000_NS6detail17trampoline_kernelINS0_14default_configENS1_25partition_config_selectorILNS1_17partition_subalgoE8EN3c108BFloat16ENS0_10empty_typeEbEEZZNS1_14partition_implILS5_8ELb0ES3_jPKS7_PS8_PKS8_NS0_5tupleIJPS7_S8_EEENSG_IJSD_SD_EEENS0_18inequality_wrapperIN6hipcub16HIPCUB_304000_NS8EqualityEEEPlJS8_EEE10hipError_tPvRmT3_T4_T5_T6_T7_T9_mT8_P12ihipStream_tbDpT10_ENKUlT_T0_E_clISt17integral_constantIbLb1EES18_IbLb0EEEEDaS14_S15_EUlS14_E_NS1_11comp_targetILNS1_3genE5ELNS1_11target_archE942ELNS1_3gpuE9ELNS1_3repE0EEENS1_30default_config_static_selectorELNS0_4arch9wavefront6targetE1EEEvT1_,comdat
.Lfunc_end841:
	.size	_ZN7rocprim17ROCPRIM_400000_NS6detail17trampoline_kernelINS0_14default_configENS1_25partition_config_selectorILNS1_17partition_subalgoE8EN3c108BFloat16ENS0_10empty_typeEbEEZZNS1_14partition_implILS5_8ELb0ES3_jPKS7_PS8_PKS8_NS0_5tupleIJPS7_S8_EEENSG_IJSD_SD_EEENS0_18inequality_wrapperIN6hipcub16HIPCUB_304000_NS8EqualityEEEPlJS8_EEE10hipError_tPvRmT3_T4_T5_T6_T7_T9_mT8_P12ihipStream_tbDpT10_ENKUlT_T0_E_clISt17integral_constantIbLb1EES18_IbLb0EEEEDaS14_S15_EUlS14_E_NS1_11comp_targetILNS1_3genE5ELNS1_11target_archE942ELNS1_3gpuE9ELNS1_3repE0EEENS1_30default_config_static_selectorELNS0_4arch9wavefront6targetE1EEEvT1_, .Lfunc_end841-_ZN7rocprim17ROCPRIM_400000_NS6detail17trampoline_kernelINS0_14default_configENS1_25partition_config_selectorILNS1_17partition_subalgoE8EN3c108BFloat16ENS0_10empty_typeEbEEZZNS1_14partition_implILS5_8ELb0ES3_jPKS7_PS8_PKS8_NS0_5tupleIJPS7_S8_EEENSG_IJSD_SD_EEENS0_18inequality_wrapperIN6hipcub16HIPCUB_304000_NS8EqualityEEEPlJS8_EEE10hipError_tPvRmT3_T4_T5_T6_T7_T9_mT8_P12ihipStream_tbDpT10_ENKUlT_T0_E_clISt17integral_constantIbLb1EES18_IbLb0EEEEDaS14_S15_EUlS14_E_NS1_11comp_targetILNS1_3genE5ELNS1_11target_archE942ELNS1_3gpuE9ELNS1_3repE0EEENS1_30default_config_static_selectorELNS0_4arch9wavefront6targetE1EEEvT1_
                                        ; -- End function
	.section	.AMDGPU.csdata,"",@progbits
; Kernel info:
; codeLenInByte = 0
; NumSgprs: 4
; NumVgprs: 0
; NumAgprs: 0
; TotalNumVgprs: 0
; ScratchSize: 0
; MemoryBound: 0
; FloatMode: 240
; IeeeMode: 1
; LDSByteSize: 0 bytes/workgroup (compile time only)
; SGPRBlocks: 0
; VGPRBlocks: 0
; NumSGPRsForWavesPerEU: 4
; NumVGPRsForWavesPerEU: 1
; AccumOffset: 4
; Occupancy: 8
; WaveLimiterHint : 0
; COMPUTE_PGM_RSRC2:SCRATCH_EN: 0
; COMPUTE_PGM_RSRC2:USER_SGPR: 6
; COMPUTE_PGM_RSRC2:TRAP_HANDLER: 0
; COMPUTE_PGM_RSRC2:TGID_X_EN: 1
; COMPUTE_PGM_RSRC2:TGID_Y_EN: 0
; COMPUTE_PGM_RSRC2:TGID_Z_EN: 0
; COMPUTE_PGM_RSRC2:TIDIG_COMP_CNT: 0
; COMPUTE_PGM_RSRC3_GFX90A:ACCUM_OFFSET: 0
; COMPUTE_PGM_RSRC3_GFX90A:TG_SPLIT: 0
	.section	.text._ZN7rocprim17ROCPRIM_400000_NS6detail17trampoline_kernelINS0_14default_configENS1_25partition_config_selectorILNS1_17partition_subalgoE8EN3c108BFloat16ENS0_10empty_typeEbEEZZNS1_14partition_implILS5_8ELb0ES3_jPKS7_PS8_PKS8_NS0_5tupleIJPS7_S8_EEENSG_IJSD_SD_EEENS0_18inequality_wrapperIN6hipcub16HIPCUB_304000_NS8EqualityEEEPlJS8_EEE10hipError_tPvRmT3_T4_T5_T6_T7_T9_mT8_P12ihipStream_tbDpT10_ENKUlT_T0_E_clISt17integral_constantIbLb1EES18_IbLb0EEEEDaS14_S15_EUlS14_E_NS1_11comp_targetILNS1_3genE4ELNS1_11target_archE910ELNS1_3gpuE8ELNS1_3repE0EEENS1_30default_config_static_selectorELNS0_4arch9wavefront6targetE1EEEvT1_,"axG",@progbits,_ZN7rocprim17ROCPRIM_400000_NS6detail17trampoline_kernelINS0_14default_configENS1_25partition_config_selectorILNS1_17partition_subalgoE8EN3c108BFloat16ENS0_10empty_typeEbEEZZNS1_14partition_implILS5_8ELb0ES3_jPKS7_PS8_PKS8_NS0_5tupleIJPS7_S8_EEENSG_IJSD_SD_EEENS0_18inequality_wrapperIN6hipcub16HIPCUB_304000_NS8EqualityEEEPlJS8_EEE10hipError_tPvRmT3_T4_T5_T6_T7_T9_mT8_P12ihipStream_tbDpT10_ENKUlT_T0_E_clISt17integral_constantIbLb1EES18_IbLb0EEEEDaS14_S15_EUlS14_E_NS1_11comp_targetILNS1_3genE4ELNS1_11target_archE910ELNS1_3gpuE8ELNS1_3repE0EEENS1_30default_config_static_selectorELNS0_4arch9wavefront6targetE1EEEvT1_,comdat
	.protected	_ZN7rocprim17ROCPRIM_400000_NS6detail17trampoline_kernelINS0_14default_configENS1_25partition_config_selectorILNS1_17partition_subalgoE8EN3c108BFloat16ENS0_10empty_typeEbEEZZNS1_14partition_implILS5_8ELb0ES3_jPKS7_PS8_PKS8_NS0_5tupleIJPS7_S8_EEENSG_IJSD_SD_EEENS0_18inequality_wrapperIN6hipcub16HIPCUB_304000_NS8EqualityEEEPlJS8_EEE10hipError_tPvRmT3_T4_T5_T6_T7_T9_mT8_P12ihipStream_tbDpT10_ENKUlT_T0_E_clISt17integral_constantIbLb1EES18_IbLb0EEEEDaS14_S15_EUlS14_E_NS1_11comp_targetILNS1_3genE4ELNS1_11target_archE910ELNS1_3gpuE8ELNS1_3repE0EEENS1_30default_config_static_selectorELNS0_4arch9wavefront6targetE1EEEvT1_ ; -- Begin function _ZN7rocprim17ROCPRIM_400000_NS6detail17trampoline_kernelINS0_14default_configENS1_25partition_config_selectorILNS1_17partition_subalgoE8EN3c108BFloat16ENS0_10empty_typeEbEEZZNS1_14partition_implILS5_8ELb0ES3_jPKS7_PS8_PKS8_NS0_5tupleIJPS7_S8_EEENSG_IJSD_SD_EEENS0_18inequality_wrapperIN6hipcub16HIPCUB_304000_NS8EqualityEEEPlJS8_EEE10hipError_tPvRmT3_T4_T5_T6_T7_T9_mT8_P12ihipStream_tbDpT10_ENKUlT_T0_E_clISt17integral_constantIbLb1EES18_IbLb0EEEEDaS14_S15_EUlS14_E_NS1_11comp_targetILNS1_3genE4ELNS1_11target_archE910ELNS1_3gpuE8ELNS1_3repE0EEENS1_30default_config_static_selectorELNS0_4arch9wavefront6targetE1EEEvT1_
	.globl	_ZN7rocprim17ROCPRIM_400000_NS6detail17trampoline_kernelINS0_14default_configENS1_25partition_config_selectorILNS1_17partition_subalgoE8EN3c108BFloat16ENS0_10empty_typeEbEEZZNS1_14partition_implILS5_8ELb0ES3_jPKS7_PS8_PKS8_NS0_5tupleIJPS7_S8_EEENSG_IJSD_SD_EEENS0_18inequality_wrapperIN6hipcub16HIPCUB_304000_NS8EqualityEEEPlJS8_EEE10hipError_tPvRmT3_T4_T5_T6_T7_T9_mT8_P12ihipStream_tbDpT10_ENKUlT_T0_E_clISt17integral_constantIbLb1EES18_IbLb0EEEEDaS14_S15_EUlS14_E_NS1_11comp_targetILNS1_3genE4ELNS1_11target_archE910ELNS1_3gpuE8ELNS1_3repE0EEENS1_30default_config_static_selectorELNS0_4arch9wavefront6targetE1EEEvT1_
	.p2align	8
	.type	_ZN7rocprim17ROCPRIM_400000_NS6detail17trampoline_kernelINS0_14default_configENS1_25partition_config_selectorILNS1_17partition_subalgoE8EN3c108BFloat16ENS0_10empty_typeEbEEZZNS1_14partition_implILS5_8ELb0ES3_jPKS7_PS8_PKS8_NS0_5tupleIJPS7_S8_EEENSG_IJSD_SD_EEENS0_18inequality_wrapperIN6hipcub16HIPCUB_304000_NS8EqualityEEEPlJS8_EEE10hipError_tPvRmT3_T4_T5_T6_T7_T9_mT8_P12ihipStream_tbDpT10_ENKUlT_T0_E_clISt17integral_constantIbLb1EES18_IbLb0EEEEDaS14_S15_EUlS14_E_NS1_11comp_targetILNS1_3genE4ELNS1_11target_archE910ELNS1_3gpuE8ELNS1_3repE0EEENS1_30default_config_static_selectorELNS0_4arch9wavefront6targetE1EEEvT1_,@function
_ZN7rocprim17ROCPRIM_400000_NS6detail17trampoline_kernelINS0_14default_configENS1_25partition_config_selectorILNS1_17partition_subalgoE8EN3c108BFloat16ENS0_10empty_typeEbEEZZNS1_14partition_implILS5_8ELb0ES3_jPKS7_PS8_PKS8_NS0_5tupleIJPS7_S8_EEENSG_IJSD_SD_EEENS0_18inequality_wrapperIN6hipcub16HIPCUB_304000_NS8EqualityEEEPlJS8_EEE10hipError_tPvRmT3_T4_T5_T6_T7_T9_mT8_P12ihipStream_tbDpT10_ENKUlT_T0_E_clISt17integral_constantIbLb1EES18_IbLb0EEEEDaS14_S15_EUlS14_E_NS1_11comp_targetILNS1_3genE4ELNS1_11target_archE910ELNS1_3gpuE8ELNS1_3repE0EEENS1_30default_config_static_selectorELNS0_4arch9wavefront6targetE1EEEvT1_: ; @_ZN7rocprim17ROCPRIM_400000_NS6detail17trampoline_kernelINS0_14default_configENS1_25partition_config_selectorILNS1_17partition_subalgoE8EN3c108BFloat16ENS0_10empty_typeEbEEZZNS1_14partition_implILS5_8ELb0ES3_jPKS7_PS8_PKS8_NS0_5tupleIJPS7_S8_EEENSG_IJSD_SD_EEENS0_18inequality_wrapperIN6hipcub16HIPCUB_304000_NS8EqualityEEEPlJS8_EEE10hipError_tPvRmT3_T4_T5_T6_T7_T9_mT8_P12ihipStream_tbDpT10_ENKUlT_T0_E_clISt17integral_constantIbLb1EES18_IbLb0EEEEDaS14_S15_EUlS14_E_NS1_11comp_targetILNS1_3genE4ELNS1_11target_archE910ELNS1_3gpuE8ELNS1_3repE0EEENS1_30default_config_static_selectorELNS0_4arch9wavefront6targetE1EEEvT1_
; %bb.0:
	s_load_dwordx2 s[8:9], s[4:5], 0x50
	s_load_dwordx4 s[0:3], s[4:5], 0x8
	s_load_dwordx4 s[20:23], s[4:5], 0x40
	s_load_dword s7, s[4:5], 0x68
	s_waitcnt lgkmcnt(0)
	v_mov_b32_e32 v3, s9
	s_lshl_b64 s[10:11], s[2:3], 1
	s_add_u32 s12, s0, s10
	s_mul_i32 s9, s7, 0x1600
	s_addc_u32 s13, s1, s11
	s_add_i32 s1, s9, s2
	s_add_i32 s10, s7, -1
	s_sub_i32 s7, s8, s1
	v_mov_b32_e32 v2, s8
	s_add_u32 s8, s2, s9
	s_addc_u32 s9, s3, 0
	s_cmp_eq_u32 s6, s10
	s_load_dwordx2 s[22:23], s[22:23], 0x0
	v_cmp_ge_u64_e32 vcc, s[8:9], v[2:3]
	s_cselect_b64 s[24:25], -1, 0
	s_mul_i32 s0, s6, 0x1600
	s_mov_b32 s1, 0
	s_and_b64 s[8:9], s[24:25], vcc
	s_xor_b64 s[26:27], s[8:9], -1
	s_lshl_b64 s[0:1], s[0:1], 1
	s_add_u32 s0, s12, s0
	s_mov_b64 s[10:11], -1
	s_addc_u32 s1, s13, s1
	s_and_b64 vcc, exec, s[26:27]
	s_cbranch_vccz .LBB842_2
; %bb.1:
	v_lshlrev_b32_e32 v1, 1, v0
	v_mov_b32_e32 v2, s1
	v_add_co_u32_e32 v4, vcc, s0, v1
	v_addc_co_u32_e32 v5, vcc, 0, v2, vcc
	v_add_co_u32_e32 v2, vcc, 0x1000, v4
	v_addc_co_u32_e32 v3, vcc, 0, v5, vcc
	global_load_ushort v6, v1, s[0:1]
	global_load_ushort v7, v1, s[0:1] offset:512
	global_load_ushort v8, v1, s[0:1] offset:1024
	;; [unrolled: 1-line block ×7, first 2 shown]
	global_load_ushort v14, v[2:3], off
	global_load_ushort v15, v[2:3], off offset:512
	global_load_ushort v16, v[2:3], off offset:1024
	;; [unrolled: 1-line block ×7, first 2 shown]
	v_add_co_u32_e32 v2, vcc, 0x2000, v4
	v_addc_co_u32_e32 v3, vcc, 0, v5, vcc
	global_load_ushort v4, v[2:3], off
	global_load_ushort v5, v[2:3], off offset:512
	global_load_ushort v22, v[2:3], off offset:1024
	;; [unrolled: 1-line block ×5, first 2 shown]
	s_mov_b64 s[10:11], 0
	s_waitcnt vmcnt(21)
	ds_write_b16 v1, v6
	s_waitcnt vmcnt(20)
	ds_write_b16 v1, v7 offset:512
	s_waitcnt vmcnt(19)
	ds_write_b16 v1, v8 offset:1024
	;; [unrolled: 2-line block ×21, first 2 shown]
	s_waitcnt lgkmcnt(0)
	s_barrier
.LBB842_2:
	s_andn2_b64 vcc, exec, s[10:11]
	s_addk_i32 s7, 0x1600
	s_cbranch_vccnz .LBB842_48
; %bb.3:
	v_cmp_gt_u32_e32 vcc, s7, v0
                                        ; implicit-def: $vgpr1
	s_and_saveexec_b64 s[10:11], vcc
	s_cbranch_execz .LBB842_5
; %bb.4:
	v_lshlrev_b32_e32 v1, 1, v0
	global_load_ushort v1, v1, s[0:1]
.LBB842_5:
	s_or_b64 exec, exec, s[10:11]
	v_or_b32_e32 v2, 0x100, v0
	v_cmp_gt_u32_e32 vcc, s7, v2
                                        ; implicit-def: $vgpr2
	s_and_saveexec_b64 s[10:11], vcc
	s_cbranch_execz .LBB842_7
; %bb.6:
	v_lshlrev_b32_e32 v2, 1, v0
	global_load_ushort v2, v2, s[0:1] offset:512
.LBB842_7:
	s_or_b64 exec, exec, s[10:11]
	v_or_b32_e32 v3, 0x200, v0
	v_cmp_gt_u32_e32 vcc, s7, v3
                                        ; implicit-def: $vgpr3
	s_and_saveexec_b64 s[10:11], vcc
	s_cbranch_execz .LBB842_9
; %bb.8:
	v_lshlrev_b32_e32 v3, 1, v0
	global_load_ushort v3, v3, s[0:1] offset:1024
.LBB842_9:
	s_or_b64 exec, exec, s[10:11]
	v_or_b32_e32 v4, 0x300, v0
	v_cmp_gt_u32_e32 vcc, s7, v4
                                        ; implicit-def: $vgpr4
	s_and_saveexec_b64 s[10:11], vcc
	s_cbranch_execz .LBB842_11
; %bb.10:
	v_lshlrev_b32_e32 v4, 1, v0
	global_load_ushort v4, v4, s[0:1] offset:1536
.LBB842_11:
	s_or_b64 exec, exec, s[10:11]
	v_or_b32_e32 v5, 0x400, v0
	v_cmp_gt_u32_e32 vcc, s7, v5
                                        ; implicit-def: $vgpr5
	s_and_saveexec_b64 s[10:11], vcc
	s_cbranch_execz .LBB842_13
; %bb.12:
	v_lshlrev_b32_e32 v5, 1, v0
	global_load_ushort v5, v5, s[0:1] offset:2048
.LBB842_13:
	s_or_b64 exec, exec, s[10:11]
	v_or_b32_e32 v6, 0x500, v0
	v_cmp_gt_u32_e32 vcc, s7, v6
                                        ; implicit-def: $vgpr6
	s_and_saveexec_b64 s[10:11], vcc
	s_cbranch_execz .LBB842_15
; %bb.14:
	v_lshlrev_b32_e32 v6, 1, v0
	global_load_ushort v6, v6, s[0:1] offset:2560
.LBB842_15:
	s_or_b64 exec, exec, s[10:11]
	v_or_b32_e32 v7, 0x600, v0
	v_cmp_gt_u32_e32 vcc, s7, v7
                                        ; implicit-def: $vgpr7
	s_and_saveexec_b64 s[10:11], vcc
	s_cbranch_execz .LBB842_17
; %bb.16:
	v_lshlrev_b32_e32 v7, 1, v0
	global_load_ushort v7, v7, s[0:1] offset:3072
.LBB842_17:
	s_or_b64 exec, exec, s[10:11]
	v_or_b32_e32 v8, 0x700, v0
	v_cmp_gt_u32_e32 vcc, s7, v8
                                        ; implicit-def: $vgpr8
	s_and_saveexec_b64 s[10:11], vcc
	s_cbranch_execz .LBB842_19
; %bb.18:
	v_lshlrev_b32_e32 v8, 1, v0
	global_load_ushort v8, v8, s[0:1] offset:3584
.LBB842_19:
	s_or_b64 exec, exec, s[10:11]
	v_or_b32_e32 v10, 0x800, v0
	v_cmp_gt_u32_e32 vcc, s7, v10
                                        ; implicit-def: $vgpr9
	s_and_saveexec_b64 s[10:11], vcc
	s_cbranch_execz .LBB842_21
; %bb.20:
	v_lshlrev_b32_e32 v9, 1, v10
	global_load_ushort v9, v9, s[0:1]
.LBB842_21:
	s_or_b64 exec, exec, s[10:11]
	v_or_b32_e32 v11, 0x900, v0
	v_cmp_gt_u32_e32 vcc, s7, v11
                                        ; implicit-def: $vgpr10
	s_and_saveexec_b64 s[10:11], vcc
	s_cbranch_execz .LBB842_23
; %bb.22:
	v_lshlrev_b32_e32 v10, 1, v11
	global_load_ushort v10, v10, s[0:1]
.LBB842_23:
	s_or_b64 exec, exec, s[10:11]
	v_or_b32_e32 v12, 0xa00, v0
	v_cmp_gt_u32_e32 vcc, s7, v12
                                        ; implicit-def: $vgpr11
	s_and_saveexec_b64 s[10:11], vcc
	s_cbranch_execz .LBB842_25
; %bb.24:
	v_lshlrev_b32_e32 v11, 1, v12
	global_load_ushort v11, v11, s[0:1]
.LBB842_25:
	s_or_b64 exec, exec, s[10:11]
	v_or_b32_e32 v13, 0xb00, v0
	v_cmp_gt_u32_e32 vcc, s7, v13
                                        ; implicit-def: $vgpr12
	s_and_saveexec_b64 s[10:11], vcc
	s_cbranch_execz .LBB842_27
; %bb.26:
	v_lshlrev_b32_e32 v12, 1, v13
	global_load_ushort v12, v12, s[0:1]
.LBB842_27:
	s_or_b64 exec, exec, s[10:11]
	v_or_b32_e32 v14, 0xc00, v0
	v_cmp_gt_u32_e32 vcc, s7, v14
                                        ; implicit-def: $vgpr13
	s_and_saveexec_b64 s[10:11], vcc
	s_cbranch_execz .LBB842_29
; %bb.28:
	v_lshlrev_b32_e32 v13, 1, v14
	global_load_ushort v13, v13, s[0:1]
.LBB842_29:
	s_or_b64 exec, exec, s[10:11]
	v_or_b32_e32 v15, 0xd00, v0
	v_cmp_gt_u32_e32 vcc, s7, v15
                                        ; implicit-def: $vgpr14
	s_and_saveexec_b64 s[10:11], vcc
	s_cbranch_execz .LBB842_31
; %bb.30:
	v_lshlrev_b32_e32 v14, 1, v15
	global_load_ushort v14, v14, s[0:1]
.LBB842_31:
	s_or_b64 exec, exec, s[10:11]
	v_or_b32_e32 v16, 0xe00, v0
	v_cmp_gt_u32_e32 vcc, s7, v16
                                        ; implicit-def: $vgpr15
	s_and_saveexec_b64 s[10:11], vcc
	s_cbranch_execz .LBB842_33
; %bb.32:
	v_lshlrev_b32_e32 v15, 1, v16
	global_load_ushort v15, v15, s[0:1]
.LBB842_33:
	s_or_b64 exec, exec, s[10:11]
	v_or_b32_e32 v17, 0xf00, v0
	v_cmp_gt_u32_e32 vcc, s7, v17
                                        ; implicit-def: $vgpr16
	s_and_saveexec_b64 s[10:11], vcc
	s_cbranch_execz .LBB842_35
; %bb.34:
	v_lshlrev_b32_e32 v16, 1, v17
	global_load_ushort v16, v16, s[0:1]
.LBB842_35:
	s_or_b64 exec, exec, s[10:11]
	v_or_b32_e32 v18, 0x1000, v0
	v_cmp_gt_u32_e32 vcc, s7, v18
                                        ; implicit-def: $vgpr17
	s_and_saveexec_b64 s[10:11], vcc
	s_cbranch_execz .LBB842_37
; %bb.36:
	v_lshlrev_b32_e32 v17, 1, v18
	global_load_ushort v17, v17, s[0:1]
.LBB842_37:
	s_or_b64 exec, exec, s[10:11]
	v_or_b32_e32 v19, 0x1100, v0
	v_cmp_gt_u32_e32 vcc, s7, v19
                                        ; implicit-def: $vgpr18
	s_and_saveexec_b64 s[10:11], vcc
	s_cbranch_execz .LBB842_39
; %bb.38:
	v_lshlrev_b32_e32 v18, 1, v19
	global_load_ushort v18, v18, s[0:1]
.LBB842_39:
	s_or_b64 exec, exec, s[10:11]
	v_or_b32_e32 v20, 0x1200, v0
	v_cmp_gt_u32_e32 vcc, s7, v20
                                        ; implicit-def: $vgpr19
	s_and_saveexec_b64 s[10:11], vcc
	s_cbranch_execz .LBB842_41
; %bb.40:
	v_lshlrev_b32_e32 v19, 1, v20
	global_load_ushort v19, v19, s[0:1]
.LBB842_41:
	s_or_b64 exec, exec, s[10:11]
	v_or_b32_e32 v21, 0x1300, v0
	v_cmp_gt_u32_e32 vcc, s7, v21
                                        ; implicit-def: $vgpr20
	s_and_saveexec_b64 s[10:11], vcc
	s_cbranch_execz .LBB842_43
; %bb.42:
	v_lshlrev_b32_e32 v20, 1, v21
	global_load_ushort v20, v20, s[0:1]
.LBB842_43:
	s_or_b64 exec, exec, s[10:11]
	v_or_b32_e32 v22, 0x1400, v0
	v_cmp_gt_u32_e32 vcc, s7, v22
                                        ; implicit-def: $vgpr21
	s_and_saveexec_b64 s[10:11], vcc
	s_cbranch_execz .LBB842_45
; %bb.44:
	v_lshlrev_b32_e32 v21, 1, v22
	global_load_ushort v21, v21, s[0:1]
.LBB842_45:
	s_or_b64 exec, exec, s[10:11]
	v_or_b32_e32 v23, 0x1500, v0
	v_cmp_gt_u32_e32 vcc, s7, v23
                                        ; implicit-def: $vgpr22
	s_and_saveexec_b64 s[10:11], vcc
	s_cbranch_execz .LBB842_47
; %bb.46:
	v_lshlrev_b32_e32 v22, 1, v23
	global_load_ushort v22, v22, s[0:1]
.LBB842_47:
	s_or_b64 exec, exec, s[10:11]
	v_lshlrev_b32_e32 v23, 1, v0
	s_waitcnt vmcnt(0)
	ds_write_b16 v23, v1
	ds_write_b16 v23, v2 offset:512
	ds_write_b16 v23, v3 offset:1024
	;; [unrolled: 1-line block ×21, first 2 shown]
	s_waitcnt lgkmcnt(0)
	s_barrier
.LBB842_48:
	v_mul_u32_u24_e32 v20, 22, v0
	v_lshlrev_b32_e32 v34, 1, v20
	s_waitcnt lgkmcnt(0)
	ds_read_b32 v1, v34 offset:40
	ds_read2_b32 v[2:3], v34 offset0:8 offset1:9
	ds_read2_b32 v[10:11], v34 offset1:1
	ds_read2_b32 v[8:9], v34 offset0:2 offset1:3
	ds_read2_b32 v[4:5], v34 offset0:6 offset1:7
	;; [unrolled: 1-line block ×3, first 2 shown]
	s_cmp_lg_u32 s6, 0
	s_cselect_b64 s[16:17], -1, 0
	s_cmp_lg_u64 s[2:3], 0
	s_cselect_b64 s[2:3], -1, 0
	s_or_b64 s[2:3], s[16:17], s[2:3]
	v_mad_u32_u24 v12, v0, 22, 21
	v_mad_u32_u24 v13, v0, 22, 20
	;; [unrolled: 1-line block ×8, first 2 shown]
	v_or_b32_e32 v32, 1, v20
	v_mad_u32_u24 v33, v0, 22, 2
	v_mad_u32_u24 v31, v0, 22, 3
	;; [unrolled: 1-line block ×12, first 2 shown]
	s_mov_b64 s[10:11], 0
	s_and_b64 vcc, exec, s[2:3]
	s_waitcnt lgkmcnt(0)
	s_barrier
	s_cbranch_vccz .LBB842_53
; %bb.49:
	v_mov_b32_e32 v35, 0
	global_load_ushort v35, v35, s[0:1] offset:-2
	v_lshlrev_b32_e32 v36, 1, v0
	s_and_b64 vcc, exec, s[26:27]
	ds_write_b16_d16_hi v36, v1
	s_cbranch_vccz .LBB842_55
; %bb.50:
	v_cmp_ne_u32_e32 vcc, 0, v0
	s_waitcnt vmcnt(0)
	v_mov_b32_e32 v37, v35
	s_waitcnt lgkmcnt(0)
	s_barrier
	s_and_saveexec_b64 s[0:1], vcc
	s_cbranch_execz .LBB842_52
; %bb.51:
	v_add_u32_e32 v37, -2, v36
	ds_read_u16 v37, v37
.LBB842_52:
	s_or_b64 exec, exec, s[0:1]
	v_and_b32_e32 v38, 0xffff0000, v1
	v_lshlrev_b32_e32 v39, 16, v1
	v_cmp_neq_f32_e32 vcc, v39, v38
	v_and_b32_e32 v38, 0xffff0000, v3
	v_cndmask_b32_e64 v60, 0, 1, vcc
	v_lshlrev_b32_e32 v40, 16, v3
	v_cmp_neq_f32_e32 vcc, v38, v39
	v_cndmask_b32_e64 v61, 0, 1, vcc
	v_cmp_neq_f32_e32 vcc, v40, v38
	v_and_b32_e32 v38, 0xffff0000, v2
	v_cndmask_b32_e64 v62, 0, 1, vcc
	v_lshlrev_b32_e32 v39, 16, v2
	v_cmp_neq_f32_e32 vcc, v38, v40
	v_cndmask_b32_e64 v63, 0, 1, vcc
	;; [unrolled: 6-line block ×10, first 2 shown]
	v_cmp_neq_f32_e32 vcc, v39, v38
	s_waitcnt lgkmcnt(0)
	v_lshlrev_b32_e32 v37, 16, v37
	v_cndmask_b32_e64 v80, 0, 1, vcc
	v_cmp_neq_f32_e64 s[0:1], v39, v37
	s_branch .LBB842_59
.LBB842_53:
                                        ; implicit-def: $sgpr0_sgpr1
                                        ; implicit-def: $vgpr80
                                        ; implicit-def: $vgpr79
                                        ; implicit-def: $vgpr78
                                        ; implicit-def: $vgpr77
                                        ; implicit-def: $vgpr76
                                        ; implicit-def: $vgpr75
                                        ; implicit-def: $vgpr74
                                        ; implicit-def: $vgpr73
                                        ; implicit-def: $vgpr72
                                        ; implicit-def: $vgpr71
                                        ; implicit-def: $vgpr70
                                        ; implicit-def: $vgpr69
                                        ; implicit-def: $vgpr68
                                        ; implicit-def: $vgpr67
                                        ; implicit-def: $vgpr66
                                        ; implicit-def: $vgpr65
                                        ; implicit-def: $vgpr64
                                        ; implicit-def: $vgpr63
                                        ; implicit-def: $vgpr62
                                        ; implicit-def: $vgpr61
                                        ; implicit-def: $vgpr60
	s_branch .LBB842_60
.LBB842_54:
                                        ; implicit-def: $sgpr12
	s_branch .LBB842_68
.LBB842_55:
                                        ; implicit-def: $sgpr0_sgpr1
                                        ; implicit-def: $vgpr80
                                        ; implicit-def: $vgpr79
                                        ; implicit-def: $vgpr78
                                        ; implicit-def: $vgpr77
                                        ; implicit-def: $vgpr76
                                        ; implicit-def: $vgpr75
                                        ; implicit-def: $vgpr74
                                        ; implicit-def: $vgpr73
                                        ; implicit-def: $vgpr72
                                        ; implicit-def: $vgpr71
                                        ; implicit-def: $vgpr70
                                        ; implicit-def: $vgpr69
                                        ; implicit-def: $vgpr68
                                        ; implicit-def: $vgpr67
                                        ; implicit-def: $vgpr66
                                        ; implicit-def: $vgpr65
                                        ; implicit-def: $vgpr64
                                        ; implicit-def: $vgpr63
                                        ; implicit-def: $vgpr62
                                        ; implicit-def: $vgpr61
                                        ; implicit-def: $vgpr60
	s_cbranch_execz .LBB842_59
; %bb.56:
	v_cmp_ne_u32_e32 vcc, 0, v0
	s_waitcnt lgkmcnt(0)
	s_barrier
	s_and_saveexec_b64 s[0:1], vcc
	s_cbranch_execz .LBB842_58
; %bb.57:
	s_waitcnt vmcnt(0)
	v_add_u32_e32 v35, -2, v36
	ds_read_u16 v35, v35
.LBB842_58:
	s_or_b64 exec, exec, s[0:1]
	v_and_b32_e32 v36, 0xffff0000, v1
	v_lshlrev_b32_e32 v37, 16, v1
	v_cmp_gt_u32_e32 vcc, s7, v12
	v_cmp_neq_f32_e64 s[0:1], v37, v36
	v_and_b32_e32 v36, 0xffff0000, v3
	s_and_b64 s[0:1], vcc, s[0:1]
	v_cmp_gt_u32_e32 vcc, s7, v13
	v_lshlrev_b32_e32 v38, 16, v3
	v_cmp_neq_f32_e64 s[2:3], v36, v37
	v_cndmask_b32_e64 v60, 0, 1, s[0:1]
	v_cmp_gt_u32_e64 s[0:1], s7, v14
	s_and_b64 s[2:3], vcc, s[2:3]
	v_cmp_neq_f32_e32 vcc, v38, v36
	v_and_b32_e32 v36, 0xffff0000, v2
	v_cndmask_b32_e64 v61, 0, 1, s[2:3]
	s_and_b64 s[0:1], s[0:1], vcc
	v_cmp_gt_u32_e32 vcc, s7, v15
	v_lshlrev_b32_e32 v37, 16, v2
	v_cmp_neq_f32_e64 s[2:3], v36, v38
	v_cndmask_b32_e64 v62, 0, 1, s[0:1]
	v_cmp_gt_u32_e64 s[0:1], s7, v16
	s_and_b64 s[2:3], vcc, s[2:3]
	v_cmp_neq_f32_e32 vcc, v37, v36
	v_and_b32_e32 v36, 0xffff0000, v5
	v_cndmask_b32_e64 v63, 0, 1, s[2:3]
	s_and_b64 s[0:1], s[0:1], vcc
	;; [unrolled: 10-line block ×9, first 2 shown]
	v_cmp_gt_u32_e32 vcc, s7, v33
	v_lshlrev_b32_e32 v37, 16, v10
	v_cmp_neq_f32_e64 s[2:3], v36, v38
	v_cndmask_b32_e64 v78, 0, 1, s[0:1]
	v_cmp_gt_u32_e64 s[0:1], s7, v32
	s_and_b64 s[2:3], vcc, s[2:3]
	v_cmp_neq_f32_e32 vcc, v37, v36
	s_and_b64 s[0:1], s[0:1], vcc
	s_waitcnt vmcnt(0) lgkmcnt(0)
	v_lshlrev_b32_e32 v35, 16, v35
	v_cndmask_b32_e64 v80, 0, 1, s[0:1]
	v_cmp_gt_u32_e32 vcc, s7, v20
	v_cmp_neq_f32_e64 s[0:1], v37, v35
	v_cndmask_b32_e64 v79, 0, 1, s[2:3]
	s_and_b64 s[0:1], vcc, s[0:1]
.LBB842_59:
	s_mov_b64 s[10:11], -1
	s_cbranch_execnz .LBB842_54
.LBB842_60:
	s_movk_i32 s0, 0xffd6
	v_mad_i32_i24 v34, v0, s0, v34
	s_and_b64 vcc, exec, s[26:27]
	v_lshlrev_b32_e32 v45, 16, v1
	v_lshlrev_b32_e32 v44, 16, v3
	;; [unrolled: 1-line block ×10, first 2 shown]
	s_waitcnt vmcnt(0)
	v_lshlrev_b32_e32 v35, 16, v10
	ds_write_b16_d16_hi v34, v1
	s_cbranch_vccz .LBB842_64
; %bb.61:
	v_and_b32_e32 v46, 0xffff0000, v1
	v_cmp_neq_f32_e32 vcc, v45, v46
	v_and_b32_e32 v46, 0xffff0000, v3
	v_cndmask_b32_e64 v60, 0, 1, vcc
	v_cmp_neq_f32_e32 vcc, v46, v45
	v_cndmask_b32_e64 v61, 0, 1, vcc
	v_cmp_neq_f32_e32 vcc, v44, v46
	v_and_b32_e32 v46, 0xffff0000, v2
	v_cndmask_b32_e64 v62, 0, 1, vcc
	v_cmp_neq_f32_e32 vcc, v46, v44
	v_cndmask_b32_e64 v63, 0, 1, vcc
	;; [unrolled: 5-line block ×10, first 2 shown]
	v_cmp_neq_f32_e32 vcc, v35, v46
	v_cndmask_b32_e64 v80, 0, 1, vcc
	v_cmp_ne_u32_e32 vcc, 0, v0
	s_waitcnt lgkmcnt(0)
	s_barrier
	s_waitcnt lgkmcnt(0)
                                        ; implicit-def: $sgpr0_sgpr1
	s_and_saveexec_b64 s[2:3], vcc
	s_xor_b64 s[2:3], exec, s[2:3]
	s_cbranch_execz .LBB842_63
; %bb.62:
	v_add_u32_e32 v46, -2, v34
	ds_read_u16 v46, v46
	s_or_b64 s[10:11], s[10:11], exec
	s_waitcnt lgkmcnt(0)
	v_lshlrev_b32_e32 v46, 16, v46
	v_cmp_neq_f32_e32 vcc, v35, v46
	s_and_b64 s[0:1], vcc, exec
.LBB842_63:
	s_or_b64 exec, exec, s[2:3]
	s_mov_b32 s12, 1
	s_branch .LBB842_68
.LBB842_64:
                                        ; implicit-def: $sgpr0_sgpr1
                                        ; implicit-def: $vgpr80
                                        ; implicit-def: $vgpr79
                                        ; implicit-def: $vgpr78
                                        ; implicit-def: $vgpr77
                                        ; implicit-def: $vgpr76
                                        ; implicit-def: $vgpr75
                                        ; implicit-def: $vgpr74
                                        ; implicit-def: $vgpr73
                                        ; implicit-def: $vgpr72
                                        ; implicit-def: $vgpr71
                                        ; implicit-def: $vgpr70
                                        ; implicit-def: $vgpr69
                                        ; implicit-def: $vgpr68
                                        ; implicit-def: $vgpr67
                                        ; implicit-def: $vgpr66
                                        ; implicit-def: $vgpr65
                                        ; implicit-def: $vgpr64
                                        ; implicit-def: $vgpr63
                                        ; implicit-def: $vgpr62
                                        ; implicit-def: $vgpr61
                                        ; implicit-def: $vgpr60
                                        ; implicit-def: $sgpr12
	s_cbranch_execz .LBB842_68
; %bb.65:
	v_and_b32_e32 v46, 0xffff0000, v1
	v_cmp_gt_u32_e32 vcc, s7, v12
	v_cmp_neq_f32_e64 s[0:1], v45, v46
	v_and_b32_e32 v46, 0xffff0000, v3
	s_and_b64 s[0:1], vcc, s[0:1]
	v_cmp_gt_u32_e32 vcc, s7, v13
	v_cmp_neq_f32_e64 s[2:3], v46, v45
	v_cndmask_b32_e64 v60, 0, 1, s[0:1]
	v_cmp_gt_u32_e64 s[0:1], s7, v14
	s_and_b64 s[2:3], vcc, s[2:3]
	v_cmp_neq_f32_e32 vcc, v44, v46
	v_and_b32_e32 v45, 0xffff0000, v2
	v_cndmask_b32_e64 v61, 0, 1, s[2:3]
	s_and_b64 s[0:1], s[0:1], vcc
	v_cmp_gt_u32_e32 vcc, s7, v15
	v_cmp_neq_f32_e64 s[2:3], v45, v44
	v_cndmask_b32_e64 v62, 0, 1, s[0:1]
	v_cmp_gt_u32_e64 s[0:1], s7, v16
	s_and_b64 s[2:3], vcc, s[2:3]
	v_cmp_neq_f32_e32 vcc, v43, v45
	v_and_b32_e32 v44, 0xffff0000, v5
	v_cndmask_b32_e64 v63, 0, 1, s[2:3]
	s_and_b64 s[0:1], s[0:1], vcc
	v_cmp_gt_u32_e32 vcc, s7, v17
	v_cmp_neq_f32_e64 s[2:3], v44, v43
	v_cndmask_b32_e64 v64, 0, 1, s[0:1]
	v_cmp_gt_u32_e64 s[0:1], s7, v18
	s_and_b64 s[2:3], vcc, s[2:3]
	v_cmp_neq_f32_e32 vcc, v42, v44
	v_and_b32_e32 v43, 0xffff0000, v4
	v_cndmask_b32_e64 v65, 0, 1, s[2:3]
	s_and_b64 s[0:1], s[0:1], vcc
	v_cmp_gt_u32_e32 vcc, s7, v19
	v_cmp_neq_f32_e64 s[2:3], v43, v42
	v_cndmask_b32_e64 v66, 0, 1, s[0:1]
	v_cmp_gt_u32_e64 s[0:1], s7, v21
	s_and_b64 s[2:3], vcc, s[2:3]
	v_cmp_neq_f32_e32 vcc, v41, v43
	v_and_b32_e32 v42, 0xffff0000, v7
	v_cndmask_b32_e64 v67, 0, 1, s[2:3]
	s_and_b64 s[0:1], s[0:1], vcc
	v_cmp_gt_u32_e32 vcc, s7, v22
	v_cmp_neq_f32_e64 s[2:3], v42, v41
	v_cndmask_b32_e64 v68, 0, 1, s[0:1]
	v_cmp_gt_u32_e64 s[0:1], s7, v24
	s_and_b64 s[2:3], vcc, s[2:3]
	v_cmp_neq_f32_e32 vcc, v40, v42
	v_and_b32_e32 v41, 0xffff0000, v6
	v_cndmask_b32_e64 v69, 0, 1, s[2:3]
	s_and_b64 s[0:1], s[0:1], vcc
	v_cmp_gt_u32_e32 vcc, s7, v26
	v_cmp_neq_f32_e64 s[2:3], v41, v40
	v_cndmask_b32_e64 v70, 0, 1, s[0:1]
	v_cmp_gt_u32_e64 s[0:1], s7, v23
	s_and_b64 s[2:3], vcc, s[2:3]
	v_cmp_neq_f32_e32 vcc, v39, v41
	v_and_b32_e32 v40, 0xffff0000, v9
	v_cndmask_b32_e64 v71, 0, 1, s[2:3]
	s_and_b64 s[0:1], s[0:1], vcc
	v_cmp_gt_u32_e32 vcc, s7, v25
	v_cmp_neq_f32_e64 s[2:3], v40, v39
	v_cndmask_b32_e64 v72, 0, 1, s[0:1]
	v_cmp_gt_u32_e64 s[0:1], s7, v28
	s_and_b64 s[2:3], vcc, s[2:3]
	v_cmp_neq_f32_e32 vcc, v38, v40
	v_and_b32_e32 v39, 0xffff0000, v8
	v_cndmask_b32_e64 v73, 0, 1, s[2:3]
	s_and_b64 s[0:1], s[0:1], vcc
	v_cmp_gt_u32_e32 vcc, s7, v30
	v_cmp_neq_f32_e64 s[2:3], v39, v38
	v_cndmask_b32_e64 v74, 0, 1, s[0:1]
	v_cmp_gt_u32_e64 s[0:1], s7, v27
	s_and_b64 s[2:3], vcc, s[2:3]
	v_cmp_neq_f32_e32 vcc, v37, v39
	v_and_b32_e32 v38, 0xffff0000, v11
	v_cndmask_b32_e64 v75, 0, 1, s[2:3]
	s_and_b64 s[0:1], s[0:1], vcc
	v_cmp_gt_u32_e32 vcc, s7, v29
	v_cmp_neq_f32_e64 s[2:3], v38, v37
	v_cndmask_b32_e64 v76, 0, 1, s[0:1]
	v_cmp_gt_u32_e64 s[0:1], s7, v31
	s_and_b64 s[2:3], vcc, s[2:3]
	v_cmp_neq_f32_e32 vcc, v36, v38
	v_and_b32_e32 v37, 0xffff0000, v10
	v_cndmask_b32_e64 v77, 0, 1, s[2:3]
	s_and_b64 s[0:1], s[0:1], vcc
	v_cmp_gt_u32_e32 vcc, s7, v33
	v_cmp_neq_f32_e64 s[2:3], v37, v36
	v_cndmask_b32_e64 v78, 0, 1, s[0:1]
	v_cmp_gt_u32_e64 s[0:1], s7, v32
	s_and_b64 s[2:3], vcc, s[2:3]
	v_cmp_neq_f32_e32 vcc, v35, v37
	s_and_b64 s[0:1], s[0:1], vcc
	v_cndmask_b32_e64 v79, 0, 1, s[2:3]
	v_cndmask_b32_e64 v80, 0, 1, s[0:1]
	v_cmp_ne_u32_e32 vcc, 0, v0
	s_waitcnt lgkmcnt(0)
	s_barrier
	s_waitcnt lgkmcnt(0)
                                        ; implicit-def: $sgpr0_sgpr1
	s_and_saveexec_b64 s[2:3], vcc
	s_cbranch_execz .LBB842_67
; %bb.66:
	v_add_u32_e32 v34, -2, v34
	ds_read_u16 v34, v34
	v_cmp_gt_u32_e32 vcc, s7, v20
	s_or_b64 s[10:11], s[10:11], exec
	s_waitcnt lgkmcnt(0)
	v_lshlrev_b32_e32 v34, 16, v34
	v_cmp_neq_f32_e64 s[0:1], v35, v34
	s_and_b64 s[0:1], vcc, s[0:1]
	s_and_b64 s[0:1], s[0:1], exec
.LBB842_67:
	s_or_b64 exec, exec, s[2:3]
	s_mov_b32 s12, 1
.LBB842_68:
	v_mov_b32_e32 v81, s12
	s_and_saveexec_b64 s[2:3], s[10:11]
; %bb.69:
	v_cndmask_b32_e64 v81, 0, 1, s[0:1]
; %bb.70:
	s_or_b64 exec, exec, s[2:3]
	s_load_dwordx2 s[28:29], s[4:5], 0x60
	s_andn2_b64 vcc, exec, s[8:9]
	s_cbranch_vccnz .LBB842_72
; %bb.71:
	v_cmp_gt_u32_e32 vcc, s7, v20
	v_cndmask_b32_e32 v81, 0, v81, vcc
	v_cmp_gt_u32_e32 vcc, s7, v32
	v_cndmask_b32_e32 v80, 0, v80, vcc
	;; [unrolled: 2-line block ×22, first 2 shown]
.LBB842_72:
	v_and_b32_e32 v47, 0xff, v63
	v_and_b32_e32 v49, 0xff, v62
	v_add_u32_sdwa v12, v61, v60 dst_sel:DWORD dst_unused:UNUSED_PAD src0_sel:BYTE_0 src1_sel:BYTE_0
	v_and_b32_e32 v43, 0xff, v65
	v_and_b32_e32 v45, 0xff, v64
	v_add3_u32 v12, v12, v49, v47
	v_and_b32_e32 v39, 0xff, v67
	v_and_b32_e32 v41, 0xff, v66
	v_add3_u32 v12, v12, v45, v43
	s_waitcnt vmcnt(0)
	v_and_b32_e32 v35, 0xff, v69
	v_and_b32_e32 v37, 0xff, v68
	v_add3_u32 v12, v12, v41, v39
	v_and_b32_e32 v32, 0xff, v71
	v_and_b32_e32 v33, 0xff, v70
	v_add3_u32 v12, v12, v37, v35
	;; [unrolled: 3-line block ×7, first 2 shown]
	v_add3_u32 v38, v12, v23, v22
	v_mbcnt_lo_u32_b32 v12, -1, 0
	v_mbcnt_hi_u32_b32 v34, -1, v12
	v_and_b32_e32 v12, 15, v34
	v_cmp_eq_u32_e64 s[14:15], 0, v12
	v_cmp_lt_u32_e64 s[12:13], 1, v12
	v_cmp_lt_u32_e64 s[10:11], 3, v12
	;; [unrolled: 1-line block ×3, first 2 shown]
	v_and_b32_e32 v12, 16, v34
	v_cmp_eq_u32_e64 s[18:19], 0, v12
	v_or_b32_e32 v12, 63, v0
	v_cmp_lt_u32_e64 s[0:1], 31, v34
	v_lshrrev_b32_e32 v36, 6, v0
	v_cmp_eq_u32_e64 s[2:3], v12, v0
	s_and_b64 vcc, exec, s[16:17]
	s_waitcnt lgkmcnt(0)
	s_barrier
	s_cbranch_vccz .LBB842_103
; %bb.73:
	v_mov_b32_dpp v12, v38 row_shr:1 row_mask:0xf bank_mask:0xf
	v_cndmask_b32_e64 v12, v12, 0, s[14:15]
	v_add_u32_e32 v12, v12, v38
	s_nop 1
	v_mov_b32_dpp v13, v12 row_shr:2 row_mask:0xf bank_mask:0xf
	v_cndmask_b32_e64 v13, 0, v13, s[12:13]
	v_add_u32_e32 v12, v12, v13
	s_nop 1
	;; [unrolled: 4-line block ×4, first 2 shown]
	v_mov_b32_dpp v13, v12 row_bcast:15 row_mask:0xf bank_mask:0xf
	v_cndmask_b32_e64 v13, v13, 0, s[18:19]
	v_add_u32_e32 v12, v12, v13
	s_nop 1
	v_mov_b32_dpp v13, v12 row_bcast:31 row_mask:0xf bank_mask:0xf
	v_cndmask_b32_e64 v13, 0, v13, s[0:1]
	v_add_u32_e32 v12, v12, v13
	s_and_saveexec_b64 s[16:17], s[2:3]
	s_cbranch_execz .LBB842_75
; %bb.74:
	v_lshlrev_b32_e32 v13, 2, v36
	ds_write_b32 v13, v12
.LBB842_75:
	s_or_b64 exec, exec, s[16:17]
	v_cmp_gt_u32_e32 vcc, 4, v0
	s_waitcnt lgkmcnt(0)
	s_barrier
	s_and_saveexec_b64 s[16:17], vcc
	s_cbranch_execz .LBB842_77
; %bb.76:
	v_lshlrev_b32_e32 v13, 2, v0
	ds_read_b32 v14, v13
	v_and_b32_e32 v15, 3, v34
	v_cmp_ne_u32_e32 vcc, 0, v15
	s_waitcnt lgkmcnt(0)
	v_mov_b32_dpp v16, v14 row_shr:1 row_mask:0xf bank_mask:0xf
	v_cndmask_b32_e32 v16, 0, v16, vcc
	v_add_u32_e32 v14, v16, v14
	v_cmp_lt_u32_e32 vcc, 1, v15
	s_nop 0
	v_mov_b32_dpp v16, v14 row_shr:2 row_mask:0xf bank_mask:0xf
	v_cndmask_b32_e32 v15, 0, v16, vcc
	v_add_u32_e32 v14, v14, v15
	ds_write_b32 v13, v14
.LBB842_77:
	s_or_b64 exec, exec, s[16:17]
	v_cmp_gt_u32_e32 vcc, 64, v0
	v_cmp_lt_u32_e64 s[16:17], 63, v0
	s_waitcnt lgkmcnt(0)
	s_barrier
	s_waitcnt lgkmcnt(0)
                                        ; implicit-def: $vgpr40
	s_and_saveexec_b64 s[30:31], s[16:17]
	s_cbranch_execz .LBB842_79
; %bb.78:
	v_lshl_add_u32 v13, v36, 2, -4
	ds_read_b32 v40, v13
	s_waitcnt lgkmcnt(0)
	v_add_u32_e32 v12, v40, v12
.LBB842_79:
	s_or_b64 exec, exec, s[30:31]
	v_add_u32_e32 v13, -1, v34
	v_and_b32_e32 v14, 64, v34
	v_cmp_lt_i32_e64 s[16:17], v13, v14
	v_cndmask_b32_e64 v13, v13, v34, s[16:17]
	v_lshlrev_b32_e32 v13, 2, v13
	ds_bpermute_b32 v42, v13, v12
	v_cmp_eq_u32_e64 s[16:17], 0, v34
	s_and_saveexec_b64 s[30:31], vcc
	s_cbranch_execz .LBB842_102
; %bb.80:
	v_mov_b32_e32 v21, 0
	ds_read_b32 v12, v21 offset:12
	s_and_saveexec_b64 s[34:35], s[16:17]
	s_cbranch_execz .LBB842_82
; %bb.81:
	s_add_i32 s36, s6, 64
	s_mov_b32 s37, 0
	s_lshl_b64 s[36:37], s[36:37], 3
	s_add_u32 s36, s28, s36
	v_mov_b32_e32 v13, 1
	s_addc_u32 s37, s29, s37
	s_waitcnt lgkmcnt(0)
	global_store_dwordx2 v21, v[12:13], s[36:37]
.LBB842_82:
	s_or_b64 exec, exec, s[34:35]
	v_xad_u32 v14, v34, -1, s6
	v_add_u32_e32 v20, 64, v14
	v_lshlrev_b64 v[16:17], 3, v[20:21]
	v_mov_b32_e32 v13, s29
	v_add_co_u32_e32 v16, vcc, s28, v16
	v_addc_co_u32_e32 v17, vcc, v13, v17, vcc
	global_load_dwordx2 v[18:19], v[16:17], off glc
	s_waitcnt vmcnt(0)
	v_cmp_eq_u16_sdwa s[36:37], v19, v21 src0_sel:BYTE_0 src1_sel:DWORD
	s_and_saveexec_b64 s[34:35], s[36:37]
	s_cbranch_execz .LBB842_88
; %bb.83:
	s_mov_b32 s7, 1
	s_mov_b64 s[36:37], 0
	v_mov_b32_e32 v13, 0
.LBB842_84:                             ; =>This Loop Header: Depth=1
                                        ;     Child Loop BB842_85 Depth 2
	s_max_u32 s33, s7, 1
.LBB842_85:                             ;   Parent Loop BB842_84 Depth=1
                                        ; =>  This Inner Loop Header: Depth=2
	s_add_i32 s33, s33, -1
	s_cmp_eq_u32 s33, 0
	s_sleep 1
	s_cbranch_scc0 .LBB842_85
; %bb.86:                               ;   in Loop: Header=BB842_84 Depth=1
	global_load_dwordx2 v[18:19], v[16:17], off glc
	s_cmp_lt_u32 s7, 32
	s_cselect_b64 s[38:39], -1, 0
	s_cmp_lg_u64 s[38:39], 0
	s_addc_u32 s7, s7, 0
	s_waitcnt vmcnt(0)
	v_cmp_ne_u16_sdwa s[38:39], v19, v13 src0_sel:BYTE_0 src1_sel:DWORD
	s_or_b64 s[36:37], s[38:39], s[36:37]
	s_andn2_b64 exec, exec, s[36:37]
	s_cbranch_execnz .LBB842_84
; %bb.87:
	s_or_b64 exec, exec, s[36:37]
.LBB842_88:
	s_or_b64 exec, exec, s[34:35]
	v_and_b32_e32 v46, 63, v34
	v_mov_b32_e32 v44, 2
	v_cmp_ne_u32_e32 vcc, 63, v46
	v_cmp_eq_u16_sdwa s[34:35], v19, v44 src0_sel:BYTE_0 src1_sel:DWORD
	v_lshlrev_b64 v[16:17], v34, -1
	v_addc_co_u32_e32 v20, vcc, 0, v34, vcc
	v_and_b32_e32 v13, s35, v17
	v_lshlrev_b32_e32 v48, 2, v20
	v_or_b32_e32 v13, 0x80000000, v13
	ds_bpermute_b32 v20, v48, v18
	v_and_b32_e32 v15, s34, v16
	v_ffbl_b32_e32 v13, v13
	v_add_u32_e32 v13, 32, v13
	v_ffbl_b32_e32 v15, v15
	v_min_u32_e32 v13, v15, v13
	v_cmp_lt_u32_e32 vcc, v46, v13
	s_waitcnt lgkmcnt(0)
	v_cndmask_b32_e32 v15, 0, v20, vcc
	v_cmp_gt_u32_e32 vcc, 62, v46
	v_add_u32_e32 v15, v15, v18
	v_cndmask_b32_e64 v18, 0, 1, vcc
	v_lshlrev_b32_e32 v18, 1, v18
	v_add_lshl_u32 v50, v18, v34, 2
	ds_bpermute_b32 v18, v50, v15
	v_add_u32_e32 v51, 2, v46
	v_cmp_le_u32_e32 vcc, v51, v13
	v_add_u32_e32 v53, 4, v46
	v_add_u32_e32 v55, 8, v46
	s_waitcnt lgkmcnt(0)
	v_cndmask_b32_e32 v18, 0, v18, vcc
	v_cmp_gt_u32_e32 vcc, 60, v46
	v_add_u32_e32 v15, v15, v18
	v_cndmask_b32_e64 v18, 0, 1, vcc
	v_lshlrev_b32_e32 v18, 2, v18
	v_add_lshl_u32 v52, v18, v34, 2
	ds_bpermute_b32 v18, v52, v15
	v_cmp_le_u32_e32 vcc, v53, v13
	v_add_u32_e32 v57, 16, v46
	v_add_u32_e32 v59, 32, v46
	s_waitcnt lgkmcnt(0)
	v_cndmask_b32_e32 v18, 0, v18, vcc
	v_cmp_gt_u32_e32 vcc, 56, v46
	v_add_u32_e32 v15, v15, v18
	v_cndmask_b32_e64 v18, 0, 1, vcc
	v_lshlrev_b32_e32 v18, 3, v18
	v_add_lshl_u32 v54, v18, v34, 2
	ds_bpermute_b32 v18, v54, v15
	v_cmp_le_u32_e32 vcc, v55, v13
	s_waitcnt lgkmcnt(0)
	v_cndmask_b32_e32 v18, 0, v18, vcc
	v_cmp_gt_u32_e32 vcc, 48, v46
	v_add_u32_e32 v15, v15, v18
	v_cndmask_b32_e64 v18, 0, 1, vcc
	v_lshlrev_b32_e32 v18, 4, v18
	v_add_lshl_u32 v56, v18, v34, 2
	ds_bpermute_b32 v18, v56, v15
	v_cmp_le_u32_e32 vcc, v57, v13
	;; [unrolled: 9-line block ×3, first 2 shown]
	s_waitcnt lgkmcnt(0)
	v_cndmask_b32_e32 v13, 0, v18, vcc
	v_add_u32_e32 v18, v15, v13
	v_mov_b32_e32 v15, 0
	s_branch .LBB842_90
.LBB842_89:                             ;   in Loop: Header=BB842_90 Depth=1
	s_or_b64 exec, exec, s[34:35]
	v_cmp_eq_u16_sdwa s[34:35], v19, v44 src0_sel:BYTE_0 src1_sel:DWORD
	v_and_b32_e32 v20, s35, v17
	v_or_b32_e32 v20, 0x80000000, v20
	ds_bpermute_b32 v82, v48, v18
	v_and_b32_e32 v21, s34, v16
	v_ffbl_b32_e32 v20, v20
	v_add_u32_e32 v20, 32, v20
	v_ffbl_b32_e32 v21, v21
	v_min_u32_e32 v20, v21, v20
	v_cmp_lt_u32_e32 vcc, v46, v20
	s_waitcnt lgkmcnt(0)
	v_cndmask_b32_e32 v21, 0, v82, vcc
	v_add_u32_e32 v18, v21, v18
	ds_bpermute_b32 v21, v50, v18
	v_cmp_le_u32_e32 vcc, v51, v20
	v_subrev_u32_e32 v14, 64, v14
	s_waitcnt lgkmcnt(0)
	v_cndmask_b32_e32 v21, 0, v21, vcc
	v_add_u32_e32 v18, v18, v21
	ds_bpermute_b32 v21, v52, v18
	v_cmp_le_u32_e32 vcc, v53, v20
	s_waitcnt lgkmcnt(0)
	v_cndmask_b32_e32 v21, 0, v21, vcc
	v_add_u32_e32 v18, v18, v21
	ds_bpermute_b32 v21, v54, v18
	v_cmp_le_u32_e32 vcc, v55, v20
	;; [unrolled: 5-line block ×4, first 2 shown]
	s_waitcnt lgkmcnt(0)
	v_cndmask_b32_e32 v20, 0, v21, vcc
	v_add3_u32 v18, v20, v13, v18
.LBB842_90:                             ; =>This Loop Header: Depth=1
                                        ;     Child Loop BB842_93 Depth 2
                                        ;       Child Loop BB842_94 Depth 3
	v_cmp_ne_u16_sdwa s[34:35], v19, v44 src0_sel:BYTE_0 src1_sel:DWORD
	v_cndmask_b32_e64 v13, 0, 1, s[34:35]
	;;#ASMSTART
	;;#ASMEND
	v_cmp_ne_u32_e32 vcc, 0, v13
	s_cmp_lg_u64 vcc, exec
	v_mov_b32_e32 v13, v18
	s_cbranch_scc1 .LBB842_97
; %bb.91:                               ;   in Loop: Header=BB842_90 Depth=1
	v_lshlrev_b64 v[18:19], 3, v[14:15]
	v_mov_b32_e32 v21, s29
	v_add_co_u32_e32 v20, vcc, s28, v18
	v_addc_co_u32_e32 v21, vcc, v21, v19, vcc
	global_load_dwordx2 v[18:19], v[20:21], off glc
	s_waitcnt vmcnt(0)
	v_cmp_eq_u16_sdwa s[36:37], v19, v15 src0_sel:BYTE_0 src1_sel:DWORD
	s_and_saveexec_b64 s[34:35], s[36:37]
	s_cbranch_execz .LBB842_89
; %bb.92:                               ;   in Loop: Header=BB842_90 Depth=1
	s_mov_b32 s7, 1
	s_mov_b64 s[36:37], 0
.LBB842_93:                             ;   Parent Loop BB842_90 Depth=1
                                        ; =>  This Loop Header: Depth=2
                                        ;       Child Loop BB842_94 Depth 3
	s_max_u32 s33, s7, 1
.LBB842_94:                             ;   Parent Loop BB842_90 Depth=1
                                        ;     Parent Loop BB842_93 Depth=2
                                        ; =>    This Inner Loop Header: Depth=3
	s_add_i32 s33, s33, -1
	s_cmp_eq_u32 s33, 0
	s_sleep 1
	s_cbranch_scc0 .LBB842_94
; %bb.95:                               ;   in Loop: Header=BB842_93 Depth=2
	global_load_dwordx2 v[18:19], v[20:21], off glc
	s_cmp_lt_u32 s7, 32
	s_cselect_b64 s[38:39], -1, 0
	s_cmp_lg_u64 s[38:39], 0
	s_addc_u32 s7, s7, 0
	s_waitcnt vmcnt(0)
	v_cmp_ne_u16_sdwa s[38:39], v19, v15 src0_sel:BYTE_0 src1_sel:DWORD
	s_or_b64 s[36:37], s[38:39], s[36:37]
	s_andn2_b64 exec, exec, s[36:37]
	s_cbranch_execnz .LBB842_93
; %bb.96:                               ;   in Loop: Header=BB842_90 Depth=1
	s_or_b64 exec, exec, s[36:37]
	s_branch .LBB842_89
.LBB842_97:                             ;   in Loop: Header=BB842_90 Depth=1
                                        ; implicit-def: $vgpr18
                                        ; implicit-def: $vgpr19
	s_cbranch_execz .LBB842_90
; %bb.98:
	s_and_saveexec_b64 s[34:35], s[16:17]
	s_cbranch_execz .LBB842_100
; %bb.99:
	s_add_i32 s6, s6, 64
	s_mov_b32 s7, 0
	s_lshl_b64 s[6:7], s[6:7], 3
	s_add_u32 s6, s28, s6
	v_add_u32_e32 v14, v13, v12
	v_mov_b32_e32 v15, 2
	s_addc_u32 s7, s29, s7
	v_mov_b32_e32 v16, 0
	global_store_dwordx2 v16, v[14:15], s[6:7]
	ds_write_b64 v16, v[12:13] offset:11264
.LBB842_100:
	s_or_b64 exec, exec, s[34:35]
	v_cmp_eq_u32_e32 vcc, 0, v0
	s_and_b64 exec, exec, vcc
	s_cbranch_execz .LBB842_102
; %bb.101:
	v_mov_b32_e32 v12, 0
	ds_write_b32 v12, v13 offset:12
.LBB842_102:
	s_or_b64 exec, exec, s[30:31]
	v_mov_b32_e32 v12, 0
	s_waitcnt lgkmcnt(0)
	s_barrier
	ds_read_b32 v15, v12 offset:12
	s_waitcnt lgkmcnt(0)
	s_barrier
	ds_read_b64 v[12:13], v12 offset:11264
	v_cndmask_b32_e64 v14, v42, v40, s[16:17]
	v_cmp_ne_u32_e32 vcc, 0, v0
	v_cndmask_b32_e32 v14, 0, v14, vcc
	v_add_u32_e32 v52, v15, v14
	s_waitcnt lgkmcnt(0)
	v_mov_b32_e32 v14, v13
	s_load_dwordx2 s[4:5], s[4:5], 0x28
	s_branch .LBB842_113
.LBB842_103:
                                        ; implicit-def: $vgpr14
                                        ; implicit-def: $vgpr12
                                        ; implicit-def: $vgpr52
	s_load_dwordx2 s[4:5], s[4:5], 0x28
	s_cbranch_execz .LBB842_113
; %bb.104:
	v_mov_b32_dpp v12, v38 row_shr:1 row_mask:0xf bank_mask:0xf
	v_cndmask_b32_e64 v12, v12, 0, s[14:15]
	v_add_u32_e32 v12, v12, v38
	s_nop 1
	v_mov_b32_dpp v13, v12 row_shr:2 row_mask:0xf bank_mask:0xf
	v_cndmask_b32_e64 v13, 0, v13, s[12:13]
	v_add_u32_e32 v12, v12, v13
	s_nop 1
	v_mov_b32_dpp v13, v12 row_shr:4 row_mask:0xf bank_mask:0xf
	v_cndmask_b32_e64 v13, 0, v13, s[10:11]
	v_add_u32_e32 v12, v12, v13
	s_nop 1
	v_mov_b32_dpp v13, v12 row_shr:8 row_mask:0xf bank_mask:0xf
	v_cndmask_b32_e64 v13, 0, v13, s[8:9]
	v_add_u32_e32 v12, v12, v13
	s_nop 1
	v_mov_b32_dpp v13, v12 row_bcast:15 row_mask:0xf bank_mask:0xf
	v_cndmask_b32_e64 v13, v13, 0, s[18:19]
	v_add_u32_e32 v12, v12, v13
	s_nop 1
	v_mov_b32_dpp v13, v12 row_bcast:31 row_mask:0xf bank_mask:0xf
	v_cndmask_b32_e64 v13, 0, v13, s[0:1]
	v_add_u32_e32 v12, v12, v13
	s_and_saveexec_b64 s[0:1], s[2:3]
	s_cbranch_execz .LBB842_106
; %bb.105:
	v_lshlrev_b32_e32 v13, 2, v36
	ds_write_b32 v13, v12
.LBB842_106:
	s_or_b64 exec, exec, s[0:1]
	v_cmp_gt_u32_e32 vcc, 4, v0
	s_waitcnt lgkmcnt(0)
	s_barrier
	s_and_saveexec_b64 s[0:1], vcc
	s_cbranch_execz .LBB842_108
; %bb.107:
	v_lshlrev_b32_e32 v13, 2, v0
	ds_read_b32 v14, v13
	v_and_b32_e32 v15, 3, v34
	v_cmp_ne_u32_e32 vcc, 0, v15
	s_waitcnt lgkmcnt(0)
	v_mov_b32_dpp v16, v14 row_shr:1 row_mask:0xf bank_mask:0xf
	v_cndmask_b32_e32 v16, 0, v16, vcc
	v_add_u32_e32 v14, v16, v14
	v_cmp_lt_u32_e32 vcc, 1, v15
	s_nop 0
	v_mov_b32_dpp v16, v14 row_shr:2 row_mask:0xf bank_mask:0xf
	v_cndmask_b32_e32 v15, 0, v16, vcc
	v_add_u32_e32 v14, v14, v15
	ds_write_b32 v13, v14
.LBB842_108:
	s_or_b64 exec, exec, s[0:1]
	v_cmp_lt_u32_e32 vcc, 63, v0
	v_mov_b32_e32 v13, 0
	v_mov_b32_e32 v14, 0
	s_waitcnt lgkmcnt(0)
	s_barrier
	s_and_saveexec_b64 s[0:1], vcc
	s_cbranch_execz .LBB842_110
; %bb.109:
	v_lshl_add_u32 v14, v36, 2, -4
	ds_read_b32 v14, v14
.LBB842_110:
	s_or_b64 exec, exec, s[0:1]
	v_add_u32_e32 v15, -1, v34
	v_and_b32_e32 v16, 64, v34
	v_cmp_lt_i32_e32 vcc, v15, v16
	v_cndmask_b32_e32 v15, v15, v34, vcc
	s_waitcnt lgkmcnt(0)
	v_add_u32_e32 v12, v14, v12
	v_lshlrev_b32_e32 v15, 2, v15
	ds_bpermute_b32 v15, v15, v12
	ds_read_b32 v12, v13 offset:12
	v_cmp_eq_u32_e32 vcc, 0, v0
	s_and_saveexec_b64 s[0:1], vcc
	s_cbranch_execz .LBB842_112
; %bb.111:
	v_mov_b32_e32 v16, 0
	v_mov_b32_e32 v13, 2
	s_waitcnt lgkmcnt(0)
	global_store_dwordx2 v16, v[12:13], s[28:29] offset:512
.LBB842_112:
	s_or_b64 exec, exec, s[0:1]
	v_cmp_eq_u32_e64 s[0:1], 0, v34
	s_waitcnt lgkmcnt(1)
	v_cndmask_b32_e64 v13, v15, v14, s[0:1]
	v_mov_b32_e32 v14, 0
	v_cndmask_b32_e64 v52, v13, 0, vcc
	s_waitcnt lgkmcnt(0)
	s_barrier
.LBB842_113:
	v_add_u32_e32 v58, v52, v22
	v_add_u32_e32 v56, v58, v23
	;; [unrolled: 1-line block ×19, first 2 shown]
	s_movk_i32 s0, 0x101
	v_add_u32_e32 v18, v20, v49
	v_cmp_gt_u32_e32 vcc, s0, v12
	v_add_u32_sdwa v16, v18, v61 dst_sel:DWORD dst_unused:UNUSED_PAD src0_sel:DWORD src1_sel:BYTE_0
	s_mov_b64 s[0:1], -1
	s_cbranch_vccnz .LBB842_117
; %bb.114:
	s_and_b64 vcc, exec, s[0:1]
	s_cbranch_vccnz .LBB842_184
.LBB842_115:
	v_cmp_eq_u32_e32 vcc, 0, v0
	s_and_b64 s[0:1], vcc, s[24:25]
	s_and_saveexec_b64 s[2:3], s[0:1]
	s_cbranch_execnz .LBB842_244
.LBB842_116:
	s_endpgm
.LBB842_117:
	v_add_u32_e32 v13, v14, v12
	s_lshl_b64 s[0:1], s[22:23], 1
	s_waitcnt lgkmcnt(0)
	s_add_u32 s2, s4, s0
	v_cmp_lt_u32_e32 vcc, v52, v13
	s_addc_u32 s3, s5, s1
	s_or_b64 s[6:7], s[26:27], vcc
	s_and_saveexec_b64 s[0:1], s[6:7]
	s_cbranch_execz .LBB842_120
; %bb.118:
	v_and_b32_e32 v15, 1, v81
	v_cmp_eq_u32_e32 vcc, 1, v15
	s_and_b64 exec, exec, vcc
	s_cbranch_execz .LBB842_120
; %bb.119:
	v_mov_b32_e32 v53, 0
	v_lshlrev_b64 v[82:83], 1, v[52:53]
	v_mov_b32_e32 v15, s3
	v_add_co_u32_e32 v82, vcc, s2, v82
	v_addc_co_u32_e32 v83, vcc, v15, v83, vcc
	global_store_short v[82:83], v10, off
.LBB842_120:
	s_or_b64 exec, exec, s[0:1]
	v_cmp_lt_u32_e32 vcc, v58, v13
	s_or_b64 s[6:7], s[26:27], vcc
	s_and_saveexec_b64 s[0:1], s[6:7]
	s_cbranch_execz .LBB842_123
; %bb.121:
	v_and_b32_e32 v15, 1, v80
	v_cmp_eq_u32_e32 vcc, 1, v15
	s_and_b64 exec, exec, vcc
	s_cbranch_execz .LBB842_123
; %bb.122:
	v_mov_b32_e32 v59, 0
	v_lshlrev_b64 v[82:83], 1, v[58:59]
	v_mov_b32_e32 v15, s3
	v_add_co_u32_e32 v82, vcc, s2, v82
	v_addc_co_u32_e32 v83, vcc, v15, v83, vcc
	global_store_short_d16_hi v[82:83], v10, off
.LBB842_123:
	s_or_b64 exec, exec, s[0:1]
	v_cmp_lt_u32_e32 vcc, v56, v13
	s_or_b64 s[6:7], s[26:27], vcc
	s_and_saveexec_b64 s[0:1], s[6:7]
	s_cbranch_execz .LBB842_126
; %bb.124:
	v_and_b32_e32 v15, 1, v79
	v_cmp_eq_u32_e32 vcc, 1, v15
	s_and_b64 exec, exec, vcc
	s_cbranch_execz .LBB842_126
; %bb.125:
	v_mov_b32_e32 v57, 0
	v_lshlrev_b64 v[82:83], 1, v[56:57]
	v_mov_b32_e32 v15, s3
	v_add_co_u32_e32 v82, vcc, s2, v82
	v_addc_co_u32_e32 v83, vcc, v15, v83, vcc
	global_store_short v[82:83], v11, off
.LBB842_126:
	s_or_b64 exec, exec, s[0:1]
	v_cmp_lt_u32_e32 vcc, v54, v13
	s_or_b64 s[6:7], s[26:27], vcc
	s_and_saveexec_b64 s[0:1], s[6:7]
	s_cbranch_execz .LBB842_129
; %bb.127:
	v_and_b32_e32 v15, 1, v78
	v_cmp_eq_u32_e32 vcc, 1, v15
	s_and_b64 exec, exec, vcc
	s_cbranch_execz .LBB842_129
; %bb.128:
	v_mov_b32_e32 v55, 0
	v_lshlrev_b64 v[82:83], 1, v[54:55]
	v_mov_b32_e32 v15, s3
	v_add_co_u32_e32 v82, vcc, s2, v82
	v_addc_co_u32_e32 v83, vcc, v15, v83, vcc
	global_store_short_d16_hi v[82:83], v11, off
.LBB842_129:
	s_or_b64 exec, exec, s[0:1]
	v_cmp_lt_u32_e32 vcc, v50, v13
	;; [unrolled: 36-line block ×10, first 2 shown]
	s_or_b64 s[6:7], s[26:27], vcc
	s_and_saveexec_b64 s[0:1], s[6:7]
	s_cbranch_execz .LBB842_180
; %bb.178:
	v_and_b32_e32 v15, 1, v61
	v_cmp_eq_u32_e32 vcc, 1, v15
	s_and_b64 exec, exec, vcc
	s_cbranch_execz .LBB842_180
; %bb.179:
	v_mov_b32_e32 v19, 0
	v_lshlrev_b64 v[82:83], 1, v[18:19]
	v_mov_b32_e32 v15, s3
	v_add_co_u32_e32 v82, vcc, s2, v82
	v_addc_co_u32_e32 v83, vcc, v15, v83, vcc
	global_store_short v[82:83], v1, off
.LBB842_180:
	s_or_b64 exec, exec, s[0:1]
	v_cmp_lt_u32_e32 vcc, v16, v13
	s_or_b64 s[6:7], s[26:27], vcc
	s_and_saveexec_b64 s[0:1], s[6:7]
	s_cbranch_execz .LBB842_183
; %bb.181:
	v_and_b32_e32 v13, 1, v60
	v_cmp_eq_u32_e32 vcc, 1, v13
	s_and_b64 exec, exec, vcc
	s_cbranch_execz .LBB842_183
; %bb.182:
	v_mov_b32_e32 v17, 0
	v_lshlrev_b64 v[82:83], 1, v[16:17]
	v_mov_b32_e32 v13, s3
	v_add_co_u32_e32 v82, vcc, s2, v82
	v_addc_co_u32_e32 v83, vcc, v13, v83, vcc
	global_store_short_d16_hi v[82:83], v1, off
.LBB842_183:
	s_or_b64 exec, exec, s[0:1]
	s_branch .LBB842_115
.LBB842_184:
	v_and_b32_e32 v13, 1, v81
	v_cmp_eq_u32_e32 vcc, 1, v13
	s_and_saveexec_b64 s[0:1], vcc
	s_cbranch_execz .LBB842_186
; %bb.185:
	v_sub_u32_e32 v13, v52, v14
	v_lshlrev_b32_e32 v13, 1, v13
	ds_write_b16 v13, v10
.LBB842_186:
	s_or_b64 exec, exec, s[0:1]
	v_and_b32_e32 v13, 1, v80
	v_cmp_eq_u32_e32 vcc, 1, v13
	s_and_saveexec_b64 s[0:1], vcc
	s_cbranch_execz .LBB842_188
; %bb.187:
	v_sub_u32_e32 v13, v58, v14
	v_lshlrev_b32_e32 v13, 1, v13
	ds_write_b16_d16_hi v13, v10
.LBB842_188:
	s_or_b64 exec, exec, s[0:1]
	v_and_b32_e32 v10, 1, v79
	v_cmp_eq_u32_e32 vcc, 1, v10
	s_and_saveexec_b64 s[0:1], vcc
	s_cbranch_execz .LBB842_190
; %bb.189:
	v_sub_u32_e32 v10, v56, v14
	v_lshlrev_b32_e32 v10, 1, v10
	ds_write_b16 v10, v11
.LBB842_190:
	s_or_b64 exec, exec, s[0:1]
	v_and_b32_e32 v10, 1, v78
	v_cmp_eq_u32_e32 vcc, 1, v10
	s_and_saveexec_b64 s[0:1], vcc
	s_cbranch_execz .LBB842_192
; %bb.191:
	v_sub_u32_e32 v10, v54, v14
	v_lshlrev_b32_e32 v10, 1, v10
	ds_write_b16_d16_hi v10, v11
.LBB842_192:
	s_or_b64 exec, exec, s[0:1]
	;; [unrolled: 20-line block ×11, first 2 shown]
	v_cmp_lt_u32_e32 vcc, v0, v12
	s_waitcnt lgkmcnt(0)
	s_barrier
	s_and_saveexec_b64 s[6:7], vcc
	s_cbranch_execz .LBB842_243
; %bb.229:
	s_lshl_b64 s[0:1], s[22:23], 1
	v_mov_b32_e32 v15, 0
	s_add_u32 s0, s4, s0
	s_addc_u32 s1, s5, s1
	v_lshlrev_b64 v[2:3], 1, v[14:15]
	v_mov_b32_e32 v1, s1
	v_add_co_u32_e32 v10, vcc, s0, v2
	v_addc_co_u32_e32 v11, vcc, v1, v3, vcc
	v_xad_u32 v1, v0, -1, v12
	s_movk_i32 s0, 0x1700
	v_cmp_gt_u32_e32 vcc, s0, v1
	s_movk_i32 s0, 0x16ff
	v_cmp_lt_u32_e64 s[0:1], s0, v1
	v_mov_b32_e32 v2, v0
	s_and_saveexec_b64 s[4:5], s[0:1]
	s_cbranch_execz .LBB842_240
; %bb.230:
	v_sub_u32_e32 v2, v0, v12
	v_or_b32_e32 v2, 0xff, v2
	v_cmp_ge_u32_e64 s[0:1], v2, v0
	s_mov_b64 s[2:3], -1
	v_mov_b32_e32 v2, v0
	s_and_saveexec_b64 s[8:9], s[0:1]
	s_cbranch_execz .LBB842_239
; %bb.231:
	v_lshrrev_b32_e32 v13, 8, v1
	v_add_u32_e32 v4, -3, v13
	v_or_b32_e32 v3, 0x300, v0
	v_or_b32_e32 v2, 0x200, v0
	v_lshrrev_b32_e32 v5, 2, v4
	v_or_b32_e32 v1, 0x100, v0
	v_add_u32_e32 v16, 1, v5
	v_cmp_lt_u32_e64 s[0:1], 11, v4
	v_pk_mov_b32 v[6:7], v[2:3], v[2:3] op_sel:[0,1]
	v_mov_b32_e32 v19, 0
	v_lshlrev_b32_e32 v15, 1, v0
	v_pk_mov_b32 v[4:5], v[0:1], v[0:1] op_sel:[0,1]
	s_and_saveexec_b64 s[10:11], s[0:1]
	s_cbranch_execz .LBB842_235
; %bb.232:
	v_pk_mov_b32 v[6:7], v[2:3], v[2:3] op_sel:[0,1]
	v_and_b32_e32 v17, 0x7ffffffc, v16
	s_mov_b32 s14, 0
	s_mov_b64 s[12:13], 0
	v_mov_b32_e32 v9, 0
	v_mov_b32_e32 v18, v15
	v_pk_mov_b32 v[4:5], v[0:1], v[0:1] op_sel:[0,1]
.LBB842_233:                            ; =>This Inner Loop Header: Depth=1
	v_mov_b32_e32 v8, v4
	v_lshlrev_b64 v[36:37], 1, v[8:9]
	v_add_u32_e32 v22, 0x400, v5
	v_mov_b32_e32 v23, v9
	v_add_co_u32_e64 v36, s[2:3], v10, v36
	v_lshlrev_b64 v[22:23], 1, v[22:23]
	v_addc_co_u32_e64 v37, s[2:3], v11, v37, s[2:3]
	v_add_u32_e32 v20, 0x400, v6
	v_mov_b32_e32 v21, v9
	v_add_co_u32_e64 v22, s[2:3], v10, v22
	v_lshlrev_b64 v[20:21], 1, v[20:21]
	v_addc_co_u32_e64 v23, s[2:3], v11, v23, s[2:3]
	v_add_u32_e32 v2, 0x400, v7
	v_mov_b32_e32 v3, v9
	v_add_co_u32_e64 v20, s[2:3], v10, v20
	v_add_u32_e32 v17, -4, v17
	v_mov_b32_e32 v8, v5
	v_lshlrev_b64 v[2:3], 1, v[2:3]
	v_addc_co_u32_e64 v21, s[2:3], v11, v21, s[2:3]
	v_add_u32_e32 v28, 0x800, v5
	v_mov_b32_e32 v29, v9
	s_add_i32 s14, s14, 16
	v_cmp_eq_u32_e64 s[0:1], 0, v17
	v_lshlrev_b64 v[38:39], 1, v[8:9]
	v_add_co_u32_e64 v2, s[2:3], v10, v2
	v_lshlrev_b64 v[28:29], 1, v[28:29]
	v_mov_b32_e32 v8, v6
	v_addc_co_u32_e64 v3, s[2:3], v11, v3, s[2:3]
	s_or_b64 s[12:13], s[0:1], s[12:13]
	v_add_co_u32_e64 v38, s[0:1], v10, v38
	v_add_u32_e32 v26, 0x800, v6
	v_mov_b32_e32 v27, v9
	v_add_co_u32_e64 v28, s[2:3], v10, v28
	v_addc_co_u32_e64 v39, s[0:1], v11, v39, s[0:1]
	v_lshlrev_b64 v[40:41], 1, v[8:9]
	v_lshlrev_b64 v[26:27], 1, v[26:27]
	v_addc_co_u32_e64 v29, s[2:3], v11, v29, s[2:3]
	v_mov_b32_e32 v8, v7
	v_add_co_u32_e64 v40, s[0:1], v10, v40
	ds_read_u16 v1, v18
	ds_read_u16 v44, v18 offset:512
	ds_read_u16 v45, v18 offset:1024
	;; [unrolled: 1-line block ×7, first 2 shown]
	v_add_u32_e32 v24, 0x800, v7
	v_mov_b32_e32 v25, v9
	v_add_co_u32_e64 v26, s[2:3], v10, v26
	v_addc_co_u32_e64 v41, s[0:1], v11, v41, s[0:1]
	v_lshlrev_b64 v[42:43], 1, v[8:9]
	v_lshlrev_b64 v[24:25], 1, v[24:25]
	v_addc_co_u32_e64 v27, s[2:3], v11, v27, s[2:3]
	v_add_u32_e32 v8, 0x400, v4
	v_add_co_u32_e64 v42, s[0:1], v10, v42
	v_add_u32_e32 v34, 0xc00, v5
	v_mov_b32_e32 v35, v9
	ds_read_u16 v51, v18 offset:4096
	ds_read_u16 v52, v18 offset:4608
	;; [unrolled: 1-line block ×8, first 2 shown]
	v_add_co_u32_e64 v24, s[2:3], v10, v24
	v_addc_co_u32_e64 v43, s[0:1], v11, v43, s[0:1]
	s_waitcnt lgkmcnt(14)
	global_store_short v[36:37], v1, off
	global_store_short v[38:39], v44, off
	s_waitcnt lgkmcnt(13)
	global_store_short v[40:41], v45, off
	v_lshlrev_b64 v[36:37], 1, v[8:9]
	v_lshlrev_b64 v[34:35], 1, v[34:35]
	v_addc_co_u32_e64 v25, s[2:3], v11, v25, s[2:3]
	v_add_u32_e32 v8, 0x800, v4
	v_add_co_u32_e64 v36, s[0:1], v10, v36
	v_add_u32_e32 v32, 0xc00, v6
	v_mov_b32_e32 v33, v9
	v_add_co_u32_e64 v34, s[2:3], v10, v34
	v_addc_co_u32_e64 v37, s[0:1], v11, v37, s[0:1]
	v_lshlrev_b64 v[38:39], 1, v[8:9]
	v_lshlrev_b64 v[32:33], 1, v[32:33]
	v_addc_co_u32_e64 v35, s[2:3], v11, v35, s[2:3]
	s_waitcnt lgkmcnt(12)
	global_store_short v[42:43], v46, off
	v_add_u32_e32 v8, 0xc00, v4
	s_waitcnt lgkmcnt(11)
	global_store_short v[36:37], v47, off
	s_waitcnt lgkmcnt(10)
	global_store_short v[22:23], v48, off
	;; [unrolled: 2-line block ×4, first 2 shown]
	v_add_co_u32_e64 v2, s[0:1], v10, v38
	v_add_u32_e32 v30, 0xc00, v7
	v_mov_b32_e32 v31, v9
	v_add_co_u32_e64 v32, s[2:3], v10, v32
	v_addc_co_u32_e64 v3, s[0:1], v11, v39, s[0:1]
	v_lshlrev_b64 v[20:21], 1, v[8:9]
	v_lshlrev_b64 v[30:31], 1, v[30:31]
	v_addc_co_u32_e64 v33, s[2:3], v11, v33, s[2:3]
	s_waitcnt lgkmcnt(7)
	global_store_short v[2:3], v51, off
	s_waitcnt lgkmcnt(6)
	global_store_short v[28:29], v52, off
	;; [unrolled: 2-line block ×4, first 2 shown]
	v_add_co_u32_e64 v2, s[0:1], v10, v20
	v_add_u32_e32 v18, 0x2000, v18
	v_add_u32_e32 v5, 0x1000, v5
	v_mov_b32_e32 v19, s14
	v_add_co_u32_e64 v30, s[2:3], v10, v30
	v_add_u32_e32 v6, 0x1000, v6
	v_add_u32_e32 v7, 0x1000, v7
	;; [unrolled: 1-line block ×3, first 2 shown]
	v_addc_co_u32_e64 v3, s[0:1], v11, v21, s[0:1]
	v_addc_co_u32_e64 v31, s[2:3], v11, v31, s[2:3]
	s_waitcnt lgkmcnt(3)
	global_store_short v[2:3], v55, off
	s_waitcnt lgkmcnt(2)
	global_store_short v[34:35], v56, off
	;; [unrolled: 2-line block ×4, first 2 shown]
	s_andn2_b64 exec, exec, s[12:13]
	s_cbranch_execnz .LBB842_233
; %bb.234:
	s_or_b64 exec, exec, s[12:13]
.LBB842_235:
	s_or_b64 exec, exec, s[10:11]
	v_and_b32_e32 v1, 3, v16
	v_cmp_ne_u32_e64 s[0:1], 0, v1
	s_and_saveexec_b64 s[10:11], s[0:1]
	s_cbranch_execz .LBB842_238
; %bb.236:
	v_lshl_or_b32 v8, v19, 9, v15
	s_mov_b64 s[12:13], 0
	v_mov_b32_e32 v3, 0
.LBB842_237:                            ; =>This Inner Loop Header: Depth=1
	v_mov_b32_e32 v2, v4
	v_add_u32_e32 v1, -1, v1
	v_lshlrev_b64 v[16:17], 1, v[2:3]
	v_mov_b32_e32 v2, v5
	v_cmp_eq_u32_e64 s[0:1], 0, v1
	v_lshlrev_b64 v[18:19], 1, v[2:3]
	ds_read_u16 v9, v8
	ds_read_u16 v15, v8 offset:512
	ds_read_u16 v24, v8 offset:1024
	;; [unrolled: 1-line block ×3, first 2 shown]
	v_mov_b32_e32 v2, v6
	s_or_b64 s[12:13], s[0:1], s[12:13]
	v_add_co_u32_e64 v18, s[0:1], v10, v18
	v_addc_co_u32_e64 v19, s[0:1], v11, v19, s[0:1]
	v_lshlrev_b64 v[20:21], 1, v[2:3]
	v_mov_b32_e32 v2, v7
	v_add_co_u32_e64 v20, s[0:1], v10, v20
	v_add_co_u32_e64 v16, s[2:3], v10, v16
	v_addc_co_u32_e64 v21, s[0:1], v11, v21, s[0:1]
	v_lshlrev_b64 v[22:23], 1, v[2:3]
	v_add_u32_e32 v4, 0x400, v4
	v_add_u32_e32 v8, 0x800, v8
	;; [unrolled: 1-line block ×3, first 2 shown]
	v_addc_co_u32_e64 v17, s[2:3], v11, v17, s[2:3]
	v_add_u32_e32 v6, 0x400, v6
	v_add_u32_e32 v7, 0x400, v7
	v_add_co_u32_e64 v22, s[0:1], v10, v22
	v_addc_co_u32_e64 v23, s[0:1], v11, v23, s[0:1]
	s_waitcnt lgkmcnt(3)
	global_store_short v[16:17], v9, off
	s_waitcnt lgkmcnt(2)
	global_store_short v[18:19], v15, off
	;; [unrolled: 2-line block ×4, first 2 shown]
	s_andn2_b64 exec, exec, s[12:13]
	s_cbranch_execnz .LBB842_237
.LBB842_238:
	s_or_b64 exec, exec, s[10:11]
	v_add_u32_e32 v1, 1, v13
	v_and_b32_e32 v3, 0x1fffffc, v1
	v_cmp_ne_u32_e64 s[0:1], v1, v3
	v_lshl_or_b32 v2, v3, 8, v0
	s_orn2_b64 s[2:3], s[0:1], exec
.LBB842_239:
	s_or_b64 exec, exec, s[8:9]
	s_andn2_b64 s[0:1], vcc, exec
	s_and_b64 s[2:3], s[2:3], exec
	s_or_b64 vcc, s[0:1], s[2:3]
.LBB842_240:
	s_or_b64 exec, exec, s[4:5]
	s_and_b64 exec, exec, vcc
	s_cbranch_execz .LBB842_243
; %bb.241:
	v_lshlrev_b32_e32 v1, 1, v2
	s_mov_b64 s[0:1], 0
	v_mov_b32_e32 v3, 0
.LBB842_242:                            ; =>This Inner Loop Header: Depth=1
	v_lshlrev_b64 v[4:5], 1, v[2:3]
	ds_read_u16 v6, v1
	v_add_co_u32_e32 v4, vcc, v10, v4
	v_add_u32_e32 v2, 0x100, v2
	v_addc_co_u32_e32 v5, vcc, v11, v5, vcc
	v_cmp_ge_u32_e32 vcc, v2, v12
	v_add_u32_e32 v1, 0x200, v1
	s_or_b64 s[0:1], vcc, s[0:1]
	s_waitcnt lgkmcnt(0)
	global_store_short v[4:5], v6, off
	s_andn2_b64 exec, exec, s[0:1]
	s_cbranch_execnz .LBB842_242
.LBB842_243:
	s_or_b64 exec, exec, s[6:7]
	v_cmp_eq_u32_e32 vcc, 0, v0
	s_and_b64 s[0:1], vcc, s[24:25]
	s_and_saveexec_b64 s[2:3], s[0:1]
	s_cbranch_execz .LBB842_116
.LBB842_244:
	v_mov_b32_e32 v0, s23
	v_add_co_u32_e32 v1, vcc, s22, v12
	v_addc_co_u32_e32 v3, vcc, 0, v0, vcc
	v_add_co_u32_e32 v0, vcc, v1, v14
	v_mov_b32_e32 v2, 0
	v_addc_co_u32_e32 v1, vcc, 0, v3, vcc
	global_store_dwordx2 v2, v[0:1], s[20:21]
	s_endpgm
	.section	.rodata,"a",@progbits
	.p2align	6, 0x0
	.amdhsa_kernel _ZN7rocprim17ROCPRIM_400000_NS6detail17trampoline_kernelINS0_14default_configENS1_25partition_config_selectorILNS1_17partition_subalgoE8EN3c108BFloat16ENS0_10empty_typeEbEEZZNS1_14partition_implILS5_8ELb0ES3_jPKS7_PS8_PKS8_NS0_5tupleIJPS7_S8_EEENSG_IJSD_SD_EEENS0_18inequality_wrapperIN6hipcub16HIPCUB_304000_NS8EqualityEEEPlJS8_EEE10hipError_tPvRmT3_T4_T5_T6_T7_T9_mT8_P12ihipStream_tbDpT10_ENKUlT_T0_E_clISt17integral_constantIbLb1EES18_IbLb0EEEEDaS14_S15_EUlS14_E_NS1_11comp_targetILNS1_3genE4ELNS1_11target_archE910ELNS1_3gpuE8ELNS1_3repE0EEENS1_30default_config_static_selectorELNS0_4arch9wavefront6targetE1EEEvT1_
		.amdhsa_group_segment_fixed_size 11272
		.amdhsa_private_segment_fixed_size 0
		.amdhsa_kernarg_size 112
		.amdhsa_user_sgpr_count 6
		.amdhsa_user_sgpr_private_segment_buffer 1
		.amdhsa_user_sgpr_dispatch_ptr 0
		.amdhsa_user_sgpr_queue_ptr 0
		.amdhsa_user_sgpr_kernarg_segment_ptr 1
		.amdhsa_user_sgpr_dispatch_id 0
		.amdhsa_user_sgpr_flat_scratch_init 0
		.amdhsa_user_sgpr_kernarg_preload_length 0
		.amdhsa_user_sgpr_kernarg_preload_offset 0
		.amdhsa_user_sgpr_private_segment_size 0
		.amdhsa_uses_dynamic_stack 0
		.amdhsa_system_sgpr_private_segment_wavefront_offset 0
		.amdhsa_system_sgpr_workgroup_id_x 1
		.amdhsa_system_sgpr_workgroup_id_y 0
		.amdhsa_system_sgpr_workgroup_id_z 0
		.amdhsa_system_sgpr_workgroup_info 0
		.amdhsa_system_vgpr_workitem_id 0
		.amdhsa_next_free_vgpr 84
		.amdhsa_next_free_sgpr 40
		.amdhsa_accum_offset 84
		.amdhsa_reserve_vcc 1
		.amdhsa_reserve_flat_scratch 0
		.amdhsa_float_round_mode_32 0
		.amdhsa_float_round_mode_16_64 0
		.amdhsa_float_denorm_mode_32 3
		.amdhsa_float_denorm_mode_16_64 3
		.amdhsa_dx10_clamp 1
		.amdhsa_ieee_mode 1
		.amdhsa_fp16_overflow 0
		.amdhsa_tg_split 0
		.amdhsa_exception_fp_ieee_invalid_op 0
		.amdhsa_exception_fp_denorm_src 0
		.amdhsa_exception_fp_ieee_div_zero 0
		.amdhsa_exception_fp_ieee_overflow 0
		.amdhsa_exception_fp_ieee_underflow 0
		.amdhsa_exception_fp_ieee_inexact 0
		.amdhsa_exception_int_div_zero 0
	.end_amdhsa_kernel
	.section	.text._ZN7rocprim17ROCPRIM_400000_NS6detail17trampoline_kernelINS0_14default_configENS1_25partition_config_selectorILNS1_17partition_subalgoE8EN3c108BFloat16ENS0_10empty_typeEbEEZZNS1_14partition_implILS5_8ELb0ES3_jPKS7_PS8_PKS8_NS0_5tupleIJPS7_S8_EEENSG_IJSD_SD_EEENS0_18inequality_wrapperIN6hipcub16HIPCUB_304000_NS8EqualityEEEPlJS8_EEE10hipError_tPvRmT3_T4_T5_T6_T7_T9_mT8_P12ihipStream_tbDpT10_ENKUlT_T0_E_clISt17integral_constantIbLb1EES18_IbLb0EEEEDaS14_S15_EUlS14_E_NS1_11comp_targetILNS1_3genE4ELNS1_11target_archE910ELNS1_3gpuE8ELNS1_3repE0EEENS1_30default_config_static_selectorELNS0_4arch9wavefront6targetE1EEEvT1_,"axG",@progbits,_ZN7rocprim17ROCPRIM_400000_NS6detail17trampoline_kernelINS0_14default_configENS1_25partition_config_selectorILNS1_17partition_subalgoE8EN3c108BFloat16ENS0_10empty_typeEbEEZZNS1_14partition_implILS5_8ELb0ES3_jPKS7_PS8_PKS8_NS0_5tupleIJPS7_S8_EEENSG_IJSD_SD_EEENS0_18inequality_wrapperIN6hipcub16HIPCUB_304000_NS8EqualityEEEPlJS8_EEE10hipError_tPvRmT3_T4_T5_T6_T7_T9_mT8_P12ihipStream_tbDpT10_ENKUlT_T0_E_clISt17integral_constantIbLb1EES18_IbLb0EEEEDaS14_S15_EUlS14_E_NS1_11comp_targetILNS1_3genE4ELNS1_11target_archE910ELNS1_3gpuE8ELNS1_3repE0EEENS1_30default_config_static_selectorELNS0_4arch9wavefront6targetE1EEEvT1_,comdat
.Lfunc_end842:
	.size	_ZN7rocprim17ROCPRIM_400000_NS6detail17trampoline_kernelINS0_14default_configENS1_25partition_config_selectorILNS1_17partition_subalgoE8EN3c108BFloat16ENS0_10empty_typeEbEEZZNS1_14partition_implILS5_8ELb0ES3_jPKS7_PS8_PKS8_NS0_5tupleIJPS7_S8_EEENSG_IJSD_SD_EEENS0_18inequality_wrapperIN6hipcub16HIPCUB_304000_NS8EqualityEEEPlJS8_EEE10hipError_tPvRmT3_T4_T5_T6_T7_T9_mT8_P12ihipStream_tbDpT10_ENKUlT_T0_E_clISt17integral_constantIbLb1EES18_IbLb0EEEEDaS14_S15_EUlS14_E_NS1_11comp_targetILNS1_3genE4ELNS1_11target_archE910ELNS1_3gpuE8ELNS1_3repE0EEENS1_30default_config_static_selectorELNS0_4arch9wavefront6targetE1EEEvT1_, .Lfunc_end842-_ZN7rocprim17ROCPRIM_400000_NS6detail17trampoline_kernelINS0_14default_configENS1_25partition_config_selectorILNS1_17partition_subalgoE8EN3c108BFloat16ENS0_10empty_typeEbEEZZNS1_14partition_implILS5_8ELb0ES3_jPKS7_PS8_PKS8_NS0_5tupleIJPS7_S8_EEENSG_IJSD_SD_EEENS0_18inequality_wrapperIN6hipcub16HIPCUB_304000_NS8EqualityEEEPlJS8_EEE10hipError_tPvRmT3_T4_T5_T6_T7_T9_mT8_P12ihipStream_tbDpT10_ENKUlT_T0_E_clISt17integral_constantIbLb1EES18_IbLb0EEEEDaS14_S15_EUlS14_E_NS1_11comp_targetILNS1_3genE4ELNS1_11target_archE910ELNS1_3gpuE8ELNS1_3repE0EEENS1_30default_config_static_selectorELNS0_4arch9wavefront6targetE1EEEvT1_
                                        ; -- End function
	.section	.AMDGPU.csdata,"",@progbits
; Kernel info:
; codeLenInByte = 10844
; NumSgprs: 44
; NumVgprs: 84
; NumAgprs: 0
; TotalNumVgprs: 84
; ScratchSize: 0
; MemoryBound: 0
; FloatMode: 240
; IeeeMode: 1
; LDSByteSize: 11272 bytes/workgroup (compile time only)
; SGPRBlocks: 5
; VGPRBlocks: 10
; NumSGPRsForWavesPerEU: 44
; NumVGPRsForWavesPerEU: 84
; AccumOffset: 84
; Occupancy: 5
; WaveLimiterHint : 1
; COMPUTE_PGM_RSRC2:SCRATCH_EN: 0
; COMPUTE_PGM_RSRC2:USER_SGPR: 6
; COMPUTE_PGM_RSRC2:TRAP_HANDLER: 0
; COMPUTE_PGM_RSRC2:TGID_X_EN: 1
; COMPUTE_PGM_RSRC2:TGID_Y_EN: 0
; COMPUTE_PGM_RSRC2:TGID_Z_EN: 0
; COMPUTE_PGM_RSRC2:TIDIG_COMP_CNT: 0
; COMPUTE_PGM_RSRC3_GFX90A:ACCUM_OFFSET: 20
; COMPUTE_PGM_RSRC3_GFX90A:TG_SPLIT: 0
	.section	.text._ZN7rocprim17ROCPRIM_400000_NS6detail17trampoline_kernelINS0_14default_configENS1_25partition_config_selectorILNS1_17partition_subalgoE8EN3c108BFloat16ENS0_10empty_typeEbEEZZNS1_14partition_implILS5_8ELb0ES3_jPKS7_PS8_PKS8_NS0_5tupleIJPS7_S8_EEENSG_IJSD_SD_EEENS0_18inequality_wrapperIN6hipcub16HIPCUB_304000_NS8EqualityEEEPlJS8_EEE10hipError_tPvRmT3_T4_T5_T6_T7_T9_mT8_P12ihipStream_tbDpT10_ENKUlT_T0_E_clISt17integral_constantIbLb1EES18_IbLb0EEEEDaS14_S15_EUlS14_E_NS1_11comp_targetILNS1_3genE3ELNS1_11target_archE908ELNS1_3gpuE7ELNS1_3repE0EEENS1_30default_config_static_selectorELNS0_4arch9wavefront6targetE1EEEvT1_,"axG",@progbits,_ZN7rocprim17ROCPRIM_400000_NS6detail17trampoline_kernelINS0_14default_configENS1_25partition_config_selectorILNS1_17partition_subalgoE8EN3c108BFloat16ENS0_10empty_typeEbEEZZNS1_14partition_implILS5_8ELb0ES3_jPKS7_PS8_PKS8_NS0_5tupleIJPS7_S8_EEENSG_IJSD_SD_EEENS0_18inequality_wrapperIN6hipcub16HIPCUB_304000_NS8EqualityEEEPlJS8_EEE10hipError_tPvRmT3_T4_T5_T6_T7_T9_mT8_P12ihipStream_tbDpT10_ENKUlT_T0_E_clISt17integral_constantIbLb1EES18_IbLb0EEEEDaS14_S15_EUlS14_E_NS1_11comp_targetILNS1_3genE3ELNS1_11target_archE908ELNS1_3gpuE7ELNS1_3repE0EEENS1_30default_config_static_selectorELNS0_4arch9wavefront6targetE1EEEvT1_,comdat
	.protected	_ZN7rocprim17ROCPRIM_400000_NS6detail17trampoline_kernelINS0_14default_configENS1_25partition_config_selectorILNS1_17partition_subalgoE8EN3c108BFloat16ENS0_10empty_typeEbEEZZNS1_14partition_implILS5_8ELb0ES3_jPKS7_PS8_PKS8_NS0_5tupleIJPS7_S8_EEENSG_IJSD_SD_EEENS0_18inequality_wrapperIN6hipcub16HIPCUB_304000_NS8EqualityEEEPlJS8_EEE10hipError_tPvRmT3_T4_T5_T6_T7_T9_mT8_P12ihipStream_tbDpT10_ENKUlT_T0_E_clISt17integral_constantIbLb1EES18_IbLb0EEEEDaS14_S15_EUlS14_E_NS1_11comp_targetILNS1_3genE3ELNS1_11target_archE908ELNS1_3gpuE7ELNS1_3repE0EEENS1_30default_config_static_selectorELNS0_4arch9wavefront6targetE1EEEvT1_ ; -- Begin function _ZN7rocprim17ROCPRIM_400000_NS6detail17trampoline_kernelINS0_14default_configENS1_25partition_config_selectorILNS1_17partition_subalgoE8EN3c108BFloat16ENS0_10empty_typeEbEEZZNS1_14partition_implILS5_8ELb0ES3_jPKS7_PS8_PKS8_NS0_5tupleIJPS7_S8_EEENSG_IJSD_SD_EEENS0_18inequality_wrapperIN6hipcub16HIPCUB_304000_NS8EqualityEEEPlJS8_EEE10hipError_tPvRmT3_T4_T5_T6_T7_T9_mT8_P12ihipStream_tbDpT10_ENKUlT_T0_E_clISt17integral_constantIbLb1EES18_IbLb0EEEEDaS14_S15_EUlS14_E_NS1_11comp_targetILNS1_3genE3ELNS1_11target_archE908ELNS1_3gpuE7ELNS1_3repE0EEENS1_30default_config_static_selectorELNS0_4arch9wavefront6targetE1EEEvT1_
	.globl	_ZN7rocprim17ROCPRIM_400000_NS6detail17trampoline_kernelINS0_14default_configENS1_25partition_config_selectorILNS1_17partition_subalgoE8EN3c108BFloat16ENS0_10empty_typeEbEEZZNS1_14partition_implILS5_8ELb0ES3_jPKS7_PS8_PKS8_NS0_5tupleIJPS7_S8_EEENSG_IJSD_SD_EEENS0_18inequality_wrapperIN6hipcub16HIPCUB_304000_NS8EqualityEEEPlJS8_EEE10hipError_tPvRmT3_T4_T5_T6_T7_T9_mT8_P12ihipStream_tbDpT10_ENKUlT_T0_E_clISt17integral_constantIbLb1EES18_IbLb0EEEEDaS14_S15_EUlS14_E_NS1_11comp_targetILNS1_3genE3ELNS1_11target_archE908ELNS1_3gpuE7ELNS1_3repE0EEENS1_30default_config_static_selectorELNS0_4arch9wavefront6targetE1EEEvT1_
	.p2align	8
	.type	_ZN7rocprim17ROCPRIM_400000_NS6detail17trampoline_kernelINS0_14default_configENS1_25partition_config_selectorILNS1_17partition_subalgoE8EN3c108BFloat16ENS0_10empty_typeEbEEZZNS1_14partition_implILS5_8ELb0ES3_jPKS7_PS8_PKS8_NS0_5tupleIJPS7_S8_EEENSG_IJSD_SD_EEENS0_18inequality_wrapperIN6hipcub16HIPCUB_304000_NS8EqualityEEEPlJS8_EEE10hipError_tPvRmT3_T4_T5_T6_T7_T9_mT8_P12ihipStream_tbDpT10_ENKUlT_T0_E_clISt17integral_constantIbLb1EES18_IbLb0EEEEDaS14_S15_EUlS14_E_NS1_11comp_targetILNS1_3genE3ELNS1_11target_archE908ELNS1_3gpuE7ELNS1_3repE0EEENS1_30default_config_static_selectorELNS0_4arch9wavefront6targetE1EEEvT1_,@function
_ZN7rocprim17ROCPRIM_400000_NS6detail17trampoline_kernelINS0_14default_configENS1_25partition_config_selectorILNS1_17partition_subalgoE8EN3c108BFloat16ENS0_10empty_typeEbEEZZNS1_14partition_implILS5_8ELb0ES3_jPKS7_PS8_PKS8_NS0_5tupleIJPS7_S8_EEENSG_IJSD_SD_EEENS0_18inequality_wrapperIN6hipcub16HIPCUB_304000_NS8EqualityEEEPlJS8_EEE10hipError_tPvRmT3_T4_T5_T6_T7_T9_mT8_P12ihipStream_tbDpT10_ENKUlT_T0_E_clISt17integral_constantIbLb1EES18_IbLb0EEEEDaS14_S15_EUlS14_E_NS1_11comp_targetILNS1_3genE3ELNS1_11target_archE908ELNS1_3gpuE7ELNS1_3repE0EEENS1_30default_config_static_selectorELNS0_4arch9wavefront6targetE1EEEvT1_: ; @_ZN7rocprim17ROCPRIM_400000_NS6detail17trampoline_kernelINS0_14default_configENS1_25partition_config_selectorILNS1_17partition_subalgoE8EN3c108BFloat16ENS0_10empty_typeEbEEZZNS1_14partition_implILS5_8ELb0ES3_jPKS7_PS8_PKS8_NS0_5tupleIJPS7_S8_EEENSG_IJSD_SD_EEENS0_18inequality_wrapperIN6hipcub16HIPCUB_304000_NS8EqualityEEEPlJS8_EEE10hipError_tPvRmT3_T4_T5_T6_T7_T9_mT8_P12ihipStream_tbDpT10_ENKUlT_T0_E_clISt17integral_constantIbLb1EES18_IbLb0EEEEDaS14_S15_EUlS14_E_NS1_11comp_targetILNS1_3genE3ELNS1_11target_archE908ELNS1_3gpuE7ELNS1_3repE0EEENS1_30default_config_static_selectorELNS0_4arch9wavefront6targetE1EEEvT1_
; %bb.0:
	.section	.rodata,"a",@progbits
	.p2align	6, 0x0
	.amdhsa_kernel _ZN7rocprim17ROCPRIM_400000_NS6detail17trampoline_kernelINS0_14default_configENS1_25partition_config_selectorILNS1_17partition_subalgoE8EN3c108BFloat16ENS0_10empty_typeEbEEZZNS1_14partition_implILS5_8ELb0ES3_jPKS7_PS8_PKS8_NS0_5tupleIJPS7_S8_EEENSG_IJSD_SD_EEENS0_18inequality_wrapperIN6hipcub16HIPCUB_304000_NS8EqualityEEEPlJS8_EEE10hipError_tPvRmT3_T4_T5_T6_T7_T9_mT8_P12ihipStream_tbDpT10_ENKUlT_T0_E_clISt17integral_constantIbLb1EES18_IbLb0EEEEDaS14_S15_EUlS14_E_NS1_11comp_targetILNS1_3genE3ELNS1_11target_archE908ELNS1_3gpuE7ELNS1_3repE0EEENS1_30default_config_static_selectorELNS0_4arch9wavefront6targetE1EEEvT1_
		.amdhsa_group_segment_fixed_size 0
		.amdhsa_private_segment_fixed_size 0
		.amdhsa_kernarg_size 112
		.amdhsa_user_sgpr_count 6
		.amdhsa_user_sgpr_private_segment_buffer 1
		.amdhsa_user_sgpr_dispatch_ptr 0
		.amdhsa_user_sgpr_queue_ptr 0
		.amdhsa_user_sgpr_kernarg_segment_ptr 1
		.amdhsa_user_sgpr_dispatch_id 0
		.amdhsa_user_sgpr_flat_scratch_init 0
		.amdhsa_user_sgpr_kernarg_preload_length 0
		.amdhsa_user_sgpr_kernarg_preload_offset 0
		.amdhsa_user_sgpr_private_segment_size 0
		.amdhsa_uses_dynamic_stack 0
		.amdhsa_system_sgpr_private_segment_wavefront_offset 0
		.amdhsa_system_sgpr_workgroup_id_x 1
		.amdhsa_system_sgpr_workgroup_id_y 0
		.amdhsa_system_sgpr_workgroup_id_z 0
		.amdhsa_system_sgpr_workgroup_info 0
		.amdhsa_system_vgpr_workitem_id 0
		.amdhsa_next_free_vgpr 1
		.amdhsa_next_free_sgpr 0
		.amdhsa_accum_offset 4
		.amdhsa_reserve_vcc 0
		.amdhsa_reserve_flat_scratch 0
		.amdhsa_float_round_mode_32 0
		.amdhsa_float_round_mode_16_64 0
		.amdhsa_float_denorm_mode_32 3
		.amdhsa_float_denorm_mode_16_64 3
		.amdhsa_dx10_clamp 1
		.amdhsa_ieee_mode 1
		.amdhsa_fp16_overflow 0
		.amdhsa_tg_split 0
		.amdhsa_exception_fp_ieee_invalid_op 0
		.amdhsa_exception_fp_denorm_src 0
		.amdhsa_exception_fp_ieee_div_zero 0
		.amdhsa_exception_fp_ieee_overflow 0
		.amdhsa_exception_fp_ieee_underflow 0
		.amdhsa_exception_fp_ieee_inexact 0
		.amdhsa_exception_int_div_zero 0
	.end_amdhsa_kernel
	.section	.text._ZN7rocprim17ROCPRIM_400000_NS6detail17trampoline_kernelINS0_14default_configENS1_25partition_config_selectorILNS1_17partition_subalgoE8EN3c108BFloat16ENS0_10empty_typeEbEEZZNS1_14partition_implILS5_8ELb0ES3_jPKS7_PS8_PKS8_NS0_5tupleIJPS7_S8_EEENSG_IJSD_SD_EEENS0_18inequality_wrapperIN6hipcub16HIPCUB_304000_NS8EqualityEEEPlJS8_EEE10hipError_tPvRmT3_T4_T5_T6_T7_T9_mT8_P12ihipStream_tbDpT10_ENKUlT_T0_E_clISt17integral_constantIbLb1EES18_IbLb0EEEEDaS14_S15_EUlS14_E_NS1_11comp_targetILNS1_3genE3ELNS1_11target_archE908ELNS1_3gpuE7ELNS1_3repE0EEENS1_30default_config_static_selectorELNS0_4arch9wavefront6targetE1EEEvT1_,"axG",@progbits,_ZN7rocprim17ROCPRIM_400000_NS6detail17trampoline_kernelINS0_14default_configENS1_25partition_config_selectorILNS1_17partition_subalgoE8EN3c108BFloat16ENS0_10empty_typeEbEEZZNS1_14partition_implILS5_8ELb0ES3_jPKS7_PS8_PKS8_NS0_5tupleIJPS7_S8_EEENSG_IJSD_SD_EEENS0_18inequality_wrapperIN6hipcub16HIPCUB_304000_NS8EqualityEEEPlJS8_EEE10hipError_tPvRmT3_T4_T5_T6_T7_T9_mT8_P12ihipStream_tbDpT10_ENKUlT_T0_E_clISt17integral_constantIbLb1EES18_IbLb0EEEEDaS14_S15_EUlS14_E_NS1_11comp_targetILNS1_3genE3ELNS1_11target_archE908ELNS1_3gpuE7ELNS1_3repE0EEENS1_30default_config_static_selectorELNS0_4arch9wavefront6targetE1EEEvT1_,comdat
.Lfunc_end843:
	.size	_ZN7rocprim17ROCPRIM_400000_NS6detail17trampoline_kernelINS0_14default_configENS1_25partition_config_selectorILNS1_17partition_subalgoE8EN3c108BFloat16ENS0_10empty_typeEbEEZZNS1_14partition_implILS5_8ELb0ES3_jPKS7_PS8_PKS8_NS0_5tupleIJPS7_S8_EEENSG_IJSD_SD_EEENS0_18inequality_wrapperIN6hipcub16HIPCUB_304000_NS8EqualityEEEPlJS8_EEE10hipError_tPvRmT3_T4_T5_T6_T7_T9_mT8_P12ihipStream_tbDpT10_ENKUlT_T0_E_clISt17integral_constantIbLb1EES18_IbLb0EEEEDaS14_S15_EUlS14_E_NS1_11comp_targetILNS1_3genE3ELNS1_11target_archE908ELNS1_3gpuE7ELNS1_3repE0EEENS1_30default_config_static_selectorELNS0_4arch9wavefront6targetE1EEEvT1_, .Lfunc_end843-_ZN7rocprim17ROCPRIM_400000_NS6detail17trampoline_kernelINS0_14default_configENS1_25partition_config_selectorILNS1_17partition_subalgoE8EN3c108BFloat16ENS0_10empty_typeEbEEZZNS1_14partition_implILS5_8ELb0ES3_jPKS7_PS8_PKS8_NS0_5tupleIJPS7_S8_EEENSG_IJSD_SD_EEENS0_18inequality_wrapperIN6hipcub16HIPCUB_304000_NS8EqualityEEEPlJS8_EEE10hipError_tPvRmT3_T4_T5_T6_T7_T9_mT8_P12ihipStream_tbDpT10_ENKUlT_T0_E_clISt17integral_constantIbLb1EES18_IbLb0EEEEDaS14_S15_EUlS14_E_NS1_11comp_targetILNS1_3genE3ELNS1_11target_archE908ELNS1_3gpuE7ELNS1_3repE0EEENS1_30default_config_static_selectorELNS0_4arch9wavefront6targetE1EEEvT1_
                                        ; -- End function
	.section	.AMDGPU.csdata,"",@progbits
; Kernel info:
; codeLenInByte = 0
; NumSgprs: 4
; NumVgprs: 0
; NumAgprs: 0
; TotalNumVgprs: 0
; ScratchSize: 0
; MemoryBound: 0
; FloatMode: 240
; IeeeMode: 1
; LDSByteSize: 0 bytes/workgroup (compile time only)
; SGPRBlocks: 0
; VGPRBlocks: 0
; NumSGPRsForWavesPerEU: 4
; NumVGPRsForWavesPerEU: 1
; AccumOffset: 4
; Occupancy: 8
; WaveLimiterHint : 0
; COMPUTE_PGM_RSRC2:SCRATCH_EN: 0
; COMPUTE_PGM_RSRC2:USER_SGPR: 6
; COMPUTE_PGM_RSRC2:TRAP_HANDLER: 0
; COMPUTE_PGM_RSRC2:TGID_X_EN: 1
; COMPUTE_PGM_RSRC2:TGID_Y_EN: 0
; COMPUTE_PGM_RSRC2:TGID_Z_EN: 0
; COMPUTE_PGM_RSRC2:TIDIG_COMP_CNT: 0
; COMPUTE_PGM_RSRC3_GFX90A:ACCUM_OFFSET: 0
; COMPUTE_PGM_RSRC3_GFX90A:TG_SPLIT: 0
	.section	.text._ZN7rocprim17ROCPRIM_400000_NS6detail17trampoline_kernelINS0_14default_configENS1_25partition_config_selectorILNS1_17partition_subalgoE8EN3c108BFloat16ENS0_10empty_typeEbEEZZNS1_14partition_implILS5_8ELb0ES3_jPKS7_PS8_PKS8_NS0_5tupleIJPS7_S8_EEENSG_IJSD_SD_EEENS0_18inequality_wrapperIN6hipcub16HIPCUB_304000_NS8EqualityEEEPlJS8_EEE10hipError_tPvRmT3_T4_T5_T6_T7_T9_mT8_P12ihipStream_tbDpT10_ENKUlT_T0_E_clISt17integral_constantIbLb1EES18_IbLb0EEEEDaS14_S15_EUlS14_E_NS1_11comp_targetILNS1_3genE2ELNS1_11target_archE906ELNS1_3gpuE6ELNS1_3repE0EEENS1_30default_config_static_selectorELNS0_4arch9wavefront6targetE1EEEvT1_,"axG",@progbits,_ZN7rocprim17ROCPRIM_400000_NS6detail17trampoline_kernelINS0_14default_configENS1_25partition_config_selectorILNS1_17partition_subalgoE8EN3c108BFloat16ENS0_10empty_typeEbEEZZNS1_14partition_implILS5_8ELb0ES3_jPKS7_PS8_PKS8_NS0_5tupleIJPS7_S8_EEENSG_IJSD_SD_EEENS0_18inequality_wrapperIN6hipcub16HIPCUB_304000_NS8EqualityEEEPlJS8_EEE10hipError_tPvRmT3_T4_T5_T6_T7_T9_mT8_P12ihipStream_tbDpT10_ENKUlT_T0_E_clISt17integral_constantIbLb1EES18_IbLb0EEEEDaS14_S15_EUlS14_E_NS1_11comp_targetILNS1_3genE2ELNS1_11target_archE906ELNS1_3gpuE6ELNS1_3repE0EEENS1_30default_config_static_selectorELNS0_4arch9wavefront6targetE1EEEvT1_,comdat
	.protected	_ZN7rocprim17ROCPRIM_400000_NS6detail17trampoline_kernelINS0_14default_configENS1_25partition_config_selectorILNS1_17partition_subalgoE8EN3c108BFloat16ENS0_10empty_typeEbEEZZNS1_14partition_implILS5_8ELb0ES3_jPKS7_PS8_PKS8_NS0_5tupleIJPS7_S8_EEENSG_IJSD_SD_EEENS0_18inequality_wrapperIN6hipcub16HIPCUB_304000_NS8EqualityEEEPlJS8_EEE10hipError_tPvRmT3_T4_T5_T6_T7_T9_mT8_P12ihipStream_tbDpT10_ENKUlT_T0_E_clISt17integral_constantIbLb1EES18_IbLb0EEEEDaS14_S15_EUlS14_E_NS1_11comp_targetILNS1_3genE2ELNS1_11target_archE906ELNS1_3gpuE6ELNS1_3repE0EEENS1_30default_config_static_selectorELNS0_4arch9wavefront6targetE1EEEvT1_ ; -- Begin function _ZN7rocprim17ROCPRIM_400000_NS6detail17trampoline_kernelINS0_14default_configENS1_25partition_config_selectorILNS1_17partition_subalgoE8EN3c108BFloat16ENS0_10empty_typeEbEEZZNS1_14partition_implILS5_8ELb0ES3_jPKS7_PS8_PKS8_NS0_5tupleIJPS7_S8_EEENSG_IJSD_SD_EEENS0_18inequality_wrapperIN6hipcub16HIPCUB_304000_NS8EqualityEEEPlJS8_EEE10hipError_tPvRmT3_T4_T5_T6_T7_T9_mT8_P12ihipStream_tbDpT10_ENKUlT_T0_E_clISt17integral_constantIbLb1EES18_IbLb0EEEEDaS14_S15_EUlS14_E_NS1_11comp_targetILNS1_3genE2ELNS1_11target_archE906ELNS1_3gpuE6ELNS1_3repE0EEENS1_30default_config_static_selectorELNS0_4arch9wavefront6targetE1EEEvT1_
	.globl	_ZN7rocprim17ROCPRIM_400000_NS6detail17trampoline_kernelINS0_14default_configENS1_25partition_config_selectorILNS1_17partition_subalgoE8EN3c108BFloat16ENS0_10empty_typeEbEEZZNS1_14partition_implILS5_8ELb0ES3_jPKS7_PS8_PKS8_NS0_5tupleIJPS7_S8_EEENSG_IJSD_SD_EEENS0_18inequality_wrapperIN6hipcub16HIPCUB_304000_NS8EqualityEEEPlJS8_EEE10hipError_tPvRmT3_T4_T5_T6_T7_T9_mT8_P12ihipStream_tbDpT10_ENKUlT_T0_E_clISt17integral_constantIbLb1EES18_IbLb0EEEEDaS14_S15_EUlS14_E_NS1_11comp_targetILNS1_3genE2ELNS1_11target_archE906ELNS1_3gpuE6ELNS1_3repE0EEENS1_30default_config_static_selectorELNS0_4arch9wavefront6targetE1EEEvT1_
	.p2align	8
	.type	_ZN7rocprim17ROCPRIM_400000_NS6detail17trampoline_kernelINS0_14default_configENS1_25partition_config_selectorILNS1_17partition_subalgoE8EN3c108BFloat16ENS0_10empty_typeEbEEZZNS1_14partition_implILS5_8ELb0ES3_jPKS7_PS8_PKS8_NS0_5tupleIJPS7_S8_EEENSG_IJSD_SD_EEENS0_18inequality_wrapperIN6hipcub16HIPCUB_304000_NS8EqualityEEEPlJS8_EEE10hipError_tPvRmT3_T4_T5_T6_T7_T9_mT8_P12ihipStream_tbDpT10_ENKUlT_T0_E_clISt17integral_constantIbLb1EES18_IbLb0EEEEDaS14_S15_EUlS14_E_NS1_11comp_targetILNS1_3genE2ELNS1_11target_archE906ELNS1_3gpuE6ELNS1_3repE0EEENS1_30default_config_static_selectorELNS0_4arch9wavefront6targetE1EEEvT1_,@function
_ZN7rocprim17ROCPRIM_400000_NS6detail17trampoline_kernelINS0_14default_configENS1_25partition_config_selectorILNS1_17partition_subalgoE8EN3c108BFloat16ENS0_10empty_typeEbEEZZNS1_14partition_implILS5_8ELb0ES3_jPKS7_PS8_PKS8_NS0_5tupleIJPS7_S8_EEENSG_IJSD_SD_EEENS0_18inequality_wrapperIN6hipcub16HIPCUB_304000_NS8EqualityEEEPlJS8_EEE10hipError_tPvRmT3_T4_T5_T6_T7_T9_mT8_P12ihipStream_tbDpT10_ENKUlT_T0_E_clISt17integral_constantIbLb1EES18_IbLb0EEEEDaS14_S15_EUlS14_E_NS1_11comp_targetILNS1_3genE2ELNS1_11target_archE906ELNS1_3gpuE6ELNS1_3repE0EEENS1_30default_config_static_selectorELNS0_4arch9wavefront6targetE1EEEvT1_: ; @_ZN7rocprim17ROCPRIM_400000_NS6detail17trampoline_kernelINS0_14default_configENS1_25partition_config_selectorILNS1_17partition_subalgoE8EN3c108BFloat16ENS0_10empty_typeEbEEZZNS1_14partition_implILS5_8ELb0ES3_jPKS7_PS8_PKS8_NS0_5tupleIJPS7_S8_EEENSG_IJSD_SD_EEENS0_18inequality_wrapperIN6hipcub16HIPCUB_304000_NS8EqualityEEEPlJS8_EEE10hipError_tPvRmT3_T4_T5_T6_T7_T9_mT8_P12ihipStream_tbDpT10_ENKUlT_T0_E_clISt17integral_constantIbLb1EES18_IbLb0EEEEDaS14_S15_EUlS14_E_NS1_11comp_targetILNS1_3genE2ELNS1_11target_archE906ELNS1_3gpuE6ELNS1_3repE0EEENS1_30default_config_static_selectorELNS0_4arch9wavefront6targetE1EEEvT1_
; %bb.0:
	.section	.rodata,"a",@progbits
	.p2align	6, 0x0
	.amdhsa_kernel _ZN7rocprim17ROCPRIM_400000_NS6detail17trampoline_kernelINS0_14default_configENS1_25partition_config_selectorILNS1_17partition_subalgoE8EN3c108BFloat16ENS0_10empty_typeEbEEZZNS1_14partition_implILS5_8ELb0ES3_jPKS7_PS8_PKS8_NS0_5tupleIJPS7_S8_EEENSG_IJSD_SD_EEENS0_18inequality_wrapperIN6hipcub16HIPCUB_304000_NS8EqualityEEEPlJS8_EEE10hipError_tPvRmT3_T4_T5_T6_T7_T9_mT8_P12ihipStream_tbDpT10_ENKUlT_T0_E_clISt17integral_constantIbLb1EES18_IbLb0EEEEDaS14_S15_EUlS14_E_NS1_11comp_targetILNS1_3genE2ELNS1_11target_archE906ELNS1_3gpuE6ELNS1_3repE0EEENS1_30default_config_static_selectorELNS0_4arch9wavefront6targetE1EEEvT1_
		.amdhsa_group_segment_fixed_size 0
		.amdhsa_private_segment_fixed_size 0
		.amdhsa_kernarg_size 112
		.amdhsa_user_sgpr_count 6
		.amdhsa_user_sgpr_private_segment_buffer 1
		.amdhsa_user_sgpr_dispatch_ptr 0
		.amdhsa_user_sgpr_queue_ptr 0
		.amdhsa_user_sgpr_kernarg_segment_ptr 1
		.amdhsa_user_sgpr_dispatch_id 0
		.amdhsa_user_sgpr_flat_scratch_init 0
		.amdhsa_user_sgpr_kernarg_preload_length 0
		.amdhsa_user_sgpr_kernarg_preload_offset 0
		.amdhsa_user_sgpr_private_segment_size 0
		.amdhsa_uses_dynamic_stack 0
		.amdhsa_system_sgpr_private_segment_wavefront_offset 0
		.amdhsa_system_sgpr_workgroup_id_x 1
		.amdhsa_system_sgpr_workgroup_id_y 0
		.amdhsa_system_sgpr_workgroup_id_z 0
		.amdhsa_system_sgpr_workgroup_info 0
		.amdhsa_system_vgpr_workitem_id 0
		.amdhsa_next_free_vgpr 1
		.amdhsa_next_free_sgpr 0
		.amdhsa_accum_offset 4
		.amdhsa_reserve_vcc 0
		.amdhsa_reserve_flat_scratch 0
		.amdhsa_float_round_mode_32 0
		.amdhsa_float_round_mode_16_64 0
		.amdhsa_float_denorm_mode_32 3
		.amdhsa_float_denorm_mode_16_64 3
		.amdhsa_dx10_clamp 1
		.amdhsa_ieee_mode 1
		.amdhsa_fp16_overflow 0
		.amdhsa_tg_split 0
		.amdhsa_exception_fp_ieee_invalid_op 0
		.amdhsa_exception_fp_denorm_src 0
		.amdhsa_exception_fp_ieee_div_zero 0
		.amdhsa_exception_fp_ieee_overflow 0
		.amdhsa_exception_fp_ieee_underflow 0
		.amdhsa_exception_fp_ieee_inexact 0
		.amdhsa_exception_int_div_zero 0
	.end_amdhsa_kernel
	.section	.text._ZN7rocprim17ROCPRIM_400000_NS6detail17trampoline_kernelINS0_14default_configENS1_25partition_config_selectorILNS1_17partition_subalgoE8EN3c108BFloat16ENS0_10empty_typeEbEEZZNS1_14partition_implILS5_8ELb0ES3_jPKS7_PS8_PKS8_NS0_5tupleIJPS7_S8_EEENSG_IJSD_SD_EEENS0_18inequality_wrapperIN6hipcub16HIPCUB_304000_NS8EqualityEEEPlJS8_EEE10hipError_tPvRmT3_T4_T5_T6_T7_T9_mT8_P12ihipStream_tbDpT10_ENKUlT_T0_E_clISt17integral_constantIbLb1EES18_IbLb0EEEEDaS14_S15_EUlS14_E_NS1_11comp_targetILNS1_3genE2ELNS1_11target_archE906ELNS1_3gpuE6ELNS1_3repE0EEENS1_30default_config_static_selectorELNS0_4arch9wavefront6targetE1EEEvT1_,"axG",@progbits,_ZN7rocprim17ROCPRIM_400000_NS6detail17trampoline_kernelINS0_14default_configENS1_25partition_config_selectorILNS1_17partition_subalgoE8EN3c108BFloat16ENS0_10empty_typeEbEEZZNS1_14partition_implILS5_8ELb0ES3_jPKS7_PS8_PKS8_NS0_5tupleIJPS7_S8_EEENSG_IJSD_SD_EEENS0_18inequality_wrapperIN6hipcub16HIPCUB_304000_NS8EqualityEEEPlJS8_EEE10hipError_tPvRmT3_T4_T5_T6_T7_T9_mT8_P12ihipStream_tbDpT10_ENKUlT_T0_E_clISt17integral_constantIbLb1EES18_IbLb0EEEEDaS14_S15_EUlS14_E_NS1_11comp_targetILNS1_3genE2ELNS1_11target_archE906ELNS1_3gpuE6ELNS1_3repE0EEENS1_30default_config_static_selectorELNS0_4arch9wavefront6targetE1EEEvT1_,comdat
.Lfunc_end844:
	.size	_ZN7rocprim17ROCPRIM_400000_NS6detail17trampoline_kernelINS0_14default_configENS1_25partition_config_selectorILNS1_17partition_subalgoE8EN3c108BFloat16ENS0_10empty_typeEbEEZZNS1_14partition_implILS5_8ELb0ES3_jPKS7_PS8_PKS8_NS0_5tupleIJPS7_S8_EEENSG_IJSD_SD_EEENS0_18inequality_wrapperIN6hipcub16HIPCUB_304000_NS8EqualityEEEPlJS8_EEE10hipError_tPvRmT3_T4_T5_T6_T7_T9_mT8_P12ihipStream_tbDpT10_ENKUlT_T0_E_clISt17integral_constantIbLb1EES18_IbLb0EEEEDaS14_S15_EUlS14_E_NS1_11comp_targetILNS1_3genE2ELNS1_11target_archE906ELNS1_3gpuE6ELNS1_3repE0EEENS1_30default_config_static_selectorELNS0_4arch9wavefront6targetE1EEEvT1_, .Lfunc_end844-_ZN7rocprim17ROCPRIM_400000_NS6detail17trampoline_kernelINS0_14default_configENS1_25partition_config_selectorILNS1_17partition_subalgoE8EN3c108BFloat16ENS0_10empty_typeEbEEZZNS1_14partition_implILS5_8ELb0ES3_jPKS7_PS8_PKS8_NS0_5tupleIJPS7_S8_EEENSG_IJSD_SD_EEENS0_18inequality_wrapperIN6hipcub16HIPCUB_304000_NS8EqualityEEEPlJS8_EEE10hipError_tPvRmT3_T4_T5_T6_T7_T9_mT8_P12ihipStream_tbDpT10_ENKUlT_T0_E_clISt17integral_constantIbLb1EES18_IbLb0EEEEDaS14_S15_EUlS14_E_NS1_11comp_targetILNS1_3genE2ELNS1_11target_archE906ELNS1_3gpuE6ELNS1_3repE0EEENS1_30default_config_static_selectorELNS0_4arch9wavefront6targetE1EEEvT1_
                                        ; -- End function
	.section	.AMDGPU.csdata,"",@progbits
; Kernel info:
; codeLenInByte = 0
; NumSgprs: 4
; NumVgprs: 0
; NumAgprs: 0
; TotalNumVgprs: 0
; ScratchSize: 0
; MemoryBound: 0
; FloatMode: 240
; IeeeMode: 1
; LDSByteSize: 0 bytes/workgroup (compile time only)
; SGPRBlocks: 0
; VGPRBlocks: 0
; NumSGPRsForWavesPerEU: 4
; NumVGPRsForWavesPerEU: 1
; AccumOffset: 4
; Occupancy: 8
; WaveLimiterHint : 0
; COMPUTE_PGM_RSRC2:SCRATCH_EN: 0
; COMPUTE_PGM_RSRC2:USER_SGPR: 6
; COMPUTE_PGM_RSRC2:TRAP_HANDLER: 0
; COMPUTE_PGM_RSRC2:TGID_X_EN: 1
; COMPUTE_PGM_RSRC2:TGID_Y_EN: 0
; COMPUTE_PGM_RSRC2:TGID_Z_EN: 0
; COMPUTE_PGM_RSRC2:TIDIG_COMP_CNT: 0
; COMPUTE_PGM_RSRC3_GFX90A:ACCUM_OFFSET: 0
; COMPUTE_PGM_RSRC3_GFX90A:TG_SPLIT: 0
	.section	.text._ZN7rocprim17ROCPRIM_400000_NS6detail17trampoline_kernelINS0_14default_configENS1_25partition_config_selectorILNS1_17partition_subalgoE8EN3c108BFloat16ENS0_10empty_typeEbEEZZNS1_14partition_implILS5_8ELb0ES3_jPKS7_PS8_PKS8_NS0_5tupleIJPS7_S8_EEENSG_IJSD_SD_EEENS0_18inequality_wrapperIN6hipcub16HIPCUB_304000_NS8EqualityEEEPlJS8_EEE10hipError_tPvRmT3_T4_T5_T6_T7_T9_mT8_P12ihipStream_tbDpT10_ENKUlT_T0_E_clISt17integral_constantIbLb1EES18_IbLb0EEEEDaS14_S15_EUlS14_E_NS1_11comp_targetILNS1_3genE10ELNS1_11target_archE1200ELNS1_3gpuE4ELNS1_3repE0EEENS1_30default_config_static_selectorELNS0_4arch9wavefront6targetE1EEEvT1_,"axG",@progbits,_ZN7rocprim17ROCPRIM_400000_NS6detail17trampoline_kernelINS0_14default_configENS1_25partition_config_selectorILNS1_17partition_subalgoE8EN3c108BFloat16ENS0_10empty_typeEbEEZZNS1_14partition_implILS5_8ELb0ES3_jPKS7_PS8_PKS8_NS0_5tupleIJPS7_S8_EEENSG_IJSD_SD_EEENS0_18inequality_wrapperIN6hipcub16HIPCUB_304000_NS8EqualityEEEPlJS8_EEE10hipError_tPvRmT3_T4_T5_T6_T7_T9_mT8_P12ihipStream_tbDpT10_ENKUlT_T0_E_clISt17integral_constantIbLb1EES18_IbLb0EEEEDaS14_S15_EUlS14_E_NS1_11comp_targetILNS1_3genE10ELNS1_11target_archE1200ELNS1_3gpuE4ELNS1_3repE0EEENS1_30default_config_static_selectorELNS0_4arch9wavefront6targetE1EEEvT1_,comdat
	.protected	_ZN7rocprim17ROCPRIM_400000_NS6detail17trampoline_kernelINS0_14default_configENS1_25partition_config_selectorILNS1_17partition_subalgoE8EN3c108BFloat16ENS0_10empty_typeEbEEZZNS1_14partition_implILS5_8ELb0ES3_jPKS7_PS8_PKS8_NS0_5tupleIJPS7_S8_EEENSG_IJSD_SD_EEENS0_18inequality_wrapperIN6hipcub16HIPCUB_304000_NS8EqualityEEEPlJS8_EEE10hipError_tPvRmT3_T4_T5_T6_T7_T9_mT8_P12ihipStream_tbDpT10_ENKUlT_T0_E_clISt17integral_constantIbLb1EES18_IbLb0EEEEDaS14_S15_EUlS14_E_NS1_11comp_targetILNS1_3genE10ELNS1_11target_archE1200ELNS1_3gpuE4ELNS1_3repE0EEENS1_30default_config_static_selectorELNS0_4arch9wavefront6targetE1EEEvT1_ ; -- Begin function _ZN7rocprim17ROCPRIM_400000_NS6detail17trampoline_kernelINS0_14default_configENS1_25partition_config_selectorILNS1_17partition_subalgoE8EN3c108BFloat16ENS0_10empty_typeEbEEZZNS1_14partition_implILS5_8ELb0ES3_jPKS7_PS8_PKS8_NS0_5tupleIJPS7_S8_EEENSG_IJSD_SD_EEENS0_18inequality_wrapperIN6hipcub16HIPCUB_304000_NS8EqualityEEEPlJS8_EEE10hipError_tPvRmT3_T4_T5_T6_T7_T9_mT8_P12ihipStream_tbDpT10_ENKUlT_T0_E_clISt17integral_constantIbLb1EES18_IbLb0EEEEDaS14_S15_EUlS14_E_NS1_11comp_targetILNS1_3genE10ELNS1_11target_archE1200ELNS1_3gpuE4ELNS1_3repE0EEENS1_30default_config_static_selectorELNS0_4arch9wavefront6targetE1EEEvT1_
	.globl	_ZN7rocprim17ROCPRIM_400000_NS6detail17trampoline_kernelINS0_14default_configENS1_25partition_config_selectorILNS1_17partition_subalgoE8EN3c108BFloat16ENS0_10empty_typeEbEEZZNS1_14partition_implILS5_8ELb0ES3_jPKS7_PS8_PKS8_NS0_5tupleIJPS7_S8_EEENSG_IJSD_SD_EEENS0_18inequality_wrapperIN6hipcub16HIPCUB_304000_NS8EqualityEEEPlJS8_EEE10hipError_tPvRmT3_T4_T5_T6_T7_T9_mT8_P12ihipStream_tbDpT10_ENKUlT_T0_E_clISt17integral_constantIbLb1EES18_IbLb0EEEEDaS14_S15_EUlS14_E_NS1_11comp_targetILNS1_3genE10ELNS1_11target_archE1200ELNS1_3gpuE4ELNS1_3repE0EEENS1_30default_config_static_selectorELNS0_4arch9wavefront6targetE1EEEvT1_
	.p2align	8
	.type	_ZN7rocprim17ROCPRIM_400000_NS6detail17trampoline_kernelINS0_14default_configENS1_25partition_config_selectorILNS1_17partition_subalgoE8EN3c108BFloat16ENS0_10empty_typeEbEEZZNS1_14partition_implILS5_8ELb0ES3_jPKS7_PS8_PKS8_NS0_5tupleIJPS7_S8_EEENSG_IJSD_SD_EEENS0_18inequality_wrapperIN6hipcub16HIPCUB_304000_NS8EqualityEEEPlJS8_EEE10hipError_tPvRmT3_T4_T5_T6_T7_T9_mT8_P12ihipStream_tbDpT10_ENKUlT_T0_E_clISt17integral_constantIbLb1EES18_IbLb0EEEEDaS14_S15_EUlS14_E_NS1_11comp_targetILNS1_3genE10ELNS1_11target_archE1200ELNS1_3gpuE4ELNS1_3repE0EEENS1_30default_config_static_selectorELNS0_4arch9wavefront6targetE1EEEvT1_,@function
_ZN7rocprim17ROCPRIM_400000_NS6detail17trampoline_kernelINS0_14default_configENS1_25partition_config_selectorILNS1_17partition_subalgoE8EN3c108BFloat16ENS0_10empty_typeEbEEZZNS1_14partition_implILS5_8ELb0ES3_jPKS7_PS8_PKS8_NS0_5tupleIJPS7_S8_EEENSG_IJSD_SD_EEENS0_18inequality_wrapperIN6hipcub16HIPCUB_304000_NS8EqualityEEEPlJS8_EEE10hipError_tPvRmT3_T4_T5_T6_T7_T9_mT8_P12ihipStream_tbDpT10_ENKUlT_T0_E_clISt17integral_constantIbLb1EES18_IbLb0EEEEDaS14_S15_EUlS14_E_NS1_11comp_targetILNS1_3genE10ELNS1_11target_archE1200ELNS1_3gpuE4ELNS1_3repE0EEENS1_30default_config_static_selectorELNS0_4arch9wavefront6targetE1EEEvT1_: ; @_ZN7rocprim17ROCPRIM_400000_NS6detail17trampoline_kernelINS0_14default_configENS1_25partition_config_selectorILNS1_17partition_subalgoE8EN3c108BFloat16ENS0_10empty_typeEbEEZZNS1_14partition_implILS5_8ELb0ES3_jPKS7_PS8_PKS8_NS0_5tupleIJPS7_S8_EEENSG_IJSD_SD_EEENS0_18inequality_wrapperIN6hipcub16HIPCUB_304000_NS8EqualityEEEPlJS8_EEE10hipError_tPvRmT3_T4_T5_T6_T7_T9_mT8_P12ihipStream_tbDpT10_ENKUlT_T0_E_clISt17integral_constantIbLb1EES18_IbLb0EEEEDaS14_S15_EUlS14_E_NS1_11comp_targetILNS1_3genE10ELNS1_11target_archE1200ELNS1_3gpuE4ELNS1_3repE0EEENS1_30default_config_static_selectorELNS0_4arch9wavefront6targetE1EEEvT1_
; %bb.0:
	.section	.rodata,"a",@progbits
	.p2align	6, 0x0
	.amdhsa_kernel _ZN7rocprim17ROCPRIM_400000_NS6detail17trampoline_kernelINS0_14default_configENS1_25partition_config_selectorILNS1_17partition_subalgoE8EN3c108BFloat16ENS0_10empty_typeEbEEZZNS1_14partition_implILS5_8ELb0ES3_jPKS7_PS8_PKS8_NS0_5tupleIJPS7_S8_EEENSG_IJSD_SD_EEENS0_18inequality_wrapperIN6hipcub16HIPCUB_304000_NS8EqualityEEEPlJS8_EEE10hipError_tPvRmT3_T4_T5_T6_T7_T9_mT8_P12ihipStream_tbDpT10_ENKUlT_T0_E_clISt17integral_constantIbLb1EES18_IbLb0EEEEDaS14_S15_EUlS14_E_NS1_11comp_targetILNS1_3genE10ELNS1_11target_archE1200ELNS1_3gpuE4ELNS1_3repE0EEENS1_30default_config_static_selectorELNS0_4arch9wavefront6targetE1EEEvT1_
		.amdhsa_group_segment_fixed_size 0
		.amdhsa_private_segment_fixed_size 0
		.amdhsa_kernarg_size 112
		.amdhsa_user_sgpr_count 6
		.amdhsa_user_sgpr_private_segment_buffer 1
		.amdhsa_user_sgpr_dispatch_ptr 0
		.amdhsa_user_sgpr_queue_ptr 0
		.amdhsa_user_sgpr_kernarg_segment_ptr 1
		.amdhsa_user_sgpr_dispatch_id 0
		.amdhsa_user_sgpr_flat_scratch_init 0
		.amdhsa_user_sgpr_kernarg_preload_length 0
		.amdhsa_user_sgpr_kernarg_preload_offset 0
		.amdhsa_user_sgpr_private_segment_size 0
		.amdhsa_uses_dynamic_stack 0
		.amdhsa_system_sgpr_private_segment_wavefront_offset 0
		.amdhsa_system_sgpr_workgroup_id_x 1
		.amdhsa_system_sgpr_workgroup_id_y 0
		.amdhsa_system_sgpr_workgroup_id_z 0
		.amdhsa_system_sgpr_workgroup_info 0
		.amdhsa_system_vgpr_workitem_id 0
		.amdhsa_next_free_vgpr 1
		.amdhsa_next_free_sgpr 0
		.amdhsa_accum_offset 4
		.amdhsa_reserve_vcc 0
		.amdhsa_reserve_flat_scratch 0
		.amdhsa_float_round_mode_32 0
		.amdhsa_float_round_mode_16_64 0
		.amdhsa_float_denorm_mode_32 3
		.amdhsa_float_denorm_mode_16_64 3
		.amdhsa_dx10_clamp 1
		.amdhsa_ieee_mode 1
		.amdhsa_fp16_overflow 0
		.amdhsa_tg_split 0
		.amdhsa_exception_fp_ieee_invalid_op 0
		.amdhsa_exception_fp_denorm_src 0
		.amdhsa_exception_fp_ieee_div_zero 0
		.amdhsa_exception_fp_ieee_overflow 0
		.amdhsa_exception_fp_ieee_underflow 0
		.amdhsa_exception_fp_ieee_inexact 0
		.amdhsa_exception_int_div_zero 0
	.end_amdhsa_kernel
	.section	.text._ZN7rocprim17ROCPRIM_400000_NS6detail17trampoline_kernelINS0_14default_configENS1_25partition_config_selectorILNS1_17partition_subalgoE8EN3c108BFloat16ENS0_10empty_typeEbEEZZNS1_14partition_implILS5_8ELb0ES3_jPKS7_PS8_PKS8_NS0_5tupleIJPS7_S8_EEENSG_IJSD_SD_EEENS0_18inequality_wrapperIN6hipcub16HIPCUB_304000_NS8EqualityEEEPlJS8_EEE10hipError_tPvRmT3_T4_T5_T6_T7_T9_mT8_P12ihipStream_tbDpT10_ENKUlT_T0_E_clISt17integral_constantIbLb1EES18_IbLb0EEEEDaS14_S15_EUlS14_E_NS1_11comp_targetILNS1_3genE10ELNS1_11target_archE1200ELNS1_3gpuE4ELNS1_3repE0EEENS1_30default_config_static_selectorELNS0_4arch9wavefront6targetE1EEEvT1_,"axG",@progbits,_ZN7rocprim17ROCPRIM_400000_NS6detail17trampoline_kernelINS0_14default_configENS1_25partition_config_selectorILNS1_17partition_subalgoE8EN3c108BFloat16ENS0_10empty_typeEbEEZZNS1_14partition_implILS5_8ELb0ES3_jPKS7_PS8_PKS8_NS0_5tupleIJPS7_S8_EEENSG_IJSD_SD_EEENS0_18inequality_wrapperIN6hipcub16HIPCUB_304000_NS8EqualityEEEPlJS8_EEE10hipError_tPvRmT3_T4_T5_T6_T7_T9_mT8_P12ihipStream_tbDpT10_ENKUlT_T0_E_clISt17integral_constantIbLb1EES18_IbLb0EEEEDaS14_S15_EUlS14_E_NS1_11comp_targetILNS1_3genE10ELNS1_11target_archE1200ELNS1_3gpuE4ELNS1_3repE0EEENS1_30default_config_static_selectorELNS0_4arch9wavefront6targetE1EEEvT1_,comdat
.Lfunc_end845:
	.size	_ZN7rocprim17ROCPRIM_400000_NS6detail17trampoline_kernelINS0_14default_configENS1_25partition_config_selectorILNS1_17partition_subalgoE8EN3c108BFloat16ENS0_10empty_typeEbEEZZNS1_14partition_implILS5_8ELb0ES3_jPKS7_PS8_PKS8_NS0_5tupleIJPS7_S8_EEENSG_IJSD_SD_EEENS0_18inequality_wrapperIN6hipcub16HIPCUB_304000_NS8EqualityEEEPlJS8_EEE10hipError_tPvRmT3_T4_T5_T6_T7_T9_mT8_P12ihipStream_tbDpT10_ENKUlT_T0_E_clISt17integral_constantIbLb1EES18_IbLb0EEEEDaS14_S15_EUlS14_E_NS1_11comp_targetILNS1_3genE10ELNS1_11target_archE1200ELNS1_3gpuE4ELNS1_3repE0EEENS1_30default_config_static_selectorELNS0_4arch9wavefront6targetE1EEEvT1_, .Lfunc_end845-_ZN7rocprim17ROCPRIM_400000_NS6detail17trampoline_kernelINS0_14default_configENS1_25partition_config_selectorILNS1_17partition_subalgoE8EN3c108BFloat16ENS0_10empty_typeEbEEZZNS1_14partition_implILS5_8ELb0ES3_jPKS7_PS8_PKS8_NS0_5tupleIJPS7_S8_EEENSG_IJSD_SD_EEENS0_18inequality_wrapperIN6hipcub16HIPCUB_304000_NS8EqualityEEEPlJS8_EEE10hipError_tPvRmT3_T4_T5_T6_T7_T9_mT8_P12ihipStream_tbDpT10_ENKUlT_T0_E_clISt17integral_constantIbLb1EES18_IbLb0EEEEDaS14_S15_EUlS14_E_NS1_11comp_targetILNS1_3genE10ELNS1_11target_archE1200ELNS1_3gpuE4ELNS1_3repE0EEENS1_30default_config_static_selectorELNS0_4arch9wavefront6targetE1EEEvT1_
                                        ; -- End function
	.section	.AMDGPU.csdata,"",@progbits
; Kernel info:
; codeLenInByte = 0
; NumSgprs: 4
; NumVgprs: 0
; NumAgprs: 0
; TotalNumVgprs: 0
; ScratchSize: 0
; MemoryBound: 0
; FloatMode: 240
; IeeeMode: 1
; LDSByteSize: 0 bytes/workgroup (compile time only)
; SGPRBlocks: 0
; VGPRBlocks: 0
; NumSGPRsForWavesPerEU: 4
; NumVGPRsForWavesPerEU: 1
; AccumOffset: 4
; Occupancy: 8
; WaveLimiterHint : 0
; COMPUTE_PGM_RSRC2:SCRATCH_EN: 0
; COMPUTE_PGM_RSRC2:USER_SGPR: 6
; COMPUTE_PGM_RSRC2:TRAP_HANDLER: 0
; COMPUTE_PGM_RSRC2:TGID_X_EN: 1
; COMPUTE_PGM_RSRC2:TGID_Y_EN: 0
; COMPUTE_PGM_RSRC2:TGID_Z_EN: 0
; COMPUTE_PGM_RSRC2:TIDIG_COMP_CNT: 0
; COMPUTE_PGM_RSRC3_GFX90A:ACCUM_OFFSET: 0
; COMPUTE_PGM_RSRC3_GFX90A:TG_SPLIT: 0
	.section	.text._ZN7rocprim17ROCPRIM_400000_NS6detail17trampoline_kernelINS0_14default_configENS1_25partition_config_selectorILNS1_17partition_subalgoE8EN3c108BFloat16ENS0_10empty_typeEbEEZZNS1_14partition_implILS5_8ELb0ES3_jPKS7_PS8_PKS8_NS0_5tupleIJPS7_S8_EEENSG_IJSD_SD_EEENS0_18inequality_wrapperIN6hipcub16HIPCUB_304000_NS8EqualityEEEPlJS8_EEE10hipError_tPvRmT3_T4_T5_T6_T7_T9_mT8_P12ihipStream_tbDpT10_ENKUlT_T0_E_clISt17integral_constantIbLb1EES18_IbLb0EEEEDaS14_S15_EUlS14_E_NS1_11comp_targetILNS1_3genE9ELNS1_11target_archE1100ELNS1_3gpuE3ELNS1_3repE0EEENS1_30default_config_static_selectorELNS0_4arch9wavefront6targetE1EEEvT1_,"axG",@progbits,_ZN7rocprim17ROCPRIM_400000_NS6detail17trampoline_kernelINS0_14default_configENS1_25partition_config_selectorILNS1_17partition_subalgoE8EN3c108BFloat16ENS0_10empty_typeEbEEZZNS1_14partition_implILS5_8ELb0ES3_jPKS7_PS8_PKS8_NS0_5tupleIJPS7_S8_EEENSG_IJSD_SD_EEENS0_18inequality_wrapperIN6hipcub16HIPCUB_304000_NS8EqualityEEEPlJS8_EEE10hipError_tPvRmT3_T4_T5_T6_T7_T9_mT8_P12ihipStream_tbDpT10_ENKUlT_T0_E_clISt17integral_constantIbLb1EES18_IbLb0EEEEDaS14_S15_EUlS14_E_NS1_11comp_targetILNS1_3genE9ELNS1_11target_archE1100ELNS1_3gpuE3ELNS1_3repE0EEENS1_30default_config_static_selectorELNS0_4arch9wavefront6targetE1EEEvT1_,comdat
	.protected	_ZN7rocprim17ROCPRIM_400000_NS6detail17trampoline_kernelINS0_14default_configENS1_25partition_config_selectorILNS1_17partition_subalgoE8EN3c108BFloat16ENS0_10empty_typeEbEEZZNS1_14partition_implILS5_8ELb0ES3_jPKS7_PS8_PKS8_NS0_5tupleIJPS7_S8_EEENSG_IJSD_SD_EEENS0_18inequality_wrapperIN6hipcub16HIPCUB_304000_NS8EqualityEEEPlJS8_EEE10hipError_tPvRmT3_T4_T5_T6_T7_T9_mT8_P12ihipStream_tbDpT10_ENKUlT_T0_E_clISt17integral_constantIbLb1EES18_IbLb0EEEEDaS14_S15_EUlS14_E_NS1_11comp_targetILNS1_3genE9ELNS1_11target_archE1100ELNS1_3gpuE3ELNS1_3repE0EEENS1_30default_config_static_selectorELNS0_4arch9wavefront6targetE1EEEvT1_ ; -- Begin function _ZN7rocprim17ROCPRIM_400000_NS6detail17trampoline_kernelINS0_14default_configENS1_25partition_config_selectorILNS1_17partition_subalgoE8EN3c108BFloat16ENS0_10empty_typeEbEEZZNS1_14partition_implILS5_8ELb0ES3_jPKS7_PS8_PKS8_NS0_5tupleIJPS7_S8_EEENSG_IJSD_SD_EEENS0_18inequality_wrapperIN6hipcub16HIPCUB_304000_NS8EqualityEEEPlJS8_EEE10hipError_tPvRmT3_T4_T5_T6_T7_T9_mT8_P12ihipStream_tbDpT10_ENKUlT_T0_E_clISt17integral_constantIbLb1EES18_IbLb0EEEEDaS14_S15_EUlS14_E_NS1_11comp_targetILNS1_3genE9ELNS1_11target_archE1100ELNS1_3gpuE3ELNS1_3repE0EEENS1_30default_config_static_selectorELNS0_4arch9wavefront6targetE1EEEvT1_
	.globl	_ZN7rocprim17ROCPRIM_400000_NS6detail17trampoline_kernelINS0_14default_configENS1_25partition_config_selectorILNS1_17partition_subalgoE8EN3c108BFloat16ENS0_10empty_typeEbEEZZNS1_14partition_implILS5_8ELb0ES3_jPKS7_PS8_PKS8_NS0_5tupleIJPS7_S8_EEENSG_IJSD_SD_EEENS0_18inequality_wrapperIN6hipcub16HIPCUB_304000_NS8EqualityEEEPlJS8_EEE10hipError_tPvRmT3_T4_T5_T6_T7_T9_mT8_P12ihipStream_tbDpT10_ENKUlT_T0_E_clISt17integral_constantIbLb1EES18_IbLb0EEEEDaS14_S15_EUlS14_E_NS1_11comp_targetILNS1_3genE9ELNS1_11target_archE1100ELNS1_3gpuE3ELNS1_3repE0EEENS1_30default_config_static_selectorELNS0_4arch9wavefront6targetE1EEEvT1_
	.p2align	8
	.type	_ZN7rocprim17ROCPRIM_400000_NS6detail17trampoline_kernelINS0_14default_configENS1_25partition_config_selectorILNS1_17partition_subalgoE8EN3c108BFloat16ENS0_10empty_typeEbEEZZNS1_14partition_implILS5_8ELb0ES3_jPKS7_PS8_PKS8_NS0_5tupleIJPS7_S8_EEENSG_IJSD_SD_EEENS0_18inequality_wrapperIN6hipcub16HIPCUB_304000_NS8EqualityEEEPlJS8_EEE10hipError_tPvRmT3_T4_T5_T6_T7_T9_mT8_P12ihipStream_tbDpT10_ENKUlT_T0_E_clISt17integral_constantIbLb1EES18_IbLb0EEEEDaS14_S15_EUlS14_E_NS1_11comp_targetILNS1_3genE9ELNS1_11target_archE1100ELNS1_3gpuE3ELNS1_3repE0EEENS1_30default_config_static_selectorELNS0_4arch9wavefront6targetE1EEEvT1_,@function
_ZN7rocprim17ROCPRIM_400000_NS6detail17trampoline_kernelINS0_14default_configENS1_25partition_config_selectorILNS1_17partition_subalgoE8EN3c108BFloat16ENS0_10empty_typeEbEEZZNS1_14partition_implILS5_8ELb0ES3_jPKS7_PS8_PKS8_NS0_5tupleIJPS7_S8_EEENSG_IJSD_SD_EEENS0_18inequality_wrapperIN6hipcub16HIPCUB_304000_NS8EqualityEEEPlJS8_EEE10hipError_tPvRmT3_T4_T5_T6_T7_T9_mT8_P12ihipStream_tbDpT10_ENKUlT_T0_E_clISt17integral_constantIbLb1EES18_IbLb0EEEEDaS14_S15_EUlS14_E_NS1_11comp_targetILNS1_3genE9ELNS1_11target_archE1100ELNS1_3gpuE3ELNS1_3repE0EEENS1_30default_config_static_selectorELNS0_4arch9wavefront6targetE1EEEvT1_: ; @_ZN7rocprim17ROCPRIM_400000_NS6detail17trampoline_kernelINS0_14default_configENS1_25partition_config_selectorILNS1_17partition_subalgoE8EN3c108BFloat16ENS0_10empty_typeEbEEZZNS1_14partition_implILS5_8ELb0ES3_jPKS7_PS8_PKS8_NS0_5tupleIJPS7_S8_EEENSG_IJSD_SD_EEENS0_18inequality_wrapperIN6hipcub16HIPCUB_304000_NS8EqualityEEEPlJS8_EEE10hipError_tPvRmT3_T4_T5_T6_T7_T9_mT8_P12ihipStream_tbDpT10_ENKUlT_T0_E_clISt17integral_constantIbLb1EES18_IbLb0EEEEDaS14_S15_EUlS14_E_NS1_11comp_targetILNS1_3genE9ELNS1_11target_archE1100ELNS1_3gpuE3ELNS1_3repE0EEENS1_30default_config_static_selectorELNS0_4arch9wavefront6targetE1EEEvT1_
; %bb.0:
	.section	.rodata,"a",@progbits
	.p2align	6, 0x0
	.amdhsa_kernel _ZN7rocprim17ROCPRIM_400000_NS6detail17trampoline_kernelINS0_14default_configENS1_25partition_config_selectorILNS1_17partition_subalgoE8EN3c108BFloat16ENS0_10empty_typeEbEEZZNS1_14partition_implILS5_8ELb0ES3_jPKS7_PS8_PKS8_NS0_5tupleIJPS7_S8_EEENSG_IJSD_SD_EEENS0_18inequality_wrapperIN6hipcub16HIPCUB_304000_NS8EqualityEEEPlJS8_EEE10hipError_tPvRmT3_T4_T5_T6_T7_T9_mT8_P12ihipStream_tbDpT10_ENKUlT_T0_E_clISt17integral_constantIbLb1EES18_IbLb0EEEEDaS14_S15_EUlS14_E_NS1_11comp_targetILNS1_3genE9ELNS1_11target_archE1100ELNS1_3gpuE3ELNS1_3repE0EEENS1_30default_config_static_selectorELNS0_4arch9wavefront6targetE1EEEvT1_
		.amdhsa_group_segment_fixed_size 0
		.amdhsa_private_segment_fixed_size 0
		.amdhsa_kernarg_size 112
		.amdhsa_user_sgpr_count 6
		.amdhsa_user_sgpr_private_segment_buffer 1
		.amdhsa_user_sgpr_dispatch_ptr 0
		.amdhsa_user_sgpr_queue_ptr 0
		.amdhsa_user_sgpr_kernarg_segment_ptr 1
		.amdhsa_user_sgpr_dispatch_id 0
		.amdhsa_user_sgpr_flat_scratch_init 0
		.amdhsa_user_sgpr_kernarg_preload_length 0
		.amdhsa_user_sgpr_kernarg_preload_offset 0
		.amdhsa_user_sgpr_private_segment_size 0
		.amdhsa_uses_dynamic_stack 0
		.amdhsa_system_sgpr_private_segment_wavefront_offset 0
		.amdhsa_system_sgpr_workgroup_id_x 1
		.amdhsa_system_sgpr_workgroup_id_y 0
		.amdhsa_system_sgpr_workgroup_id_z 0
		.amdhsa_system_sgpr_workgroup_info 0
		.amdhsa_system_vgpr_workitem_id 0
		.amdhsa_next_free_vgpr 1
		.amdhsa_next_free_sgpr 0
		.amdhsa_accum_offset 4
		.amdhsa_reserve_vcc 0
		.amdhsa_reserve_flat_scratch 0
		.amdhsa_float_round_mode_32 0
		.amdhsa_float_round_mode_16_64 0
		.amdhsa_float_denorm_mode_32 3
		.amdhsa_float_denorm_mode_16_64 3
		.amdhsa_dx10_clamp 1
		.amdhsa_ieee_mode 1
		.amdhsa_fp16_overflow 0
		.amdhsa_tg_split 0
		.amdhsa_exception_fp_ieee_invalid_op 0
		.amdhsa_exception_fp_denorm_src 0
		.amdhsa_exception_fp_ieee_div_zero 0
		.amdhsa_exception_fp_ieee_overflow 0
		.amdhsa_exception_fp_ieee_underflow 0
		.amdhsa_exception_fp_ieee_inexact 0
		.amdhsa_exception_int_div_zero 0
	.end_amdhsa_kernel
	.section	.text._ZN7rocprim17ROCPRIM_400000_NS6detail17trampoline_kernelINS0_14default_configENS1_25partition_config_selectorILNS1_17partition_subalgoE8EN3c108BFloat16ENS0_10empty_typeEbEEZZNS1_14partition_implILS5_8ELb0ES3_jPKS7_PS8_PKS8_NS0_5tupleIJPS7_S8_EEENSG_IJSD_SD_EEENS0_18inequality_wrapperIN6hipcub16HIPCUB_304000_NS8EqualityEEEPlJS8_EEE10hipError_tPvRmT3_T4_T5_T6_T7_T9_mT8_P12ihipStream_tbDpT10_ENKUlT_T0_E_clISt17integral_constantIbLb1EES18_IbLb0EEEEDaS14_S15_EUlS14_E_NS1_11comp_targetILNS1_3genE9ELNS1_11target_archE1100ELNS1_3gpuE3ELNS1_3repE0EEENS1_30default_config_static_selectorELNS0_4arch9wavefront6targetE1EEEvT1_,"axG",@progbits,_ZN7rocprim17ROCPRIM_400000_NS6detail17trampoline_kernelINS0_14default_configENS1_25partition_config_selectorILNS1_17partition_subalgoE8EN3c108BFloat16ENS0_10empty_typeEbEEZZNS1_14partition_implILS5_8ELb0ES3_jPKS7_PS8_PKS8_NS0_5tupleIJPS7_S8_EEENSG_IJSD_SD_EEENS0_18inequality_wrapperIN6hipcub16HIPCUB_304000_NS8EqualityEEEPlJS8_EEE10hipError_tPvRmT3_T4_T5_T6_T7_T9_mT8_P12ihipStream_tbDpT10_ENKUlT_T0_E_clISt17integral_constantIbLb1EES18_IbLb0EEEEDaS14_S15_EUlS14_E_NS1_11comp_targetILNS1_3genE9ELNS1_11target_archE1100ELNS1_3gpuE3ELNS1_3repE0EEENS1_30default_config_static_selectorELNS0_4arch9wavefront6targetE1EEEvT1_,comdat
.Lfunc_end846:
	.size	_ZN7rocprim17ROCPRIM_400000_NS6detail17trampoline_kernelINS0_14default_configENS1_25partition_config_selectorILNS1_17partition_subalgoE8EN3c108BFloat16ENS0_10empty_typeEbEEZZNS1_14partition_implILS5_8ELb0ES3_jPKS7_PS8_PKS8_NS0_5tupleIJPS7_S8_EEENSG_IJSD_SD_EEENS0_18inequality_wrapperIN6hipcub16HIPCUB_304000_NS8EqualityEEEPlJS8_EEE10hipError_tPvRmT3_T4_T5_T6_T7_T9_mT8_P12ihipStream_tbDpT10_ENKUlT_T0_E_clISt17integral_constantIbLb1EES18_IbLb0EEEEDaS14_S15_EUlS14_E_NS1_11comp_targetILNS1_3genE9ELNS1_11target_archE1100ELNS1_3gpuE3ELNS1_3repE0EEENS1_30default_config_static_selectorELNS0_4arch9wavefront6targetE1EEEvT1_, .Lfunc_end846-_ZN7rocprim17ROCPRIM_400000_NS6detail17trampoline_kernelINS0_14default_configENS1_25partition_config_selectorILNS1_17partition_subalgoE8EN3c108BFloat16ENS0_10empty_typeEbEEZZNS1_14partition_implILS5_8ELb0ES3_jPKS7_PS8_PKS8_NS0_5tupleIJPS7_S8_EEENSG_IJSD_SD_EEENS0_18inequality_wrapperIN6hipcub16HIPCUB_304000_NS8EqualityEEEPlJS8_EEE10hipError_tPvRmT3_T4_T5_T6_T7_T9_mT8_P12ihipStream_tbDpT10_ENKUlT_T0_E_clISt17integral_constantIbLb1EES18_IbLb0EEEEDaS14_S15_EUlS14_E_NS1_11comp_targetILNS1_3genE9ELNS1_11target_archE1100ELNS1_3gpuE3ELNS1_3repE0EEENS1_30default_config_static_selectorELNS0_4arch9wavefront6targetE1EEEvT1_
                                        ; -- End function
	.section	.AMDGPU.csdata,"",@progbits
; Kernel info:
; codeLenInByte = 0
; NumSgprs: 4
; NumVgprs: 0
; NumAgprs: 0
; TotalNumVgprs: 0
; ScratchSize: 0
; MemoryBound: 0
; FloatMode: 240
; IeeeMode: 1
; LDSByteSize: 0 bytes/workgroup (compile time only)
; SGPRBlocks: 0
; VGPRBlocks: 0
; NumSGPRsForWavesPerEU: 4
; NumVGPRsForWavesPerEU: 1
; AccumOffset: 4
; Occupancy: 8
; WaveLimiterHint : 0
; COMPUTE_PGM_RSRC2:SCRATCH_EN: 0
; COMPUTE_PGM_RSRC2:USER_SGPR: 6
; COMPUTE_PGM_RSRC2:TRAP_HANDLER: 0
; COMPUTE_PGM_RSRC2:TGID_X_EN: 1
; COMPUTE_PGM_RSRC2:TGID_Y_EN: 0
; COMPUTE_PGM_RSRC2:TGID_Z_EN: 0
; COMPUTE_PGM_RSRC2:TIDIG_COMP_CNT: 0
; COMPUTE_PGM_RSRC3_GFX90A:ACCUM_OFFSET: 0
; COMPUTE_PGM_RSRC3_GFX90A:TG_SPLIT: 0
	.section	.text._ZN7rocprim17ROCPRIM_400000_NS6detail17trampoline_kernelINS0_14default_configENS1_25partition_config_selectorILNS1_17partition_subalgoE8EN3c108BFloat16ENS0_10empty_typeEbEEZZNS1_14partition_implILS5_8ELb0ES3_jPKS7_PS8_PKS8_NS0_5tupleIJPS7_S8_EEENSG_IJSD_SD_EEENS0_18inequality_wrapperIN6hipcub16HIPCUB_304000_NS8EqualityEEEPlJS8_EEE10hipError_tPvRmT3_T4_T5_T6_T7_T9_mT8_P12ihipStream_tbDpT10_ENKUlT_T0_E_clISt17integral_constantIbLb1EES18_IbLb0EEEEDaS14_S15_EUlS14_E_NS1_11comp_targetILNS1_3genE8ELNS1_11target_archE1030ELNS1_3gpuE2ELNS1_3repE0EEENS1_30default_config_static_selectorELNS0_4arch9wavefront6targetE1EEEvT1_,"axG",@progbits,_ZN7rocprim17ROCPRIM_400000_NS6detail17trampoline_kernelINS0_14default_configENS1_25partition_config_selectorILNS1_17partition_subalgoE8EN3c108BFloat16ENS0_10empty_typeEbEEZZNS1_14partition_implILS5_8ELb0ES3_jPKS7_PS8_PKS8_NS0_5tupleIJPS7_S8_EEENSG_IJSD_SD_EEENS0_18inequality_wrapperIN6hipcub16HIPCUB_304000_NS8EqualityEEEPlJS8_EEE10hipError_tPvRmT3_T4_T5_T6_T7_T9_mT8_P12ihipStream_tbDpT10_ENKUlT_T0_E_clISt17integral_constantIbLb1EES18_IbLb0EEEEDaS14_S15_EUlS14_E_NS1_11comp_targetILNS1_3genE8ELNS1_11target_archE1030ELNS1_3gpuE2ELNS1_3repE0EEENS1_30default_config_static_selectorELNS0_4arch9wavefront6targetE1EEEvT1_,comdat
	.protected	_ZN7rocprim17ROCPRIM_400000_NS6detail17trampoline_kernelINS0_14default_configENS1_25partition_config_selectorILNS1_17partition_subalgoE8EN3c108BFloat16ENS0_10empty_typeEbEEZZNS1_14partition_implILS5_8ELb0ES3_jPKS7_PS8_PKS8_NS0_5tupleIJPS7_S8_EEENSG_IJSD_SD_EEENS0_18inequality_wrapperIN6hipcub16HIPCUB_304000_NS8EqualityEEEPlJS8_EEE10hipError_tPvRmT3_T4_T5_T6_T7_T9_mT8_P12ihipStream_tbDpT10_ENKUlT_T0_E_clISt17integral_constantIbLb1EES18_IbLb0EEEEDaS14_S15_EUlS14_E_NS1_11comp_targetILNS1_3genE8ELNS1_11target_archE1030ELNS1_3gpuE2ELNS1_3repE0EEENS1_30default_config_static_selectorELNS0_4arch9wavefront6targetE1EEEvT1_ ; -- Begin function _ZN7rocprim17ROCPRIM_400000_NS6detail17trampoline_kernelINS0_14default_configENS1_25partition_config_selectorILNS1_17partition_subalgoE8EN3c108BFloat16ENS0_10empty_typeEbEEZZNS1_14partition_implILS5_8ELb0ES3_jPKS7_PS8_PKS8_NS0_5tupleIJPS7_S8_EEENSG_IJSD_SD_EEENS0_18inequality_wrapperIN6hipcub16HIPCUB_304000_NS8EqualityEEEPlJS8_EEE10hipError_tPvRmT3_T4_T5_T6_T7_T9_mT8_P12ihipStream_tbDpT10_ENKUlT_T0_E_clISt17integral_constantIbLb1EES18_IbLb0EEEEDaS14_S15_EUlS14_E_NS1_11comp_targetILNS1_3genE8ELNS1_11target_archE1030ELNS1_3gpuE2ELNS1_3repE0EEENS1_30default_config_static_selectorELNS0_4arch9wavefront6targetE1EEEvT1_
	.globl	_ZN7rocprim17ROCPRIM_400000_NS6detail17trampoline_kernelINS0_14default_configENS1_25partition_config_selectorILNS1_17partition_subalgoE8EN3c108BFloat16ENS0_10empty_typeEbEEZZNS1_14partition_implILS5_8ELb0ES3_jPKS7_PS8_PKS8_NS0_5tupleIJPS7_S8_EEENSG_IJSD_SD_EEENS0_18inequality_wrapperIN6hipcub16HIPCUB_304000_NS8EqualityEEEPlJS8_EEE10hipError_tPvRmT3_T4_T5_T6_T7_T9_mT8_P12ihipStream_tbDpT10_ENKUlT_T0_E_clISt17integral_constantIbLb1EES18_IbLb0EEEEDaS14_S15_EUlS14_E_NS1_11comp_targetILNS1_3genE8ELNS1_11target_archE1030ELNS1_3gpuE2ELNS1_3repE0EEENS1_30default_config_static_selectorELNS0_4arch9wavefront6targetE1EEEvT1_
	.p2align	8
	.type	_ZN7rocprim17ROCPRIM_400000_NS6detail17trampoline_kernelINS0_14default_configENS1_25partition_config_selectorILNS1_17partition_subalgoE8EN3c108BFloat16ENS0_10empty_typeEbEEZZNS1_14partition_implILS5_8ELb0ES3_jPKS7_PS8_PKS8_NS0_5tupleIJPS7_S8_EEENSG_IJSD_SD_EEENS0_18inequality_wrapperIN6hipcub16HIPCUB_304000_NS8EqualityEEEPlJS8_EEE10hipError_tPvRmT3_T4_T5_T6_T7_T9_mT8_P12ihipStream_tbDpT10_ENKUlT_T0_E_clISt17integral_constantIbLb1EES18_IbLb0EEEEDaS14_S15_EUlS14_E_NS1_11comp_targetILNS1_3genE8ELNS1_11target_archE1030ELNS1_3gpuE2ELNS1_3repE0EEENS1_30default_config_static_selectorELNS0_4arch9wavefront6targetE1EEEvT1_,@function
_ZN7rocprim17ROCPRIM_400000_NS6detail17trampoline_kernelINS0_14default_configENS1_25partition_config_selectorILNS1_17partition_subalgoE8EN3c108BFloat16ENS0_10empty_typeEbEEZZNS1_14partition_implILS5_8ELb0ES3_jPKS7_PS8_PKS8_NS0_5tupleIJPS7_S8_EEENSG_IJSD_SD_EEENS0_18inequality_wrapperIN6hipcub16HIPCUB_304000_NS8EqualityEEEPlJS8_EEE10hipError_tPvRmT3_T4_T5_T6_T7_T9_mT8_P12ihipStream_tbDpT10_ENKUlT_T0_E_clISt17integral_constantIbLb1EES18_IbLb0EEEEDaS14_S15_EUlS14_E_NS1_11comp_targetILNS1_3genE8ELNS1_11target_archE1030ELNS1_3gpuE2ELNS1_3repE0EEENS1_30default_config_static_selectorELNS0_4arch9wavefront6targetE1EEEvT1_: ; @_ZN7rocprim17ROCPRIM_400000_NS6detail17trampoline_kernelINS0_14default_configENS1_25partition_config_selectorILNS1_17partition_subalgoE8EN3c108BFloat16ENS0_10empty_typeEbEEZZNS1_14partition_implILS5_8ELb0ES3_jPKS7_PS8_PKS8_NS0_5tupleIJPS7_S8_EEENSG_IJSD_SD_EEENS0_18inequality_wrapperIN6hipcub16HIPCUB_304000_NS8EqualityEEEPlJS8_EEE10hipError_tPvRmT3_T4_T5_T6_T7_T9_mT8_P12ihipStream_tbDpT10_ENKUlT_T0_E_clISt17integral_constantIbLb1EES18_IbLb0EEEEDaS14_S15_EUlS14_E_NS1_11comp_targetILNS1_3genE8ELNS1_11target_archE1030ELNS1_3gpuE2ELNS1_3repE0EEENS1_30default_config_static_selectorELNS0_4arch9wavefront6targetE1EEEvT1_
; %bb.0:
	.section	.rodata,"a",@progbits
	.p2align	6, 0x0
	.amdhsa_kernel _ZN7rocprim17ROCPRIM_400000_NS6detail17trampoline_kernelINS0_14default_configENS1_25partition_config_selectorILNS1_17partition_subalgoE8EN3c108BFloat16ENS0_10empty_typeEbEEZZNS1_14partition_implILS5_8ELb0ES3_jPKS7_PS8_PKS8_NS0_5tupleIJPS7_S8_EEENSG_IJSD_SD_EEENS0_18inequality_wrapperIN6hipcub16HIPCUB_304000_NS8EqualityEEEPlJS8_EEE10hipError_tPvRmT3_T4_T5_T6_T7_T9_mT8_P12ihipStream_tbDpT10_ENKUlT_T0_E_clISt17integral_constantIbLb1EES18_IbLb0EEEEDaS14_S15_EUlS14_E_NS1_11comp_targetILNS1_3genE8ELNS1_11target_archE1030ELNS1_3gpuE2ELNS1_3repE0EEENS1_30default_config_static_selectorELNS0_4arch9wavefront6targetE1EEEvT1_
		.amdhsa_group_segment_fixed_size 0
		.amdhsa_private_segment_fixed_size 0
		.amdhsa_kernarg_size 112
		.amdhsa_user_sgpr_count 6
		.amdhsa_user_sgpr_private_segment_buffer 1
		.amdhsa_user_sgpr_dispatch_ptr 0
		.amdhsa_user_sgpr_queue_ptr 0
		.amdhsa_user_sgpr_kernarg_segment_ptr 1
		.amdhsa_user_sgpr_dispatch_id 0
		.amdhsa_user_sgpr_flat_scratch_init 0
		.amdhsa_user_sgpr_kernarg_preload_length 0
		.amdhsa_user_sgpr_kernarg_preload_offset 0
		.amdhsa_user_sgpr_private_segment_size 0
		.amdhsa_uses_dynamic_stack 0
		.amdhsa_system_sgpr_private_segment_wavefront_offset 0
		.amdhsa_system_sgpr_workgroup_id_x 1
		.amdhsa_system_sgpr_workgroup_id_y 0
		.amdhsa_system_sgpr_workgroup_id_z 0
		.amdhsa_system_sgpr_workgroup_info 0
		.amdhsa_system_vgpr_workitem_id 0
		.amdhsa_next_free_vgpr 1
		.amdhsa_next_free_sgpr 0
		.amdhsa_accum_offset 4
		.amdhsa_reserve_vcc 0
		.amdhsa_reserve_flat_scratch 0
		.amdhsa_float_round_mode_32 0
		.amdhsa_float_round_mode_16_64 0
		.amdhsa_float_denorm_mode_32 3
		.amdhsa_float_denorm_mode_16_64 3
		.amdhsa_dx10_clamp 1
		.amdhsa_ieee_mode 1
		.amdhsa_fp16_overflow 0
		.amdhsa_tg_split 0
		.amdhsa_exception_fp_ieee_invalid_op 0
		.amdhsa_exception_fp_denorm_src 0
		.amdhsa_exception_fp_ieee_div_zero 0
		.amdhsa_exception_fp_ieee_overflow 0
		.amdhsa_exception_fp_ieee_underflow 0
		.amdhsa_exception_fp_ieee_inexact 0
		.amdhsa_exception_int_div_zero 0
	.end_amdhsa_kernel
	.section	.text._ZN7rocprim17ROCPRIM_400000_NS6detail17trampoline_kernelINS0_14default_configENS1_25partition_config_selectorILNS1_17partition_subalgoE8EN3c108BFloat16ENS0_10empty_typeEbEEZZNS1_14partition_implILS5_8ELb0ES3_jPKS7_PS8_PKS8_NS0_5tupleIJPS7_S8_EEENSG_IJSD_SD_EEENS0_18inequality_wrapperIN6hipcub16HIPCUB_304000_NS8EqualityEEEPlJS8_EEE10hipError_tPvRmT3_T4_T5_T6_T7_T9_mT8_P12ihipStream_tbDpT10_ENKUlT_T0_E_clISt17integral_constantIbLb1EES18_IbLb0EEEEDaS14_S15_EUlS14_E_NS1_11comp_targetILNS1_3genE8ELNS1_11target_archE1030ELNS1_3gpuE2ELNS1_3repE0EEENS1_30default_config_static_selectorELNS0_4arch9wavefront6targetE1EEEvT1_,"axG",@progbits,_ZN7rocprim17ROCPRIM_400000_NS6detail17trampoline_kernelINS0_14default_configENS1_25partition_config_selectorILNS1_17partition_subalgoE8EN3c108BFloat16ENS0_10empty_typeEbEEZZNS1_14partition_implILS5_8ELb0ES3_jPKS7_PS8_PKS8_NS0_5tupleIJPS7_S8_EEENSG_IJSD_SD_EEENS0_18inequality_wrapperIN6hipcub16HIPCUB_304000_NS8EqualityEEEPlJS8_EEE10hipError_tPvRmT3_T4_T5_T6_T7_T9_mT8_P12ihipStream_tbDpT10_ENKUlT_T0_E_clISt17integral_constantIbLb1EES18_IbLb0EEEEDaS14_S15_EUlS14_E_NS1_11comp_targetILNS1_3genE8ELNS1_11target_archE1030ELNS1_3gpuE2ELNS1_3repE0EEENS1_30default_config_static_selectorELNS0_4arch9wavefront6targetE1EEEvT1_,comdat
.Lfunc_end847:
	.size	_ZN7rocprim17ROCPRIM_400000_NS6detail17trampoline_kernelINS0_14default_configENS1_25partition_config_selectorILNS1_17partition_subalgoE8EN3c108BFloat16ENS0_10empty_typeEbEEZZNS1_14partition_implILS5_8ELb0ES3_jPKS7_PS8_PKS8_NS0_5tupleIJPS7_S8_EEENSG_IJSD_SD_EEENS0_18inequality_wrapperIN6hipcub16HIPCUB_304000_NS8EqualityEEEPlJS8_EEE10hipError_tPvRmT3_T4_T5_T6_T7_T9_mT8_P12ihipStream_tbDpT10_ENKUlT_T0_E_clISt17integral_constantIbLb1EES18_IbLb0EEEEDaS14_S15_EUlS14_E_NS1_11comp_targetILNS1_3genE8ELNS1_11target_archE1030ELNS1_3gpuE2ELNS1_3repE0EEENS1_30default_config_static_selectorELNS0_4arch9wavefront6targetE1EEEvT1_, .Lfunc_end847-_ZN7rocprim17ROCPRIM_400000_NS6detail17trampoline_kernelINS0_14default_configENS1_25partition_config_selectorILNS1_17partition_subalgoE8EN3c108BFloat16ENS0_10empty_typeEbEEZZNS1_14partition_implILS5_8ELb0ES3_jPKS7_PS8_PKS8_NS0_5tupleIJPS7_S8_EEENSG_IJSD_SD_EEENS0_18inequality_wrapperIN6hipcub16HIPCUB_304000_NS8EqualityEEEPlJS8_EEE10hipError_tPvRmT3_T4_T5_T6_T7_T9_mT8_P12ihipStream_tbDpT10_ENKUlT_T0_E_clISt17integral_constantIbLb1EES18_IbLb0EEEEDaS14_S15_EUlS14_E_NS1_11comp_targetILNS1_3genE8ELNS1_11target_archE1030ELNS1_3gpuE2ELNS1_3repE0EEENS1_30default_config_static_selectorELNS0_4arch9wavefront6targetE1EEEvT1_
                                        ; -- End function
	.section	.AMDGPU.csdata,"",@progbits
; Kernel info:
; codeLenInByte = 0
; NumSgprs: 4
; NumVgprs: 0
; NumAgprs: 0
; TotalNumVgprs: 0
; ScratchSize: 0
; MemoryBound: 0
; FloatMode: 240
; IeeeMode: 1
; LDSByteSize: 0 bytes/workgroup (compile time only)
; SGPRBlocks: 0
; VGPRBlocks: 0
; NumSGPRsForWavesPerEU: 4
; NumVGPRsForWavesPerEU: 1
; AccumOffset: 4
; Occupancy: 8
; WaveLimiterHint : 0
; COMPUTE_PGM_RSRC2:SCRATCH_EN: 0
; COMPUTE_PGM_RSRC2:USER_SGPR: 6
; COMPUTE_PGM_RSRC2:TRAP_HANDLER: 0
; COMPUTE_PGM_RSRC2:TGID_X_EN: 1
; COMPUTE_PGM_RSRC2:TGID_Y_EN: 0
; COMPUTE_PGM_RSRC2:TGID_Z_EN: 0
; COMPUTE_PGM_RSRC2:TIDIG_COMP_CNT: 0
; COMPUTE_PGM_RSRC3_GFX90A:ACCUM_OFFSET: 0
; COMPUTE_PGM_RSRC3_GFX90A:TG_SPLIT: 0
	.section	.text._ZN7rocprim17ROCPRIM_400000_NS6detail17trampoline_kernelINS0_14default_configENS1_25partition_config_selectorILNS1_17partition_subalgoE8EN3c108BFloat16ENS0_10empty_typeEbEEZZNS1_14partition_implILS5_8ELb0ES3_jPKS7_PS8_PKS8_NS0_5tupleIJPS7_S8_EEENSG_IJSD_SD_EEENS0_18inequality_wrapperIN6hipcub16HIPCUB_304000_NS8EqualityEEEPlJS8_EEE10hipError_tPvRmT3_T4_T5_T6_T7_T9_mT8_P12ihipStream_tbDpT10_ENKUlT_T0_E_clISt17integral_constantIbLb0EES18_IbLb1EEEEDaS14_S15_EUlS14_E_NS1_11comp_targetILNS1_3genE0ELNS1_11target_archE4294967295ELNS1_3gpuE0ELNS1_3repE0EEENS1_30default_config_static_selectorELNS0_4arch9wavefront6targetE1EEEvT1_,"axG",@progbits,_ZN7rocprim17ROCPRIM_400000_NS6detail17trampoline_kernelINS0_14default_configENS1_25partition_config_selectorILNS1_17partition_subalgoE8EN3c108BFloat16ENS0_10empty_typeEbEEZZNS1_14partition_implILS5_8ELb0ES3_jPKS7_PS8_PKS8_NS0_5tupleIJPS7_S8_EEENSG_IJSD_SD_EEENS0_18inequality_wrapperIN6hipcub16HIPCUB_304000_NS8EqualityEEEPlJS8_EEE10hipError_tPvRmT3_T4_T5_T6_T7_T9_mT8_P12ihipStream_tbDpT10_ENKUlT_T0_E_clISt17integral_constantIbLb0EES18_IbLb1EEEEDaS14_S15_EUlS14_E_NS1_11comp_targetILNS1_3genE0ELNS1_11target_archE4294967295ELNS1_3gpuE0ELNS1_3repE0EEENS1_30default_config_static_selectorELNS0_4arch9wavefront6targetE1EEEvT1_,comdat
	.protected	_ZN7rocprim17ROCPRIM_400000_NS6detail17trampoline_kernelINS0_14default_configENS1_25partition_config_selectorILNS1_17partition_subalgoE8EN3c108BFloat16ENS0_10empty_typeEbEEZZNS1_14partition_implILS5_8ELb0ES3_jPKS7_PS8_PKS8_NS0_5tupleIJPS7_S8_EEENSG_IJSD_SD_EEENS0_18inequality_wrapperIN6hipcub16HIPCUB_304000_NS8EqualityEEEPlJS8_EEE10hipError_tPvRmT3_T4_T5_T6_T7_T9_mT8_P12ihipStream_tbDpT10_ENKUlT_T0_E_clISt17integral_constantIbLb0EES18_IbLb1EEEEDaS14_S15_EUlS14_E_NS1_11comp_targetILNS1_3genE0ELNS1_11target_archE4294967295ELNS1_3gpuE0ELNS1_3repE0EEENS1_30default_config_static_selectorELNS0_4arch9wavefront6targetE1EEEvT1_ ; -- Begin function _ZN7rocprim17ROCPRIM_400000_NS6detail17trampoline_kernelINS0_14default_configENS1_25partition_config_selectorILNS1_17partition_subalgoE8EN3c108BFloat16ENS0_10empty_typeEbEEZZNS1_14partition_implILS5_8ELb0ES3_jPKS7_PS8_PKS8_NS0_5tupleIJPS7_S8_EEENSG_IJSD_SD_EEENS0_18inequality_wrapperIN6hipcub16HIPCUB_304000_NS8EqualityEEEPlJS8_EEE10hipError_tPvRmT3_T4_T5_T6_T7_T9_mT8_P12ihipStream_tbDpT10_ENKUlT_T0_E_clISt17integral_constantIbLb0EES18_IbLb1EEEEDaS14_S15_EUlS14_E_NS1_11comp_targetILNS1_3genE0ELNS1_11target_archE4294967295ELNS1_3gpuE0ELNS1_3repE0EEENS1_30default_config_static_selectorELNS0_4arch9wavefront6targetE1EEEvT1_
	.globl	_ZN7rocprim17ROCPRIM_400000_NS6detail17trampoline_kernelINS0_14default_configENS1_25partition_config_selectorILNS1_17partition_subalgoE8EN3c108BFloat16ENS0_10empty_typeEbEEZZNS1_14partition_implILS5_8ELb0ES3_jPKS7_PS8_PKS8_NS0_5tupleIJPS7_S8_EEENSG_IJSD_SD_EEENS0_18inequality_wrapperIN6hipcub16HIPCUB_304000_NS8EqualityEEEPlJS8_EEE10hipError_tPvRmT3_T4_T5_T6_T7_T9_mT8_P12ihipStream_tbDpT10_ENKUlT_T0_E_clISt17integral_constantIbLb0EES18_IbLb1EEEEDaS14_S15_EUlS14_E_NS1_11comp_targetILNS1_3genE0ELNS1_11target_archE4294967295ELNS1_3gpuE0ELNS1_3repE0EEENS1_30default_config_static_selectorELNS0_4arch9wavefront6targetE1EEEvT1_
	.p2align	8
	.type	_ZN7rocprim17ROCPRIM_400000_NS6detail17trampoline_kernelINS0_14default_configENS1_25partition_config_selectorILNS1_17partition_subalgoE8EN3c108BFloat16ENS0_10empty_typeEbEEZZNS1_14partition_implILS5_8ELb0ES3_jPKS7_PS8_PKS8_NS0_5tupleIJPS7_S8_EEENSG_IJSD_SD_EEENS0_18inequality_wrapperIN6hipcub16HIPCUB_304000_NS8EqualityEEEPlJS8_EEE10hipError_tPvRmT3_T4_T5_T6_T7_T9_mT8_P12ihipStream_tbDpT10_ENKUlT_T0_E_clISt17integral_constantIbLb0EES18_IbLb1EEEEDaS14_S15_EUlS14_E_NS1_11comp_targetILNS1_3genE0ELNS1_11target_archE4294967295ELNS1_3gpuE0ELNS1_3repE0EEENS1_30default_config_static_selectorELNS0_4arch9wavefront6targetE1EEEvT1_,@function
_ZN7rocprim17ROCPRIM_400000_NS6detail17trampoline_kernelINS0_14default_configENS1_25partition_config_selectorILNS1_17partition_subalgoE8EN3c108BFloat16ENS0_10empty_typeEbEEZZNS1_14partition_implILS5_8ELb0ES3_jPKS7_PS8_PKS8_NS0_5tupleIJPS7_S8_EEENSG_IJSD_SD_EEENS0_18inequality_wrapperIN6hipcub16HIPCUB_304000_NS8EqualityEEEPlJS8_EEE10hipError_tPvRmT3_T4_T5_T6_T7_T9_mT8_P12ihipStream_tbDpT10_ENKUlT_T0_E_clISt17integral_constantIbLb0EES18_IbLb1EEEEDaS14_S15_EUlS14_E_NS1_11comp_targetILNS1_3genE0ELNS1_11target_archE4294967295ELNS1_3gpuE0ELNS1_3repE0EEENS1_30default_config_static_selectorELNS0_4arch9wavefront6targetE1EEEvT1_: ; @_ZN7rocprim17ROCPRIM_400000_NS6detail17trampoline_kernelINS0_14default_configENS1_25partition_config_selectorILNS1_17partition_subalgoE8EN3c108BFloat16ENS0_10empty_typeEbEEZZNS1_14partition_implILS5_8ELb0ES3_jPKS7_PS8_PKS8_NS0_5tupleIJPS7_S8_EEENSG_IJSD_SD_EEENS0_18inequality_wrapperIN6hipcub16HIPCUB_304000_NS8EqualityEEEPlJS8_EEE10hipError_tPvRmT3_T4_T5_T6_T7_T9_mT8_P12ihipStream_tbDpT10_ENKUlT_T0_E_clISt17integral_constantIbLb0EES18_IbLb1EEEEDaS14_S15_EUlS14_E_NS1_11comp_targetILNS1_3genE0ELNS1_11target_archE4294967295ELNS1_3gpuE0ELNS1_3repE0EEENS1_30default_config_static_selectorELNS0_4arch9wavefront6targetE1EEEvT1_
; %bb.0:
	.section	.rodata,"a",@progbits
	.p2align	6, 0x0
	.amdhsa_kernel _ZN7rocprim17ROCPRIM_400000_NS6detail17trampoline_kernelINS0_14default_configENS1_25partition_config_selectorILNS1_17partition_subalgoE8EN3c108BFloat16ENS0_10empty_typeEbEEZZNS1_14partition_implILS5_8ELb0ES3_jPKS7_PS8_PKS8_NS0_5tupleIJPS7_S8_EEENSG_IJSD_SD_EEENS0_18inequality_wrapperIN6hipcub16HIPCUB_304000_NS8EqualityEEEPlJS8_EEE10hipError_tPvRmT3_T4_T5_T6_T7_T9_mT8_P12ihipStream_tbDpT10_ENKUlT_T0_E_clISt17integral_constantIbLb0EES18_IbLb1EEEEDaS14_S15_EUlS14_E_NS1_11comp_targetILNS1_3genE0ELNS1_11target_archE4294967295ELNS1_3gpuE0ELNS1_3repE0EEENS1_30default_config_static_selectorELNS0_4arch9wavefront6targetE1EEEvT1_
		.amdhsa_group_segment_fixed_size 0
		.amdhsa_private_segment_fixed_size 0
		.amdhsa_kernarg_size 128
		.amdhsa_user_sgpr_count 6
		.amdhsa_user_sgpr_private_segment_buffer 1
		.amdhsa_user_sgpr_dispatch_ptr 0
		.amdhsa_user_sgpr_queue_ptr 0
		.amdhsa_user_sgpr_kernarg_segment_ptr 1
		.amdhsa_user_sgpr_dispatch_id 0
		.amdhsa_user_sgpr_flat_scratch_init 0
		.amdhsa_user_sgpr_kernarg_preload_length 0
		.amdhsa_user_sgpr_kernarg_preload_offset 0
		.amdhsa_user_sgpr_private_segment_size 0
		.amdhsa_uses_dynamic_stack 0
		.amdhsa_system_sgpr_private_segment_wavefront_offset 0
		.amdhsa_system_sgpr_workgroup_id_x 1
		.amdhsa_system_sgpr_workgroup_id_y 0
		.amdhsa_system_sgpr_workgroup_id_z 0
		.amdhsa_system_sgpr_workgroup_info 0
		.amdhsa_system_vgpr_workitem_id 0
		.amdhsa_next_free_vgpr 1
		.amdhsa_next_free_sgpr 0
		.amdhsa_accum_offset 4
		.amdhsa_reserve_vcc 0
		.amdhsa_reserve_flat_scratch 0
		.amdhsa_float_round_mode_32 0
		.amdhsa_float_round_mode_16_64 0
		.amdhsa_float_denorm_mode_32 3
		.amdhsa_float_denorm_mode_16_64 3
		.amdhsa_dx10_clamp 1
		.amdhsa_ieee_mode 1
		.amdhsa_fp16_overflow 0
		.amdhsa_tg_split 0
		.amdhsa_exception_fp_ieee_invalid_op 0
		.amdhsa_exception_fp_denorm_src 0
		.amdhsa_exception_fp_ieee_div_zero 0
		.amdhsa_exception_fp_ieee_overflow 0
		.amdhsa_exception_fp_ieee_underflow 0
		.amdhsa_exception_fp_ieee_inexact 0
		.amdhsa_exception_int_div_zero 0
	.end_amdhsa_kernel
	.section	.text._ZN7rocprim17ROCPRIM_400000_NS6detail17trampoline_kernelINS0_14default_configENS1_25partition_config_selectorILNS1_17partition_subalgoE8EN3c108BFloat16ENS0_10empty_typeEbEEZZNS1_14partition_implILS5_8ELb0ES3_jPKS7_PS8_PKS8_NS0_5tupleIJPS7_S8_EEENSG_IJSD_SD_EEENS0_18inequality_wrapperIN6hipcub16HIPCUB_304000_NS8EqualityEEEPlJS8_EEE10hipError_tPvRmT3_T4_T5_T6_T7_T9_mT8_P12ihipStream_tbDpT10_ENKUlT_T0_E_clISt17integral_constantIbLb0EES18_IbLb1EEEEDaS14_S15_EUlS14_E_NS1_11comp_targetILNS1_3genE0ELNS1_11target_archE4294967295ELNS1_3gpuE0ELNS1_3repE0EEENS1_30default_config_static_selectorELNS0_4arch9wavefront6targetE1EEEvT1_,"axG",@progbits,_ZN7rocprim17ROCPRIM_400000_NS6detail17trampoline_kernelINS0_14default_configENS1_25partition_config_selectorILNS1_17partition_subalgoE8EN3c108BFloat16ENS0_10empty_typeEbEEZZNS1_14partition_implILS5_8ELb0ES3_jPKS7_PS8_PKS8_NS0_5tupleIJPS7_S8_EEENSG_IJSD_SD_EEENS0_18inequality_wrapperIN6hipcub16HIPCUB_304000_NS8EqualityEEEPlJS8_EEE10hipError_tPvRmT3_T4_T5_T6_T7_T9_mT8_P12ihipStream_tbDpT10_ENKUlT_T0_E_clISt17integral_constantIbLb0EES18_IbLb1EEEEDaS14_S15_EUlS14_E_NS1_11comp_targetILNS1_3genE0ELNS1_11target_archE4294967295ELNS1_3gpuE0ELNS1_3repE0EEENS1_30default_config_static_selectorELNS0_4arch9wavefront6targetE1EEEvT1_,comdat
.Lfunc_end848:
	.size	_ZN7rocprim17ROCPRIM_400000_NS6detail17trampoline_kernelINS0_14default_configENS1_25partition_config_selectorILNS1_17partition_subalgoE8EN3c108BFloat16ENS0_10empty_typeEbEEZZNS1_14partition_implILS5_8ELb0ES3_jPKS7_PS8_PKS8_NS0_5tupleIJPS7_S8_EEENSG_IJSD_SD_EEENS0_18inequality_wrapperIN6hipcub16HIPCUB_304000_NS8EqualityEEEPlJS8_EEE10hipError_tPvRmT3_T4_T5_T6_T7_T9_mT8_P12ihipStream_tbDpT10_ENKUlT_T0_E_clISt17integral_constantIbLb0EES18_IbLb1EEEEDaS14_S15_EUlS14_E_NS1_11comp_targetILNS1_3genE0ELNS1_11target_archE4294967295ELNS1_3gpuE0ELNS1_3repE0EEENS1_30default_config_static_selectorELNS0_4arch9wavefront6targetE1EEEvT1_, .Lfunc_end848-_ZN7rocprim17ROCPRIM_400000_NS6detail17trampoline_kernelINS0_14default_configENS1_25partition_config_selectorILNS1_17partition_subalgoE8EN3c108BFloat16ENS0_10empty_typeEbEEZZNS1_14partition_implILS5_8ELb0ES3_jPKS7_PS8_PKS8_NS0_5tupleIJPS7_S8_EEENSG_IJSD_SD_EEENS0_18inequality_wrapperIN6hipcub16HIPCUB_304000_NS8EqualityEEEPlJS8_EEE10hipError_tPvRmT3_T4_T5_T6_T7_T9_mT8_P12ihipStream_tbDpT10_ENKUlT_T0_E_clISt17integral_constantIbLb0EES18_IbLb1EEEEDaS14_S15_EUlS14_E_NS1_11comp_targetILNS1_3genE0ELNS1_11target_archE4294967295ELNS1_3gpuE0ELNS1_3repE0EEENS1_30default_config_static_selectorELNS0_4arch9wavefront6targetE1EEEvT1_
                                        ; -- End function
	.section	.AMDGPU.csdata,"",@progbits
; Kernel info:
; codeLenInByte = 0
; NumSgprs: 4
; NumVgprs: 0
; NumAgprs: 0
; TotalNumVgprs: 0
; ScratchSize: 0
; MemoryBound: 0
; FloatMode: 240
; IeeeMode: 1
; LDSByteSize: 0 bytes/workgroup (compile time only)
; SGPRBlocks: 0
; VGPRBlocks: 0
; NumSGPRsForWavesPerEU: 4
; NumVGPRsForWavesPerEU: 1
; AccumOffset: 4
; Occupancy: 8
; WaveLimiterHint : 0
; COMPUTE_PGM_RSRC2:SCRATCH_EN: 0
; COMPUTE_PGM_RSRC2:USER_SGPR: 6
; COMPUTE_PGM_RSRC2:TRAP_HANDLER: 0
; COMPUTE_PGM_RSRC2:TGID_X_EN: 1
; COMPUTE_PGM_RSRC2:TGID_Y_EN: 0
; COMPUTE_PGM_RSRC2:TGID_Z_EN: 0
; COMPUTE_PGM_RSRC2:TIDIG_COMP_CNT: 0
; COMPUTE_PGM_RSRC3_GFX90A:ACCUM_OFFSET: 0
; COMPUTE_PGM_RSRC3_GFX90A:TG_SPLIT: 0
	.section	.text._ZN7rocprim17ROCPRIM_400000_NS6detail17trampoline_kernelINS0_14default_configENS1_25partition_config_selectorILNS1_17partition_subalgoE8EN3c108BFloat16ENS0_10empty_typeEbEEZZNS1_14partition_implILS5_8ELb0ES3_jPKS7_PS8_PKS8_NS0_5tupleIJPS7_S8_EEENSG_IJSD_SD_EEENS0_18inequality_wrapperIN6hipcub16HIPCUB_304000_NS8EqualityEEEPlJS8_EEE10hipError_tPvRmT3_T4_T5_T6_T7_T9_mT8_P12ihipStream_tbDpT10_ENKUlT_T0_E_clISt17integral_constantIbLb0EES18_IbLb1EEEEDaS14_S15_EUlS14_E_NS1_11comp_targetILNS1_3genE5ELNS1_11target_archE942ELNS1_3gpuE9ELNS1_3repE0EEENS1_30default_config_static_selectorELNS0_4arch9wavefront6targetE1EEEvT1_,"axG",@progbits,_ZN7rocprim17ROCPRIM_400000_NS6detail17trampoline_kernelINS0_14default_configENS1_25partition_config_selectorILNS1_17partition_subalgoE8EN3c108BFloat16ENS0_10empty_typeEbEEZZNS1_14partition_implILS5_8ELb0ES3_jPKS7_PS8_PKS8_NS0_5tupleIJPS7_S8_EEENSG_IJSD_SD_EEENS0_18inequality_wrapperIN6hipcub16HIPCUB_304000_NS8EqualityEEEPlJS8_EEE10hipError_tPvRmT3_T4_T5_T6_T7_T9_mT8_P12ihipStream_tbDpT10_ENKUlT_T0_E_clISt17integral_constantIbLb0EES18_IbLb1EEEEDaS14_S15_EUlS14_E_NS1_11comp_targetILNS1_3genE5ELNS1_11target_archE942ELNS1_3gpuE9ELNS1_3repE0EEENS1_30default_config_static_selectorELNS0_4arch9wavefront6targetE1EEEvT1_,comdat
	.protected	_ZN7rocprim17ROCPRIM_400000_NS6detail17trampoline_kernelINS0_14default_configENS1_25partition_config_selectorILNS1_17partition_subalgoE8EN3c108BFloat16ENS0_10empty_typeEbEEZZNS1_14partition_implILS5_8ELb0ES3_jPKS7_PS8_PKS8_NS0_5tupleIJPS7_S8_EEENSG_IJSD_SD_EEENS0_18inequality_wrapperIN6hipcub16HIPCUB_304000_NS8EqualityEEEPlJS8_EEE10hipError_tPvRmT3_T4_T5_T6_T7_T9_mT8_P12ihipStream_tbDpT10_ENKUlT_T0_E_clISt17integral_constantIbLb0EES18_IbLb1EEEEDaS14_S15_EUlS14_E_NS1_11comp_targetILNS1_3genE5ELNS1_11target_archE942ELNS1_3gpuE9ELNS1_3repE0EEENS1_30default_config_static_selectorELNS0_4arch9wavefront6targetE1EEEvT1_ ; -- Begin function _ZN7rocprim17ROCPRIM_400000_NS6detail17trampoline_kernelINS0_14default_configENS1_25partition_config_selectorILNS1_17partition_subalgoE8EN3c108BFloat16ENS0_10empty_typeEbEEZZNS1_14partition_implILS5_8ELb0ES3_jPKS7_PS8_PKS8_NS0_5tupleIJPS7_S8_EEENSG_IJSD_SD_EEENS0_18inequality_wrapperIN6hipcub16HIPCUB_304000_NS8EqualityEEEPlJS8_EEE10hipError_tPvRmT3_T4_T5_T6_T7_T9_mT8_P12ihipStream_tbDpT10_ENKUlT_T0_E_clISt17integral_constantIbLb0EES18_IbLb1EEEEDaS14_S15_EUlS14_E_NS1_11comp_targetILNS1_3genE5ELNS1_11target_archE942ELNS1_3gpuE9ELNS1_3repE0EEENS1_30default_config_static_selectorELNS0_4arch9wavefront6targetE1EEEvT1_
	.globl	_ZN7rocprim17ROCPRIM_400000_NS6detail17trampoline_kernelINS0_14default_configENS1_25partition_config_selectorILNS1_17partition_subalgoE8EN3c108BFloat16ENS0_10empty_typeEbEEZZNS1_14partition_implILS5_8ELb0ES3_jPKS7_PS8_PKS8_NS0_5tupleIJPS7_S8_EEENSG_IJSD_SD_EEENS0_18inequality_wrapperIN6hipcub16HIPCUB_304000_NS8EqualityEEEPlJS8_EEE10hipError_tPvRmT3_T4_T5_T6_T7_T9_mT8_P12ihipStream_tbDpT10_ENKUlT_T0_E_clISt17integral_constantIbLb0EES18_IbLb1EEEEDaS14_S15_EUlS14_E_NS1_11comp_targetILNS1_3genE5ELNS1_11target_archE942ELNS1_3gpuE9ELNS1_3repE0EEENS1_30default_config_static_selectorELNS0_4arch9wavefront6targetE1EEEvT1_
	.p2align	8
	.type	_ZN7rocprim17ROCPRIM_400000_NS6detail17trampoline_kernelINS0_14default_configENS1_25partition_config_selectorILNS1_17partition_subalgoE8EN3c108BFloat16ENS0_10empty_typeEbEEZZNS1_14partition_implILS5_8ELb0ES3_jPKS7_PS8_PKS8_NS0_5tupleIJPS7_S8_EEENSG_IJSD_SD_EEENS0_18inequality_wrapperIN6hipcub16HIPCUB_304000_NS8EqualityEEEPlJS8_EEE10hipError_tPvRmT3_T4_T5_T6_T7_T9_mT8_P12ihipStream_tbDpT10_ENKUlT_T0_E_clISt17integral_constantIbLb0EES18_IbLb1EEEEDaS14_S15_EUlS14_E_NS1_11comp_targetILNS1_3genE5ELNS1_11target_archE942ELNS1_3gpuE9ELNS1_3repE0EEENS1_30default_config_static_selectorELNS0_4arch9wavefront6targetE1EEEvT1_,@function
_ZN7rocprim17ROCPRIM_400000_NS6detail17trampoline_kernelINS0_14default_configENS1_25partition_config_selectorILNS1_17partition_subalgoE8EN3c108BFloat16ENS0_10empty_typeEbEEZZNS1_14partition_implILS5_8ELb0ES3_jPKS7_PS8_PKS8_NS0_5tupleIJPS7_S8_EEENSG_IJSD_SD_EEENS0_18inequality_wrapperIN6hipcub16HIPCUB_304000_NS8EqualityEEEPlJS8_EEE10hipError_tPvRmT3_T4_T5_T6_T7_T9_mT8_P12ihipStream_tbDpT10_ENKUlT_T0_E_clISt17integral_constantIbLb0EES18_IbLb1EEEEDaS14_S15_EUlS14_E_NS1_11comp_targetILNS1_3genE5ELNS1_11target_archE942ELNS1_3gpuE9ELNS1_3repE0EEENS1_30default_config_static_selectorELNS0_4arch9wavefront6targetE1EEEvT1_: ; @_ZN7rocprim17ROCPRIM_400000_NS6detail17trampoline_kernelINS0_14default_configENS1_25partition_config_selectorILNS1_17partition_subalgoE8EN3c108BFloat16ENS0_10empty_typeEbEEZZNS1_14partition_implILS5_8ELb0ES3_jPKS7_PS8_PKS8_NS0_5tupleIJPS7_S8_EEENSG_IJSD_SD_EEENS0_18inequality_wrapperIN6hipcub16HIPCUB_304000_NS8EqualityEEEPlJS8_EEE10hipError_tPvRmT3_T4_T5_T6_T7_T9_mT8_P12ihipStream_tbDpT10_ENKUlT_T0_E_clISt17integral_constantIbLb0EES18_IbLb1EEEEDaS14_S15_EUlS14_E_NS1_11comp_targetILNS1_3genE5ELNS1_11target_archE942ELNS1_3gpuE9ELNS1_3repE0EEENS1_30default_config_static_selectorELNS0_4arch9wavefront6targetE1EEEvT1_
; %bb.0:
	.section	.rodata,"a",@progbits
	.p2align	6, 0x0
	.amdhsa_kernel _ZN7rocprim17ROCPRIM_400000_NS6detail17trampoline_kernelINS0_14default_configENS1_25partition_config_selectorILNS1_17partition_subalgoE8EN3c108BFloat16ENS0_10empty_typeEbEEZZNS1_14partition_implILS5_8ELb0ES3_jPKS7_PS8_PKS8_NS0_5tupleIJPS7_S8_EEENSG_IJSD_SD_EEENS0_18inequality_wrapperIN6hipcub16HIPCUB_304000_NS8EqualityEEEPlJS8_EEE10hipError_tPvRmT3_T4_T5_T6_T7_T9_mT8_P12ihipStream_tbDpT10_ENKUlT_T0_E_clISt17integral_constantIbLb0EES18_IbLb1EEEEDaS14_S15_EUlS14_E_NS1_11comp_targetILNS1_3genE5ELNS1_11target_archE942ELNS1_3gpuE9ELNS1_3repE0EEENS1_30default_config_static_selectorELNS0_4arch9wavefront6targetE1EEEvT1_
		.amdhsa_group_segment_fixed_size 0
		.amdhsa_private_segment_fixed_size 0
		.amdhsa_kernarg_size 128
		.amdhsa_user_sgpr_count 6
		.amdhsa_user_sgpr_private_segment_buffer 1
		.amdhsa_user_sgpr_dispatch_ptr 0
		.amdhsa_user_sgpr_queue_ptr 0
		.amdhsa_user_sgpr_kernarg_segment_ptr 1
		.amdhsa_user_sgpr_dispatch_id 0
		.amdhsa_user_sgpr_flat_scratch_init 0
		.amdhsa_user_sgpr_kernarg_preload_length 0
		.amdhsa_user_sgpr_kernarg_preload_offset 0
		.amdhsa_user_sgpr_private_segment_size 0
		.amdhsa_uses_dynamic_stack 0
		.amdhsa_system_sgpr_private_segment_wavefront_offset 0
		.amdhsa_system_sgpr_workgroup_id_x 1
		.amdhsa_system_sgpr_workgroup_id_y 0
		.amdhsa_system_sgpr_workgroup_id_z 0
		.amdhsa_system_sgpr_workgroup_info 0
		.amdhsa_system_vgpr_workitem_id 0
		.amdhsa_next_free_vgpr 1
		.amdhsa_next_free_sgpr 0
		.amdhsa_accum_offset 4
		.amdhsa_reserve_vcc 0
		.amdhsa_reserve_flat_scratch 0
		.amdhsa_float_round_mode_32 0
		.amdhsa_float_round_mode_16_64 0
		.amdhsa_float_denorm_mode_32 3
		.amdhsa_float_denorm_mode_16_64 3
		.amdhsa_dx10_clamp 1
		.amdhsa_ieee_mode 1
		.amdhsa_fp16_overflow 0
		.amdhsa_tg_split 0
		.amdhsa_exception_fp_ieee_invalid_op 0
		.amdhsa_exception_fp_denorm_src 0
		.amdhsa_exception_fp_ieee_div_zero 0
		.amdhsa_exception_fp_ieee_overflow 0
		.amdhsa_exception_fp_ieee_underflow 0
		.amdhsa_exception_fp_ieee_inexact 0
		.amdhsa_exception_int_div_zero 0
	.end_amdhsa_kernel
	.section	.text._ZN7rocprim17ROCPRIM_400000_NS6detail17trampoline_kernelINS0_14default_configENS1_25partition_config_selectorILNS1_17partition_subalgoE8EN3c108BFloat16ENS0_10empty_typeEbEEZZNS1_14partition_implILS5_8ELb0ES3_jPKS7_PS8_PKS8_NS0_5tupleIJPS7_S8_EEENSG_IJSD_SD_EEENS0_18inequality_wrapperIN6hipcub16HIPCUB_304000_NS8EqualityEEEPlJS8_EEE10hipError_tPvRmT3_T4_T5_T6_T7_T9_mT8_P12ihipStream_tbDpT10_ENKUlT_T0_E_clISt17integral_constantIbLb0EES18_IbLb1EEEEDaS14_S15_EUlS14_E_NS1_11comp_targetILNS1_3genE5ELNS1_11target_archE942ELNS1_3gpuE9ELNS1_3repE0EEENS1_30default_config_static_selectorELNS0_4arch9wavefront6targetE1EEEvT1_,"axG",@progbits,_ZN7rocprim17ROCPRIM_400000_NS6detail17trampoline_kernelINS0_14default_configENS1_25partition_config_selectorILNS1_17partition_subalgoE8EN3c108BFloat16ENS0_10empty_typeEbEEZZNS1_14partition_implILS5_8ELb0ES3_jPKS7_PS8_PKS8_NS0_5tupleIJPS7_S8_EEENSG_IJSD_SD_EEENS0_18inequality_wrapperIN6hipcub16HIPCUB_304000_NS8EqualityEEEPlJS8_EEE10hipError_tPvRmT3_T4_T5_T6_T7_T9_mT8_P12ihipStream_tbDpT10_ENKUlT_T0_E_clISt17integral_constantIbLb0EES18_IbLb1EEEEDaS14_S15_EUlS14_E_NS1_11comp_targetILNS1_3genE5ELNS1_11target_archE942ELNS1_3gpuE9ELNS1_3repE0EEENS1_30default_config_static_selectorELNS0_4arch9wavefront6targetE1EEEvT1_,comdat
.Lfunc_end849:
	.size	_ZN7rocprim17ROCPRIM_400000_NS6detail17trampoline_kernelINS0_14default_configENS1_25partition_config_selectorILNS1_17partition_subalgoE8EN3c108BFloat16ENS0_10empty_typeEbEEZZNS1_14partition_implILS5_8ELb0ES3_jPKS7_PS8_PKS8_NS0_5tupleIJPS7_S8_EEENSG_IJSD_SD_EEENS0_18inequality_wrapperIN6hipcub16HIPCUB_304000_NS8EqualityEEEPlJS8_EEE10hipError_tPvRmT3_T4_T5_T6_T7_T9_mT8_P12ihipStream_tbDpT10_ENKUlT_T0_E_clISt17integral_constantIbLb0EES18_IbLb1EEEEDaS14_S15_EUlS14_E_NS1_11comp_targetILNS1_3genE5ELNS1_11target_archE942ELNS1_3gpuE9ELNS1_3repE0EEENS1_30default_config_static_selectorELNS0_4arch9wavefront6targetE1EEEvT1_, .Lfunc_end849-_ZN7rocprim17ROCPRIM_400000_NS6detail17trampoline_kernelINS0_14default_configENS1_25partition_config_selectorILNS1_17partition_subalgoE8EN3c108BFloat16ENS0_10empty_typeEbEEZZNS1_14partition_implILS5_8ELb0ES3_jPKS7_PS8_PKS8_NS0_5tupleIJPS7_S8_EEENSG_IJSD_SD_EEENS0_18inequality_wrapperIN6hipcub16HIPCUB_304000_NS8EqualityEEEPlJS8_EEE10hipError_tPvRmT3_T4_T5_T6_T7_T9_mT8_P12ihipStream_tbDpT10_ENKUlT_T0_E_clISt17integral_constantIbLb0EES18_IbLb1EEEEDaS14_S15_EUlS14_E_NS1_11comp_targetILNS1_3genE5ELNS1_11target_archE942ELNS1_3gpuE9ELNS1_3repE0EEENS1_30default_config_static_selectorELNS0_4arch9wavefront6targetE1EEEvT1_
                                        ; -- End function
	.section	.AMDGPU.csdata,"",@progbits
; Kernel info:
; codeLenInByte = 0
; NumSgprs: 4
; NumVgprs: 0
; NumAgprs: 0
; TotalNumVgprs: 0
; ScratchSize: 0
; MemoryBound: 0
; FloatMode: 240
; IeeeMode: 1
; LDSByteSize: 0 bytes/workgroup (compile time only)
; SGPRBlocks: 0
; VGPRBlocks: 0
; NumSGPRsForWavesPerEU: 4
; NumVGPRsForWavesPerEU: 1
; AccumOffset: 4
; Occupancy: 8
; WaveLimiterHint : 0
; COMPUTE_PGM_RSRC2:SCRATCH_EN: 0
; COMPUTE_PGM_RSRC2:USER_SGPR: 6
; COMPUTE_PGM_RSRC2:TRAP_HANDLER: 0
; COMPUTE_PGM_RSRC2:TGID_X_EN: 1
; COMPUTE_PGM_RSRC2:TGID_Y_EN: 0
; COMPUTE_PGM_RSRC2:TGID_Z_EN: 0
; COMPUTE_PGM_RSRC2:TIDIG_COMP_CNT: 0
; COMPUTE_PGM_RSRC3_GFX90A:ACCUM_OFFSET: 0
; COMPUTE_PGM_RSRC3_GFX90A:TG_SPLIT: 0
	.section	.text._ZN7rocprim17ROCPRIM_400000_NS6detail17trampoline_kernelINS0_14default_configENS1_25partition_config_selectorILNS1_17partition_subalgoE8EN3c108BFloat16ENS0_10empty_typeEbEEZZNS1_14partition_implILS5_8ELb0ES3_jPKS7_PS8_PKS8_NS0_5tupleIJPS7_S8_EEENSG_IJSD_SD_EEENS0_18inequality_wrapperIN6hipcub16HIPCUB_304000_NS8EqualityEEEPlJS8_EEE10hipError_tPvRmT3_T4_T5_T6_T7_T9_mT8_P12ihipStream_tbDpT10_ENKUlT_T0_E_clISt17integral_constantIbLb0EES18_IbLb1EEEEDaS14_S15_EUlS14_E_NS1_11comp_targetILNS1_3genE4ELNS1_11target_archE910ELNS1_3gpuE8ELNS1_3repE0EEENS1_30default_config_static_selectorELNS0_4arch9wavefront6targetE1EEEvT1_,"axG",@progbits,_ZN7rocprim17ROCPRIM_400000_NS6detail17trampoline_kernelINS0_14default_configENS1_25partition_config_selectorILNS1_17partition_subalgoE8EN3c108BFloat16ENS0_10empty_typeEbEEZZNS1_14partition_implILS5_8ELb0ES3_jPKS7_PS8_PKS8_NS0_5tupleIJPS7_S8_EEENSG_IJSD_SD_EEENS0_18inequality_wrapperIN6hipcub16HIPCUB_304000_NS8EqualityEEEPlJS8_EEE10hipError_tPvRmT3_T4_T5_T6_T7_T9_mT8_P12ihipStream_tbDpT10_ENKUlT_T0_E_clISt17integral_constantIbLb0EES18_IbLb1EEEEDaS14_S15_EUlS14_E_NS1_11comp_targetILNS1_3genE4ELNS1_11target_archE910ELNS1_3gpuE8ELNS1_3repE0EEENS1_30default_config_static_selectorELNS0_4arch9wavefront6targetE1EEEvT1_,comdat
	.protected	_ZN7rocprim17ROCPRIM_400000_NS6detail17trampoline_kernelINS0_14default_configENS1_25partition_config_selectorILNS1_17partition_subalgoE8EN3c108BFloat16ENS0_10empty_typeEbEEZZNS1_14partition_implILS5_8ELb0ES3_jPKS7_PS8_PKS8_NS0_5tupleIJPS7_S8_EEENSG_IJSD_SD_EEENS0_18inequality_wrapperIN6hipcub16HIPCUB_304000_NS8EqualityEEEPlJS8_EEE10hipError_tPvRmT3_T4_T5_T6_T7_T9_mT8_P12ihipStream_tbDpT10_ENKUlT_T0_E_clISt17integral_constantIbLb0EES18_IbLb1EEEEDaS14_S15_EUlS14_E_NS1_11comp_targetILNS1_3genE4ELNS1_11target_archE910ELNS1_3gpuE8ELNS1_3repE0EEENS1_30default_config_static_selectorELNS0_4arch9wavefront6targetE1EEEvT1_ ; -- Begin function _ZN7rocprim17ROCPRIM_400000_NS6detail17trampoline_kernelINS0_14default_configENS1_25partition_config_selectorILNS1_17partition_subalgoE8EN3c108BFloat16ENS0_10empty_typeEbEEZZNS1_14partition_implILS5_8ELb0ES3_jPKS7_PS8_PKS8_NS0_5tupleIJPS7_S8_EEENSG_IJSD_SD_EEENS0_18inequality_wrapperIN6hipcub16HIPCUB_304000_NS8EqualityEEEPlJS8_EEE10hipError_tPvRmT3_T4_T5_T6_T7_T9_mT8_P12ihipStream_tbDpT10_ENKUlT_T0_E_clISt17integral_constantIbLb0EES18_IbLb1EEEEDaS14_S15_EUlS14_E_NS1_11comp_targetILNS1_3genE4ELNS1_11target_archE910ELNS1_3gpuE8ELNS1_3repE0EEENS1_30default_config_static_selectorELNS0_4arch9wavefront6targetE1EEEvT1_
	.globl	_ZN7rocprim17ROCPRIM_400000_NS6detail17trampoline_kernelINS0_14default_configENS1_25partition_config_selectorILNS1_17partition_subalgoE8EN3c108BFloat16ENS0_10empty_typeEbEEZZNS1_14partition_implILS5_8ELb0ES3_jPKS7_PS8_PKS8_NS0_5tupleIJPS7_S8_EEENSG_IJSD_SD_EEENS0_18inequality_wrapperIN6hipcub16HIPCUB_304000_NS8EqualityEEEPlJS8_EEE10hipError_tPvRmT3_T4_T5_T6_T7_T9_mT8_P12ihipStream_tbDpT10_ENKUlT_T0_E_clISt17integral_constantIbLb0EES18_IbLb1EEEEDaS14_S15_EUlS14_E_NS1_11comp_targetILNS1_3genE4ELNS1_11target_archE910ELNS1_3gpuE8ELNS1_3repE0EEENS1_30default_config_static_selectorELNS0_4arch9wavefront6targetE1EEEvT1_
	.p2align	8
	.type	_ZN7rocprim17ROCPRIM_400000_NS6detail17trampoline_kernelINS0_14default_configENS1_25partition_config_selectorILNS1_17partition_subalgoE8EN3c108BFloat16ENS0_10empty_typeEbEEZZNS1_14partition_implILS5_8ELb0ES3_jPKS7_PS8_PKS8_NS0_5tupleIJPS7_S8_EEENSG_IJSD_SD_EEENS0_18inequality_wrapperIN6hipcub16HIPCUB_304000_NS8EqualityEEEPlJS8_EEE10hipError_tPvRmT3_T4_T5_T6_T7_T9_mT8_P12ihipStream_tbDpT10_ENKUlT_T0_E_clISt17integral_constantIbLb0EES18_IbLb1EEEEDaS14_S15_EUlS14_E_NS1_11comp_targetILNS1_3genE4ELNS1_11target_archE910ELNS1_3gpuE8ELNS1_3repE0EEENS1_30default_config_static_selectorELNS0_4arch9wavefront6targetE1EEEvT1_,@function
_ZN7rocprim17ROCPRIM_400000_NS6detail17trampoline_kernelINS0_14default_configENS1_25partition_config_selectorILNS1_17partition_subalgoE8EN3c108BFloat16ENS0_10empty_typeEbEEZZNS1_14partition_implILS5_8ELb0ES3_jPKS7_PS8_PKS8_NS0_5tupleIJPS7_S8_EEENSG_IJSD_SD_EEENS0_18inequality_wrapperIN6hipcub16HIPCUB_304000_NS8EqualityEEEPlJS8_EEE10hipError_tPvRmT3_T4_T5_T6_T7_T9_mT8_P12ihipStream_tbDpT10_ENKUlT_T0_E_clISt17integral_constantIbLb0EES18_IbLb1EEEEDaS14_S15_EUlS14_E_NS1_11comp_targetILNS1_3genE4ELNS1_11target_archE910ELNS1_3gpuE8ELNS1_3repE0EEENS1_30default_config_static_selectorELNS0_4arch9wavefront6targetE1EEEvT1_: ; @_ZN7rocprim17ROCPRIM_400000_NS6detail17trampoline_kernelINS0_14default_configENS1_25partition_config_selectorILNS1_17partition_subalgoE8EN3c108BFloat16ENS0_10empty_typeEbEEZZNS1_14partition_implILS5_8ELb0ES3_jPKS7_PS8_PKS8_NS0_5tupleIJPS7_S8_EEENSG_IJSD_SD_EEENS0_18inequality_wrapperIN6hipcub16HIPCUB_304000_NS8EqualityEEEPlJS8_EEE10hipError_tPvRmT3_T4_T5_T6_T7_T9_mT8_P12ihipStream_tbDpT10_ENKUlT_T0_E_clISt17integral_constantIbLb0EES18_IbLb1EEEEDaS14_S15_EUlS14_E_NS1_11comp_targetILNS1_3genE4ELNS1_11target_archE910ELNS1_3gpuE8ELNS1_3repE0EEENS1_30default_config_static_selectorELNS0_4arch9wavefront6targetE1EEEvT1_
; %bb.0:
	s_load_dwordx2 s[24:25], s[4:5], 0x28
	s_load_dwordx4 s[20:23], s[4:5], 0x40
	s_load_dwordx2 s[6:7], s[4:5], 0x50
	s_load_dwordx2 s[26:27], s[4:5], 0x60
	v_cmp_ne_u32_e64 s[2:3], 0, v0
	v_cmp_eq_u32_e64 s[0:1], 0, v0
	s_and_saveexec_b64 s[8:9], s[0:1]
	s_cbranch_execz .LBB850_4
; %bb.1:
	s_mov_b64 s[12:13], exec
	v_mbcnt_lo_u32_b32 v1, s12, 0
	v_mbcnt_hi_u32_b32 v1, s13, v1
	v_cmp_eq_u32_e32 vcc, 0, v1
                                        ; implicit-def: $vgpr2
	s_and_saveexec_b64 s[10:11], vcc
	s_cbranch_execz .LBB850_3
; %bb.2:
	s_load_dwordx2 s[14:15], s[4:5], 0x70
	s_bcnt1_i32_b64 s12, s[12:13]
	v_mov_b32_e32 v2, 0
	v_mov_b32_e32 v3, s12
	s_waitcnt lgkmcnt(0)
	global_atomic_add v2, v2, v3, s[14:15] glc
.LBB850_3:
	s_or_b64 exec, exec, s[10:11]
	s_waitcnt vmcnt(0)
	v_readfirstlane_b32 s10, v2
	v_add_u32_e32 v1, s10, v1
	v_mov_b32_e32 v2, 0
	ds_write_b32 v2, v1
.LBB850_4:
	s_or_b64 exec, exec, s[8:9]
	v_mov_b32_e32 v3, 0
	s_load_dwordx4 s[8:11], s[4:5], 0x8
	s_load_dword s12, s[4:5], 0x68
	s_waitcnt lgkmcnt(0)
	s_barrier
	ds_read_b32 v1, v3
	s_waitcnt lgkmcnt(0)
	s_barrier
	global_load_dwordx2 v[8:9], v3, s[22:23]
	s_lshl_b64 s[4:5], s[10:11], 1
	v_mov_b32_e32 v5, s7
	s_add_u32 s7, s8, s4
	s_movk_i32 s4, 0x1600
	v_mul_lo_u32 v2, v1, s4
	s_mul_i32 s4, s12, 0x1600
	s_addc_u32 s13, s9, s5
	s_add_i32 s5, s4, s10
	s_add_i32 s8, s12, -1
	s_sub_i32 s14, s6, s5
	s_add_u32 s4, s10, s4
	v_readfirstlane_b32 s33, v1
	s_addc_u32 s5, s11, 0
	v_mov_b32_e32 v4, s6
	s_cmp_eq_u32 s33, s8
	v_cmp_ge_u64_e32 vcc, s[4:5], v[4:5]
	s_cselect_b64 s[18:19], -1, 0
	v_lshlrev_b64 v[2:3], 1, v[2:3]
	s_and_b64 s[8:9], vcc, s[18:19]
	v_mov_b32_e32 v1, s13
	v_add_co_u32_e32 v14, vcc, s7, v2
	s_xor_b64 s[22:23], s[8:9], -1
	v_addc_co_u32_e32 v15, vcc, v1, v3, vcc
	s_mov_b64 s[4:5], -1
	s_and_b64 vcc, exec, s[22:23]
	s_cbranch_vccz .LBB850_6
; %bb.5:
	v_lshlrev_b32_e32 v1, 1, v0
	v_add_co_u32_e32 v4, vcc, v14, v1
	v_addc_co_u32_e32 v5, vcc, 0, v15, vcc
	v_add_co_u32_e32 v2, vcc, 0x1000, v4
	v_readfirstlane_b32 s4, v14
	v_readfirstlane_b32 s5, v15
	v_addc_co_u32_e32 v3, vcc, 0, v5, vcc
	s_nop 3
	global_load_ushort v6, v1, s[4:5]
	global_load_ushort v7, v1, s[4:5] offset:512
	global_load_ushort v10, v1, s[4:5] offset:1024
	;; [unrolled: 1-line block ×7, first 2 shown]
	global_load_ushort v18, v[2:3], off
	global_load_ushort v19, v[2:3], off offset:512
	global_load_ushort v20, v[2:3], off offset:1024
	;; [unrolled: 1-line block ×7, first 2 shown]
	v_add_co_u32_e32 v2, vcc, 0x2000, v4
	v_addc_co_u32_e32 v3, vcc, 0, v5, vcc
	global_load_ushort v4, v[2:3], off
	global_load_ushort v5, v[2:3], off offset:512
	global_load_ushort v26, v[2:3], off offset:1024
	global_load_ushort v27, v[2:3], off offset:1536
	global_load_ushort v28, v[2:3], off offset:2048
	global_load_ushort v29, v[2:3], off offset:2560
	s_mov_b64 s[4:5], 0
	s_waitcnt vmcnt(21)
	ds_write_b16 v1, v6
	s_waitcnt vmcnt(20)
	ds_write_b16 v1, v7 offset:512
	s_waitcnt vmcnt(19)
	ds_write_b16 v1, v10 offset:1024
	s_waitcnt vmcnt(18)
	ds_write_b16 v1, v11 offset:1536
	s_waitcnt vmcnt(17)
	ds_write_b16 v1, v12 offset:2048
	s_waitcnt vmcnt(16)
	ds_write_b16 v1, v13 offset:2560
	s_waitcnt vmcnt(15)
	ds_write_b16 v1, v16 offset:3072
	s_waitcnt vmcnt(14)
	ds_write_b16 v1, v17 offset:3584
	s_waitcnt vmcnt(13)
	ds_write_b16 v1, v18 offset:4096
	s_waitcnt vmcnt(12)
	ds_write_b16 v1, v19 offset:4608
	s_waitcnt vmcnt(11)
	ds_write_b16 v1, v20 offset:5120
	s_waitcnt vmcnt(10)
	ds_write_b16 v1, v21 offset:5632
	s_waitcnt vmcnt(9)
	ds_write_b16 v1, v22 offset:6144
	s_waitcnt vmcnt(8)
	ds_write_b16 v1, v23 offset:6656
	s_waitcnt vmcnt(7)
	ds_write_b16 v1, v24 offset:7168
	s_waitcnt vmcnt(6)
	ds_write_b16 v1, v25 offset:7680
	s_waitcnt vmcnt(5)
	ds_write_b16 v1, v4 offset:8192
	s_waitcnt vmcnt(4)
	ds_write_b16 v1, v5 offset:8704
	s_waitcnt vmcnt(3)
	ds_write_b16 v1, v26 offset:9216
	s_waitcnt vmcnt(2)
	ds_write_b16 v1, v27 offset:9728
	s_waitcnt vmcnt(1)
	ds_write_b16 v1, v28 offset:10240
	s_waitcnt vmcnt(0)
	ds_write_b16 v1, v29 offset:10752
	s_waitcnt lgkmcnt(0)
	s_barrier
.LBB850_6:
	s_andn2_b64 vcc, exec, s[4:5]
	s_addk_i32 s14, 0x1600
	s_cbranch_vccnz .LBB850_52
; %bb.7:
	v_cmp_gt_u32_e32 vcc, s14, v0
                                        ; implicit-def: $vgpr1
	s_and_saveexec_b64 s[4:5], vcc
	s_cbranch_execz .LBB850_9
; %bb.8:
	v_lshlrev_b32_e32 v1, 1, v0
	v_readfirstlane_b32 s6, v14
	v_readfirstlane_b32 s7, v15
	s_nop 4
	global_load_ushort v1, v1, s[6:7]
.LBB850_9:
	s_or_b64 exec, exec, s[4:5]
	v_or_b32_e32 v2, 0x100, v0
	v_cmp_gt_u32_e32 vcc, s14, v2
                                        ; implicit-def: $vgpr2
	s_and_saveexec_b64 s[4:5], vcc
	s_cbranch_execz .LBB850_11
; %bb.10:
	v_lshlrev_b32_e32 v2, 1, v0
	v_readfirstlane_b32 s6, v14
	v_readfirstlane_b32 s7, v15
	s_nop 4
	global_load_ushort v2, v2, s[6:7] offset:512
.LBB850_11:
	s_or_b64 exec, exec, s[4:5]
	v_or_b32_e32 v3, 0x200, v0
	v_cmp_gt_u32_e32 vcc, s14, v3
                                        ; implicit-def: $vgpr3
	s_and_saveexec_b64 s[4:5], vcc
	s_cbranch_execz .LBB850_13
; %bb.12:
	v_lshlrev_b32_e32 v3, 1, v0
	v_readfirstlane_b32 s6, v14
	v_readfirstlane_b32 s7, v15
	s_nop 4
	global_load_ushort v3, v3, s[6:7] offset:1024
.LBB850_13:
	s_or_b64 exec, exec, s[4:5]
	v_or_b32_e32 v4, 0x300, v0
	v_cmp_gt_u32_e32 vcc, s14, v4
                                        ; implicit-def: $vgpr4
	s_and_saveexec_b64 s[4:5], vcc
	s_cbranch_execz .LBB850_15
; %bb.14:
	v_lshlrev_b32_e32 v4, 1, v0
	v_readfirstlane_b32 s6, v14
	v_readfirstlane_b32 s7, v15
	s_nop 4
	global_load_ushort v4, v4, s[6:7] offset:1536
.LBB850_15:
	s_or_b64 exec, exec, s[4:5]
	v_or_b32_e32 v5, 0x400, v0
	v_cmp_gt_u32_e32 vcc, s14, v5
                                        ; implicit-def: $vgpr5
	s_and_saveexec_b64 s[4:5], vcc
	s_cbranch_execz .LBB850_17
; %bb.16:
	v_lshlrev_b32_e32 v5, 1, v0
	v_readfirstlane_b32 s6, v14
	v_readfirstlane_b32 s7, v15
	s_nop 4
	global_load_ushort v5, v5, s[6:7] offset:2048
.LBB850_17:
	s_or_b64 exec, exec, s[4:5]
	v_or_b32_e32 v6, 0x500, v0
	v_cmp_gt_u32_e32 vcc, s14, v6
                                        ; implicit-def: $vgpr6
	s_and_saveexec_b64 s[4:5], vcc
	s_cbranch_execz .LBB850_19
; %bb.18:
	v_lshlrev_b32_e32 v6, 1, v0
	v_readfirstlane_b32 s6, v14
	v_readfirstlane_b32 s7, v15
	s_nop 4
	global_load_ushort v6, v6, s[6:7] offset:2560
.LBB850_19:
	s_or_b64 exec, exec, s[4:5]
	v_or_b32_e32 v7, 0x600, v0
	v_cmp_gt_u32_e32 vcc, s14, v7
                                        ; implicit-def: $vgpr7
	s_and_saveexec_b64 s[4:5], vcc
	s_cbranch_execz .LBB850_21
; %bb.20:
	v_lshlrev_b32_e32 v7, 1, v0
	v_readfirstlane_b32 s6, v14
	v_readfirstlane_b32 s7, v15
	s_nop 4
	global_load_ushort v7, v7, s[6:7] offset:3072
.LBB850_21:
	s_or_b64 exec, exec, s[4:5]
	v_or_b32_e32 v10, 0x700, v0
	v_cmp_gt_u32_e32 vcc, s14, v10
                                        ; implicit-def: $vgpr10
	s_and_saveexec_b64 s[4:5], vcc
	s_cbranch_execz .LBB850_23
; %bb.22:
	v_lshlrev_b32_e32 v10, 1, v0
	v_readfirstlane_b32 s6, v14
	v_readfirstlane_b32 s7, v15
	s_nop 4
	global_load_ushort v10, v10, s[6:7] offset:3584
.LBB850_23:
	s_or_b64 exec, exec, s[4:5]
	v_or_b32_e32 v12, 0x800, v0
	v_cmp_gt_u32_e32 vcc, s14, v12
                                        ; implicit-def: $vgpr11
	s_and_saveexec_b64 s[4:5], vcc
	s_cbranch_execz .LBB850_25
; %bb.24:
	v_lshlrev_b32_e32 v11, 1, v12
	v_readfirstlane_b32 s6, v14
	v_readfirstlane_b32 s7, v15
	s_nop 4
	global_load_ushort v11, v11, s[6:7]
.LBB850_25:
	s_or_b64 exec, exec, s[4:5]
	v_or_b32_e32 v13, 0x900, v0
	v_cmp_gt_u32_e32 vcc, s14, v13
                                        ; implicit-def: $vgpr12
	s_and_saveexec_b64 s[4:5], vcc
	s_cbranch_execz .LBB850_27
; %bb.26:
	v_lshlrev_b32_e32 v12, 1, v13
	v_readfirstlane_b32 s6, v14
	v_readfirstlane_b32 s7, v15
	s_nop 4
	global_load_ushort v12, v12, s[6:7]
.LBB850_27:
	s_or_b64 exec, exec, s[4:5]
	v_or_b32_e32 v16, 0xa00, v0
	v_cmp_gt_u32_e32 vcc, s14, v16
                                        ; implicit-def: $vgpr13
	s_and_saveexec_b64 s[4:5], vcc
	s_cbranch_execz .LBB850_29
; %bb.28:
	v_lshlrev_b32_e32 v13, 1, v16
	v_readfirstlane_b32 s6, v14
	v_readfirstlane_b32 s7, v15
	s_nop 4
	global_load_ushort v13, v13, s[6:7]
.LBB850_29:
	s_or_b64 exec, exec, s[4:5]
	v_or_b32_e32 v17, 0xb00, v0
	v_cmp_gt_u32_e32 vcc, s14, v17
                                        ; implicit-def: $vgpr16
	s_and_saveexec_b64 s[4:5], vcc
	s_cbranch_execz .LBB850_31
; %bb.30:
	v_lshlrev_b32_e32 v16, 1, v17
	v_readfirstlane_b32 s6, v14
	v_readfirstlane_b32 s7, v15
	s_nop 4
	global_load_ushort v16, v16, s[6:7]
.LBB850_31:
	s_or_b64 exec, exec, s[4:5]
	v_or_b32_e32 v18, 0xc00, v0
	v_cmp_gt_u32_e32 vcc, s14, v18
                                        ; implicit-def: $vgpr17
	s_and_saveexec_b64 s[4:5], vcc
	s_cbranch_execz .LBB850_33
; %bb.32:
	v_lshlrev_b32_e32 v17, 1, v18
	v_readfirstlane_b32 s6, v14
	v_readfirstlane_b32 s7, v15
	s_nop 4
	global_load_ushort v17, v17, s[6:7]
.LBB850_33:
	s_or_b64 exec, exec, s[4:5]
	v_or_b32_e32 v19, 0xd00, v0
	v_cmp_gt_u32_e32 vcc, s14, v19
                                        ; implicit-def: $vgpr18
	s_and_saveexec_b64 s[4:5], vcc
	s_cbranch_execz .LBB850_35
; %bb.34:
	v_lshlrev_b32_e32 v18, 1, v19
	v_readfirstlane_b32 s6, v14
	v_readfirstlane_b32 s7, v15
	s_nop 4
	global_load_ushort v18, v18, s[6:7]
.LBB850_35:
	s_or_b64 exec, exec, s[4:5]
	v_or_b32_e32 v20, 0xe00, v0
	v_cmp_gt_u32_e32 vcc, s14, v20
                                        ; implicit-def: $vgpr19
	s_and_saveexec_b64 s[4:5], vcc
	s_cbranch_execz .LBB850_37
; %bb.36:
	v_lshlrev_b32_e32 v19, 1, v20
	v_readfirstlane_b32 s6, v14
	v_readfirstlane_b32 s7, v15
	s_nop 4
	global_load_ushort v19, v19, s[6:7]
.LBB850_37:
	s_or_b64 exec, exec, s[4:5]
	v_or_b32_e32 v21, 0xf00, v0
	v_cmp_gt_u32_e32 vcc, s14, v21
                                        ; implicit-def: $vgpr20
	s_and_saveexec_b64 s[4:5], vcc
	s_cbranch_execz .LBB850_39
; %bb.38:
	v_lshlrev_b32_e32 v20, 1, v21
	v_readfirstlane_b32 s6, v14
	v_readfirstlane_b32 s7, v15
	s_nop 4
	global_load_ushort v20, v20, s[6:7]
.LBB850_39:
	s_or_b64 exec, exec, s[4:5]
	v_or_b32_e32 v22, 0x1000, v0
	v_cmp_gt_u32_e32 vcc, s14, v22
                                        ; implicit-def: $vgpr21
	s_and_saveexec_b64 s[4:5], vcc
	s_cbranch_execz .LBB850_41
; %bb.40:
	v_lshlrev_b32_e32 v21, 1, v22
	v_readfirstlane_b32 s6, v14
	v_readfirstlane_b32 s7, v15
	s_nop 4
	global_load_ushort v21, v21, s[6:7]
.LBB850_41:
	s_or_b64 exec, exec, s[4:5]
	v_or_b32_e32 v23, 0x1100, v0
	v_cmp_gt_u32_e32 vcc, s14, v23
                                        ; implicit-def: $vgpr22
	s_and_saveexec_b64 s[4:5], vcc
	s_cbranch_execz .LBB850_43
; %bb.42:
	v_lshlrev_b32_e32 v22, 1, v23
	v_readfirstlane_b32 s6, v14
	v_readfirstlane_b32 s7, v15
	s_nop 4
	global_load_ushort v22, v22, s[6:7]
.LBB850_43:
	s_or_b64 exec, exec, s[4:5]
	v_or_b32_e32 v24, 0x1200, v0
	v_cmp_gt_u32_e32 vcc, s14, v24
                                        ; implicit-def: $vgpr23
	s_and_saveexec_b64 s[4:5], vcc
	s_cbranch_execz .LBB850_45
; %bb.44:
	v_lshlrev_b32_e32 v23, 1, v24
	v_readfirstlane_b32 s6, v14
	v_readfirstlane_b32 s7, v15
	s_nop 4
	global_load_ushort v23, v23, s[6:7]
.LBB850_45:
	s_or_b64 exec, exec, s[4:5]
	v_or_b32_e32 v25, 0x1300, v0
	v_cmp_gt_u32_e32 vcc, s14, v25
                                        ; implicit-def: $vgpr24
	s_and_saveexec_b64 s[4:5], vcc
	s_cbranch_execz .LBB850_47
; %bb.46:
	v_lshlrev_b32_e32 v24, 1, v25
	v_readfirstlane_b32 s6, v14
	v_readfirstlane_b32 s7, v15
	s_nop 4
	global_load_ushort v24, v24, s[6:7]
.LBB850_47:
	s_or_b64 exec, exec, s[4:5]
	v_or_b32_e32 v26, 0x1400, v0
	v_cmp_gt_u32_e32 vcc, s14, v26
                                        ; implicit-def: $vgpr25
	s_and_saveexec_b64 s[4:5], vcc
	s_cbranch_execz .LBB850_49
; %bb.48:
	v_lshlrev_b32_e32 v25, 1, v26
	v_readfirstlane_b32 s6, v14
	v_readfirstlane_b32 s7, v15
	s_nop 4
	global_load_ushort v25, v25, s[6:7]
.LBB850_49:
	s_or_b64 exec, exec, s[4:5]
	v_or_b32_e32 v27, 0x1500, v0
	v_cmp_gt_u32_e32 vcc, s14, v27
                                        ; implicit-def: $vgpr26
	s_and_saveexec_b64 s[4:5], vcc
	s_cbranch_execz .LBB850_51
; %bb.50:
	v_lshlrev_b32_e32 v26, 1, v27
	v_readfirstlane_b32 s6, v14
	v_readfirstlane_b32 s7, v15
	s_nop 4
	global_load_ushort v26, v26, s[6:7]
.LBB850_51:
	s_or_b64 exec, exec, s[4:5]
	v_lshlrev_b32_e32 v27, 1, v0
	s_waitcnt vmcnt(0)
	ds_write_b16 v27, v1
	ds_write_b16 v27, v2 offset:512
	ds_write_b16 v27, v3 offset:1024
	;; [unrolled: 1-line block ×21, first 2 shown]
	s_waitcnt lgkmcnt(0)
	s_barrier
.LBB850_52:
	v_mul_u32_u24_e32 v24, 22, v0
	v_lshlrev_b32_e32 v38, 1, v24
	ds_read_b32 v1, v38 offset:40
	ds_read2_b32 v[2:3], v38 offset0:8 offset1:9
	ds_read2_b32 v[12:13], v38 offset1:1
	ds_read2_b32 v[10:11], v38 offset0:2 offset1:3
	ds_read2_b32 v[4:5], v38 offset0:6 offset1:7
	;; [unrolled: 1-line block ×3, first 2 shown]
	s_cmp_lg_u32 s33, 0
	s_cselect_b64 s[16:17], -1, 0
	s_cmp_lg_u64 s[10:11], 0
	s_cselect_b64 s[4:5], -1, 0
	s_or_b64 s[4:5], s[4:5], s[16:17]
	v_mad_u32_u24 v16, v0, 22, 21
	v_mad_u32_u24 v17, v0, 22, 20
	;; [unrolled: 1-line block ×8, first 2 shown]
	v_or_b32_e32 v36, 1, v24
	v_mad_u32_u24 v37, v0, 22, 2
	v_mad_u32_u24 v35, v0, 22, 3
	;; [unrolled: 1-line block ×12, first 2 shown]
	s_mov_b64 s[12:13], 0
	s_and_b64 vcc, exec, s[4:5]
	s_waitcnt lgkmcnt(0)
	s_barrier
	s_cbranch_vccz .LBB850_57
; %bb.53:
	global_load_ushort v14, v[14:15], off offset:-2
	v_lshlrev_b32_e32 v15, 1, v0
	s_and_b64 vcc, exec, s[22:23]
	ds_write_b16_d16_hi v15, v1
	s_cbranch_vccz .LBB850_59
; %bb.54:
	s_waitcnt vmcnt(0)
	v_mov_b32_e32 v39, v14
	s_waitcnt lgkmcnt(0)
	s_barrier
	s_and_saveexec_b64 s[4:5], s[2:3]
	s_cbranch_execz .LBB850_56
; %bb.55:
	v_add_u32_e32 v39, -2, v15
	ds_read_u16 v39, v39
.LBB850_56:
	s_or_b64 exec, exec, s[4:5]
	v_and_b32_e32 v40, 0xffff0000, v1
	v_lshlrev_b32_e32 v41, 16, v1
	v_cmp_neq_f32_e32 vcc, v41, v40
	v_and_b32_e32 v40, 0xffff0000, v3
	v_cndmask_b32_e64 v62, 0, 1, vcc
	v_lshlrev_b32_e32 v42, 16, v3
	v_cmp_neq_f32_e32 vcc, v40, v41
	v_cndmask_b32_e64 v63, 0, 1, vcc
	v_cmp_neq_f32_e32 vcc, v42, v40
	v_and_b32_e32 v40, 0xffff0000, v2
	v_cndmask_b32_e64 v64, 0, 1, vcc
	v_lshlrev_b32_e32 v41, 16, v2
	v_cmp_neq_f32_e32 vcc, v40, v42
	v_cndmask_b32_e64 v65, 0, 1, vcc
	;; [unrolled: 6-line block ×10, first 2 shown]
	v_cmp_neq_f32_e32 vcc, v41, v40
	s_waitcnt lgkmcnt(0)
	v_lshlrev_b32_e32 v39, 16, v39
	v_cndmask_b32_e64 v82, 0, 1, vcc
	v_cmp_neq_f32_e64 s[4:5], v41, v39
	s_branch .LBB850_63
.LBB850_57:
                                        ; implicit-def: $sgpr4_sgpr5
                                        ; implicit-def: $vgpr82
                                        ; implicit-def: $vgpr81
                                        ; implicit-def: $vgpr80
                                        ; implicit-def: $vgpr79
                                        ; implicit-def: $vgpr78
                                        ; implicit-def: $vgpr77
                                        ; implicit-def: $vgpr76
                                        ; implicit-def: $vgpr75
                                        ; implicit-def: $vgpr74
                                        ; implicit-def: $vgpr73
                                        ; implicit-def: $vgpr72
                                        ; implicit-def: $vgpr71
                                        ; implicit-def: $vgpr70
                                        ; implicit-def: $vgpr69
                                        ; implicit-def: $vgpr68
                                        ; implicit-def: $vgpr67
                                        ; implicit-def: $vgpr66
                                        ; implicit-def: $vgpr65
                                        ; implicit-def: $vgpr64
                                        ; implicit-def: $vgpr63
                                        ; implicit-def: $vgpr62
	s_branch .LBB850_64
.LBB850_58:
                                        ; implicit-def: $sgpr10
	s_branch .LBB850_72
.LBB850_59:
                                        ; implicit-def: $sgpr4_sgpr5
                                        ; implicit-def: $vgpr82
                                        ; implicit-def: $vgpr81
                                        ; implicit-def: $vgpr80
                                        ; implicit-def: $vgpr79
                                        ; implicit-def: $vgpr78
                                        ; implicit-def: $vgpr77
                                        ; implicit-def: $vgpr76
                                        ; implicit-def: $vgpr75
                                        ; implicit-def: $vgpr74
                                        ; implicit-def: $vgpr73
                                        ; implicit-def: $vgpr72
                                        ; implicit-def: $vgpr71
                                        ; implicit-def: $vgpr70
                                        ; implicit-def: $vgpr69
                                        ; implicit-def: $vgpr68
                                        ; implicit-def: $vgpr67
                                        ; implicit-def: $vgpr66
                                        ; implicit-def: $vgpr65
                                        ; implicit-def: $vgpr64
                                        ; implicit-def: $vgpr63
                                        ; implicit-def: $vgpr62
	s_cbranch_execz .LBB850_63
; %bb.60:
	s_waitcnt lgkmcnt(0)
	s_barrier
	s_and_saveexec_b64 s[4:5], s[2:3]
	s_cbranch_execz .LBB850_62
; %bb.61:
	s_waitcnt vmcnt(0)
	v_add_u32_e32 v14, -2, v15
	ds_read_u16 v14, v14
.LBB850_62:
	s_or_b64 exec, exec, s[4:5]
	v_and_b32_e32 v15, 0xffff0000, v1
	v_lshlrev_b32_e32 v39, 16, v1
	v_cmp_gt_u32_e32 vcc, s14, v16
	v_cmp_neq_f32_e64 s[4:5], v39, v15
	v_and_b32_e32 v15, 0xffff0000, v3
	s_and_b64 s[4:5], vcc, s[4:5]
	v_cmp_gt_u32_e32 vcc, s14, v17
	v_lshlrev_b32_e32 v40, 16, v3
	v_cmp_neq_f32_e64 s[6:7], v15, v39
	v_cndmask_b32_e64 v62, 0, 1, s[4:5]
	v_cmp_gt_u32_e64 s[4:5], s14, v18
	s_and_b64 s[6:7], vcc, s[6:7]
	v_cmp_neq_f32_e32 vcc, v40, v15
	v_and_b32_e32 v15, 0xffff0000, v2
	v_cndmask_b32_e64 v63, 0, 1, s[6:7]
	s_and_b64 s[4:5], s[4:5], vcc
	v_cmp_gt_u32_e32 vcc, s14, v19
	v_lshlrev_b32_e32 v39, 16, v2
	v_cmp_neq_f32_e64 s[6:7], v15, v40
	v_cndmask_b32_e64 v64, 0, 1, s[4:5]
	v_cmp_gt_u32_e64 s[4:5], s14, v20
	s_and_b64 s[6:7], vcc, s[6:7]
	v_cmp_neq_f32_e32 vcc, v39, v15
	v_and_b32_e32 v15, 0xffff0000, v5
	v_cndmask_b32_e64 v65, 0, 1, s[6:7]
	s_and_b64 s[4:5], s[4:5], vcc
	;; [unrolled: 10-line block ×9, first 2 shown]
	v_cmp_gt_u32_e32 vcc, s14, v37
	v_lshlrev_b32_e32 v39, 16, v12
	v_cmp_neq_f32_e64 s[6:7], v15, v40
	v_cndmask_b32_e64 v80, 0, 1, s[4:5]
	v_cmp_gt_u32_e64 s[4:5], s14, v36
	s_and_b64 s[6:7], vcc, s[6:7]
	v_cmp_neq_f32_e32 vcc, v39, v15
	s_and_b64 s[4:5], s[4:5], vcc
	s_waitcnt vmcnt(0) lgkmcnt(0)
	v_lshlrev_b32_e32 v14, 16, v14
	v_cndmask_b32_e64 v82, 0, 1, s[4:5]
	v_cmp_gt_u32_e32 vcc, s14, v24
	v_cmp_neq_f32_e64 s[4:5], v39, v14
	v_cndmask_b32_e64 v81, 0, 1, s[6:7]
	s_and_b64 s[4:5], vcc, s[4:5]
.LBB850_63:
	s_mov_b64 s[12:13], -1
	s_cbranch_execnz .LBB850_58
.LBB850_64:
	s_movk_i32 s4, 0xffd6
	s_waitcnt vmcnt(0)
	v_mad_i32_i24 v14, v0, s4, v38
	s_and_b64 vcc, exec, s[22:23]
	v_lshlrev_b32_e32 v47, 16, v1
	v_lshlrev_b32_e32 v46, 16, v3
	;; [unrolled: 1-line block ×11, first 2 shown]
	ds_write_b16_d16_hi v14, v1
	s_cbranch_vccz .LBB850_68
; %bb.65:
	v_and_b32_e32 v48, 0xffff0000, v1
	v_cmp_neq_f32_e32 vcc, v47, v48
	v_and_b32_e32 v48, 0xffff0000, v3
	v_cndmask_b32_e64 v62, 0, 1, vcc
	v_cmp_neq_f32_e32 vcc, v48, v47
	v_cndmask_b32_e64 v63, 0, 1, vcc
	v_cmp_neq_f32_e32 vcc, v46, v48
	v_and_b32_e32 v48, 0xffff0000, v2
	v_cndmask_b32_e64 v64, 0, 1, vcc
	v_cmp_neq_f32_e32 vcc, v48, v46
	v_cndmask_b32_e64 v65, 0, 1, vcc
	;; [unrolled: 5-line block ×10, first 2 shown]
	v_cmp_neq_f32_e32 vcc, v15, v48
	v_cndmask_b32_e64 v82, 0, 1, vcc
	s_waitcnt lgkmcnt(0)
	s_barrier
	s_waitcnt lgkmcnt(0)
                                        ; implicit-def: $sgpr4_sgpr5
	s_and_saveexec_b64 s[6:7], s[2:3]
	s_xor_b64 s[6:7], exec, s[6:7]
	s_cbranch_execz .LBB850_67
; %bb.66:
	v_add_u32_e32 v48, -2, v14
	ds_read_u16 v48, v48
	s_or_b64 s[12:13], s[12:13], exec
	s_waitcnt lgkmcnt(0)
	v_lshlrev_b32_e32 v48, 16, v48
	v_cmp_neq_f32_e32 vcc, v15, v48
	s_and_b64 s[4:5], vcc, exec
.LBB850_67:
	s_or_b64 exec, exec, s[6:7]
	s_mov_b32 s10, 1
	s_branch .LBB850_72
.LBB850_68:
                                        ; implicit-def: $sgpr4_sgpr5
                                        ; implicit-def: $vgpr82
                                        ; implicit-def: $vgpr81
                                        ; implicit-def: $vgpr80
                                        ; implicit-def: $vgpr79
                                        ; implicit-def: $vgpr78
                                        ; implicit-def: $vgpr77
                                        ; implicit-def: $vgpr76
                                        ; implicit-def: $vgpr75
                                        ; implicit-def: $vgpr74
                                        ; implicit-def: $vgpr73
                                        ; implicit-def: $vgpr72
                                        ; implicit-def: $vgpr71
                                        ; implicit-def: $vgpr70
                                        ; implicit-def: $vgpr69
                                        ; implicit-def: $vgpr68
                                        ; implicit-def: $vgpr67
                                        ; implicit-def: $vgpr66
                                        ; implicit-def: $vgpr65
                                        ; implicit-def: $vgpr64
                                        ; implicit-def: $vgpr63
                                        ; implicit-def: $vgpr62
                                        ; implicit-def: $sgpr10
	s_cbranch_execz .LBB850_72
; %bb.69:
	v_and_b32_e32 v48, 0xffff0000, v1
	v_cmp_gt_u32_e32 vcc, s14, v16
	v_cmp_neq_f32_e64 s[4:5], v47, v48
	v_and_b32_e32 v48, 0xffff0000, v3
	s_and_b64 s[4:5], vcc, s[4:5]
	v_cmp_gt_u32_e32 vcc, s14, v17
	v_cmp_neq_f32_e64 s[6:7], v48, v47
	v_cndmask_b32_e64 v62, 0, 1, s[4:5]
	v_cmp_gt_u32_e64 s[4:5], s14, v18
	s_and_b64 s[6:7], vcc, s[6:7]
	v_cmp_neq_f32_e32 vcc, v46, v48
	v_and_b32_e32 v47, 0xffff0000, v2
	v_cndmask_b32_e64 v63, 0, 1, s[6:7]
	s_and_b64 s[4:5], s[4:5], vcc
	v_cmp_gt_u32_e32 vcc, s14, v19
	v_cmp_neq_f32_e64 s[6:7], v47, v46
	v_cndmask_b32_e64 v64, 0, 1, s[4:5]
	v_cmp_gt_u32_e64 s[4:5], s14, v20
	s_and_b64 s[6:7], vcc, s[6:7]
	v_cmp_neq_f32_e32 vcc, v45, v47
	v_and_b32_e32 v46, 0xffff0000, v5
	v_cndmask_b32_e64 v65, 0, 1, s[6:7]
	s_and_b64 s[4:5], s[4:5], vcc
	;; [unrolled: 9-line block ×9, first 2 shown]
	v_cmp_gt_u32_e32 vcc, s14, v37
	v_cmp_neq_f32_e64 s[6:7], v39, v38
	v_cndmask_b32_e64 v80, 0, 1, s[4:5]
	v_cmp_gt_u32_e64 s[4:5], s14, v36
	s_and_b64 s[6:7], vcc, s[6:7]
	v_cmp_neq_f32_e32 vcc, v15, v39
	s_and_b64 s[4:5], s[4:5], vcc
	v_cndmask_b32_e64 v81, 0, 1, s[6:7]
	v_cndmask_b32_e64 v82, 0, 1, s[4:5]
	s_waitcnt lgkmcnt(0)
	s_barrier
	s_waitcnt lgkmcnt(0)
                                        ; implicit-def: $sgpr4_sgpr5
	s_and_saveexec_b64 s[6:7], s[2:3]
	s_cbranch_execz .LBB850_71
; %bb.70:
	v_add_u32_e32 v14, -2, v14
	ds_read_u16 v14, v14
	v_cmp_gt_u32_e32 vcc, s14, v24
	s_or_b64 s[12:13], s[12:13], exec
	s_waitcnt lgkmcnt(0)
	v_lshlrev_b32_e32 v14, 16, v14
	v_cmp_neq_f32_e64 s[2:3], v15, v14
	s_and_b64 s[2:3], vcc, s[2:3]
	s_and_b64 s[4:5], s[2:3], exec
.LBB850_71:
	s_or_b64 exec, exec, s[6:7]
	s_mov_b32 s10, 1
.LBB850_72:
	v_mov_b32_e32 v83, s10
	s_and_saveexec_b64 s[2:3], s[12:13]
; %bb.73:
	v_cndmask_b32_e64 v83, 0, 1, s[4:5]
; %bb.74:
	s_or_b64 exec, exec, s[2:3]
	s_andn2_b64 vcc, exec, s[8:9]
	s_cbranch_vccnz .LBB850_76
; %bb.75:
	v_cmp_gt_u32_e32 vcc, s14, v24
	v_cndmask_b32_e32 v83, 0, v83, vcc
	v_cmp_gt_u32_e32 vcc, s14, v36
	v_cndmask_b32_e32 v82, 0, v82, vcc
	v_cmp_gt_u32_e32 vcc, s14, v37
	v_cndmask_b32_e32 v81, 0, v81, vcc
	v_cmp_gt_u32_e32 vcc, s14, v35
	v_cndmask_b32_e32 v80, 0, v80, vcc
	v_cmp_gt_u32_e32 vcc, s14, v33
	v_cndmask_b32_e32 v79, 0, v79, vcc
	v_cmp_gt_u32_e32 vcc, s14, v31
	v_cndmask_b32_e32 v78, 0, v78, vcc
	v_cmp_gt_u32_e32 vcc, s14, v34
	v_cndmask_b32_e32 v77, 0, v77, vcc
	v_cmp_gt_u32_e32 vcc, s14, v32
	v_cndmask_b32_e32 v76, 0, v76, vcc
	v_cmp_gt_u32_e32 vcc, s14, v29
	v_cndmask_b32_e32 v75, 0, v75, vcc
	v_cmp_gt_u32_e32 vcc, s14, v27
	v_cndmask_b32_e32 v74, 0, v74, vcc
	v_cmp_gt_u32_e32 vcc, s14, v30
	v_cndmask_b32_e32 v73, 0, v73, vcc
	v_cmp_gt_u32_e32 vcc, s14, v28
	v_cndmask_b32_e32 v72, 0, v72, vcc
	v_cmp_gt_u32_e32 vcc, s14, v26
	v_cndmask_b32_e32 v71, 0, v71, vcc
	v_cmp_gt_u32_e32 vcc, s14, v25
	v_cndmask_b32_e32 v70, 0, v70, vcc
	v_cmp_gt_u32_e32 vcc, s14, v23
	v_cndmask_b32_e32 v69, 0, v69, vcc
	v_cmp_gt_u32_e32 vcc, s14, v22
	v_cndmask_b32_e32 v68, 0, v68, vcc
	v_cmp_gt_u32_e32 vcc, s14, v21
	v_cndmask_b32_e32 v67, 0, v67, vcc
	v_cmp_gt_u32_e32 vcc, s14, v20
	v_cndmask_b32_e32 v66, 0, v66, vcc
	v_cmp_gt_u32_e32 vcc, s14, v19
	v_cndmask_b32_e32 v65, 0, v65, vcc
	v_cmp_gt_u32_e32 vcc, s14, v18
	v_cndmask_b32_e32 v64, 0, v64, vcc
	v_cmp_gt_u32_e32 vcc, s14, v17
	v_cndmask_b32_e32 v63, 0, v63, vcc
	v_cmp_gt_u32_e32 vcc, s14, v16
	v_cndmask_b32_e32 v62, 0, v62, vcc
.LBB850_76:
	v_and_b32_e32 v49, 0xff, v65
	v_and_b32_e32 v51, 0xff, v64
	s_waitcnt vmcnt(0)
	v_add_u32_sdwa v14, v63, v62 dst_sel:DWORD dst_unused:UNUSED_PAD src0_sel:BYTE_0 src1_sel:BYTE_0
	v_and_b32_e32 v45, 0xff, v67
	v_and_b32_e32 v47, 0xff, v66
	v_add3_u32 v14, v14, v51, v49
	v_and_b32_e32 v41, 0xff, v69
	v_and_b32_e32 v43, 0xff, v68
	v_add3_u32 v14, v14, v47, v45
	v_and_b32_e32 v37, 0xff, v71
	v_and_b32_e32 v39, 0xff, v70
	v_add3_u32 v14, v14, v43, v41
	v_and_b32_e32 v34, 0xff, v73
	v_and_b32_e32 v35, 0xff, v72
	v_add3_u32 v14, v14, v39, v37
	v_and_b32_e32 v32, 0xff, v75
	v_and_b32_e32 v33, 0xff, v74
	v_add3_u32 v14, v14, v35, v34
	v_and_b32_e32 v30, 0xff, v77
	v_and_b32_e32 v31, 0xff, v76
	v_add3_u32 v14, v14, v33, v32
	v_and_b32_e32 v28, 0xff, v79
	v_and_b32_e32 v29, 0xff, v78
	v_add3_u32 v14, v14, v31, v30
	v_and_b32_e32 v26, 0xff, v81
	v_and_b32_e32 v27, 0xff, v80
	v_add3_u32 v14, v14, v29, v28
	v_and_b32_e32 v24, 0xff, v83
	v_and_b32_e32 v25, 0xff, v82
	v_add3_u32 v14, v14, v27, v26
	v_add3_u32 v40, v14, v25, v24
	v_mbcnt_lo_u32_b32 v14, -1, 0
	v_mbcnt_hi_u32_b32 v36, -1, v14
	v_and_b32_e32 v14, 15, v36
	v_cmp_eq_u32_e64 s[14:15], 0, v14
	v_cmp_lt_u32_e64 s[12:13], 1, v14
	v_cmp_lt_u32_e64 s[10:11], 3, v14
	;; [unrolled: 1-line block ×3, first 2 shown]
	v_and_b32_e32 v14, 16, v36
	v_cmp_eq_u32_e64 s[6:7], 0, v14
	v_or_b32_e32 v14, 63, v0
	v_cmp_lt_u32_e64 s[2:3], 31, v36
	v_lshrrev_b32_e32 v38, 6, v0
	v_cmp_eq_u32_e64 s[4:5], v14, v0
	s_and_b64 vcc, exec, s[16:17]
	s_waitcnt lgkmcnt(0)
	s_barrier
	s_cbranch_vccz .LBB850_103
; %bb.77:
	v_mov_b32_dpp v14, v40 row_shr:1 row_mask:0xf bank_mask:0xf
	v_cndmask_b32_e64 v14, v14, 0, s[14:15]
	v_add_u32_e32 v14, v14, v40
	s_nop 1
	v_mov_b32_dpp v15, v14 row_shr:2 row_mask:0xf bank_mask:0xf
	v_cndmask_b32_e64 v15, 0, v15, s[12:13]
	v_add_u32_e32 v14, v14, v15
	s_nop 1
	v_mov_b32_dpp v15, v14 row_shr:4 row_mask:0xf bank_mask:0xf
	v_cndmask_b32_e64 v15, 0, v15, s[10:11]
	v_add_u32_e32 v14, v14, v15
	s_nop 1
	v_mov_b32_dpp v15, v14 row_shr:8 row_mask:0xf bank_mask:0xf
	v_cndmask_b32_e64 v15, 0, v15, s[8:9]
	v_add_u32_e32 v14, v14, v15
	s_nop 1
	v_mov_b32_dpp v15, v14 row_bcast:15 row_mask:0xf bank_mask:0xf
	v_cndmask_b32_e64 v15, v15, 0, s[6:7]
	v_add_u32_e32 v14, v14, v15
	s_nop 1
	v_mov_b32_dpp v15, v14 row_bcast:31 row_mask:0xf bank_mask:0xf
	v_cndmask_b32_e64 v15, 0, v15, s[2:3]
	v_add_u32_e32 v14, v14, v15
	s_and_saveexec_b64 s[16:17], s[4:5]
	s_cbranch_execz .LBB850_79
; %bb.78:
	v_lshlrev_b32_e32 v15, 2, v38
	ds_write_b32 v15, v14
.LBB850_79:
	s_or_b64 exec, exec, s[16:17]
	v_cmp_gt_u32_e32 vcc, 4, v0
	s_waitcnt lgkmcnt(0)
	s_barrier
	s_and_saveexec_b64 s[16:17], vcc
	s_cbranch_execz .LBB850_81
; %bb.80:
	v_lshlrev_b32_e32 v15, 2, v0
	ds_read_b32 v16, v15
	v_and_b32_e32 v17, 3, v36
	v_cmp_ne_u32_e32 vcc, 0, v17
	s_waitcnt lgkmcnt(0)
	v_mov_b32_dpp v18, v16 row_shr:1 row_mask:0xf bank_mask:0xf
	v_cndmask_b32_e32 v18, 0, v18, vcc
	v_add_u32_e32 v16, v18, v16
	v_cmp_lt_u32_e32 vcc, 1, v17
	s_nop 0
	v_mov_b32_dpp v18, v16 row_shr:2 row_mask:0xf bank_mask:0xf
	v_cndmask_b32_e32 v17, 0, v18, vcc
	v_add_u32_e32 v16, v16, v17
	ds_write_b32 v15, v16
.LBB850_81:
	s_or_b64 exec, exec, s[16:17]
	v_cmp_gt_u32_e32 vcc, 64, v0
	v_cmp_lt_u32_e64 s[16:17], 63, v0
	s_waitcnt lgkmcnt(0)
	s_barrier
	s_waitcnt lgkmcnt(0)
                                        ; implicit-def: $vgpr42
	s_and_saveexec_b64 s[28:29], s[16:17]
	s_cbranch_execz .LBB850_83
; %bb.82:
	v_lshl_add_u32 v15, v38, 2, -4
	ds_read_b32 v42, v15
	s_waitcnt lgkmcnt(0)
	v_add_u32_e32 v14, v42, v14
.LBB850_83:
	s_or_b64 exec, exec, s[28:29]
	v_add_u32_e32 v15, -1, v36
	v_and_b32_e32 v16, 64, v36
	v_cmp_lt_i32_e64 s[16:17], v15, v16
	v_cndmask_b32_e64 v15, v15, v36, s[16:17]
	v_lshlrev_b32_e32 v15, 2, v15
	ds_bpermute_b32 v44, v15, v14
	v_cmp_eq_u32_e64 s[16:17], 0, v36
	s_and_saveexec_b64 s[28:29], vcc
	s_cbranch_execz .LBB850_102
; %bb.84:
	v_mov_b32_e32 v21, 0
	ds_read_b32 v14, v21 offset:12
	s_and_saveexec_b64 s[30:31], s[16:17]
	s_cbranch_execz .LBB850_86
; %bb.85:
	s_add_i32 s34, s33, 64
	s_mov_b32 s35, 0
	s_lshl_b64 s[34:35], s[34:35], 3
	s_add_u32 s34, s26, s34
	v_mov_b32_e32 v15, 1
	s_addc_u32 s35, s27, s35
	s_waitcnt lgkmcnt(0)
	global_store_dwordx2 v21, v[14:15], s[34:35]
.LBB850_86:
	s_or_b64 exec, exec, s[30:31]
	v_xad_u32 v16, v36, -1, s33
	v_add_u32_e32 v20, 64, v16
	v_lshlrev_b64 v[18:19], 3, v[20:21]
	v_mov_b32_e32 v15, s27
	v_add_co_u32_e32 v22, vcc, s26, v18
	v_addc_co_u32_e32 v23, vcc, v15, v19, vcc
	global_load_dwordx2 v[18:19], v[22:23], off glc
	s_waitcnt vmcnt(0)
	v_cmp_eq_u16_sdwa s[34:35], v19, v21 src0_sel:BYTE_0 src1_sel:DWORD
	s_and_saveexec_b64 s[30:31], s[34:35]
	s_cbranch_execz .LBB850_90
; %bb.87:
	s_mov_b64 s[34:35], 0
	v_mov_b32_e32 v15, 0
.LBB850_88:                             ; =>This Inner Loop Header: Depth=1
	global_load_dwordx2 v[18:19], v[22:23], off glc
	s_waitcnt vmcnt(0)
	v_cmp_ne_u16_sdwa s[36:37], v19, v15 src0_sel:BYTE_0 src1_sel:DWORD
	s_or_b64 s[34:35], s[36:37], s[34:35]
	s_andn2_b64 exec, exec, s[34:35]
	s_cbranch_execnz .LBB850_88
; %bb.89:
	s_or_b64 exec, exec, s[34:35]
.LBB850_90:
	s_or_b64 exec, exec, s[30:31]
	v_and_b32_e32 v48, 63, v36
	v_mov_b32_e32 v46, 2
	v_cmp_ne_u32_e32 vcc, 63, v48
	v_cmp_eq_u16_sdwa s[30:31], v19, v46 src0_sel:BYTE_0 src1_sel:DWORD
	v_lshlrev_b64 v[20:21], v36, -1
	v_addc_co_u32_e32 v22, vcc, 0, v36, vcc
	v_and_b32_e32 v15, s31, v21
	v_lshlrev_b32_e32 v50, 2, v22
	v_or_b32_e32 v15, 0x80000000, v15
	ds_bpermute_b32 v22, v50, v18
	v_and_b32_e32 v17, s30, v20
	v_ffbl_b32_e32 v15, v15
	v_add_u32_e32 v15, 32, v15
	v_ffbl_b32_e32 v17, v17
	v_min_u32_e32 v15, v17, v15
	v_cmp_lt_u32_e32 vcc, v48, v15
	s_waitcnt lgkmcnt(0)
	v_cndmask_b32_e32 v17, 0, v22, vcc
	v_cmp_gt_u32_e32 vcc, 62, v48
	v_add_u32_e32 v17, v17, v18
	v_cndmask_b32_e64 v18, 0, 1, vcc
	v_lshlrev_b32_e32 v18, 1, v18
	v_add_lshl_u32 v52, v18, v36, 2
	ds_bpermute_b32 v18, v52, v17
	v_add_u32_e32 v53, 2, v48
	v_cmp_le_u32_e32 vcc, v53, v15
	v_add_u32_e32 v55, 4, v48
	v_add_u32_e32 v57, 8, v48
	s_waitcnt lgkmcnt(0)
	v_cndmask_b32_e32 v18, 0, v18, vcc
	v_cmp_gt_u32_e32 vcc, 60, v48
	v_add_u32_e32 v17, v17, v18
	v_cndmask_b32_e64 v18, 0, 1, vcc
	v_lshlrev_b32_e32 v18, 2, v18
	v_add_lshl_u32 v54, v18, v36, 2
	ds_bpermute_b32 v18, v54, v17
	v_cmp_le_u32_e32 vcc, v55, v15
	v_add_u32_e32 v59, 16, v48
	v_add_u32_e32 v61, 32, v48
	s_waitcnt lgkmcnt(0)
	v_cndmask_b32_e32 v18, 0, v18, vcc
	v_cmp_gt_u32_e32 vcc, 56, v48
	v_add_u32_e32 v17, v17, v18
	v_cndmask_b32_e64 v18, 0, 1, vcc
	v_lshlrev_b32_e32 v18, 3, v18
	v_add_lshl_u32 v56, v18, v36, 2
	ds_bpermute_b32 v18, v56, v17
	v_cmp_le_u32_e32 vcc, v57, v15
	s_waitcnt lgkmcnt(0)
	v_cndmask_b32_e32 v18, 0, v18, vcc
	v_cmp_gt_u32_e32 vcc, 48, v48
	v_add_u32_e32 v17, v17, v18
	v_cndmask_b32_e64 v18, 0, 1, vcc
	v_lshlrev_b32_e32 v18, 4, v18
	v_add_lshl_u32 v58, v18, v36, 2
	ds_bpermute_b32 v18, v58, v17
	v_cmp_le_u32_e32 vcc, v59, v15
	;; [unrolled: 9-line block ×3, first 2 shown]
	s_waitcnt lgkmcnt(0)
	v_cndmask_b32_e32 v15, 0, v18, vcc
	v_add_u32_e32 v18, v17, v15
	v_mov_b32_e32 v17, 0
	s_branch .LBB850_92
.LBB850_91:                             ;   in Loop: Header=BB850_92 Depth=1
	s_or_b64 exec, exec, s[30:31]
	v_cmp_eq_u16_sdwa s[30:31], v19, v46 src0_sel:BYTE_0 src1_sel:DWORD
	v_and_b32_e32 v22, s31, v21
	v_or_b32_e32 v22, 0x80000000, v22
	ds_bpermute_b32 v84, v50, v18
	v_and_b32_e32 v23, s30, v20
	v_ffbl_b32_e32 v22, v22
	v_add_u32_e32 v22, 32, v22
	v_ffbl_b32_e32 v23, v23
	v_min_u32_e32 v22, v23, v22
	v_cmp_lt_u32_e32 vcc, v48, v22
	s_waitcnt lgkmcnt(0)
	v_cndmask_b32_e32 v23, 0, v84, vcc
	v_add_u32_e32 v18, v23, v18
	ds_bpermute_b32 v23, v52, v18
	v_cmp_le_u32_e32 vcc, v53, v22
	v_subrev_u32_e32 v16, 64, v16
	s_waitcnt lgkmcnt(0)
	v_cndmask_b32_e32 v23, 0, v23, vcc
	v_add_u32_e32 v18, v18, v23
	ds_bpermute_b32 v23, v54, v18
	v_cmp_le_u32_e32 vcc, v55, v22
	s_waitcnt lgkmcnt(0)
	v_cndmask_b32_e32 v23, 0, v23, vcc
	v_add_u32_e32 v18, v18, v23
	ds_bpermute_b32 v23, v56, v18
	v_cmp_le_u32_e32 vcc, v57, v22
	;; [unrolled: 5-line block ×4, first 2 shown]
	s_waitcnt lgkmcnt(0)
	v_cndmask_b32_e32 v22, 0, v23, vcc
	v_add3_u32 v18, v22, v15, v18
.LBB850_92:                             ; =>This Loop Header: Depth=1
                                        ;     Child Loop BB850_95 Depth 2
	v_cmp_ne_u16_sdwa s[30:31], v19, v46 src0_sel:BYTE_0 src1_sel:DWORD
	v_cndmask_b32_e64 v15, 0, 1, s[30:31]
	;;#ASMSTART
	;;#ASMEND
	v_cmp_ne_u32_e32 vcc, 0, v15
	s_cmp_lg_u64 vcc, exec
	v_mov_b32_e32 v15, v18
	s_cbranch_scc1 .LBB850_97
; %bb.93:                               ;   in Loop: Header=BB850_92 Depth=1
	v_lshlrev_b64 v[18:19], 3, v[16:17]
	v_mov_b32_e32 v23, s27
	v_add_co_u32_e32 v22, vcc, s26, v18
	v_addc_co_u32_e32 v23, vcc, v23, v19, vcc
	global_load_dwordx2 v[18:19], v[22:23], off glc
	s_waitcnt vmcnt(0)
	v_cmp_eq_u16_sdwa s[34:35], v19, v17 src0_sel:BYTE_0 src1_sel:DWORD
	s_and_saveexec_b64 s[30:31], s[34:35]
	s_cbranch_execz .LBB850_91
; %bb.94:                               ;   in Loop: Header=BB850_92 Depth=1
	s_mov_b64 s[34:35], 0
.LBB850_95:                             ;   Parent Loop BB850_92 Depth=1
                                        ; =>  This Inner Loop Header: Depth=2
	global_load_dwordx2 v[18:19], v[22:23], off glc
	s_waitcnt vmcnt(0)
	v_cmp_ne_u16_sdwa s[36:37], v19, v17 src0_sel:BYTE_0 src1_sel:DWORD
	s_or_b64 s[34:35], s[36:37], s[34:35]
	s_andn2_b64 exec, exec, s[34:35]
	s_cbranch_execnz .LBB850_95
; %bb.96:                               ;   in Loop: Header=BB850_92 Depth=1
	s_or_b64 exec, exec, s[34:35]
	s_branch .LBB850_91
.LBB850_97:                             ;   in Loop: Header=BB850_92 Depth=1
                                        ; implicit-def: $vgpr18
                                        ; implicit-def: $vgpr19
	s_cbranch_execz .LBB850_92
; %bb.98:
	s_and_saveexec_b64 s[30:31], s[16:17]
	s_cbranch_execz .LBB850_100
; %bb.99:
	s_add_i32 s34, s33, 64
	s_mov_b32 s35, 0
	s_lshl_b64 s[34:35], s[34:35], 3
	s_add_u32 s34, s26, s34
	v_add_u32_e32 v16, v15, v14
	v_mov_b32_e32 v17, 2
	s_addc_u32 s35, s27, s35
	v_mov_b32_e32 v18, 0
	global_store_dwordx2 v18, v[16:17], s[34:35]
	ds_write_b64 v18, v[14:15] offset:11264
.LBB850_100:
	s_or_b64 exec, exec, s[30:31]
	s_and_b64 exec, exec, s[0:1]
	s_cbranch_execz .LBB850_102
; %bb.101:
	v_mov_b32_e32 v14, 0
	ds_write_b32 v14, v15 offset:12
.LBB850_102:
	s_or_b64 exec, exec, s[28:29]
	v_mov_b32_e32 v14, 0
	s_waitcnt lgkmcnt(0)
	s_barrier
	ds_read_b32 v16, v14 offset:12
	s_waitcnt lgkmcnt(0)
	s_barrier
	ds_read_b64 v[14:15], v14 offset:11264
	v_cndmask_b32_e64 v17, v44, v42, s[16:17]
	v_cndmask_b32_e64 v17, v17, 0, s[0:1]
	v_add_u32_e32 v56, v16, v17
	s_waitcnt lgkmcnt(0)
	v_mov_b32_e32 v16, v15
	s_branch .LBB850_113
.LBB850_103:
                                        ; implicit-def: $vgpr16
                                        ; implicit-def: $vgpr14
                                        ; implicit-def: $vgpr56
	s_cbranch_execz .LBB850_113
; %bb.104:
	s_nop 0
	v_mov_b32_dpp v14, v40 row_shr:1 row_mask:0xf bank_mask:0xf
	v_cndmask_b32_e64 v14, v14, 0, s[14:15]
	v_add_u32_e32 v14, v14, v40
	s_nop 1
	v_mov_b32_dpp v15, v14 row_shr:2 row_mask:0xf bank_mask:0xf
	v_cndmask_b32_e64 v15, 0, v15, s[12:13]
	v_add_u32_e32 v14, v14, v15
	;; [unrolled: 4-line block ×4, first 2 shown]
	s_nop 1
	v_mov_b32_dpp v15, v14 row_bcast:15 row_mask:0xf bank_mask:0xf
	v_cndmask_b32_e64 v15, v15, 0, s[6:7]
	v_add_u32_e32 v14, v14, v15
	s_nop 1
	v_mov_b32_dpp v15, v14 row_bcast:31 row_mask:0xf bank_mask:0xf
	v_cndmask_b32_e64 v15, 0, v15, s[2:3]
	v_add_u32_e32 v14, v14, v15
	s_and_saveexec_b64 s[2:3], s[4:5]
	s_cbranch_execz .LBB850_106
; %bb.105:
	v_lshlrev_b32_e32 v15, 2, v38
	ds_write_b32 v15, v14
.LBB850_106:
	s_or_b64 exec, exec, s[2:3]
	v_cmp_gt_u32_e32 vcc, 4, v0
	s_waitcnt lgkmcnt(0)
	s_barrier
	s_and_saveexec_b64 s[2:3], vcc
	s_cbranch_execz .LBB850_108
; %bb.107:
	v_lshlrev_b32_e32 v15, 2, v0
	ds_read_b32 v16, v15
	v_and_b32_e32 v17, 3, v36
	v_cmp_ne_u32_e32 vcc, 0, v17
	s_waitcnt lgkmcnt(0)
	v_mov_b32_dpp v18, v16 row_shr:1 row_mask:0xf bank_mask:0xf
	v_cndmask_b32_e32 v18, 0, v18, vcc
	v_add_u32_e32 v16, v18, v16
	v_cmp_lt_u32_e32 vcc, 1, v17
	s_nop 0
	v_mov_b32_dpp v18, v16 row_shr:2 row_mask:0xf bank_mask:0xf
	v_cndmask_b32_e32 v17, 0, v18, vcc
	v_add_u32_e32 v16, v16, v17
	ds_write_b32 v15, v16
.LBB850_108:
	s_or_b64 exec, exec, s[2:3]
	v_cmp_lt_u32_e32 vcc, 63, v0
	v_mov_b32_e32 v15, 0
	v_mov_b32_e32 v16, 0
	s_waitcnt lgkmcnt(0)
	s_barrier
	s_and_saveexec_b64 s[2:3], vcc
	s_cbranch_execz .LBB850_110
; %bb.109:
	v_lshl_add_u32 v16, v38, 2, -4
	ds_read_b32 v16, v16
.LBB850_110:
	s_or_b64 exec, exec, s[2:3]
	v_add_u32_e32 v17, -1, v36
	v_and_b32_e32 v18, 64, v36
	v_cmp_lt_i32_e32 vcc, v17, v18
	v_cndmask_b32_e32 v17, v17, v36, vcc
	s_waitcnt lgkmcnt(0)
	v_add_u32_e32 v14, v16, v14
	v_lshlrev_b32_e32 v17, 2, v17
	ds_bpermute_b32 v17, v17, v14
	ds_read_b32 v14, v15 offset:12
	s_and_saveexec_b64 s[2:3], s[0:1]
	s_cbranch_execz .LBB850_112
; %bb.111:
	v_mov_b32_e32 v18, 0
	v_mov_b32_e32 v15, 2
	s_waitcnt lgkmcnt(0)
	global_store_dwordx2 v18, v[14:15], s[26:27] offset:512
.LBB850_112:
	s_or_b64 exec, exec, s[2:3]
	v_cmp_eq_u32_e32 vcc, 0, v36
	s_waitcnt lgkmcnt(1)
	v_cndmask_b32_e32 v15, v17, v16, vcc
	v_mov_b32_e32 v16, 0
	v_cndmask_b32_e64 v56, v15, 0, s[0:1]
	s_waitcnt lgkmcnt(0)
	s_barrier
.LBB850_113:
	v_add_u32_e32 v60, v56, v24
	v_add_u32_e32 v58, v60, v25
	;; [unrolled: 1-line block ×19, first 2 shown]
	s_movk_i32 s2, 0x101
	v_add_u32_e32 v20, v22, v51
	v_cmp_gt_u32_e32 vcc, s2, v14
	v_add_u32_sdwa v18, v20, v63 dst_sel:DWORD dst_unused:UNUSED_PAD src0_sel:DWORD src1_sel:BYTE_0
	s_mov_b64 s[2:3], -1
	s_cbranch_vccnz .LBB850_117
; %bb.114:
	s_and_b64 vcc, exec, s[2:3]
	s_cbranch_vccnz .LBB850_184
.LBB850_115:
	s_and_b64 s[0:1], s[0:1], s[18:19]
	s_and_saveexec_b64 s[2:3], s[0:1]
	s_cbranch_execnz .LBB850_244
.LBB850_116:
	s_endpgm
.LBB850_117:
	v_lshlrev_b64 v[84:85], 1, v[8:9]
	v_mov_b32_e32 v17, s25
	v_add_co_u32_e32 v15, vcc, s24, v84
	v_add_u32_e32 v19, v16, v14
	v_addc_co_u32_e32 v17, vcc, v17, v85, vcc
	v_cmp_lt_u32_e32 vcc, v56, v19
	s_or_b64 s[4:5], s[22:23], vcc
	s_and_saveexec_b64 s[2:3], s[4:5]
	s_cbranch_execz .LBB850_120
; %bb.118:
	v_and_b32_e32 v21, 1, v83
	v_cmp_eq_u32_e32 vcc, 1, v21
	s_and_b64 exec, exec, vcc
	s_cbranch_execz .LBB850_120
; %bb.119:
	v_mov_b32_e32 v57, 0
	v_lshlrev_b64 v[84:85], 1, v[56:57]
	v_add_co_u32_e32 v84, vcc, v15, v84
	v_addc_co_u32_e32 v85, vcc, v17, v85, vcc
	global_store_short v[84:85], v12, off
.LBB850_120:
	s_or_b64 exec, exec, s[2:3]
	v_cmp_lt_u32_e32 vcc, v60, v19
	s_or_b64 s[4:5], s[22:23], vcc
	s_and_saveexec_b64 s[2:3], s[4:5]
	s_cbranch_execz .LBB850_123
; %bb.121:
	v_and_b32_e32 v21, 1, v82
	v_cmp_eq_u32_e32 vcc, 1, v21
	s_and_b64 exec, exec, vcc
	s_cbranch_execz .LBB850_123
; %bb.122:
	v_mov_b32_e32 v61, 0
	v_lshlrev_b64 v[84:85], 1, v[60:61]
	v_add_co_u32_e32 v84, vcc, v15, v84
	v_addc_co_u32_e32 v85, vcc, v17, v85, vcc
	global_store_short_d16_hi v[84:85], v12, off
.LBB850_123:
	s_or_b64 exec, exec, s[2:3]
	v_cmp_lt_u32_e32 vcc, v58, v19
	s_or_b64 s[4:5], s[22:23], vcc
	s_and_saveexec_b64 s[2:3], s[4:5]
	s_cbranch_execz .LBB850_126
; %bb.124:
	v_and_b32_e32 v21, 1, v81
	v_cmp_eq_u32_e32 vcc, 1, v21
	s_and_b64 exec, exec, vcc
	s_cbranch_execz .LBB850_126
; %bb.125:
	v_mov_b32_e32 v59, 0
	v_lshlrev_b64 v[84:85], 1, v[58:59]
	v_add_co_u32_e32 v84, vcc, v15, v84
	v_addc_co_u32_e32 v85, vcc, v17, v85, vcc
	global_store_short v[84:85], v13, off
.LBB850_126:
	s_or_b64 exec, exec, s[2:3]
	v_cmp_lt_u32_e32 vcc, v54, v19
	s_or_b64 s[4:5], s[22:23], vcc
	s_and_saveexec_b64 s[2:3], s[4:5]
	s_cbranch_execz .LBB850_129
; %bb.127:
	v_and_b32_e32 v21, 1, v80
	v_cmp_eq_u32_e32 vcc, 1, v21
	s_and_b64 exec, exec, vcc
	s_cbranch_execz .LBB850_129
; %bb.128:
	v_mov_b32_e32 v55, 0
	v_lshlrev_b64 v[84:85], 1, v[54:55]
	v_add_co_u32_e32 v84, vcc, v15, v84
	v_addc_co_u32_e32 v85, vcc, v17, v85, vcc
	global_store_short_d16_hi v[84:85], v13, off
.LBB850_129:
	s_or_b64 exec, exec, s[2:3]
	;; [unrolled: 34-line block ×11, first 2 shown]
	s_branch .LBB850_115
.LBB850_184:
	v_and_b32_e32 v15, 1, v83
	v_cmp_eq_u32_e32 vcc, 1, v15
	s_and_saveexec_b64 s[2:3], vcc
	s_cbranch_execz .LBB850_186
; %bb.185:
	v_sub_u32_e32 v15, v56, v16
	v_lshlrev_b32_e32 v15, 1, v15
	ds_write_b16 v15, v12
.LBB850_186:
	s_or_b64 exec, exec, s[2:3]
	v_and_b32_e32 v15, 1, v82
	v_cmp_eq_u32_e32 vcc, 1, v15
	s_and_saveexec_b64 s[2:3], vcc
	s_cbranch_execz .LBB850_188
; %bb.187:
	v_sub_u32_e32 v15, v60, v16
	v_lshlrev_b32_e32 v15, 1, v15
	ds_write_b16_d16_hi v15, v12
.LBB850_188:
	s_or_b64 exec, exec, s[2:3]
	v_and_b32_e32 v12, 1, v81
	v_cmp_eq_u32_e32 vcc, 1, v12
	s_and_saveexec_b64 s[2:3], vcc
	s_cbranch_execz .LBB850_190
; %bb.189:
	v_sub_u32_e32 v12, v58, v16
	v_lshlrev_b32_e32 v12, 1, v12
	ds_write_b16 v12, v13
.LBB850_190:
	s_or_b64 exec, exec, s[2:3]
	v_and_b32_e32 v12, 1, v80
	v_cmp_eq_u32_e32 vcc, 1, v12
	s_and_saveexec_b64 s[2:3], vcc
	s_cbranch_execz .LBB850_192
; %bb.191:
	v_sub_u32_e32 v12, v54, v16
	v_lshlrev_b32_e32 v12, 1, v12
	ds_write_b16_d16_hi v12, v13
.LBB850_192:
	s_or_b64 exec, exec, s[2:3]
	;; [unrolled: 20-line block ×11, first 2 shown]
	v_cmp_lt_u32_e32 vcc, v0, v14
	s_waitcnt lgkmcnt(0)
	s_barrier
	s_and_saveexec_b64 s[6:7], vcc
	s_cbranch_execz .LBB850_243
; %bb.229:
	v_lshlrev_b64 v[2:3], 1, v[8:9]
	v_mov_b32_e32 v17, 0
	v_mov_b32_e32 v1, s25
	v_add_co_u32_e32 v4, vcc, s24, v2
	v_addc_co_u32_e32 v1, vcc, v1, v3, vcc
	v_lshlrev_b64 v[2:3], 1, v[16:17]
	v_add_co_u32_e32 v12, vcc, v4, v2
	v_addc_co_u32_e32 v13, vcc, v1, v3, vcc
	v_xad_u32 v1, v0, -1, v14
	s_movk_i32 s2, 0x1700
	v_cmp_gt_u32_e32 vcc, s2, v1
	s_movk_i32 s2, 0x16ff
	v_cmp_lt_u32_e64 s[2:3], s2, v1
	s_and_saveexec_b64 s[8:9], s[2:3]
	s_cbranch_execz .LBB850_240
; %bb.230:
	v_sub_u32_e32 v2, v0, v14
	v_or_b32_e32 v2, 0xff, v2
	v_cmp_ge_u32_e64 s[2:3], v2, v0
	s_mov_b64 s[4:5], -1
	s_and_saveexec_b64 s[10:11], s[2:3]
	s_cbranch_execz .LBB850_239
; %bb.231:
	v_lshrrev_b32_e32 v15, 8, v1
	v_add_u32_e32 v4, -3, v15
	v_or_b32_e32 v3, 0x300, v0
	v_or_b32_e32 v2, 0x200, v0
	v_lshrrev_b32_e32 v5, 2, v4
	v_or_b32_e32 v1, 0x100, v0
	v_add_u32_e32 v18, 1, v5
	v_cmp_lt_u32_e64 s[2:3], 11, v4
	v_pk_mov_b32 v[6:7], v[2:3], v[2:3] op_sel:[0,1]
	v_mov_b32_e32 v21, 0
	v_lshlrev_b32_e32 v17, 1, v0
	v_pk_mov_b32 v[4:5], v[0:1], v[0:1] op_sel:[0,1]
	s_and_saveexec_b64 s[12:13], s[2:3]
	s_cbranch_execz .LBB850_235
; %bb.232:
	v_pk_mov_b32 v[6:7], v[2:3], v[2:3] op_sel:[0,1]
	v_and_b32_e32 v19, 0x7ffffffc, v18
	s_mov_b32 s16, 0
	s_mov_b64 s[14:15], 0
	v_mov_b32_e32 v11, 0
	v_mov_b32_e32 v20, v17
	v_pk_mov_b32 v[4:5], v[0:1], v[0:1] op_sel:[0,1]
.LBB850_233:                            ; =>This Inner Loop Header: Depth=1
	v_mov_b32_e32 v10, v4
	v_lshlrev_b64 v[38:39], 1, v[10:11]
	v_add_u32_e32 v24, 0x400, v5
	v_mov_b32_e32 v25, v11
	v_add_co_u32_e64 v38, s[4:5], v12, v38
	v_lshlrev_b64 v[24:25], 1, v[24:25]
	v_addc_co_u32_e64 v39, s[4:5], v13, v39, s[4:5]
	v_add_u32_e32 v22, 0x400, v6
	v_mov_b32_e32 v23, v11
	v_add_co_u32_e64 v24, s[4:5], v12, v24
	v_lshlrev_b64 v[22:23], 1, v[22:23]
	v_addc_co_u32_e64 v25, s[4:5], v13, v25, s[4:5]
	v_add_u32_e32 v2, 0x400, v7
	v_mov_b32_e32 v3, v11
	v_add_co_u32_e64 v22, s[4:5], v12, v22
	v_add_u32_e32 v19, -4, v19
	v_mov_b32_e32 v10, v5
	v_lshlrev_b64 v[2:3], 1, v[2:3]
	v_addc_co_u32_e64 v23, s[4:5], v13, v23, s[4:5]
	v_add_u32_e32 v30, 0x800, v5
	v_mov_b32_e32 v31, v11
	s_add_i32 s16, s16, 16
	v_cmp_eq_u32_e64 s[2:3], 0, v19
	v_lshlrev_b64 v[40:41], 1, v[10:11]
	v_add_co_u32_e64 v2, s[4:5], v12, v2
	v_lshlrev_b64 v[30:31], 1, v[30:31]
	v_mov_b32_e32 v10, v6
	v_addc_co_u32_e64 v3, s[4:5], v13, v3, s[4:5]
	s_or_b64 s[14:15], s[2:3], s[14:15]
	v_add_co_u32_e64 v40, s[2:3], v12, v40
	v_add_u32_e32 v28, 0x800, v6
	v_mov_b32_e32 v29, v11
	v_add_co_u32_e64 v30, s[4:5], v12, v30
	v_addc_co_u32_e64 v41, s[2:3], v13, v41, s[2:3]
	v_lshlrev_b64 v[42:43], 1, v[10:11]
	v_lshlrev_b64 v[28:29], 1, v[28:29]
	v_addc_co_u32_e64 v31, s[4:5], v13, v31, s[4:5]
	v_mov_b32_e32 v10, v7
	v_add_co_u32_e64 v42, s[2:3], v12, v42
	ds_read_u16 v1, v20
	ds_read_u16 v46, v20 offset:512
	ds_read_u16 v47, v20 offset:1024
	;; [unrolled: 1-line block ×7, first 2 shown]
	v_add_u32_e32 v26, 0x800, v7
	v_mov_b32_e32 v27, v11
	v_add_co_u32_e64 v28, s[4:5], v12, v28
	v_addc_co_u32_e64 v43, s[2:3], v13, v43, s[2:3]
	v_lshlrev_b64 v[44:45], 1, v[10:11]
	v_lshlrev_b64 v[26:27], 1, v[26:27]
	v_addc_co_u32_e64 v29, s[4:5], v13, v29, s[4:5]
	v_add_u32_e32 v10, 0x400, v4
	v_add_co_u32_e64 v44, s[2:3], v12, v44
	v_add_u32_e32 v36, 0xc00, v5
	v_mov_b32_e32 v37, v11
	ds_read_u16 v53, v20 offset:4096
	ds_read_u16 v54, v20 offset:4608
	ds_read_u16 v55, v20 offset:5120
	ds_read_u16 v56, v20 offset:5632
	ds_read_u16 v57, v20 offset:6144
	ds_read_u16 v58, v20 offset:6656
	ds_read_u16 v59, v20 offset:7168
	ds_read_u16 v60, v20 offset:7680
	v_add_co_u32_e64 v26, s[4:5], v12, v26
	v_addc_co_u32_e64 v45, s[2:3], v13, v45, s[2:3]
	s_waitcnt lgkmcnt(14)
	global_store_short v[38:39], v1, off
	global_store_short v[40:41], v46, off
	s_waitcnt lgkmcnt(13)
	global_store_short v[42:43], v47, off
	v_lshlrev_b64 v[38:39], 1, v[10:11]
	v_lshlrev_b64 v[36:37], 1, v[36:37]
	v_addc_co_u32_e64 v27, s[4:5], v13, v27, s[4:5]
	v_add_u32_e32 v10, 0x800, v4
	v_add_co_u32_e64 v38, s[2:3], v12, v38
	v_add_u32_e32 v34, 0xc00, v6
	v_mov_b32_e32 v35, v11
	v_add_co_u32_e64 v36, s[4:5], v12, v36
	v_addc_co_u32_e64 v39, s[2:3], v13, v39, s[2:3]
	v_lshlrev_b64 v[40:41], 1, v[10:11]
	v_lshlrev_b64 v[34:35], 1, v[34:35]
	v_addc_co_u32_e64 v37, s[4:5], v13, v37, s[4:5]
	s_waitcnt lgkmcnt(12)
	global_store_short v[44:45], v48, off
	v_add_u32_e32 v10, 0xc00, v4
	s_waitcnt lgkmcnt(11)
	global_store_short v[38:39], v49, off
	s_waitcnt lgkmcnt(10)
	global_store_short v[24:25], v50, off
	;; [unrolled: 2-line block ×4, first 2 shown]
	v_add_co_u32_e64 v2, s[2:3], v12, v40
	v_add_u32_e32 v32, 0xc00, v7
	v_mov_b32_e32 v33, v11
	v_add_co_u32_e64 v34, s[4:5], v12, v34
	v_addc_co_u32_e64 v3, s[2:3], v13, v41, s[2:3]
	v_lshlrev_b64 v[22:23], 1, v[10:11]
	v_lshlrev_b64 v[32:33], 1, v[32:33]
	v_addc_co_u32_e64 v35, s[4:5], v13, v35, s[4:5]
	s_waitcnt lgkmcnt(7)
	global_store_short v[2:3], v53, off
	s_waitcnt lgkmcnt(6)
	global_store_short v[30:31], v54, off
	;; [unrolled: 2-line block ×4, first 2 shown]
	v_add_co_u32_e64 v2, s[2:3], v12, v22
	v_add_u32_e32 v20, 0x2000, v20
	v_add_u32_e32 v5, 0x1000, v5
	v_mov_b32_e32 v21, s16
	v_add_co_u32_e64 v32, s[4:5], v12, v32
	v_add_u32_e32 v6, 0x1000, v6
	v_add_u32_e32 v7, 0x1000, v7
	;; [unrolled: 1-line block ×3, first 2 shown]
	v_addc_co_u32_e64 v3, s[2:3], v13, v23, s[2:3]
	v_addc_co_u32_e64 v33, s[4:5], v13, v33, s[4:5]
	s_waitcnt lgkmcnt(3)
	global_store_short v[2:3], v57, off
	s_waitcnt lgkmcnt(2)
	global_store_short v[36:37], v58, off
	;; [unrolled: 2-line block ×4, first 2 shown]
	s_andn2_b64 exec, exec, s[14:15]
	s_cbranch_execnz .LBB850_233
; %bb.234:
	s_or_b64 exec, exec, s[14:15]
.LBB850_235:
	s_or_b64 exec, exec, s[12:13]
	v_and_b32_e32 v1, 3, v18
	v_cmp_ne_u32_e64 s[2:3], 0, v1
	s_and_saveexec_b64 s[12:13], s[2:3]
	s_cbranch_execz .LBB850_238
; %bb.236:
	v_lshl_or_b32 v10, v21, 9, v17
	s_mov_b64 s[14:15], 0
	v_mov_b32_e32 v3, 0
.LBB850_237:                            ; =>This Inner Loop Header: Depth=1
	v_mov_b32_e32 v2, v4
	v_add_u32_e32 v1, -1, v1
	v_lshlrev_b64 v[18:19], 1, v[2:3]
	v_mov_b32_e32 v2, v5
	v_cmp_eq_u32_e64 s[2:3], 0, v1
	v_lshlrev_b64 v[20:21], 1, v[2:3]
	ds_read_u16 v11, v10
	ds_read_u16 v17, v10 offset:512
	ds_read_u16 v26, v10 offset:1024
	;; [unrolled: 1-line block ×3, first 2 shown]
	v_mov_b32_e32 v2, v6
	s_or_b64 s[14:15], s[2:3], s[14:15]
	v_add_co_u32_e64 v20, s[2:3], v12, v20
	v_addc_co_u32_e64 v21, s[2:3], v13, v21, s[2:3]
	v_lshlrev_b64 v[22:23], 1, v[2:3]
	v_mov_b32_e32 v2, v7
	v_add_co_u32_e64 v22, s[2:3], v12, v22
	v_add_co_u32_e64 v18, s[4:5], v12, v18
	v_addc_co_u32_e64 v23, s[2:3], v13, v23, s[2:3]
	v_lshlrev_b64 v[24:25], 1, v[2:3]
	v_add_u32_e32 v4, 0x400, v4
	v_add_u32_e32 v10, 0x800, v10
	;; [unrolled: 1-line block ×3, first 2 shown]
	v_addc_co_u32_e64 v19, s[4:5], v13, v19, s[4:5]
	v_add_u32_e32 v6, 0x400, v6
	v_add_u32_e32 v7, 0x400, v7
	v_add_co_u32_e64 v24, s[2:3], v12, v24
	v_addc_co_u32_e64 v25, s[2:3], v13, v25, s[2:3]
	s_waitcnt lgkmcnt(3)
	global_store_short v[18:19], v11, off
	s_waitcnt lgkmcnt(2)
	global_store_short v[20:21], v17, off
	;; [unrolled: 2-line block ×4, first 2 shown]
	s_andn2_b64 exec, exec, s[14:15]
	s_cbranch_execnz .LBB850_237
.LBB850_238:
	s_or_b64 exec, exec, s[12:13]
	v_add_u32_e32 v1, 1, v15
	v_and_b32_e32 v2, 0x1fffffc, v1
	v_cmp_ne_u32_e64 s[2:3], v1, v2
	v_lshl_or_b32 v0, v2, 8, v0
	s_orn2_b64 s[4:5], s[2:3], exec
.LBB850_239:
	s_or_b64 exec, exec, s[10:11]
	s_andn2_b64 s[2:3], vcc, exec
	s_and_b64 s[4:5], s[4:5], exec
	s_or_b64 vcc, s[2:3], s[4:5]
.LBB850_240:
	s_or_b64 exec, exec, s[8:9]
	s_and_b64 exec, exec, vcc
	s_cbranch_execz .LBB850_243
; %bb.241:
	v_lshlrev_b32_e32 v2, 1, v0
	s_mov_b64 s[2:3], 0
	v_mov_b32_e32 v1, 0
.LBB850_242:                            ; =>This Inner Loop Header: Depth=1
	v_lshlrev_b64 v[4:5], 1, v[0:1]
	ds_read_u16 v3, v2
	v_add_co_u32_e32 v4, vcc, v12, v4
	v_add_u32_e32 v0, 0x100, v0
	v_addc_co_u32_e32 v5, vcc, v13, v5, vcc
	v_cmp_ge_u32_e32 vcc, v0, v14
	v_add_u32_e32 v2, 0x200, v2
	s_or_b64 s[2:3], vcc, s[2:3]
	s_waitcnt lgkmcnt(0)
	global_store_short v[4:5], v3, off
	s_andn2_b64 exec, exec, s[2:3]
	s_cbranch_execnz .LBB850_242
.LBB850_243:
	s_or_b64 exec, exec, s[6:7]
	s_and_b64 s[0:1], s[0:1], s[18:19]
	s_and_saveexec_b64 s[2:3], s[0:1]
	s_cbranch_execz .LBB850_116
.LBB850_244:
	v_add_co_u32_e32 v0, vcc, v8, v14
	v_addc_co_u32_e32 v1, vcc, 0, v9, vcc
	v_add_co_u32_e32 v0, vcc, v0, v16
	v_mov_b32_e32 v2, 0
	v_addc_co_u32_e32 v1, vcc, 0, v1, vcc
	global_store_dwordx2 v2, v[0:1], s[20:21]
	s_endpgm
	.section	.rodata,"a",@progbits
	.p2align	6, 0x0
	.amdhsa_kernel _ZN7rocprim17ROCPRIM_400000_NS6detail17trampoline_kernelINS0_14default_configENS1_25partition_config_selectorILNS1_17partition_subalgoE8EN3c108BFloat16ENS0_10empty_typeEbEEZZNS1_14partition_implILS5_8ELb0ES3_jPKS7_PS8_PKS8_NS0_5tupleIJPS7_S8_EEENSG_IJSD_SD_EEENS0_18inequality_wrapperIN6hipcub16HIPCUB_304000_NS8EqualityEEEPlJS8_EEE10hipError_tPvRmT3_T4_T5_T6_T7_T9_mT8_P12ihipStream_tbDpT10_ENKUlT_T0_E_clISt17integral_constantIbLb0EES18_IbLb1EEEEDaS14_S15_EUlS14_E_NS1_11comp_targetILNS1_3genE4ELNS1_11target_archE910ELNS1_3gpuE8ELNS1_3repE0EEENS1_30default_config_static_selectorELNS0_4arch9wavefront6targetE1EEEvT1_
		.amdhsa_group_segment_fixed_size 11272
		.amdhsa_private_segment_fixed_size 0
		.amdhsa_kernarg_size 128
		.amdhsa_user_sgpr_count 6
		.amdhsa_user_sgpr_private_segment_buffer 1
		.amdhsa_user_sgpr_dispatch_ptr 0
		.amdhsa_user_sgpr_queue_ptr 0
		.amdhsa_user_sgpr_kernarg_segment_ptr 1
		.amdhsa_user_sgpr_dispatch_id 0
		.amdhsa_user_sgpr_flat_scratch_init 0
		.amdhsa_user_sgpr_kernarg_preload_length 0
		.amdhsa_user_sgpr_kernarg_preload_offset 0
		.amdhsa_user_sgpr_private_segment_size 0
		.amdhsa_uses_dynamic_stack 0
		.amdhsa_system_sgpr_private_segment_wavefront_offset 0
		.amdhsa_system_sgpr_workgroup_id_x 1
		.amdhsa_system_sgpr_workgroup_id_y 0
		.amdhsa_system_sgpr_workgroup_id_z 0
		.amdhsa_system_sgpr_workgroup_info 0
		.amdhsa_system_vgpr_workitem_id 0
		.amdhsa_next_free_vgpr 86
		.amdhsa_next_free_sgpr 38
		.amdhsa_accum_offset 88
		.amdhsa_reserve_vcc 1
		.amdhsa_reserve_flat_scratch 0
		.amdhsa_float_round_mode_32 0
		.amdhsa_float_round_mode_16_64 0
		.amdhsa_float_denorm_mode_32 3
		.amdhsa_float_denorm_mode_16_64 3
		.amdhsa_dx10_clamp 1
		.amdhsa_ieee_mode 1
		.amdhsa_fp16_overflow 0
		.amdhsa_tg_split 0
		.amdhsa_exception_fp_ieee_invalid_op 0
		.amdhsa_exception_fp_denorm_src 0
		.amdhsa_exception_fp_ieee_div_zero 0
		.amdhsa_exception_fp_ieee_overflow 0
		.amdhsa_exception_fp_ieee_underflow 0
		.amdhsa_exception_fp_ieee_inexact 0
		.amdhsa_exception_int_div_zero 0
	.end_amdhsa_kernel
	.section	.text._ZN7rocprim17ROCPRIM_400000_NS6detail17trampoline_kernelINS0_14default_configENS1_25partition_config_selectorILNS1_17partition_subalgoE8EN3c108BFloat16ENS0_10empty_typeEbEEZZNS1_14partition_implILS5_8ELb0ES3_jPKS7_PS8_PKS8_NS0_5tupleIJPS7_S8_EEENSG_IJSD_SD_EEENS0_18inequality_wrapperIN6hipcub16HIPCUB_304000_NS8EqualityEEEPlJS8_EEE10hipError_tPvRmT3_T4_T5_T6_T7_T9_mT8_P12ihipStream_tbDpT10_ENKUlT_T0_E_clISt17integral_constantIbLb0EES18_IbLb1EEEEDaS14_S15_EUlS14_E_NS1_11comp_targetILNS1_3genE4ELNS1_11target_archE910ELNS1_3gpuE8ELNS1_3repE0EEENS1_30default_config_static_selectorELNS0_4arch9wavefront6targetE1EEEvT1_,"axG",@progbits,_ZN7rocprim17ROCPRIM_400000_NS6detail17trampoline_kernelINS0_14default_configENS1_25partition_config_selectorILNS1_17partition_subalgoE8EN3c108BFloat16ENS0_10empty_typeEbEEZZNS1_14partition_implILS5_8ELb0ES3_jPKS7_PS8_PKS8_NS0_5tupleIJPS7_S8_EEENSG_IJSD_SD_EEENS0_18inequality_wrapperIN6hipcub16HIPCUB_304000_NS8EqualityEEEPlJS8_EEE10hipError_tPvRmT3_T4_T5_T6_T7_T9_mT8_P12ihipStream_tbDpT10_ENKUlT_T0_E_clISt17integral_constantIbLb0EES18_IbLb1EEEEDaS14_S15_EUlS14_E_NS1_11comp_targetILNS1_3genE4ELNS1_11target_archE910ELNS1_3gpuE8ELNS1_3repE0EEENS1_30default_config_static_selectorELNS0_4arch9wavefront6targetE1EEEvT1_,comdat
.Lfunc_end850:
	.size	_ZN7rocprim17ROCPRIM_400000_NS6detail17trampoline_kernelINS0_14default_configENS1_25partition_config_selectorILNS1_17partition_subalgoE8EN3c108BFloat16ENS0_10empty_typeEbEEZZNS1_14partition_implILS5_8ELb0ES3_jPKS7_PS8_PKS8_NS0_5tupleIJPS7_S8_EEENSG_IJSD_SD_EEENS0_18inequality_wrapperIN6hipcub16HIPCUB_304000_NS8EqualityEEEPlJS8_EEE10hipError_tPvRmT3_T4_T5_T6_T7_T9_mT8_P12ihipStream_tbDpT10_ENKUlT_T0_E_clISt17integral_constantIbLb0EES18_IbLb1EEEEDaS14_S15_EUlS14_E_NS1_11comp_targetILNS1_3genE4ELNS1_11target_archE910ELNS1_3gpuE8ELNS1_3repE0EEENS1_30default_config_static_selectorELNS0_4arch9wavefront6targetE1EEEvT1_, .Lfunc_end850-_ZN7rocprim17ROCPRIM_400000_NS6detail17trampoline_kernelINS0_14default_configENS1_25partition_config_selectorILNS1_17partition_subalgoE8EN3c108BFloat16ENS0_10empty_typeEbEEZZNS1_14partition_implILS5_8ELb0ES3_jPKS7_PS8_PKS8_NS0_5tupleIJPS7_S8_EEENSG_IJSD_SD_EEENS0_18inequality_wrapperIN6hipcub16HIPCUB_304000_NS8EqualityEEEPlJS8_EEE10hipError_tPvRmT3_T4_T5_T6_T7_T9_mT8_P12ihipStream_tbDpT10_ENKUlT_T0_E_clISt17integral_constantIbLb0EES18_IbLb1EEEEDaS14_S15_EUlS14_E_NS1_11comp_targetILNS1_3genE4ELNS1_11target_archE910ELNS1_3gpuE8ELNS1_3repE0EEENS1_30default_config_static_selectorELNS0_4arch9wavefront6targetE1EEEvT1_
                                        ; -- End function
	.section	.AMDGPU.csdata,"",@progbits
; Kernel info:
; codeLenInByte = 11048
; NumSgprs: 42
; NumVgprs: 86
; NumAgprs: 0
; TotalNumVgprs: 86
; ScratchSize: 0
; MemoryBound: 0
; FloatMode: 240
; IeeeMode: 1
; LDSByteSize: 11272 bytes/workgroup (compile time only)
; SGPRBlocks: 5
; VGPRBlocks: 10
; NumSGPRsForWavesPerEU: 42
; NumVGPRsForWavesPerEU: 86
; AccumOffset: 88
; Occupancy: 5
; WaveLimiterHint : 1
; COMPUTE_PGM_RSRC2:SCRATCH_EN: 0
; COMPUTE_PGM_RSRC2:USER_SGPR: 6
; COMPUTE_PGM_RSRC2:TRAP_HANDLER: 0
; COMPUTE_PGM_RSRC2:TGID_X_EN: 1
; COMPUTE_PGM_RSRC2:TGID_Y_EN: 0
; COMPUTE_PGM_RSRC2:TGID_Z_EN: 0
; COMPUTE_PGM_RSRC2:TIDIG_COMP_CNT: 0
; COMPUTE_PGM_RSRC3_GFX90A:ACCUM_OFFSET: 21
; COMPUTE_PGM_RSRC3_GFX90A:TG_SPLIT: 0
	.section	.text._ZN7rocprim17ROCPRIM_400000_NS6detail17trampoline_kernelINS0_14default_configENS1_25partition_config_selectorILNS1_17partition_subalgoE8EN3c108BFloat16ENS0_10empty_typeEbEEZZNS1_14partition_implILS5_8ELb0ES3_jPKS7_PS8_PKS8_NS0_5tupleIJPS7_S8_EEENSG_IJSD_SD_EEENS0_18inequality_wrapperIN6hipcub16HIPCUB_304000_NS8EqualityEEEPlJS8_EEE10hipError_tPvRmT3_T4_T5_T6_T7_T9_mT8_P12ihipStream_tbDpT10_ENKUlT_T0_E_clISt17integral_constantIbLb0EES18_IbLb1EEEEDaS14_S15_EUlS14_E_NS1_11comp_targetILNS1_3genE3ELNS1_11target_archE908ELNS1_3gpuE7ELNS1_3repE0EEENS1_30default_config_static_selectorELNS0_4arch9wavefront6targetE1EEEvT1_,"axG",@progbits,_ZN7rocprim17ROCPRIM_400000_NS6detail17trampoline_kernelINS0_14default_configENS1_25partition_config_selectorILNS1_17partition_subalgoE8EN3c108BFloat16ENS0_10empty_typeEbEEZZNS1_14partition_implILS5_8ELb0ES3_jPKS7_PS8_PKS8_NS0_5tupleIJPS7_S8_EEENSG_IJSD_SD_EEENS0_18inequality_wrapperIN6hipcub16HIPCUB_304000_NS8EqualityEEEPlJS8_EEE10hipError_tPvRmT3_T4_T5_T6_T7_T9_mT8_P12ihipStream_tbDpT10_ENKUlT_T0_E_clISt17integral_constantIbLb0EES18_IbLb1EEEEDaS14_S15_EUlS14_E_NS1_11comp_targetILNS1_3genE3ELNS1_11target_archE908ELNS1_3gpuE7ELNS1_3repE0EEENS1_30default_config_static_selectorELNS0_4arch9wavefront6targetE1EEEvT1_,comdat
	.protected	_ZN7rocprim17ROCPRIM_400000_NS6detail17trampoline_kernelINS0_14default_configENS1_25partition_config_selectorILNS1_17partition_subalgoE8EN3c108BFloat16ENS0_10empty_typeEbEEZZNS1_14partition_implILS5_8ELb0ES3_jPKS7_PS8_PKS8_NS0_5tupleIJPS7_S8_EEENSG_IJSD_SD_EEENS0_18inequality_wrapperIN6hipcub16HIPCUB_304000_NS8EqualityEEEPlJS8_EEE10hipError_tPvRmT3_T4_T5_T6_T7_T9_mT8_P12ihipStream_tbDpT10_ENKUlT_T0_E_clISt17integral_constantIbLb0EES18_IbLb1EEEEDaS14_S15_EUlS14_E_NS1_11comp_targetILNS1_3genE3ELNS1_11target_archE908ELNS1_3gpuE7ELNS1_3repE0EEENS1_30default_config_static_selectorELNS0_4arch9wavefront6targetE1EEEvT1_ ; -- Begin function _ZN7rocprim17ROCPRIM_400000_NS6detail17trampoline_kernelINS0_14default_configENS1_25partition_config_selectorILNS1_17partition_subalgoE8EN3c108BFloat16ENS0_10empty_typeEbEEZZNS1_14partition_implILS5_8ELb0ES3_jPKS7_PS8_PKS8_NS0_5tupleIJPS7_S8_EEENSG_IJSD_SD_EEENS0_18inequality_wrapperIN6hipcub16HIPCUB_304000_NS8EqualityEEEPlJS8_EEE10hipError_tPvRmT3_T4_T5_T6_T7_T9_mT8_P12ihipStream_tbDpT10_ENKUlT_T0_E_clISt17integral_constantIbLb0EES18_IbLb1EEEEDaS14_S15_EUlS14_E_NS1_11comp_targetILNS1_3genE3ELNS1_11target_archE908ELNS1_3gpuE7ELNS1_3repE0EEENS1_30default_config_static_selectorELNS0_4arch9wavefront6targetE1EEEvT1_
	.globl	_ZN7rocprim17ROCPRIM_400000_NS6detail17trampoline_kernelINS0_14default_configENS1_25partition_config_selectorILNS1_17partition_subalgoE8EN3c108BFloat16ENS0_10empty_typeEbEEZZNS1_14partition_implILS5_8ELb0ES3_jPKS7_PS8_PKS8_NS0_5tupleIJPS7_S8_EEENSG_IJSD_SD_EEENS0_18inequality_wrapperIN6hipcub16HIPCUB_304000_NS8EqualityEEEPlJS8_EEE10hipError_tPvRmT3_T4_T5_T6_T7_T9_mT8_P12ihipStream_tbDpT10_ENKUlT_T0_E_clISt17integral_constantIbLb0EES18_IbLb1EEEEDaS14_S15_EUlS14_E_NS1_11comp_targetILNS1_3genE3ELNS1_11target_archE908ELNS1_3gpuE7ELNS1_3repE0EEENS1_30default_config_static_selectorELNS0_4arch9wavefront6targetE1EEEvT1_
	.p2align	8
	.type	_ZN7rocprim17ROCPRIM_400000_NS6detail17trampoline_kernelINS0_14default_configENS1_25partition_config_selectorILNS1_17partition_subalgoE8EN3c108BFloat16ENS0_10empty_typeEbEEZZNS1_14partition_implILS5_8ELb0ES3_jPKS7_PS8_PKS8_NS0_5tupleIJPS7_S8_EEENSG_IJSD_SD_EEENS0_18inequality_wrapperIN6hipcub16HIPCUB_304000_NS8EqualityEEEPlJS8_EEE10hipError_tPvRmT3_T4_T5_T6_T7_T9_mT8_P12ihipStream_tbDpT10_ENKUlT_T0_E_clISt17integral_constantIbLb0EES18_IbLb1EEEEDaS14_S15_EUlS14_E_NS1_11comp_targetILNS1_3genE3ELNS1_11target_archE908ELNS1_3gpuE7ELNS1_3repE0EEENS1_30default_config_static_selectorELNS0_4arch9wavefront6targetE1EEEvT1_,@function
_ZN7rocprim17ROCPRIM_400000_NS6detail17trampoline_kernelINS0_14default_configENS1_25partition_config_selectorILNS1_17partition_subalgoE8EN3c108BFloat16ENS0_10empty_typeEbEEZZNS1_14partition_implILS5_8ELb0ES3_jPKS7_PS8_PKS8_NS0_5tupleIJPS7_S8_EEENSG_IJSD_SD_EEENS0_18inequality_wrapperIN6hipcub16HIPCUB_304000_NS8EqualityEEEPlJS8_EEE10hipError_tPvRmT3_T4_T5_T6_T7_T9_mT8_P12ihipStream_tbDpT10_ENKUlT_T0_E_clISt17integral_constantIbLb0EES18_IbLb1EEEEDaS14_S15_EUlS14_E_NS1_11comp_targetILNS1_3genE3ELNS1_11target_archE908ELNS1_3gpuE7ELNS1_3repE0EEENS1_30default_config_static_selectorELNS0_4arch9wavefront6targetE1EEEvT1_: ; @_ZN7rocprim17ROCPRIM_400000_NS6detail17trampoline_kernelINS0_14default_configENS1_25partition_config_selectorILNS1_17partition_subalgoE8EN3c108BFloat16ENS0_10empty_typeEbEEZZNS1_14partition_implILS5_8ELb0ES3_jPKS7_PS8_PKS8_NS0_5tupleIJPS7_S8_EEENSG_IJSD_SD_EEENS0_18inequality_wrapperIN6hipcub16HIPCUB_304000_NS8EqualityEEEPlJS8_EEE10hipError_tPvRmT3_T4_T5_T6_T7_T9_mT8_P12ihipStream_tbDpT10_ENKUlT_T0_E_clISt17integral_constantIbLb0EES18_IbLb1EEEEDaS14_S15_EUlS14_E_NS1_11comp_targetILNS1_3genE3ELNS1_11target_archE908ELNS1_3gpuE7ELNS1_3repE0EEENS1_30default_config_static_selectorELNS0_4arch9wavefront6targetE1EEEvT1_
; %bb.0:
	.section	.rodata,"a",@progbits
	.p2align	6, 0x0
	.amdhsa_kernel _ZN7rocprim17ROCPRIM_400000_NS6detail17trampoline_kernelINS0_14default_configENS1_25partition_config_selectorILNS1_17partition_subalgoE8EN3c108BFloat16ENS0_10empty_typeEbEEZZNS1_14partition_implILS5_8ELb0ES3_jPKS7_PS8_PKS8_NS0_5tupleIJPS7_S8_EEENSG_IJSD_SD_EEENS0_18inequality_wrapperIN6hipcub16HIPCUB_304000_NS8EqualityEEEPlJS8_EEE10hipError_tPvRmT3_T4_T5_T6_T7_T9_mT8_P12ihipStream_tbDpT10_ENKUlT_T0_E_clISt17integral_constantIbLb0EES18_IbLb1EEEEDaS14_S15_EUlS14_E_NS1_11comp_targetILNS1_3genE3ELNS1_11target_archE908ELNS1_3gpuE7ELNS1_3repE0EEENS1_30default_config_static_selectorELNS0_4arch9wavefront6targetE1EEEvT1_
		.amdhsa_group_segment_fixed_size 0
		.amdhsa_private_segment_fixed_size 0
		.amdhsa_kernarg_size 128
		.amdhsa_user_sgpr_count 6
		.amdhsa_user_sgpr_private_segment_buffer 1
		.amdhsa_user_sgpr_dispatch_ptr 0
		.amdhsa_user_sgpr_queue_ptr 0
		.amdhsa_user_sgpr_kernarg_segment_ptr 1
		.amdhsa_user_sgpr_dispatch_id 0
		.amdhsa_user_sgpr_flat_scratch_init 0
		.amdhsa_user_sgpr_kernarg_preload_length 0
		.amdhsa_user_sgpr_kernarg_preload_offset 0
		.amdhsa_user_sgpr_private_segment_size 0
		.amdhsa_uses_dynamic_stack 0
		.amdhsa_system_sgpr_private_segment_wavefront_offset 0
		.amdhsa_system_sgpr_workgroup_id_x 1
		.amdhsa_system_sgpr_workgroup_id_y 0
		.amdhsa_system_sgpr_workgroup_id_z 0
		.amdhsa_system_sgpr_workgroup_info 0
		.amdhsa_system_vgpr_workitem_id 0
		.amdhsa_next_free_vgpr 1
		.amdhsa_next_free_sgpr 0
		.amdhsa_accum_offset 4
		.amdhsa_reserve_vcc 0
		.amdhsa_reserve_flat_scratch 0
		.amdhsa_float_round_mode_32 0
		.amdhsa_float_round_mode_16_64 0
		.amdhsa_float_denorm_mode_32 3
		.amdhsa_float_denorm_mode_16_64 3
		.amdhsa_dx10_clamp 1
		.amdhsa_ieee_mode 1
		.amdhsa_fp16_overflow 0
		.amdhsa_tg_split 0
		.amdhsa_exception_fp_ieee_invalid_op 0
		.amdhsa_exception_fp_denorm_src 0
		.amdhsa_exception_fp_ieee_div_zero 0
		.amdhsa_exception_fp_ieee_overflow 0
		.amdhsa_exception_fp_ieee_underflow 0
		.amdhsa_exception_fp_ieee_inexact 0
		.amdhsa_exception_int_div_zero 0
	.end_amdhsa_kernel
	.section	.text._ZN7rocprim17ROCPRIM_400000_NS6detail17trampoline_kernelINS0_14default_configENS1_25partition_config_selectorILNS1_17partition_subalgoE8EN3c108BFloat16ENS0_10empty_typeEbEEZZNS1_14partition_implILS5_8ELb0ES3_jPKS7_PS8_PKS8_NS0_5tupleIJPS7_S8_EEENSG_IJSD_SD_EEENS0_18inequality_wrapperIN6hipcub16HIPCUB_304000_NS8EqualityEEEPlJS8_EEE10hipError_tPvRmT3_T4_T5_T6_T7_T9_mT8_P12ihipStream_tbDpT10_ENKUlT_T0_E_clISt17integral_constantIbLb0EES18_IbLb1EEEEDaS14_S15_EUlS14_E_NS1_11comp_targetILNS1_3genE3ELNS1_11target_archE908ELNS1_3gpuE7ELNS1_3repE0EEENS1_30default_config_static_selectorELNS0_4arch9wavefront6targetE1EEEvT1_,"axG",@progbits,_ZN7rocprim17ROCPRIM_400000_NS6detail17trampoline_kernelINS0_14default_configENS1_25partition_config_selectorILNS1_17partition_subalgoE8EN3c108BFloat16ENS0_10empty_typeEbEEZZNS1_14partition_implILS5_8ELb0ES3_jPKS7_PS8_PKS8_NS0_5tupleIJPS7_S8_EEENSG_IJSD_SD_EEENS0_18inequality_wrapperIN6hipcub16HIPCUB_304000_NS8EqualityEEEPlJS8_EEE10hipError_tPvRmT3_T4_T5_T6_T7_T9_mT8_P12ihipStream_tbDpT10_ENKUlT_T0_E_clISt17integral_constantIbLb0EES18_IbLb1EEEEDaS14_S15_EUlS14_E_NS1_11comp_targetILNS1_3genE3ELNS1_11target_archE908ELNS1_3gpuE7ELNS1_3repE0EEENS1_30default_config_static_selectorELNS0_4arch9wavefront6targetE1EEEvT1_,comdat
.Lfunc_end851:
	.size	_ZN7rocprim17ROCPRIM_400000_NS6detail17trampoline_kernelINS0_14default_configENS1_25partition_config_selectorILNS1_17partition_subalgoE8EN3c108BFloat16ENS0_10empty_typeEbEEZZNS1_14partition_implILS5_8ELb0ES3_jPKS7_PS8_PKS8_NS0_5tupleIJPS7_S8_EEENSG_IJSD_SD_EEENS0_18inequality_wrapperIN6hipcub16HIPCUB_304000_NS8EqualityEEEPlJS8_EEE10hipError_tPvRmT3_T4_T5_T6_T7_T9_mT8_P12ihipStream_tbDpT10_ENKUlT_T0_E_clISt17integral_constantIbLb0EES18_IbLb1EEEEDaS14_S15_EUlS14_E_NS1_11comp_targetILNS1_3genE3ELNS1_11target_archE908ELNS1_3gpuE7ELNS1_3repE0EEENS1_30default_config_static_selectorELNS0_4arch9wavefront6targetE1EEEvT1_, .Lfunc_end851-_ZN7rocprim17ROCPRIM_400000_NS6detail17trampoline_kernelINS0_14default_configENS1_25partition_config_selectorILNS1_17partition_subalgoE8EN3c108BFloat16ENS0_10empty_typeEbEEZZNS1_14partition_implILS5_8ELb0ES3_jPKS7_PS8_PKS8_NS0_5tupleIJPS7_S8_EEENSG_IJSD_SD_EEENS0_18inequality_wrapperIN6hipcub16HIPCUB_304000_NS8EqualityEEEPlJS8_EEE10hipError_tPvRmT3_T4_T5_T6_T7_T9_mT8_P12ihipStream_tbDpT10_ENKUlT_T0_E_clISt17integral_constantIbLb0EES18_IbLb1EEEEDaS14_S15_EUlS14_E_NS1_11comp_targetILNS1_3genE3ELNS1_11target_archE908ELNS1_3gpuE7ELNS1_3repE0EEENS1_30default_config_static_selectorELNS0_4arch9wavefront6targetE1EEEvT1_
                                        ; -- End function
	.section	.AMDGPU.csdata,"",@progbits
; Kernel info:
; codeLenInByte = 0
; NumSgprs: 4
; NumVgprs: 0
; NumAgprs: 0
; TotalNumVgprs: 0
; ScratchSize: 0
; MemoryBound: 0
; FloatMode: 240
; IeeeMode: 1
; LDSByteSize: 0 bytes/workgroup (compile time only)
; SGPRBlocks: 0
; VGPRBlocks: 0
; NumSGPRsForWavesPerEU: 4
; NumVGPRsForWavesPerEU: 1
; AccumOffset: 4
; Occupancy: 8
; WaveLimiterHint : 0
; COMPUTE_PGM_RSRC2:SCRATCH_EN: 0
; COMPUTE_PGM_RSRC2:USER_SGPR: 6
; COMPUTE_PGM_RSRC2:TRAP_HANDLER: 0
; COMPUTE_PGM_RSRC2:TGID_X_EN: 1
; COMPUTE_PGM_RSRC2:TGID_Y_EN: 0
; COMPUTE_PGM_RSRC2:TGID_Z_EN: 0
; COMPUTE_PGM_RSRC2:TIDIG_COMP_CNT: 0
; COMPUTE_PGM_RSRC3_GFX90A:ACCUM_OFFSET: 0
; COMPUTE_PGM_RSRC3_GFX90A:TG_SPLIT: 0
	.section	.text._ZN7rocprim17ROCPRIM_400000_NS6detail17trampoline_kernelINS0_14default_configENS1_25partition_config_selectorILNS1_17partition_subalgoE8EN3c108BFloat16ENS0_10empty_typeEbEEZZNS1_14partition_implILS5_8ELb0ES3_jPKS7_PS8_PKS8_NS0_5tupleIJPS7_S8_EEENSG_IJSD_SD_EEENS0_18inequality_wrapperIN6hipcub16HIPCUB_304000_NS8EqualityEEEPlJS8_EEE10hipError_tPvRmT3_T4_T5_T6_T7_T9_mT8_P12ihipStream_tbDpT10_ENKUlT_T0_E_clISt17integral_constantIbLb0EES18_IbLb1EEEEDaS14_S15_EUlS14_E_NS1_11comp_targetILNS1_3genE2ELNS1_11target_archE906ELNS1_3gpuE6ELNS1_3repE0EEENS1_30default_config_static_selectorELNS0_4arch9wavefront6targetE1EEEvT1_,"axG",@progbits,_ZN7rocprim17ROCPRIM_400000_NS6detail17trampoline_kernelINS0_14default_configENS1_25partition_config_selectorILNS1_17partition_subalgoE8EN3c108BFloat16ENS0_10empty_typeEbEEZZNS1_14partition_implILS5_8ELb0ES3_jPKS7_PS8_PKS8_NS0_5tupleIJPS7_S8_EEENSG_IJSD_SD_EEENS0_18inequality_wrapperIN6hipcub16HIPCUB_304000_NS8EqualityEEEPlJS8_EEE10hipError_tPvRmT3_T4_T5_T6_T7_T9_mT8_P12ihipStream_tbDpT10_ENKUlT_T0_E_clISt17integral_constantIbLb0EES18_IbLb1EEEEDaS14_S15_EUlS14_E_NS1_11comp_targetILNS1_3genE2ELNS1_11target_archE906ELNS1_3gpuE6ELNS1_3repE0EEENS1_30default_config_static_selectorELNS0_4arch9wavefront6targetE1EEEvT1_,comdat
	.protected	_ZN7rocprim17ROCPRIM_400000_NS6detail17trampoline_kernelINS0_14default_configENS1_25partition_config_selectorILNS1_17partition_subalgoE8EN3c108BFloat16ENS0_10empty_typeEbEEZZNS1_14partition_implILS5_8ELb0ES3_jPKS7_PS8_PKS8_NS0_5tupleIJPS7_S8_EEENSG_IJSD_SD_EEENS0_18inequality_wrapperIN6hipcub16HIPCUB_304000_NS8EqualityEEEPlJS8_EEE10hipError_tPvRmT3_T4_T5_T6_T7_T9_mT8_P12ihipStream_tbDpT10_ENKUlT_T0_E_clISt17integral_constantIbLb0EES18_IbLb1EEEEDaS14_S15_EUlS14_E_NS1_11comp_targetILNS1_3genE2ELNS1_11target_archE906ELNS1_3gpuE6ELNS1_3repE0EEENS1_30default_config_static_selectorELNS0_4arch9wavefront6targetE1EEEvT1_ ; -- Begin function _ZN7rocprim17ROCPRIM_400000_NS6detail17trampoline_kernelINS0_14default_configENS1_25partition_config_selectorILNS1_17partition_subalgoE8EN3c108BFloat16ENS0_10empty_typeEbEEZZNS1_14partition_implILS5_8ELb0ES3_jPKS7_PS8_PKS8_NS0_5tupleIJPS7_S8_EEENSG_IJSD_SD_EEENS0_18inequality_wrapperIN6hipcub16HIPCUB_304000_NS8EqualityEEEPlJS8_EEE10hipError_tPvRmT3_T4_T5_T6_T7_T9_mT8_P12ihipStream_tbDpT10_ENKUlT_T0_E_clISt17integral_constantIbLb0EES18_IbLb1EEEEDaS14_S15_EUlS14_E_NS1_11comp_targetILNS1_3genE2ELNS1_11target_archE906ELNS1_3gpuE6ELNS1_3repE0EEENS1_30default_config_static_selectorELNS0_4arch9wavefront6targetE1EEEvT1_
	.globl	_ZN7rocprim17ROCPRIM_400000_NS6detail17trampoline_kernelINS0_14default_configENS1_25partition_config_selectorILNS1_17partition_subalgoE8EN3c108BFloat16ENS0_10empty_typeEbEEZZNS1_14partition_implILS5_8ELb0ES3_jPKS7_PS8_PKS8_NS0_5tupleIJPS7_S8_EEENSG_IJSD_SD_EEENS0_18inequality_wrapperIN6hipcub16HIPCUB_304000_NS8EqualityEEEPlJS8_EEE10hipError_tPvRmT3_T4_T5_T6_T7_T9_mT8_P12ihipStream_tbDpT10_ENKUlT_T0_E_clISt17integral_constantIbLb0EES18_IbLb1EEEEDaS14_S15_EUlS14_E_NS1_11comp_targetILNS1_3genE2ELNS1_11target_archE906ELNS1_3gpuE6ELNS1_3repE0EEENS1_30default_config_static_selectorELNS0_4arch9wavefront6targetE1EEEvT1_
	.p2align	8
	.type	_ZN7rocprim17ROCPRIM_400000_NS6detail17trampoline_kernelINS0_14default_configENS1_25partition_config_selectorILNS1_17partition_subalgoE8EN3c108BFloat16ENS0_10empty_typeEbEEZZNS1_14partition_implILS5_8ELb0ES3_jPKS7_PS8_PKS8_NS0_5tupleIJPS7_S8_EEENSG_IJSD_SD_EEENS0_18inequality_wrapperIN6hipcub16HIPCUB_304000_NS8EqualityEEEPlJS8_EEE10hipError_tPvRmT3_T4_T5_T6_T7_T9_mT8_P12ihipStream_tbDpT10_ENKUlT_T0_E_clISt17integral_constantIbLb0EES18_IbLb1EEEEDaS14_S15_EUlS14_E_NS1_11comp_targetILNS1_3genE2ELNS1_11target_archE906ELNS1_3gpuE6ELNS1_3repE0EEENS1_30default_config_static_selectorELNS0_4arch9wavefront6targetE1EEEvT1_,@function
_ZN7rocprim17ROCPRIM_400000_NS6detail17trampoline_kernelINS0_14default_configENS1_25partition_config_selectorILNS1_17partition_subalgoE8EN3c108BFloat16ENS0_10empty_typeEbEEZZNS1_14partition_implILS5_8ELb0ES3_jPKS7_PS8_PKS8_NS0_5tupleIJPS7_S8_EEENSG_IJSD_SD_EEENS0_18inequality_wrapperIN6hipcub16HIPCUB_304000_NS8EqualityEEEPlJS8_EEE10hipError_tPvRmT3_T4_T5_T6_T7_T9_mT8_P12ihipStream_tbDpT10_ENKUlT_T0_E_clISt17integral_constantIbLb0EES18_IbLb1EEEEDaS14_S15_EUlS14_E_NS1_11comp_targetILNS1_3genE2ELNS1_11target_archE906ELNS1_3gpuE6ELNS1_3repE0EEENS1_30default_config_static_selectorELNS0_4arch9wavefront6targetE1EEEvT1_: ; @_ZN7rocprim17ROCPRIM_400000_NS6detail17trampoline_kernelINS0_14default_configENS1_25partition_config_selectorILNS1_17partition_subalgoE8EN3c108BFloat16ENS0_10empty_typeEbEEZZNS1_14partition_implILS5_8ELb0ES3_jPKS7_PS8_PKS8_NS0_5tupleIJPS7_S8_EEENSG_IJSD_SD_EEENS0_18inequality_wrapperIN6hipcub16HIPCUB_304000_NS8EqualityEEEPlJS8_EEE10hipError_tPvRmT3_T4_T5_T6_T7_T9_mT8_P12ihipStream_tbDpT10_ENKUlT_T0_E_clISt17integral_constantIbLb0EES18_IbLb1EEEEDaS14_S15_EUlS14_E_NS1_11comp_targetILNS1_3genE2ELNS1_11target_archE906ELNS1_3gpuE6ELNS1_3repE0EEENS1_30default_config_static_selectorELNS0_4arch9wavefront6targetE1EEEvT1_
; %bb.0:
	.section	.rodata,"a",@progbits
	.p2align	6, 0x0
	.amdhsa_kernel _ZN7rocprim17ROCPRIM_400000_NS6detail17trampoline_kernelINS0_14default_configENS1_25partition_config_selectorILNS1_17partition_subalgoE8EN3c108BFloat16ENS0_10empty_typeEbEEZZNS1_14partition_implILS5_8ELb0ES3_jPKS7_PS8_PKS8_NS0_5tupleIJPS7_S8_EEENSG_IJSD_SD_EEENS0_18inequality_wrapperIN6hipcub16HIPCUB_304000_NS8EqualityEEEPlJS8_EEE10hipError_tPvRmT3_T4_T5_T6_T7_T9_mT8_P12ihipStream_tbDpT10_ENKUlT_T0_E_clISt17integral_constantIbLb0EES18_IbLb1EEEEDaS14_S15_EUlS14_E_NS1_11comp_targetILNS1_3genE2ELNS1_11target_archE906ELNS1_3gpuE6ELNS1_3repE0EEENS1_30default_config_static_selectorELNS0_4arch9wavefront6targetE1EEEvT1_
		.amdhsa_group_segment_fixed_size 0
		.amdhsa_private_segment_fixed_size 0
		.amdhsa_kernarg_size 128
		.amdhsa_user_sgpr_count 6
		.amdhsa_user_sgpr_private_segment_buffer 1
		.amdhsa_user_sgpr_dispatch_ptr 0
		.amdhsa_user_sgpr_queue_ptr 0
		.amdhsa_user_sgpr_kernarg_segment_ptr 1
		.amdhsa_user_sgpr_dispatch_id 0
		.amdhsa_user_sgpr_flat_scratch_init 0
		.amdhsa_user_sgpr_kernarg_preload_length 0
		.amdhsa_user_sgpr_kernarg_preload_offset 0
		.amdhsa_user_sgpr_private_segment_size 0
		.amdhsa_uses_dynamic_stack 0
		.amdhsa_system_sgpr_private_segment_wavefront_offset 0
		.amdhsa_system_sgpr_workgroup_id_x 1
		.amdhsa_system_sgpr_workgroup_id_y 0
		.amdhsa_system_sgpr_workgroup_id_z 0
		.amdhsa_system_sgpr_workgroup_info 0
		.amdhsa_system_vgpr_workitem_id 0
		.amdhsa_next_free_vgpr 1
		.amdhsa_next_free_sgpr 0
		.amdhsa_accum_offset 4
		.amdhsa_reserve_vcc 0
		.amdhsa_reserve_flat_scratch 0
		.amdhsa_float_round_mode_32 0
		.amdhsa_float_round_mode_16_64 0
		.amdhsa_float_denorm_mode_32 3
		.amdhsa_float_denorm_mode_16_64 3
		.amdhsa_dx10_clamp 1
		.amdhsa_ieee_mode 1
		.amdhsa_fp16_overflow 0
		.amdhsa_tg_split 0
		.amdhsa_exception_fp_ieee_invalid_op 0
		.amdhsa_exception_fp_denorm_src 0
		.amdhsa_exception_fp_ieee_div_zero 0
		.amdhsa_exception_fp_ieee_overflow 0
		.amdhsa_exception_fp_ieee_underflow 0
		.amdhsa_exception_fp_ieee_inexact 0
		.amdhsa_exception_int_div_zero 0
	.end_amdhsa_kernel
	.section	.text._ZN7rocprim17ROCPRIM_400000_NS6detail17trampoline_kernelINS0_14default_configENS1_25partition_config_selectorILNS1_17partition_subalgoE8EN3c108BFloat16ENS0_10empty_typeEbEEZZNS1_14partition_implILS5_8ELb0ES3_jPKS7_PS8_PKS8_NS0_5tupleIJPS7_S8_EEENSG_IJSD_SD_EEENS0_18inequality_wrapperIN6hipcub16HIPCUB_304000_NS8EqualityEEEPlJS8_EEE10hipError_tPvRmT3_T4_T5_T6_T7_T9_mT8_P12ihipStream_tbDpT10_ENKUlT_T0_E_clISt17integral_constantIbLb0EES18_IbLb1EEEEDaS14_S15_EUlS14_E_NS1_11comp_targetILNS1_3genE2ELNS1_11target_archE906ELNS1_3gpuE6ELNS1_3repE0EEENS1_30default_config_static_selectorELNS0_4arch9wavefront6targetE1EEEvT1_,"axG",@progbits,_ZN7rocprim17ROCPRIM_400000_NS6detail17trampoline_kernelINS0_14default_configENS1_25partition_config_selectorILNS1_17partition_subalgoE8EN3c108BFloat16ENS0_10empty_typeEbEEZZNS1_14partition_implILS5_8ELb0ES3_jPKS7_PS8_PKS8_NS0_5tupleIJPS7_S8_EEENSG_IJSD_SD_EEENS0_18inequality_wrapperIN6hipcub16HIPCUB_304000_NS8EqualityEEEPlJS8_EEE10hipError_tPvRmT3_T4_T5_T6_T7_T9_mT8_P12ihipStream_tbDpT10_ENKUlT_T0_E_clISt17integral_constantIbLb0EES18_IbLb1EEEEDaS14_S15_EUlS14_E_NS1_11comp_targetILNS1_3genE2ELNS1_11target_archE906ELNS1_3gpuE6ELNS1_3repE0EEENS1_30default_config_static_selectorELNS0_4arch9wavefront6targetE1EEEvT1_,comdat
.Lfunc_end852:
	.size	_ZN7rocprim17ROCPRIM_400000_NS6detail17trampoline_kernelINS0_14default_configENS1_25partition_config_selectorILNS1_17partition_subalgoE8EN3c108BFloat16ENS0_10empty_typeEbEEZZNS1_14partition_implILS5_8ELb0ES3_jPKS7_PS8_PKS8_NS0_5tupleIJPS7_S8_EEENSG_IJSD_SD_EEENS0_18inequality_wrapperIN6hipcub16HIPCUB_304000_NS8EqualityEEEPlJS8_EEE10hipError_tPvRmT3_T4_T5_T6_T7_T9_mT8_P12ihipStream_tbDpT10_ENKUlT_T0_E_clISt17integral_constantIbLb0EES18_IbLb1EEEEDaS14_S15_EUlS14_E_NS1_11comp_targetILNS1_3genE2ELNS1_11target_archE906ELNS1_3gpuE6ELNS1_3repE0EEENS1_30default_config_static_selectorELNS0_4arch9wavefront6targetE1EEEvT1_, .Lfunc_end852-_ZN7rocprim17ROCPRIM_400000_NS6detail17trampoline_kernelINS0_14default_configENS1_25partition_config_selectorILNS1_17partition_subalgoE8EN3c108BFloat16ENS0_10empty_typeEbEEZZNS1_14partition_implILS5_8ELb0ES3_jPKS7_PS8_PKS8_NS0_5tupleIJPS7_S8_EEENSG_IJSD_SD_EEENS0_18inequality_wrapperIN6hipcub16HIPCUB_304000_NS8EqualityEEEPlJS8_EEE10hipError_tPvRmT3_T4_T5_T6_T7_T9_mT8_P12ihipStream_tbDpT10_ENKUlT_T0_E_clISt17integral_constantIbLb0EES18_IbLb1EEEEDaS14_S15_EUlS14_E_NS1_11comp_targetILNS1_3genE2ELNS1_11target_archE906ELNS1_3gpuE6ELNS1_3repE0EEENS1_30default_config_static_selectorELNS0_4arch9wavefront6targetE1EEEvT1_
                                        ; -- End function
	.section	.AMDGPU.csdata,"",@progbits
; Kernel info:
; codeLenInByte = 0
; NumSgprs: 4
; NumVgprs: 0
; NumAgprs: 0
; TotalNumVgprs: 0
; ScratchSize: 0
; MemoryBound: 0
; FloatMode: 240
; IeeeMode: 1
; LDSByteSize: 0 bytes/workgroup (compile time only)
; SGPRBlocks: 0
; VGPRBlocks: 0
; NumSGPRsForWavesPerEU: 4
; NumVGPRsForWavesPerEU: 1
; AccumOffset: 4
; Occupancy: 8
; WaveLimiterHint : 0
; COMPUTE_PGM_RSRC2:SCRATCH_EN: 0
; COMPUTE_PGM_RSRC2:USER_SGPR: 6
; COMPUTE_PGM_RSRC2:TRAP_HANDLER: 0
; COMPUTE_PGM_RSRC2:TGID_X_EN: 1
; COMPUTE_PGM_RSRC2:TGID_Y_EN: 0
; COMPUTE_PGM_RSRC2:TGID_Z_EN: 0
; COMPUTE_PGM_RSRC2:TIDIG_COMP_CNT: 0
; COMPUTE_PGM_RSRC3_GFX90A:ACCUM_OFFSET: 0
; COMPUTE_PGM_RSRC3_GFX90A:TG_SPLIT: 0
	.section	.text._ZN7rocprim17ROCPRIM_400000_NS6detail17trampoline_kernelINS0_14default_configENS1_25partition_config_selectorILNS1_17partition_subalgoE8EN3c108BFloat16ENS0_10empty_typeEbEEZZNS1_14partition_implILS5_8ELb0ES3_jPKS7_PS8_PKS8_NS0_5tupleIJPS7_S8_EEENSG_IJSD_SD_EEENS0_18inequality_wrapperIN6hipcub16HIPCUB_304000_NS8EqualityEEEPlJS8_EEE10hipError_tPvRmT3_T4_T5_T6_T7_T9_mT8_P12ihipStream_tbDpT10_ENKUlT_T0_E_clISt17integral_constantIbLb0EES18_IbLb1EEEEDaS14_S15_EUlS14_E_NS1_11comp_targetILNS1_3genE10ELNS1_11target_archE1200ELNS1_3gpuE4ELNS1_3repE0EEENS1_30default_config_static_selectorELNS0_4arch9wavefront6targetE1EEEvT1_,"axG",@progbits,_ZN7rocprim17ROCPRIM_400000_NS6detail17trampoline_kernelINS0_14default_configENS1_25partition_config_selectorILNS1_17partition_subalgoE8EN3c108BFloat16ENS0_10empty_typeEbEEZZNS1_14partition_implILS5_8ELb0ES3_jPKS7_PS8_PKS8_NS0_5tupleIJPS7_S8_EEENSG_IJSD_SD_EEENS0_18inequality_wrapperIN6hipcub16HIPCUB_304000_NS8EqualityEEEPlJS8_EEE10hipError_tPvRmT3_T4_T5_T6_T7_T9_mT8_P12ihipStream_tbDpT10_ENKUlT_T0_E_clISt17integral_constantIbLb0EES18_IbLb1EEEEDaS14_S15_EUlS14_E_NS1_11comp_targetILNS1_3genE10ELNS1_11target_archE1200ELNS1_3gpuE4ELNS1_3repE0EEENS1_30default_config_static_selectorELNS0_4arch9wavefront6targetE1EEEvT1_,comdat
	.protected	_ZN7rocprim17ROCPRIM_400000_NS6detail17trampoline_kernelINS0_14default_configENS1_25partition_config_selectorILNS1_17partition_subalgoE8EN3c108BFloat16ENS0_10empty_typeEbEEZZNS1_14partition_implILS5_8ELb0ES3_jPKS7_PS8_PKS8_NS0_5tupleIJPS7_S8_EEENSG_IJSD_SD_EEENS0_18inequality_wrapperIN6hipcub16HIPCUB_304000_NS8EqualityEEEPlJS8_EEE10hipError_tPvRmT3_T4_T5_T6_T7_T9_mT8_P12ihipStream_tbDpT10_ENKUlT_T0_E_clISt17integral_constantIbLb0EES18_IbLb1EEEEDaS14_S15_EUlS14_E_NS1_11comp_targetILNS1_3genE10ELNS1_11target_archE1200ELNS1_3gpuE4ELNS1_3repE0EEENS1_30default_config_static_selectorELNS0_4arch9wavefront6targetE1EEEvT1_ ; -- Begin function _ZN7rocprim17ROCPRIM_400000_NS6detail17trampoline_kernelINS0_14default_configENS1_25partition_config_selectorILNS1_17partition_subalgoE8EN3c108BFloat16ENS0_10empty_typeEbEEZZNS1_14partition_implILS5_8ELb0ES3_jPKS7_PS8_PKS8_NS0_5tupleIJPS7_S8_EEENSG_IJSD_SD_EEENS0_18inequality_wrapperIN6hipcub16HIPCUB_304000_NS8EqualityEEEPlJS8_EEE10hipError_tPvRmT3_T4_T5_T6_T7_T9_mT8_P12ihipStream_tbDpT10_ENKUlT_T0_E_clISt17integral_constantIbLb0EES18_IbLb1EEEEDaS14_S15_EUlS14_E_NS1_11comp_targetILNS1_3genE10ELNS1_11target_archE1200ELNS1_3gpuE4ELNS1_3repE0EEENS1_30default_config_static_selectorELNS0_4arch9wavefront6targetE1EEEvT1_
	.globl	_ZN7rocprim17ROCPRIM_400000_NS6detail17trampoline_kernelINS0_14default_configENS1_25partition_config_selectorILNS1_17partition_subalgoE8EN3c108BFloat16ENS0_10empty_typeEbEEZZNS1_14partition_implILS5_8ELb0ES3_jPKS7_PS8_PKS8_NS0_5tupleIJPS7_S8_EEENSG_IJSD_SD_EEENS0_18inequality_wrapperIN6hipcub16HIPCUB_304000_NS8EqualityEEEPlJS8_EEE10hipError_tPvRmT3_T4_T5_T6_T7_T9_mT8_P12ihipStream_tbDpT10_ENKUlT_T0_E_clISt17integral_constantIbLb0EES18_IbLb1EEEEDaS14_S15_EUlS14_E_NS1_11comp_targetILNS1_3genE10ELNS1_11target_archE1200ELNS1_3gpuE4ELNS1_3repE0EEENS1_30default_config_static_selectorELNS0_4arch9wavefront6targetE1EEEvT1_
	.p2align	8
	.type	_ZN7rocprim17ROCPRIM_400000_NS6detail17trampoline_kernelINS0_14default_configENS1_25partition_config_selectorILNS1_17partition_subalgoE8EN3c108BFloat16ENS0_10empty_typeEbEEZZNS1_14partition_implILS5_8ELb0ES3_jPKS7_PS8_PKS8_NS0_5tupleIJPS7_S8_EEENSG_IJSD_SD_EEENS0_18inequality_wrapperIN6hipcub16HIPCUB_304000_NS8EqualityEEEPlJS8_EEE10hipError_tPvRmT3_T4_T5_T6_T7_T9_mT8_P12ihipStream_tbDpT10_ENKUlT_T0_E_clISt17integral_constantIbLb0EES18_IbLb1EEEEDaS14_S15_EUlS14_E_NS1_11comp_targetILNS1_3genE10ELNS1_11target_archE1200ELNS1_3gpuE4ELNS1_3repE0EEENS1_30default_config_static_selectorELNS0_4arch9wavefront6targetE1EEEvT1_,@function
_ZN7rocprim17ROCPRIM_400000_NS6detail17trampoline_kernelINS0_14default_configENS1_25partition_config_selectorILNS1_17partition_subalgoE8EN3c108BFloat16ENS0_10empty_typeEbEEZZNS1_14partition_implILS5_8ELb0ES3_jPKS7_PS8_PKS8_NS0_5tupleIJPS7_S8_EEENSG_IJSD_SD_EEENS0_18inequality_wrapperIN6hipcub16HIPCUB_304000_NS8EqualityEEEPlJS8_EEE10hipError_tPvRmT3_T4_T5_T6_T7_T9_mT8_P12ihipStream_tbDpT10_ENKUlT_T0_E_clISt17integral_constantIbLb0EES18_IbLb1EEEEDaS14_S15_EUlS14_E_NS1_11comp_targetILNS1_3genE10ELNS1_11target_archE1200ELNS1_3gpuE4ELNS1_3repE0EEENS1_30default_config_static_selectorELNS0_4arch9wavefront6targetE1EEEvT1_: ; @_ZN7rocprim17ROCPRIM_400000_NS6detail17trampoline_kernelINS0_14default_configENS1_25partition_config_selectorILNS1_17partition_subalgoE8EN3c108BFloat16ENS0_10empty_typeEbEEZZNS1_14partition_implILS5_8ELb0ES3_jPKS7_PS8_PKS8_NS0_5tupleIJPS7_S8_EEENSG_IJSD_SD_EEENS0_18inequality_wrapperIN6hipcub16HIPCUB_304000_NS8EqualityEEEPlJS8_EEE10hipError_tPvRmT3_T4_T5_T6_T7_T9_mT8_P12ihipStream_tbDpT10_ENKUlT_T0_E_clISt17integral_constantIbLb0EES18_IbLb1EEEEDaS14_S15_EUlS14_E_NS1_11comp_targetILNS1_3genE10ELNS1_11target_archE1200ELNS1_3gpuE4ELNS1_3repE0EEENS1_30default_config_static_selectorELNS0_4arch9wavefront6targetE1EEEvT1_
; %bb.0:
	.section	.rodata,"a",@progbits
	.p2align	6, 0x0
	.amdhsa_kernel _ZN7rocprim17ROCPRIM_400000_NS6detail17trampoline_kernelINS0_14default_configENS1_25partition_config_selectorILNS1_17partition_subalgoE8EN3c108BFloat16ENS0_10empty_typeEbEEZZNS1_14partition_implILS5_8ELb0ES3_jPKS7_PS8_PKS8_NS0_5tupleIJPS7_S8_EEENSG_IJSD_SD_EEENS0_18inequality_wrapperIN6hipcub16HIPCUB_304000_NS8EqualityEEEPlJS8_EEE10hipError_tPvRmT3_T4_T5_T6_T7_T9_mT8_P12ihipStream_tbDpT10_ENKUlT_T0_E_clISt17integral_constantIbLb0EES18_IbLb1EEEEDaS14_S15_EUlS14_E_NS1_11comp_targetILNS1_3genE10ELNS1_11target_archE1200ELNS1_3gpuE4ELNS1_3repE0EEENS1_30default_config_static_selectorELNS0_4arch9wavefront6targetE1EEEvT1_
		.amdhsa_group_segment_fixed_size 0
		.amdhsa_private_segment_fixed_size 0
		.amdhsa_kernarg_size 128
		.amdhsa_user_sgpr_count 6
		.amdhsa_user_sgpr_private_segment_buffer 1
		.amdhsa_user_sgpr_dispatch_ptr 0
		.amdhsa_user_sgpr_queue_ptr 0
		.amdhsa_user_sgpr_kernarg_segment_ptr 1
		.amdhsa_user_sgpr_dispatch_id 0
		.amdhsa_user_sgpr_flat_scratch_init 0
		.amdhsa_user_sgpr_kernarg_preload_length 0
		.amdhsa_user_sgpr_kernarg_preload_offset 0
		.amdhsa_user_sgpr_private_segment_size 0
		.amdhsa_uses_dynamic_stack 0
		.amdhsa_system_sgpr_private_segment_wavefront_offset 0
		.amdhsa_system_sgpr_workgroup_id_x 1
		.amdhsa_system_sgpr_workgroup_id_y 0
		.amdhsa_system_sgpr_workgroup_id_z 0
		.amdhsa_system_sgpr_workgroup_info 0
		.amdhsa_system_vgpr_workitem_id 0
		.amdhsa_next_free_vgpr 1
		.amdhsa_next_free_sgpr 0
		.amdhsa_accum_offset 4
		.amdhsa_reserve_vcc 0
		.amdhsa_reserve_flat_scratch 0
		.amdhsa_float_round_mode_32 0
		.amdhsa_float_round_mode_16_64 0
		.amdhsa_float_denorm_mode_32 3
		.amdhsa_float_denorm_mode_16_64 3
		.amdhsa_dx10_clamp 1
		.amdhsa_ieee_mode 1
		.amdhsa_fp16_overflow 0
		.amdhsa_tg_split 0
		.amdhsa_exception_fp_ieee_invalid_op 0
		.amdhsa_exception_fp_denorm_src 0
		.amdhsa_exception_fp_ieee_div_zero 0
		.amdhsa_exception_fp_ieee_overflow 0
		.amdhsa_exception_fp_ieee_underflow 0
		.amdhsa_exception_fp_ieee_inexact 0
		.amdhsa_exception_int_div_zero 0
	.end_amdhsa_kernel
	.section	.text._ZN7rocprim17ROCPRIM_400000_NS6detail17trampoline_kernelINS0_14default_configENS1_25partition_config_selectorILNS1_17partition_subalgoE8EN3c108BFloat16ENS0_10empty_typeEbEEZZNS1_14partition_implILS5_8ELb0ES3_jPKS7_PS8_PKS8_NS0_5tupleIJPS7_S8_EEENSG_IJSD_SD_EEENS0_18inequality_wrapperIN6hipcub16HIPCUB_304000_NS8EqualityEEEPlJS8_EEE10hipError_tPvRmT3_T4_T5_T6_T7_T9_mT8_P12ihipStream_tbDpT10_ENKUlT_T0_E_clISt17integral_constantIbLb0EES18_IbLb1EEEEDaS14_S15_EUlS14_E_NS1_11comp_targetILNS1_3genE10ELNS1_11target_archE1200ELNS1_3gpuE4ELNS1_3repE0EEENS1_30default_config_static_selectorELNS0_4arch9wavefront6targetE1EEEvT1_,"axG",@progbits,_ZN7rocprim17ROCPRIM_400000_NS6detail17trampoline_kernelINS0_14default_configENS1_25partition_config_selectorILNS1_17partition_subalgoE8EN3c108BFloat16ENS0_10empty_typeEbEEZZNS1_14partition_implILS5_8ELb0ES3_jPKS7_PS8_PKS8_NS0_5tupleIJPS7_S8_EEENSG_IJSD_SD_EEENS0_18inequality_wrapperIN6hipcub16HIPCUB_304000_NS8EqualityEEEPlJS8_EEE10hipError_tPvRmT3_T4_T5_T6_T7_T9_mT8_P12ihipStream_tbDpT10_ENKUlT_T0_E_clISt17integral_constantIbLb0EES18_IbLb1EEEEDaS14_S15_EUlS14_E_NS1_11comp_targetILNS1_3genE10ELNS1_11target_archE1200ELNS1_3gpuE4ELNS1_3repE0EEENS1_30default_config_static_selectorELNS0_4arch9wavefront6targetE1EEEvT1_,comdat
.Lfunc_end853:
	.size	_ZN7rocprim17ROCPRIM_400000_NS6detail17trampoline_kernelINS0_14default_configENS1_25partition_config_selectorILNS1_17partition_subalgoE8EN3c108BFloat16ENS0_10empty_typeEbEEZZNS1_14partition_implILS5_8ELb0ES3_jPKS7_PS8_PKS8_NS0_5tupleIJPS7_S8_EEENSG_IJSD_SD_EEENS0_18inequality_wrapperIN6hipcub16HIPCUB_304000_NS8EqualityEEEPlJS8_EEE10hipError_tPvRmT3_T4_T5_T6_T7_T9_mT8_P12ihipStream_tbDpT10_ENKUlT_T0_E_clISt17integral_constantIbLb0EES18_IbLb1EEEEDaS14_S15_EUlS14_E_NS1_11comp_targetILNS1_3genE10ELNS1_11target_archE1200ELNS1_3gpuE4ELNS1_3repE0EEENS1_30default_config_static_selectorELNS0_4arch9wavefront6targetE1EEEvT1_, .Lfunc_end853-_ZN7rocprim17ROCPRIM_400000_NS6detail17trampoline_kernelINS0_14default_configENS1_25partition_config_selectorILNS1_17partition_subalgoE8EN3c108BFloat16ENS0_10empty_typeEbEEZZNS1_14partition_implILS5_8ELb0ES3_jPKS7_PS8_PKS8_NS0_5tupleIJPS7_S8_EEENSG_IJSD_SD_EEENS0_18inequality_wrapperIN6hipcub16HIPCUB_304000_NS8EqualityEEEPlJS8_EEE10hipError_tPvRmT3_T4_T5_T6_T7_T9_mT8_P12ihipStream_tbDpT10_ENKUlT_T0_E_clISt17integral_constantIbLb0EES18_IbLb1EEEEDaS14_S15_EUlS14_E_NS1_11comp_targetILNS1_3genE10ELNS1_11target_archE1200ELNS1_3gpuE4ELNS1_3repE0EEENS1_30default_config_static_selectorELNS0_4arch9wavefront6targetE1EEEvT1_
                                        ; -- End function
	.section	.AMDGPU.csdata,"",@progbits
; Kernel info:
; codeLenInByte = 0
; NumSgprs: 4
; NumVgprs: 0
; NumAgprs: 0
; TotalNumVgprs: 0
; ScratchSize: 0
; MemoryBound: 0
; FloatMode: 240
; IeeeMode: 1
; LDSByteSize: 0 bytes/workgroup (compile time only)
; SGPRBlocks: 0
; VGPRBlocks: 0
; NumSGPRsForWavesPerEU: 4
; NumVGPRsForWavesPerEU: 1
; AccumOffset: 4
; Occupancy: 8
; WaveLimiterHint : 0
; COMPUTE_PGM_RSRC2:SCRATCH_EN: 0
; COMPUTE_PGM_RSRC2:USER_SGPR: 6
; COMPUTE_PGM_RSRC2:TRAP_HANDLER: 0
; COMPUTE_PGM_RSRC2:TGID_X_EN: 1
; COMPUTE_PGM_RSRC2:TGID_Y_EN: 0
; COMPUTE_PGM_RSRC2:TGID_Z_EN: 0
; COMPUTE_PGM_RSRC2:TIDIG_COMP_CNT: 0
; COMPUTE_PGM_RSRC3_GFX90A:ACCUM_OFFSET: 0
; COMPUTE_PGM_RSRC3_GFX90A:TG_SPLIT: 0
	.section	.text._ZN7rocprim17ROCPRIM_400000_NS6detail17trampoline_kernelINS0_14default_configENS1_25partition_config_selectorILNS1_17partition_subalgoE8EN3c108BFloat16ENS0_10empty_typeEbEEZZNS1_14partition_implILS5_8ELb0ES3_jPKS7_PS8_PKS8_NS0_5tupleIJPS7_S8_EEENSG_IJSD_SD_EEENS0_18inequality_wrapperIN6hipcub16HIPCUB_304000_NS8EqualityEEEPlJS8_EEE10hipError_tPvRmT3_T4_T5_T6_T7_T9_mT8_P12ihipStream_tbDpT10_ENKUlT_T0_E_clISt17integral_constantIbLb0EES18_IbLb1EEEEDaS14_S15_EUlS14_E_NS1_11comp_targetILNS1_3genE9ELNS1_11target_archE1100ELNS1_3gpuE3ELNS1_3repE0EEENS1_30default_config_static_selectorELNS0_4arch9wavefront6targetE1EEEvT1_,"axG",@progbits,_ZN7rocprim17ROCPRIM_400000_NS6detail17trampoline_kernelINS0_14default_configENS1_25partition_config_selectorILNS1_17partition_subalgoE8EN3c108BFloat16ENS0_10empty_typeEbEEZZNS1_14partition_implILS5_8ELb0ES3_jPKS7_PS8_PKS8_NS0_5tupleIJPS7_S8_EEENSG_IJSD_SD_EEENS0_18inequality_wrapperIN6hipcub16HIPCUB_304000_NS8EqualityEEEPlJS8_EEE10hipError_tPvRmT3_T4_T5_T6_T7_T9_mT8_P12ihipStream_tbDpT10_ENKUlT_T0_E_clISt17integral_constantIbLb0EES18_IbLb1EEEEDaS14_S15_EUlS14_E_NS1_11comp_targetILNS1_3genE9ELNS1_11target_archE1100ELNS1_3gpuE3ELNS1_3repE0EEENS1_30default_config_static_selectorELNS0_4arch9wavefront6targetE1EEEvT1_,comdat
	.protected	_ZN7rocprim17ROCPRIM_400000_NS6detail17trampoline_kernelINS0_14default_configENS1_25partition_config_selectorILNS1_17partition_subalgoE8EN3c108BFloat16ENS0_10empty_typeEbEEZZNS1_14partition_implILS5_8ELb0ES3_jPKS7_PS8_PKS8_NS0_5tupleIJPS7_S8_EEENSG_IJSD_SD_EEENS0_18inequality_wrapperIN6hipcub16HIPCUB_304000_NS8EqualityEEEPlJS8_EEE10hipError_tPvRmT3_T4_T5_T6_T7_T9_mT8_P12ihipStream_tbDpT10_ENKUlT_T0_E_clISt17integral_constantIbLb0EES18_IbLb1EEEEDaS14_S15_EUlS14_E_NS1_11comp_targetILNS1_3genE9ELNS1_11target_archE1100ELNS1_3gpuE3ELNS1_3repE0EEENS1_30default_config_static_selectorELNS0_4arch9wavefront6targetE1EEEvT1_ ; -- Begin function _ZN7rocprim17ROCPRIM_400000_NS6detail17trampoline_kernelINS0_14default_configENS1_25partition_config_selectorILNS1_17partition_subalgoE8EN3c108BFloat16ENS0_10empty_typeEbEEZZNS1_14partition_implILS5_8ELb0ES3_jPKS7_PS8_PKS8_NS0_5tupleIJPS7_S8_EEENSG_IJSD_SD_EEENS0_18inequality_wrapperIN6hipcub16HIPCUB_304000_NS8EqualityEEEPlJS8_EEE10hipError_tPvRmT3_T4_T5_T6_T7_T9_mT8_P12ihipStream_tbDpT10_ENKUlT_T0_E_clISt17integral_constantIbLb0EES18_IbLb1EEEEDaS14_S15_EUlS14_E_NS1_11comp_targetILNS1_3genE9ELNS1_11target_archE1100ELNS1_3gpuE3ELNS1_3repE0EEENS1_30default_config_static_selectorELNS0_4arch9wavefront6targetE1EEEvT1_
	.globl	_ZN7rocprim17ROCPRIM_400000_NS6detail17trampoline_kernelINS0_14default_configENS1_25partition_config_selectorILNS1_17partition_subalgoE8EN3c108BFloat16ENS0_10empty_typeEbEEZZNS1_14partition_implILS5_8ELb0ES3_jPKS7_PS8_PKS8_NS0_5tupleIJPS7_S8_EEENSG_IJSD_SD_EEENS0_18inequality_wrapperIN6hipcub16HIPCUB_304000_NS8EqualityEEEPlJS8_EEE10hipError_tPvRmT3_T4_T5_T6_T7_T9_mT8_P12ihipStream_tbDpT10_ENKUlT_T0_E_clISt17integral_constantIbLb0EES18_IbLb1EEEEDaS14_S15_EUlS14_E_NS1_11comp_targetILNS1_3genE9ELNS1_11target_archE1100ELNS1_3gpuE3ELNS1_3repE0EEENS1_30default_config_static_selectorELNS0_4arch9wavefront6targetE1EEEvT1_
	.p2align	8
	.type	_ZN7rocprim17ROCPRIM_400000_NS6detail17trampoline_kernelINS0_14default_configENS1_25partition_config_selectorILNS1_17partition_subalgoE8EN3c108BFloat16ENS0_10empty_typeEbEEZZNS1_14partition_implILS5_8ELb0ES3_jPKS7_PS8_PKS8_NS0_5tupleIJPS7_S8_EEENSG_IJSD_SD_EEENS0_18inequality_wrapperIN6hipcub16HIPCUB_304000_NS8EqualityEEEPlJS8_EEE10hipError_tPvRmT3_T4_T5_T6_T7_T9_mT8_P12ihipStream_tbDpT10_ENKUlT_T0_E_clISt17integral_constantIbLb0EES18_IbLb1EEEEDaS14_S15_EUlS14_E_NS1_11comp_targetILNS1_3genE9ELNS1_11target_archE1100ELNS1_3gpuE3ELNS1_3repE0EEENS1_30default_config_static_selectorELNS0_4arch9wavefront6targetE1EEEvT1_,@function
_ZN7rocprim17ROCPRIM_400000_NS6detail17trampoline_kernelINS0_14default_configENS1_25partition_config_selectorILNS1_17partition_subalgoE8EN3c108BFloat16ENS0_10empty_typeEbEEZZNS1_14partition_implILS5_8ELb0ES3_jPKS7_PS8_PKS8_NS0_5tupleIJPS7_S8_EEENSG_IJSD_SD_EEENS0_18inequality_wrapperIN6hipcub16HIPCUB_304000_NS8EqualityEEEPlJS8_EEE10hipError_tPvRmT3_T4_T5_T6_T7_T9_mT8_P12ihipStream_tbDpT10_ENKUlT_T0_E_clISt17integral_constantIbLb0EES18_IbLb1EEEEDaS14_S15_EUlS14_E_NS1_11comp_targetILNS1_3genE9ELNS1_11target_archE1100ELNS1_3gpuE3ELNS1_3repE0EEENS1_30default_config_static_selectorELNS0_4arch9wavefront6targetE1EEEvT1_: ; @_ZN7rocprim17ROCPRIM_400000_NS6detail17trampoline_kernelINS0_14default_configENS1_25partition_config_selectorILNS1_17partition_subalgoE8EN3c108BFloat16ENS0_10empty_typeEbEEZZNS1_14partition_implILS5_8ELb0ES3_jPKS7_PS8_PKS8_NS0_5tupleIJPS7_S8_EEENSG_IJSD_SD_EEENS0_18inequality_wrapperIN6hipcub16HIPCUB_304000_NS8EqualityEEEPlJS8_EEE10hipError_tPvRmT3_T4_T5_T6_T7_T9_mT8_P12ihipStream_tbDpT10_ENKUlT_T0_E_clISt17integral_constantIbLb0EES18_IbLb1EEEEDaS14_S15_EUlS14_E_NS1_11comp_targetILNS1_3genE9ELNS1_11target_archE1100ELNS1_3gpuE3ELNS1_3repE0EEENS1_30default_config_static_selectorELNS0_4arch9wavefront6targetE1EEEvT1_
; %bb.0:
	.section	.rodata,"a",@progbits
	.p2align	6, 0x0
	.amdhsa_kernel _ZN7rocprim17ROCPRIM_400000_NS6detail17trampoline_kernelINS0_14default_configENS1_25partition_config_selectorILNS1_17partition_subalgoE8EN3c108BFloat16ENS0_10empty_typeEbEEZZNS1_14partition_implILS5_8ELb0ES3_jPKS7_PS8_PKS8_NS0_5tupleIJPS7_S8_EEENSG_IJSD_SD_EEENS0_18inequality_wrapperIN6hipcub16HIPCUB_304000_NS8EqualityEEEPlJS8_EEE10hipError_tPvRmT3_T4_T5_T6_T7_T9_mT8_P12ihipStream_tbDpT10_ENKUlT_T0_E_clISt17integral_constantIbLb0EES18_IbLb1EEEEDaS14_S15_EUlS14_E_NS1_11comp_targetILNS1_3genE9ELNS1_11target_archE1100ELNS1_3gpuE3ELNS1_3repE0EEENS1_30default_config_static_selectorELNS0_4arch9wavefront6targetE1EEEvT1_
		.amdhsa_group_segment_fixed_size 0
		.amdhsa_private_segment_fixed_size 0
		.amdhsa_kernarg_size 128
		.amdhsa_user_sgpr_count 6
		.amdhsa_user_sgpr_private_segment_buffer 1
		.amdhsa_user_sgpr_dispatch_ptr 0
		.amdhsa_user_sgpr_queue_ptr 0
		.amdhsa_user_sgpr_kernarg_segment_ptr 1
		.amdhsa_user_sgpr_dispatch_id 0
		.amdhsa_user_sgpr_flat_scratch_init 0
		.amdhsa_user_sgpr_kernarg_preload_length 0
		.amdhsa_user_sgpr_kernarg_preload_offset 0
		.amdhsa_user_sgpr_private_segment_size 0
		.amdhsa_uses_dynamic_stack 0
		.amdhsa_system_sgpr_private_segment_wavefront_offset 0
		.amdhsa_system_sgpr_workgroup_id_x 1
		.amdhsa_system_sgpr_workgroup_id_y 0
		.amdhsa_system_sgpr_workgroup_id_z 0
		.amdhsa_system_sgpr_workgroup_info 0
		.amdhsa_system_vgpr_workitem_id 0
		.amdhsa_next_free_vgpr 1
		.amdhsa_next_free_sgpr 0
		.amdhsa_accum_offset 4
		.amdhsa_reserve_vcc 0
		.amdhsa_reserve_flat_scratch 0
		.amdhsa_float_round_mode_32 0
		.amdhsa_float_round_mode_16_64 0
		.amdhsa_float_denorm_mode_32 3
		.amdhsa_float_denorm_mode_16_64 3
		.amdhsa_dx10_clamp 1
		.amdhsa_ieee_mode 1
		.amdhsa_fp16_overflow 0
		.amdhsa_tg_split 0
		.amdhsa_exception_fp_ieee_invalid_op 0
		.amdhsa_exception_fp_denorm_src 0
		.amdhsa_exception_fp_ieee_div_zero 0
		.amdhsa_exception_fp_ieee_overflow 0
		.amdhsa_exception_fp_ieee_underflow 0
		.amdhsa_exception_fp_ieee_inexact 0
		.amdhsa_exception_int_div_zero 0
	.end_amdhsa_kernel
	.section	.text._ZN7rocprim17ROCPRIM_400000_NS6detail17trampoline_kernelINS0_14default_configENS1_25partition_config_selectorILNS1_17partition_subalgoE8EN3c108BFloat16ENS0_10empty_typeEbEEZZNS1_14partition_implILS5_8ELb0ES3_jPKS7_PS8_PKS8_NS0_5tupleIJPS7_S8_EEENSG_IJSD_SD_EEENS0_18inequality_wrapperIN6hipcub16HIPCUB_304000_NS8EqualityEEEPlJS8_EEE10hipError_tPvRmT3_T4_T5_T6_T7_T9_mT8_P12ihipStream_tbDpT10_ENKUlT_T0_E_clISt17integral_constantIbLb0EES18_IbLb1EEEEDaS14_S15_EUlS14_E_NS1_11comp_targetILNS1_3genE9ELNS1_11target_archE1100ELNS1_3gpuE3ELNS1_3repE0EEENS1_30default_config_static_selectorELNS0_4arch9wavefront6targetE1EEEvT1_,"axG",@progbits,_ZN7rocprim17ROCPRIM_400000_NS6detail17trampoline_kernelINS0_14default_configENS1_25partition_config_selectorILNS1_17partition_subalgoE8EN3c108BFloat16ENS0_10empty_typeEbEEZZNS1_14partition_implILS5_8ELb0ES3_jPKS7_PS8_PKS8_NS0_5tupleIJPS7_S8_EEENSG_IJSD_SD_EEENS0_18inequality_wrapperIN6hipcub16HIPCUB_304000_NS8EqualityEEEPlJS8_EEE10hipError_tPvRmT3_T4_T5_T6_T7_T9_mT8_P12ihipStream_tbDpT10_ENKUlT_T0_E_clISt17integral_constantIbLb0EES18_IbLb1EEEEDaS14_S15_EUlS14_E_NS1_11comp_targetILNS1_3genE9ELNS1_11target_archE1100ELNS1_3gpuE3ELNS1_3repE0EEENS1_30default_config_static_selectorELNS0_4arch9wavefront6targetE1EEEvT1_,comdat
.Lfunc_end854:
	.size	_ZN7rocprim17ROCPRIM_400000_NS6detail17trampoline_kernelINS0_14default_configENS1_25partition_config_selectorILNS1_17partition_subalgoE8EN3c108BFloat16ENS0_10empty_typeEbEEZZNS1_14partition_implILS5_8ELb0ES3_jPKS7_PS8_PKS8_NS0_5tupleIJPS7_S8_EEENSG_IJSD_SD_EEENS0_18inequality_wrapperIN6hipcub16HIPCUB_304000_NS8EqualityEEEPlJS8_EEE10hipError_tPvRmT3_T4_T5_T6_T7_T9_mT8_P12ihipStream_tbDpT10_ENKUlT_T0_E_clISt17integral_constantIbLb0EES18_IbLb1EEEEDaS14_S15_EUlS14_E_NS1_11comp_targetILNS1_3genE9ELNS1_11target_archE1100ELNS1_3gpuE3ELNS1_3repE0EEENS1_30default_config_static_selectorELNS0_4arch9wavefront6targetE1EEEvT1_, .Lfunc_end854-_ZN7rocprim17ROCPRIM_400000_NS6detail17trampoline_kernelINS0_14default_configENS1_25partition_config_selectorILNS1_17partition_subalgoE8EN3c108BFloat16ENS0_10empty_typeEbEEZZNS1_14partition_implILS5_8ELb0ES3_jPKS7_PS8_PKS8_NS0_5tupleIJPS7_S8_EEENSG_IJSD_SD_EEENS0_18inequality_wrapperIN6hipcub16HIPCUB_304000_NS8EqualityEEEPlJS8_EEE10hipError_tPvRmT3_T4_T5_T6_T7_T9_mT8_P12ihipStream_tbDpT10_ENKUlT_T0_E_clISt17integral_constantIbLb0EES18_IbLb1EEEEDaS14_S15_EUlS14_E_NS1_11comp_targetILNS1_3genE9ELNS1_11target_archE1100ELNS1_3gpuE3ELNS1_3repE0EEENS1_30default_config_static_selectorELNS0_4arch9wavefront6targetE1EEEvT1_
                                        ; -- End function
	.section	.AMDGPU.csdata,"",@progbits
; Kernel info:
; codeLenInByte = 0
; NumSgprs: 4
; NumVgprs: 0
; NumAgprs: 0
; TotalNumVgprs: 0
; ScratchSize: 0
; MemoryBound: 0
; FloatMode: 240
; IeeeMode: 1
; LDSByteSize: 0 bytes/workgroup (compile time only)
; SGPRBlocks: 0
; VGPRBlocks: 0
; NumSGPRsForWavesPerEU: 4
; NumVGPRsForWavesPerEU: 1
; AccumOffset: 4
; Occupancy: 8
; WaveLimiterHint : 0
; COMPUTE_PGM_RSRC2:SCRATCH_EN: 0
; COMPUTE_PGM_RSRC2:USER_SGPR: 6
; COMPUTE_PGM_RSRC2:TRAP_HANDLER: 0
; COMPUTE_PGM_RSRC2:TGID_X_EN: 1
; COMPUTE_PGM_RSRC2:TGID_Y_EN: 0
; COMPUTE_PGM_RSRC2:TGID_Z_EN: 0
; COMPUTE_PGM_RSRC2:TIDIG_COMP_CNT: 0
; COMPUTE_PGM_RSRC3_GFX90A:ACCUM_OFFSET: 0
; COMPUTE_PGM_RSRC3_GFX90A:TG_SPLIT: 0
	.section	.text._ZN7rocprim17ROCPRIM_400000_NS6detail17trampoline_kernelINS0_14default_configENS1_25partition_config_selectorILNS1_17partition_subalgoE8EN3c108BFloat16ENS0_10empty_typeEbEEZZNS1_14partition_implILS5_8ELb0ES3_jPKS7_PS8_PKS8_NS0_5tupleIJPS7_S8_EEENSG_IJSD_SD_EEENS0_18inequality_wrapperIN6hipcub16HIPCUB_304000_NS8EqualityEEEPlJS8_EEE10hipError_tPvRmT3_T4_T5_T6_T7_T9_mT8_P12ihipStream_tbDpT10_ENKUlT_T0_E_clISt17integral_constantIbLb0EES18_IbLb1EEEEDaS14_S15_EUlS14_E_NS1_11comp_targetILNS1_3genE8ELNS1_11target_archE1030ELNS1_3gpuE2ELNS1_3repE0EEENS1_30default_config_static_selectorELNS0_4arch9wavefront6targetE1EEEvT1_,"axG",@progbits,_ZN7rocprim17ROCPRIM_400000_NS6detail17trampoline_kernelINS0_14default_configENS1_25partition_config_selectorILNS1_17partition_subalgoE8EN3c108BFloat16ENS0_10empty_typeEbEEZZNS1_14partition_implILS5_8ELb0ES3_jPKS7_PS8_PKS8_NS0_5tupleIJPS7_S8_EEENSG_IJSD_SD_EEENS0_18inequality_wrapperIN6hipcub16HIPCUB_304000_NS8EqualityEEEPlJS8_EEE10hipError_tPvRmT3_T4_T5_T6_T7_T9_mT8_P12ihipStream_tbDpT10_ENKUlT_T0_E_clISt17integral_constantIbLb0EES18_IbLb1EEEEDaS14_S15_EUlS14_E_NS1_11comp_targetILNS1_3genE8ELNS1_11target_archE1030ELNS1_3gpuE2ELNS1_3repE0EEENS1_30default_config_static_selectorELNS0_4arch9wavefront6targetE1EEEvT1_,comdat
	.protected	_ZN7rocprim17ROCPRIM_400000_NS6detail17trampoline_kernelINS0_14default_configENS1_25partition_config_selectorILNS1_17partition_subalgoE8EN3c108BFloat16ENS0_10empty_typeEbEEZZNS1_14partition_implILS5_8ELb0ES3_jPKS7_PS8_PKS8_NS0_5tupleIJPS7_S8_EEENSG_IJSD_SD_EEENS0_18inequality_wrapperIN6hipcub16HIPCUB_304000_NS8EqualityEEEPlJS8_EEE10hipError_tPvRmT3_T4_T5_T6_T7_T9_mT8_P12ihipStream_tbDpT10_ENKUlT_T0_E_clISt17integral_constantIbLb0EES18_IbLb1EEEEDaS14_S15_EUlS14_E_NS1_11comp_targetILNS1_3genE8ELNS1_11target_archE1030ELNS1_3gpuE2ELNS1_3repE0EEENS1_30default_config_static_selectorELNS0_4arch9wavefront6targetE1EEEvT1_ ; -- Begin function _ZN7rocprim17ROCPRIM_400000_NS6detail17trampoline_kernelINS0_14default_configENS1_25partition_config_selectorILNS1_17partition_subalgoE8EN3c108BFloat16ENS0_10empty_typeEbEEZZNS1_14partition_implILS5_8ELb0ES3_jPKS7_PS8_PKS8_NS0_5tupleIJPS7_S8_EEENSG_IJSD_SD_EEENS0_18inequality_wrapperIN6hipcub16HIPCUB_304000_NS8EqualityEEEPlJS8_EEE10hipError_tPvRmT3_T4_T5_T6_T7_T9_mT8_P12ihipStream_tbDpT10_ENKUlT_T0_E_clISt17integral_constantIbLb0EES18_IbLb1EEEEDaS14_S15_EUlS14_E_NS1_11comp_targetILNS1_3genE8ELNS1_11target_archE1030ELNS1_3gpuE2ELNS1_3repE0EEENS1_30default_config_static_selectorELNS0_4arch9wavefront6targetE1EEEvT1_
	.globl	_ZN7rocprim17ROCPRIM_400000_NS6detail17trampoline_kernelINS0_14default_configENS1_25partition_config_selectorILNS1_17partition_subalgoE8EN3c108BFloat16ENS0_10empty_typeEbEEZZNS1_14partition_implILS5_8ELb0ES3_jPKS7_PS8_PKS8_NS0_5tupleIJPS7_S8_EEENSG_IJSD_SD_EEENS0_18inequality_wrapperIN6hipcub16HIPCUB_304000_NS8EqualityEEEPlJS8_EEE10hipError_tPvRmT3_T4_T5_T6_T7_T9_mT8_P12ihipStream_tbDpT10_ENKUlT_T0_E_clISt17integral_constantIbLb0EES18_IbLb1EEEEDaS14_S15_EUlS14_E_NS1_11comp_targetILNS1_3genE8ELNS1_11target_archE1030ELNS1_3gpuE2ELNS1_3repE0EEENS1_30default_config_static_selectorELNS0_4arch9wavefront6targetE1EEEvT1_
	.p2align	8
	.type	_ZN7rocprim17ROCPRIM_400000_NS6detail17trampoline_kernelINS0_14default_configENS1_25partition_config_selectorILNS1_17partition_subalgoE8EN3c108BFloat16ENS0_10empty_typeEbEEZZNS1_14partition_implILS5_8ELb0ES3_jPKS7_PS8_PKS8_NS0_5tupleIJPS7_S8_EEENSG_IJSD_SD_EEENS0_18inequality_wrapperIN6hipcub16HIPCUB_304000_NS8EqualityEEEPlJS8_EEE10hipError_tPvRmT3_T4_T5_T6_T7_T9_mT8_P12ihipStream_tbDpT10_ENKUlT_T0_E_clISt17integral_constantIbLb0EES18_IbLb1EEEEDaS14_S15_EUlS14_E_NS1_11comp_targetILNS1_3genE8ELNS1_11target_archE1030ELNS1_3gpuE2ELNS1_3repE0EEENS1_30default_config_static_selectorELNS0_4arch9wavefront6targetE1EEEvT1_,@function
_ZN7rocprim17ROCPRIM_400000_NS6detail17trampoline_kernelINS0_14default_configENS1_25partition_config_selectorILNS1_17partition_subalgoE8EN3c108BFloat16ENS0_10empty_typeEbEEZZNS1_14partition_implILS5_8ELb0ES3_jPKS7_PS8_PKS8_NS0_5tupleIJPS7_S8_EEENSG_IJSD_SD_EEENS0_18inequality_wrapperIN6hipcub16HIPCUB_304000_NS8EqualityEEEPlJS8_EEE10hipError_tPvRmT3_T4_T5_T6_T7_T9_mT8_P12ihipStream_tbDpT10_ENKUlT_T0_E_clISt17integral_constantIbLb0EES18_IbLb1EEEEDaS14_S15_EUlS14_E_NS1_11comp_targetILNS1_3genE8ELNS1_11target_archE1030ELNS1_3gpuE2ELNS1_3repE0EEENS1_30default_config_static_selectorELNS0_4arch9wavefront6targetE1EEEvT1_: ; @_ZN7rocprim17ROCPRIM_400000_NS6detail17trampoline_kernelINS0_14default_configENS1_25partition_config_selectorILNS1_17partition_subalgoE8EN3c108BFloat16ENS0_10empty_typeEbEEZZNS1_14partition_implILS5_8ELb0ES3_jPKS7_PS8_PKS8_NS0_5tupleIJPS7_S8_EEENSG_IJSD_SD_EEENS0_18inequality_wrapperIN6hipcub16HIPCUB_304000_NS8EqualityEEEPlJS8_EEE10hipError_tPvRmT3_T4_T5_T6_T7_T9_mT8_P12ihipStream_tbDpT10_ENKUlT_T0_E_clISt17integral_constantIbLb0EES18_IbLb1EEEEDaS14_S15_EUlS14_E_NS1_11comp_targetILNS1_3genE8ELNS1_11target_archE1030ELNS1_3gpuE2ELNS1_3repE0EEENS1_30default_config_static_selectorELNS0_4arch9wavefront6targetE1EEEvT1_
; %bb.0:
	.section	.rodata,"a",@progbits
	.p2align	6, 0x0
	.amdhsa_kernel _ZN7rocprim17ROCPRIM_400000_NS6detail17trampoline_kernelINS0_14default_configENS1_25partition_config_selectorILNS1_17partition_subalgoE8EN3c108BFloat16ENS0_10empty_typeEbEEZZNS1_14partition_implILS5_8ELb0ES3_jPKS7_PS8_PKS8_NS0_5tupleIJPS7_S8_EEENSG_IJSD_SD_EEENS0_18inequality_wrapperIN6hipcub16HIPCUB_304000_NS8EqualityEEEPlJS8_EEE10hipError_tPvRmT3_T4_T5_T6_T7_T9_mT8_P12ihipStream_tbDpT10_ENKUlT_T0_E_clISt17integral_constantIbLb0EES18_IbLb1EEEEDaS14_S15_EUlS14_E_NS1_11comp_targetILNS1_3genE8ELNS1_11target_archE1030ELNS1_3gpuE2ELNS1_3repE0EEENS1_30default_config_static_selectorELNS0_4arch9wavefront6targetE1EEEvT1_
		.amdhsa_group_segment_fixed_size 0
		.amdhsa_private_segment_fixed_size 0
		.amdhsa_kernarg_size 128
		.amdhsa_user_sgpr_count 6
		.amdhsa_user_sgpr_private_segment_buffer 1
		.amdhsa_user_sgpr_dispatch_ptr 0
		.amdhsa_user_sgpr_queue_ptr 0
		.amdhsa_user_sgpr_kernarg_segment_ptr 1
		.amdhsa_user_sgpr_dispatch_id 0
		.amdhsa_user_sgpr_flat_scratch_init 0
		.amdhsa_user_sgpr_kernarg_preload_length 0
		.amdhsa_user_sgpr_kernarg_preload_offset 0
		.amdhsa_user_sgpr_private_segment_size 0
		.amdhsa_uses_dynamic_stack 0
		.amdhsa_system_sgpr_private_segment_wavefront_offset 0
		.amdhsa_system_sgpr_workgroup_id_x 1
		.amdhsa_system_sgpr_workgroup_id_y 0
		.amdhsa_system_sgpr_workgroup_id_z 0
		.amdhsa_system_sgpr_workgroup_info 0
		.amdhsa_system_vgpr_workitem_id 0
		.amdhsa_next_free_vgpr 1
		.amdhsa_next_free_sgpr 0
		.amdhsa_accum_offset 4
		.amdhsa_reserve_vcc 0
		.amdhsa_reserve_flat_scratch 0
		.amdhsa_float_round_mode_32 0
		.amdhsa_float_round_mode_16_64 0
		.amdhsa_float_denorm_mode_32 3
		.amdhsa_float_denorm_mode_16_64 3
		.amdhsa_dx10_clamp 1
		.amdhsa_ieee_mode 1
		.amdhsa_fp16_overflow 0
		.amdhsa_tg_split 0
		.amdhsa_exception_fp_ieee_invalid_op 0
		.amdhsa_exception_fp_denorm_src 0
		.amdhsa_exception_fp_ieee_div_zero 0
		.amdhsa_exception_fp_ieee_overflow 0
		.amdhsa_exception_fp_ieee_underflow 0
		.amdhsa_exception_fp_ieee_inexact 0
		.amdhsa_exception_int_div_zero 0
	.end_amdhsa_kernel
	.section	.text._ZN7rocprim17ROCPRIM_400000_NS6detail17trampoline_kernelINS0_14default_configENS1_25partition_config_selectorILNS1_17partition_subalgoE8EN3c108BFloat16ENS0_10empty_typeEbEEZZNS1_14partition_implILS5_8ELb0ES3_jPKS7_PS8_PKS8_NS0_5tupleIJPS7_S8_EEENSG_IJSD_SD_EEENS0_18inequality_wrapperIN6hipcub16HIPCUB_304000_NS8EqualityEEEPlJS8_EEE10hipError_tPvRmT3_T4_T5_T6_T7_T9_mT8_P12ihipStream_tbDpT10_ENKUlT_T0_E_clISt17integral_constantIbLb0EES18_IbLb1EEEEDaS14_S15_EUlS14_E_NS1_11comp_targetILNS1_3genE8ELNS1_11target_archE1030ELNS1_3gpuE2ELNS1_3repE0EEENS1_30default_config_static_selectorELNS0_4arch9wavefront6targetE1EEEvT1_,"axG",@progbits,_ZN7rocprim17ROCPRIM_400000_NS6detail17trampoline_kernelINS0_14default_configENS1_25partition_config_selectorILNS1_17partition_subalgoE8EN3c108BFloat16ENS0_10empty_typeEbEEZZNS1_14partition_implILS5_8ELb0ES3_jPKS7_PS8_PKS8_NS0_5tupleIJPS7_S8_EEENSG_IJSD_SD_EEENS0_18inequality_wrapperIN6hipcub16HIPCUB_304000_NS8EqualityEEEPlJS8_EEE10hipError_tPvRmT3_T4_T5_T6_T7_T9_mT8_P12ihipStream_tbDpT10_ENKUlT_T0_E_clISt17integral_constantIbLb0EES18_IbLb1EEEEDaS14_S15_EUlS14_E_NS1_11comp_targetILNS1_3genE8ELNS1_11target_archE1030ELNS1_3gpuE2ELNS1_3repE0EEENS1_30default_config_static_selectorELNS0_4arch9wavefront6targetE1EEEvT1_,comdat
.Lfunc_end855:
	.size	_ZN7rocprim17ROCPRIM_400000_NS6detail17trampoline_kernelINS0_14default_configENS1_25partition_config_selectorILNS1_17partition_subalgoE8EN3c108BFloat16ENS0_10empty_typeEbEEZZNS1_14partition_implILS5_8ELb0ES3_jPKS7_PS8_PKS8_NS0_5tupleIJPS7_S8_EEENSG_IJSD_SD_EEENS0_18inequality_wrapperIN6hipcub16HIPCUB_304000_NS8EqualityEEEPlJS8_EEE10hipError_tPvRmT3_T4_T5_T6_T7_T9_mT8_P12ihipStream_tbDpT10_ENKUlT_T0_E_clISt17integral_constantIbLb0EES18_IbLb1EEEEDaS14_S15_EUlS14_E_NS1_11comp_targetILNS1_3genE8ELNS1_11target_archE1030ELNS1_3gpuE2ELNS1_3repE0EEENS1_30default_config_static_selectorELNS0_4arch9wavefront6targetE1EEEvT1_, .Lfunc_end855-_ZN7rocprim17ROCPRIM_400000_NS6detail17trampoline_kernelINS0_14default_configENS1_25partition_config_selectorILNS1_17partition_subalgoE8EN3c108BFloat16ENS0_10empty_typeEbEEZZNS1_14partition_implILS5_8ELb0ES3_jPKS7_PS8_PKS8_NS0_5tupleIJPS7_S8_EEENSG_IJSD_SD_EEENS0_18inequality_wrapperIN6hipcub16HIPCUB_304000_NS8EqualityEEEPlJS8_EEE10hipError_tPvRmT3_T4_T5_T6_T7_T9_mT8_P12ihipStream_tbDpT10_ENKUlT_T0_E_clISt17integral_constantIbLb0EES18_IbLb1EEEEDaS14_S15_EUlS14_E_NS1_11comp_targetILNS1_3genE8ELNS1_11target_archE1030ELNS1_3gpuE2ELNS1_3repE0EEENS1_30default_config_static_selectorELNS0_4arch9wavefront6targetE1EEEvT1_
                                        ; -- End function
	.section	.AMDGPU.csdata,"",@progbits
; Kernel info:
; codeLenInByte = 0
; NumSgprs: 4
; NumVgprs: 0
; NumAgprs: 0
; TotalNumVgprs: 0
; ScratchSize: 0
; MemoryBound: 0
; FloatMode: 240
; IeeeMode: 1
; LDSByteSize: 0 bytes/workgroup (compile time only)
; SGPRBlocks: 0
; VGPRBlocks: 0
; NumSGPRsForWavesPerEU: 4
; NumVGPRsForWavesPerEU: 1
; AccumOffset: 4
; Occupancy: 8
; WaveLimiterHint : 0
; COMPUTE_PGM_RSRC2:SCRATCH_EN: 0
; COMPUTE_PGM_RSRC2:USER_SGPR: 6
; COMPUTE_PGM_RSRC2:TRAP_HANDLER: 0
; COMPUTE_PGM_RSRC2:TGID_X_EN: 1
; COMPUTE_PGM_RSRC2:TGID_Y_EN: 0
; COMPUTE_PGM_RSRC2:TGID_Z_EN: 0
; COMPUTE_PGM_RSRC2:TIDIG_COMP_CNT: 0
; COMPUTE_PGM_RSRC3_GFX90A:ACCUM_OFFSET: 0
; COMPUTE_PGM_RSRC3_GFX90A:TG_SPLIT: 0
	.section	.text._ZN7rocprim17ROCPRIM_400000_NS6detail17trampoline_kernelINS0_14default_configENS1_33run_length_encode_config_selectorIN3c108BFloat16EjNS0_4plusIjEEEEZZNS1_33reduce_by_key_impl_wrapped_configILNS1_25lookback_scan_determinismE0ES3_S9_PKS6_NS0_17constant_iteratorIjlEEPS6_PlSH_S8_NS0_8equal_toIS6_EEEE10hipError_tPvRmT2_T3_mT4_T5_T6_T7_T8_P12ihipStream_tbENKUlT_T0_E_clISt17integral_constantIbLb0EES11_EEDaSW_SX_EUlSW_E_NS1_11comp_targetILNS1_3genE0ELNS1_11target_archE4294967295ELNS1_3gpuE0ELNS1_3repE0EEENS1_30default_config_static_selectorELNS0_4arch9wavefront6targetE1EEEvT1_,"axG",@progbits,_ZN7rocprim17ROCPRIM_400000_NS6detail17trampoline_kernelINS0_14default_configENS1_33run_length_encode_config_selectorIN3c108BFloat16EjNS0_4plusIjEEEEZZNS1_33reduce_by_key_impl_wrapped_configILNS1_25lookback_scan_determinismE0ES3_S9_PKS6_NS0_17constant_iteratorIjlEEPS6_PlSH_S8_NS0_8equal_toIS6_EEEE10hipError_tPvRmT2_T3_mT4_T5_T6_T7_T8_P12ihipStream_tbENKUlT_T0_E_clISt17integral_constantIbLb0EES11_EEDaSW_SX_EUlSW_E_NS1_11comp_targetILNS1_3genE0ELNS1_11target_archE4294967295ELNS1_3gpuE0ELNS1_3repE0EEENS1_30default_config_static_selectorELNS0_4arch9wavefront6targetE1EEEvT1_,comdat
	.protected	_ZN7rocprim17ROCPRIM_400000_NS6detail17trampoline_kernelINS0_14default_configENS1_33run_length_encode_config_selectorIN3c108BFloat16EjNS0_4plusIjEEEEZZNS1_33reduce_by_key_impl_wrapped_configILNS1_25lookback_scan_determinismE0ES3_S9_PKS6_NS0_17constant_iteratorIjlEEPS6_PlSH_S8_NS0_8equal_toIS6_EEEE10hipError_tPvRmT2_T3_mT4_T5_T6_T7_T8_P12ihipStream_tbENKUlT_T0_E_clISt17integral_constantIbLb0EES11_EEDaSW_SX_EUlSW_E_NS1_11comp_targetILNS1_3genE0ELNS1_11target_archE4294967295ELNS1_3gpuE0ELNS1_3repE0EEENS1_30default_config_static_selectorELNS0_4arch9wavefront6targetE1EEEvT1_ ; -- Begin function _ZN7rocprim17ROCPRIM_400000_NS6detail17trampoline_kernelINS0_14default_configENS1_33run_length_encode_config_selectorIN3c108BFloat16EjNS0_4plusIjEEEEZZNS1_33reduce_by_key_impl_wrapped_configILNS1_25lookback_scan_determinismE0ES3_S9_PKS6_NS0_17constant_iteratorIjlEEPS6_PlSH_S8_NS0_8equal_toIS6_EEEE10hipError_tPvRmT2_T3_mT4_T5_T6_T7_T8_P12ihipStream_tbENKUlT_T0_E_clISt17integral_constantIbLb0EES11_EEDaSW_SX_EUlSW_E_NS1_11comp_targetILNS1_3genE0ELNS1_11target_archE4294967295ELNS1_3gpuE0ELNS1_3repE0EEENS1_30default_config_static_selectorELNS0_4arch9wavefront6targetE1EEEvT1_
	.globl	_ZN7rocprim17ROCPRIM_400000_NS6detail17trampoline_kernelINS0_14default_configENS1_33run_length_encode_config_selectorIN3c108BFloat16EjNS0_4plusIjEEEEZZNS1_33reduce_by_key_impl_wrapped_configILNS1_25lookback_scan_determinismE0ES3_S9_PKS6_NS0_17constant_iteratorIjlEEPS6_PlSH_S8_NS0_8equal_toIS6_EEEE10hipError_tPvRmT2_T3_mT4_T5_T6_T7_T8_P12ihipStream_tbENKUlT_T0_E_clISt17integral_constantIbLb0EES11_EEDaSW_SX_EUlSW_E_NS1_11comp_targetILNS1_3genE0ELNS1_11target_archE4294967295ELNS1_3gpuE0ELNS1_3repE0EEENS1_30default_config_static_selectorELNS0_4arch9wavefront6targetE1EEEvT1_
	.p2align	8
	.type	_ZN7rocprim17ROCPRIM_400000_NS6detail17trampoline_kernelINS0_14default_configENS1_33run_length_encode_config_selectorIN3c108BFloat16EjNS0_4plusIjEEEEZZNS1_33reduce_by_key_impl_wrapped_configILNS1_25lookback_scan_determinismE0ES3_S9_PKS6_NS0_17constant_iteratorIjlEEPS6_PlSH_S8_NS0_8equal_toIS6_EEEE10hipError_tPvRmT2_T3_mT4_T5_T6_T7_T8_P12ihipStream_tbENKUlT_T0_E_clISt17integral_constantIbLb0EES11_EEDaSW_SX_EUlSW_E_NS1_11comp_targetILNS1_3genE0ELNS1_11target_archE4294967295ELNS1_3gpuE0ELNS1_3repE0EEENS1_30default_config_static_selectorELNS0_4arch9wavefront6targetE1EEEvT1_,@function
_ZN7rocprim17ROCPRIM_400000_NS6detail17trampoline_kernelINS0_14default_configENS1_33run_length_encode_config_selectorIN3c108BFloat16EjNS0_4plusIjEEEEZZNS1_33reduce_by_key_impl_wrapped_configILNS1_25lookback_scan_determinismE0ES3_S9_PKS6_NS0_17constant_iteratorIjlEEPS6_PlSH_S8_NS0_8equal_toIS6_EEEE10hipError_tPvRmT2_T3_mT4_T5_T6_T7_T8_P12ihipStream_tbENKUlT_T0_E_clISt17integral_constantIbLb0EES11_EEDaSW_SX_EUlSW_E_NS1_11comp_targetILNS1_3genE0ELNS1_11target_archE4294967295ELNS1_3gpuE0ELNS1_3repE0EEENS1_30default_config_static_selectorELNS0_4arch9wavefront6targetE1EEEvT1_: ; @_ZN7rocprim17ROCPRIM_400000_NS6detail17trampoline_kernelINS0_14default_configENS1_33run_length_encode_config_selectorIN3c108BFloat16EjNS0_4plusIjEEEEZZNS1_33reduce_by_key_impl_wrapped_configILNS1_25lookback_scan_determinismE0ES3_S9_PKS6_NS0_17constant_iteratorIjlEEPS6_PlSH_S8_NS0_8equal_toIS6_EEEE10hipError_tPvRmT2_T3_mT4_T5_T6_T7_T8_P12ihipStream_tbENKUlT_T0_E_clISt17integral_constantIbLb0EES11_EEDaSW_SX_EUlSW_E_NS1_11comp_targetILNS1_3genE0ELNS1_11target_archE4294967295ELNS1_3gpuE0ELNS1_3repE0EEENS1_30default_config_static_selectorELNS0_4arch9wavefront6targetE1EEEvT1_
; %bb.0:
	.section	.rodata,"a",@progbits
	.p2align	6, 0x0
	.amdhsa_kernel _ZN7rocprim17ROCPRIM_400000_NS6detail17trampoline_kernelINS0_14default_configENS1_33run_length_encode_config_selectorIN3c108BFloat16EjNS0_4plusIjEEEEZZNS1_33reduce_by_key_impl_wrapped_configILNS1_25lookback_scan_determinismE0ES3_S9_PKS6_NS0_17constant_iteratorIjlEEPS6_PlSH_S8_NS0_8equal_toIS6_EEEE10hipError_tPvRmT2_T3_mT4_T5_T6_T7_T8_P12ihipStream_tbENKUlT_T0_E_clISt17integral_constantIbLb0EES11_EEDaSW_SX_EUlSW_E_NS1_11comp_targetILNS1_3genE0ELNS1_11target_archE4294967295ELNS1_3gpuE0ELNS1_3repE0EEENS1_30default_config_static_selectorELNS0_4arch9wavefront6targetE1EEEvT1_
		.amdhsa_group_segment_fixed_size 0
		.amdhsa_private_segment_fixed_size 0
		.amdhsa_kernarg_size 128
		.amdhsa_user_sgpr_count 6
		.amdhsa_user_sgpr_private_segment_buffer 1
		.amdhsa_user_sgpr_dispatch_ptr 0
		.amdhsa_user_sgpr_queue_ptr 0
		.amdhsa_user_sgpr_kernarg_segment_ptr 1
		.amdhsa_user_sgpr_dispatch_id 0
		.amdhsa_user_sgpr_flat_scratch_init 0
		.amdhsa_user_sgpr_kernarg_preload_length 0
		.amdhsa_user_sgpr_kernarg_preload_offset 0
		.amdhsa_user_sgpr_private_segment_size 0
		.amdhsa_uses_dynamic_stack 0
		.amdhsa_system_sgpr_private_segment_wavefront_offset 0
		.amdhsa_system_sgpr_workgroup_id_x 1
		.amdhsa_system_sgpr_workgroup_id_y 0
		.amdhsa_system_sgpr_workgroup_id_z 0
		.amdhsa_system_sgpr_workgroup_info 0
		.amdhsa_system_vgpr_workitem_id 0
		.amdhsa_next_free_vgpr 1
		.amdhsa_next_free_sgpr 0
		.amdhsa_accum_offset 4
		.amdhsa_reserve_vcc 0
		.amdhsa_reserve_flat_scratch 0
		.amdhsa_float_round_mode_32 0
		.amdhsa_float_round_mode_16_64 0
		.amdhsa_float_denorm_mode_32 3
		.amdhsa_float_denorm_mode_16_64 3
		.amdhsa_dx10_clamp 1
		.amdhsa_ieee_mode 1
		.amdhsa_fp16_overflow 0
		.amdhsa_tg_split 0
		.amdhsa_exception_fp_ieee_invalid_op 0
		.amdhsa_exception_fp_denorm_src 0
		.amdhsa_exception_fp_ieee_div_zero 0
		.amdhsa_exception_fp_ieee_overflow 0
		.amdhsa_exception_fp_ieee_underflow 0
		.amdhsa_exception_fp_ieee_inexact 0
		.amdhsa_exception_int_div_zero 0
	.end_amdhsa_kernel
	.section	.text._ZN7rocprim17ROCPRIM_400000_NS6detail17trampoline_kernelINS0_14default_configENS1_33run_length_encode_config_selectorIN3c108BFloat16EjNS0_4plusIjEEEEZZNS1_33reduce_by_key_impl_wrapped_configILNS1_25lookback_scan_determinismE0ES3_S9_PKS6_NS0_17constant_iteratorIjlEEPS6_PlSH_S8_NS0_8equal_toIS6_EEEE10hipError_tPvRmT2_T3_mT4_T5_T6_T7_T8_P12ihipStream_tbENKUlT_T0_E_clISt17integral_constantIbLb0EES11_EEDaSW_SX_EUlSW_E_NS1_11comp_targetILNS1_3genE0ELNS1_11target_archE4294967295ELNS1_3gpuE0ELNS1_3repE0EEENS1_30default_config_static_selectorELNS0_4arch9wavefront6targetE1EEEvT1_,"axG",@progbits,_ZN7rocprim17ROCPRIM_400000_NS6detail17trampoline_kernelINS0_14default_configENS1_33run_length_encode_config_selectorIN3c108BFloat16EjNS0_4plusIjEEEEZZNS1_33reduce_by_key_impl_wrapped_configILNS1_25lookback_scan_determinismE0ES3_S9_PKS6_NS0_17constant_iteratorIjlEEPS6_PlSH_S8_NS0_8equal_toIS6_EEEE10hipError_tPvRmT2_T3_mT4_T5_T6_T7_T8_P12ihipStream_tbENKUlT_T0_E_clISt17integral_constantIbLb0EES11_EEDaSW_SX_EUlSW_E_NS1_11comp_targetILNS1_3genE0ELNS1_11target_archE4294967295ELNS1_3gpuE0ELNS1_3repE0EEENS1_30default_config_static_selectorELNS0_4arch9wavefront6targetE1EEEvT1_,comdat
.Lfunc_end856:
	.size	_ZN7rocprim17ROCPRIM_400000_NS6detail17trampoline_kernelINS0_14default_configENS1_33run_length_encode_config_selectorIN3c108BFloat16EjNS0_4plusIjEEEEZZNS1_33reduce_by_key_impl_wrapped_configILNS1_25lookback_scan_determinismE0ES3_S9_PKS6_NS0_17constant_iteratorIjlEEPS6_PlSH_S8_NS0_8equal_toIS6_EEEE10hipError_tPvRmT2_T3_mT4_T5_T6_T7_T8_P12ihipStream_tbENKUlT_T0_E_clISt17integral_constantIbLb0EES11_EEDaSW_SX_EUlSW_E_NS1_11comp_targetILNS1_3genE0ELNS1_11target_archE4294967295ELNS1_3gpuE0ELNS1_3repE0EEENS1_30default_config_static_selectorELNS0_4arch9wavefront6targetE1EEEvT1_, .Lfunc_end856-_ZN7rocprim17ROCPRIM_400000_NS6detail17trampoline_kernelINS0_14default_configENS1_33run_length_encode_config_selectorIN3c108BFloat16EjNS0_4plusIjEEEEZZNS1_33reduce_by_key_impl_wrapped_configILNS1_25lookback_scan_determinismE0ES3_S9_PKS6_NS0_17constant_iteratorIjlEEPS6_PlSH_S8_NS0_8equal_toIS6_EEEE10hipError_tPvRmT2_T3_mT4_T5_T6_T7_T8_P12ihipStream_tbENKUlT_T0_E_clISt17integral_constantIbLb0EES11_EEDaSW_SX_EUlSW_E_NS1_11comp_targetILNS1_3genE0ELNS1_11target_archE4294967295ELNS1_3gpuE0ELNS1_3repE0EEENS1_30default_config_static_selectorELNS0_4arch9wavefront6targetE1EEEvT1_
                                        ; -- End function
	.section	.AMDGPU.csdata,"",@progbits
; Kernel info:
; codeLenInByte = 0
; NumSgprs: 4
; NumVgprs: 0
; NumAgprs: 0
; TotalNumVgprs: 0
; ScratchSize: 0
; MemoryBound: 0
; FloatMode: 240
; IeeeMode: 1
; LDSByteSize: 0 bytes/workgroup (compile time only)
; SGPRBlocks: 0
; VGPRBlocks: 0
; NumSGPRsForWavesPerEU: 4
; NumVGPRsForWavesPerEU: 1
; AccumOffset: 4
; Occupancy: 8
; WaveLimiterHint : 0
; COMPUTE_PGM_RSRC2:SCRATCH_EN: 0
; COMPUTE_PGM_RSRC2:USER_SGPR: 6
; COMPUTE_PGM_RSRC2:TRAP_HANDLER: 0
; COMPUTE_PGM_RSRC2:TGID_X_EN: 1
; COMPUTE_PGM_RSRC2:TGID_Y_EN: 0
; COMPUTE_PGM_RSRC2:TGID_Z_EN: 0
; COMPUTE_PGM_RSRC2:TIDIG_COMP_CNT: 0
; COMPUTE_PGM_RSRC3_GFX90A:ACCUM_OFFSET: 0
; COMPUTE_PGM_RSRC3_GFX90A:TG_SPLIT: 0
	.section	.text._ZN7rocprim17ROCPRIM_400000_NS6detail17trampoline_kernelINS0_14default_configENS1_33run_length_encode_config_selectorIN3c108BFloat16EjNS0_4plusIjEEEEZZNS1_33reduce_by_key_impl_wrapped_configILNS1_25lookback_scan_determinismE0ES3_S9_PKS6_NS0_17constant_iteratorIjlEEPS6_PlSH_S8_NS0_8equal_toIS6_EEEE10hipError_tPvRmT2_T3_mT4_T5_T6_T7_T8_P12ihipStream_tbENKUlT_T0_E_clISt17integral_constantIbLb0EES11_EEDaSW_SX_EUlSW_E_NS1_11comp_targetILNS1_3genE5ELNS1_11target_archE942ELNS1_3gpuE9ELNS1_3repE0EEENS1_30default_config_static_selectorELNS0_4arch9wavefront6targetE1EEEvT1_,"axG",@progbits,_ZN7rocprim17ROCPRIM_400000_NS6detail17trampoline_kernelINS0_14default_configENS1_33run_length_encode_config_selectorIN3c108BFloat16EjNS0_4plusIjEEEEZZNS1_33reduce_by_key_impl_wrapped_configILNS1_25lookback_scan_determinismE0ES3_S9_PKS6_NS0_17constant_iteratorIjlEEPS6_PlSH_S8_NS0_8equal_toIS6_EEEE10hipError_tPvRmT2_T3_mT4_T5_T6_T7_T8_P12ihipStream_tbENKUlT_T0_E_clISt17integral_constantIbLb0EES11_EEDaSW_SX_EUlSW_E_NS1_11comp_targetILNS1_3genE5ELNS1_11target_archE942ELNS1_3gpuE9ELNS1_3repE0EEENS1_30default_config_static_selectorELNS0_4arch9wavefront6targetE1EEEvT1_,comdat
	.protected	_ZN7rocprim17ROCPRIM_400000_NS6detail17trampoline_kernelINS0_14default_configENS1_33run_length_encode_config_selectorIN3c108BFloat16EjNS0_4plusIjEEEEZZNS1_33reduce_by_key_impl_wrapped_configILNS1_25lookback_scan_determinismE0ES3_S9_PKS6_NS0_17constant_iteratorIjlEEPS6_PlSH_S8_NS0_8equal_toIS6_EEEE10hipError_tPvRmT2_T3_mT4_T5_T6_T7_T8_P12ihipStream_tbENKUlT_T0_E_clISt17integral_constantIbLb0EES11_EEDaSW_SX_EUlSW_E_NS1_11comp_targetILNS1_3genE5ELNS1_11target_archE942ELNS1_3gpuE9ELNS1_3repE0EEENS1_30default_config_static_selectorELNS0_4arch9wavefront6targetE1EEEvT1_ ; -- Begin function _ZN7rocprim17ROCPRIM_400000_NS6detail17trampoline_kernelINS0_14default_configENS1_33run_length_encode_config_selectorIN3c108BFloat16EjNS0_4plusIjEEEEZZNS1_33reduce_by_key_impl_wrapped_configILNS1_25lookback_scan_determinismE0ES3_S9_PKS6_NS0_17constant_iteratorIjlEEPS6_PlSH_S8_NS0_8equal_toIS6_EEEE10hipError_tPvRmT2_T3_mT4_T5_T6_T7_T8_P12ihipStream_tbENKUlT_T0_E_clISt17integral_constantIbLb0EES11_EEDaSW_SX_EUlSW_E_NS1_11comp_targetILNS1_3genE5ELNS1_11target_archE942ELNS1_3gpuE9ELNS1_3repE0EEENS1_30default_config_static_selectorELNS0_4arch9wavefront6targetE1EEEvT1_
	.globl	_ZN7rocprim17ROCPRIM_400000_NS6detail17trampoline_kernelINS0_14default_configENS1_33run_length_encode_config_selectorIN3c108BFloat16EjNS0_4plusIjEEEEZZNS1_33reduce_by_key_impl_wrapped_configILNS1_25lookback_scan_determinismE0ES3_S9_PKS6_NS0_17constant_iteratorIjlEEPS6_PlSH_S8_NS0_8equal_toIS6_EEEE10hipError_tPvRmT2_T3_mT4_T5_T6_T7_T8_P12ihipStream_tbENKUlT_T0_E_clISt17integral_constantIbLb0EES11_EEDaSW_SX_EUlSW_E_NS1_11comp_targetILNS1_3genE5ELNS1_11target_archE942ELNS1_3gpuE9ELNS1_3repE0EEENS1_30default_config_static_selectorELNS0_4arch9wavefront6targetE1EEEvT1_
	.p2align	8
	.type	_ZN7rocprim17ROCPRIM_400000_NS6detail17trampoline_kernelINS0_14default_configENS1_33run_length_encode_config_selectorIN3c108BFloat16EjNS0_4plusIjEEEEZZNS1_33reduce_by_key_impl_wrapped_configILNS1_25lookback_scan_determinismE0ES3_S9_PKS6_NS0_17constant_iteratorIjlEEPS6_PlSH_S8_NS0_8equal_toIS6_EEEE10hipError_tPvRmT2_T3_mT4_T5_T6_T7_T8_P12ihipStream_tbENKUlT_T0_E_clISt17integral_constantIbLb0EES11_EEDaSW_SX_EUlSW_E_NS1_11comp_targetILNS1_3genE5ELNS1_11target_archE942ELNS1_3gpuE9ELNS1_3repE0EEENS1_30default_config_static_selectorELNS0_4arch9wavefront6targetE1EEEvT1_,@function
_ZN7rocprim17ROCPRIM_400000_NS6detail17trampoline_kernelINS0_14default_configENS1_33run_length_encode_config_selectorIN3c108BFloat16EjNS0_4plusIjEEEEZZNS1_33reduce_by_key_impl_wrapped_configILNS1_25lookback_scan_determinismE0ES3_S9_PKS6_NS0_17constant_iteratorIjlEEPS6_PlSH_S8_NS0_8equal_toIS6_EEEE10hipError_tPvRmT2_T3_mT4_T5_T6_T7_T8_P12ihipStream_tbENKUlT_T0_E_clISt17integral_constantIbLb0EES11_EEDaSW_SX_EUlSW_E_NS1_11comp_targetILNS1_3genE5ELNS1_11target_archE942ELNS1_3gpuE9ELNS1_3repE0EEENS1_30default_config_static_selectorELNS0_4arch9wavefront6targetE1EEEvT1_: ; @_ZN7rocprim17ROCPRIM_400000_NS6detail17trampoline_kernelINS0_14default_configENS1_33run_length_encode_config_selectorIN3c108BFloat16EjNS0_4plusIjEEEEZZNS1_33reduce_by_key_impl_wrapped_configILNS1_25lookback_scan_determinismE0ES3_S9_PKS6_NS0_17constant_iteratorIjlEEPS6_PlSH_S8_NS0_8equal_toIS6_EEEE10hipError_tPvRmT2_T3_mT4_T5_T6_T7_T8_P12ihipStream_tbENKUlT_T0_E_clISt17integral_constantIbLb0EES11_EEDaSW_SX_EUlSW_E_NS1_11comp_targetILNS1_3genE5ELNS1_11target_archE942ELNS1_3gpuE9ELNS1_3repE0EEENS1_30default_config_static_selectorELNS0_4arch9wavefront6targetE1EEEvT1_
; %bb.0:
	.section	.rodata,"a",@progbits
	.p2align	6, 0x0
	.amdhsa_kernel _ZN7rocprim17ROCPRIM_400000_NS6detail17trampoline_kernelINS0_14default_configENS1_33run_length_encode_config_selectorIN3c108BFloat16EjNS0_4plusIjEEEEZZNS1_33reduce_by_key_impl_wrapped_configILNS1_25lookback_scan_determinismE0ES3_S9_PKS6_NS0_17constant_iteratorIjlEEPS6_PlSH_S8_NS0_8equal_toIS6_EEEE10hipError_tPvRmT2_T3_mT4_T5_T6_T7_T8_P12ihipStream_tbENKUlT_T0_E_clISt17integral_constantIbLb0EES11_EEDaSW_SX_EUlSW_E_NS1_11comp_targetILNS1_3genE5ELNS1_11target_archE942ELNS1_3gpuE9ELNS1_3repE0EEENS1_30default_config_static_selectorELNS0_4arch9wavefront6targetE1EEEvT1_
		.amdhsa_group_segment_fixed_size 0
		.amdhsa_private_segment_fixed_size 0
		.amdhsa_kernarg_size 128
		.amdhsa_user_sgpr_count 6
		.amdhsa_user_sgpr_private_segment_buffer 1
		.amdhsa_user_sgpr_dispatch_ptr 0
		.amdhsa_user_sgpr_queue_ptr 0
		.amdhsa_user_sgpr_kernarg_segment_ptr 1
		.amdhsa_user_sgpr_dispatch_id 0
		.amdhsa_user_sgpr_flat_scratch_init 0
		.amdhsa_user_sgpr_kernarg_preload_length 0
		.amdhsa_user_sgpr_kernarg_preload_offset 0
		.amdhsa_user_sgpr_private_segment_size 0
		.amdhsa_uses_dynamic_stack 0
		.amdhsa_system_sgpr_private_segment_wavefront_offset 0
		.amdhsa_system_sgpr_workgroup_id_x 1
		.amdhsa_system_sgpr_workgroup_id_y 0
		.amdhsa_system_sgpr_workgroup_id_z 0
		.amdhsa_system_sgpr_workgroup_info 0
		.amdhsa_system_vgpr_workitem_id 0
		.amdhsa_next_free_vgpr 1
		.amdhsa_next_free_sgpr 0
		.amdhsa_accum_offset 4
		.amdhsa_reserve_vcc 0
		.amdhsa_reserve_flat_scratch 0
		.amdhsa_float_round_mode_32 0
		.amdhsa_float_round_mode_16_64 0
		.amdhsa_float_denorm_mode_32 3
		.amdhsa_float_denorm_mode_16_64 3
		.amdhsa_dx10_clamp 1
		.amdhsa_ieee_mode 1
		.amdhsa_fp16_overflow 0
		.amdhsa_tg_split 0
		.amdhsa_exception_fp_ieee_invalid_op 0
		.amdhsa_exception_fp_denorm_src 0
		.amdhsa_exception_fp_ieee_div_zero 0
		.amdhsa_exception_fp_ieee_overflow 0
		.amdhsa_exception_fp_ieee_underflow 0
		.amdhsa_exception_fp_ieee_inexact 0
		.amdhsa_exception_int_div_zero 0
	.end_amdhsa_kernel
	.section	.text._ZN7rocprim17ROCPRIM_400000_NS6detail17trampoline_kernelINS0_14default_configENS1_33run_length_encode_config_selectorIN3c108BFloat16EjNS0_4plusIjEEEEZZNS1_33reduce_by_key_impl_wrapped_configILNS1_25lookback_scan_determinismE0ES3_S9_PKS6_NS0_17constant_iteratorIjlEEPS6_PlSH_S8_NS0_8equal_toIS6_EEEE10hipError_tPvRmT2_T3_mT4_T5_T6_T7_T8_P12ihipStream_tbENKUlT_T0_E_clISt17integral_constantIbLb0EES11_EEDaSW_SX_EUlSW_E_NS1_11comp_targetILNS1_3genE5ELNS1_11target_archE942ELNS1_3gpuE9ELNS1_3repE0EEENS1_30default_config_static_selectorELNS0_4arch9wavefront6targetE1EEEvT1_,"axG",@progbits,_ZN7rocprim17ROCPRIM_400000_NS6detail17trampoline_kernelINS0_14default_configENS1_33run_length_encode_config_selectorIN3c108BFloat16EjNS0_4plusIjEEEEZZNS1_33reduce_by_key_impl_wrapped_configILNS1_25lookback_scan_determinismE0ES3_S9_PKS6_NS0_17constant_iteratorIjlEEPS6_PlSH_S8_NS0_8equal_toIS6_EEEE10hipError_tPvRmT2_T3_mT4_T5_T6_T7_T8_P12ihipStream_tbENKUlT_T0_E_clISt17integral_constantIbLb0EES11_EEDaSW_SX_EUlSW_E_NS1_11comp_targetILNS1_3genE5ELNS1_11target_archE942ELNS1_3gpuE9ELNS1_3repE0EEENS1_30default_config_static_selectorELNS0_4arch9wavefront6targetE1EEEvT1_,comdat
.Lfunc_end857:
	.size	_ZN7rocprim17ROCPRIM_400000_NS6detail17trampoline_kernelINS0_14default_configENS1_33run_length_encode_config_selectorIN3c108BFloat16EjNS0_4plusIjEEEEZZNS1_33reduce_by_key_impl_wrapped_configILNS1_25lookback_scan_determinismE0ES3_S9_PKS6_NS0_17constant_iteratorIjlEEPS6_PlSH_S8_NS0_8equal_toIS6_EEEE10hipError_tPvRmT2_T3_mT4_T5_T6_T7_T8_P12ihipStream_tbENKUlT_T0_E_clISt17integral_constantIbLb0EES11_EEDaSW_SX_EUlSW_E_NS1_11comp_targetILNS1_3genE5ELNS1_11target_archE942ELNS1_3gpuE9ELNS1_3repE0EEENS1_30default_config_static_selectorELNS0_4arch9wavefront6targetE1EEEvT1_, .Lfunc_end857-_ZN7rocprim17ROCPRIM_400000_NS6detail17trampoline_kernelINS0_14default_configENS1_33run_length_encode_config_selectorIN3c108BFloat16EjNS0_4plusIjEEEEZZNS1_33reduce_by_key_impl_wrapped_configILNS1_25lookback_scan_determinismE0ES3_S9_PKS6_NS0_17constant_iteratorIjlEEPS6_PlSH_S8_NS0_8equal_toIS6_EEEE10hipError_tPvRmT2_T3_mT4_T5_T6_T7_T8_P12ihipStream_tbENKUlT_T0_E_clISt17integral_constantIbLb0EES11_EEDaSW_SX_EUlSW_E_NS1_11comp_targetILNS1_3genE5ELNS1_11target_archE942ELNS1_3gpuE9ELNS1_3repE0EEENS1_30default_config_static_selectorELNS0_4arch9wavefront6targetE1EEEvT1_
                                        ; -- End function
	.section	.AMDGPU.csdata,"",@progbits
; Kernel info:
; codeLenInByte = 0
; NumSgprs: 4
; NumVgprs: 0
; NumAgprs: 0
; TotalNumVgprs: 0
; ScratchSize: 0
; MemoryBound: 0
; FloatMode: 240
; IeeeMode: 1
; LDSByteSize: 0 bytes/workgroup (compile time only)
; SGPRBlocks: 0
; VGPRBlocks: 0
; NumSGPRsForWavesPerEU: 4
; NumVGPRsForWavesPerEU: 1
; AccumOffset: 4
; Occupancy: 8
; WaveLimiterHint : 0
; COMPUTE_PGM_RSRC2:SCRATCH_EN: 0
; COMPUTE_PGM_RSRC2:USER_SGPR: 6
; COMPUTE_PGM_RSRC2:TRAP_HANDLER: 0
; COMPUTE_PGM_RSRC2:TGID_X_EN: 1
; COMPUTE_PGM_RSRC2:TGID_Y_EN: 0
; COMPUTE_PGM_RSRC2:TGID_Z_EN: 0
; COMPUTE_PGM_RSRC2:TIDIG_COMP_CNT: 0
; COMPUTE_PGM_RSRC3_GFX90A:ACCUM_OFFSET: 0
; COMPUTE_PGM_RSRC3_GFX90A:TG_SPLIT: 0
	.section	.text._ZN7rocprim17ROCPRIM_400000_NS6detail17trampoline_kernelINS0_14default_configENS1_33run_length_encode_config_selectorIN3c108BFloat16EjNS0_4plusIjEEEEZZNS1_33reduce_by_key_impl_wrapped_configILNS1_25lookback_scan_determinismE0ES3_S9_PKS6_NS0_17constant_iteratorIjlEEPS6_PlSH_S8_NS0_8equal_toIS6_EEEE10hipError_tPvRmT2_T3_mT4_T5_T6_T7_T8_P12ihipStream_tbENKUlT_T0_E_clISt17integral_constantIbLb0EES11_EEDaSW_SX_EUlSW_E_NS1_11comp_targetILNS1_3genE4ELNS1_11target_archE910ELNS1_3gpuE8ELNS1_3repE0EEENS1_30default_config_static_selectorELNS0_4arch9wavefront6targetE1EEEvT1_,"axG",@progbits,_ZN7rocprim17ROCPRIM_400000_NS6detail17trampoline_kernelINS0_14default_configENS1_33run_length_encode_config_selectorIN3c108BFloat16EjNS0_4plusIjEEEEZZNS1_33reduce_by_key_impl_wrapped_configILNS1_25lookback_scan_determinismE0ES3_S9_PKS6_NS0_17constant_iteratorIjlEEPS6_PlSH_S8_NS0_8equal_toIS6_EEEE10hipError_tPvRmT2_T3_mT4_T5_T6_T7_T8_P12ihipStream_tbENKUlT_T0_E_clISt17integral_constantIbLb0EES11_EEDaSW_SX_EUlSW_E_NS1_11comp_targetILNS1_3genE4ELNS1_11target_archE910ELNS1_3gpuE8ELNS1_3repE0EEENS1_30default_config_static_selectorELNS0_4arch9wavefront6targetE1EEEvT1_,comdat
	.protected	_ZN7rocprim17ROCPRIM_400000_NS6detail17trampoline_kernelINS0_14default_configENS1_33run_length_encode_config_selectorIN3c108BFloat16EjNS0_4plusIjEEEEZZNS1_33reduce_by_key_impl_wrapped_configILNS1_25lookback_scan_determinismE0ES3_S9_PKS6_NS0_17constant_iteratorIjlEEPS6_PlSH_S8_NS0_8equal_toIS6_EEEE10hipError_tPvRmT2_T3_mT4_T5_T6_T7_T8_P12ihipStream_tbENKUlT_T0_E_clISt17integral_constantIbLb0EES11_EEDaSW_SX_EUlSW_E_NS1_11comp_targetILNS1_3genE4ELNS1_11target_archE910ELNS1_3gpuE8ELNS1_3repE0EEENS1_30default_config_static_selectorELNS0_4arch9wavefront6targetE1EEEvT1_ ; -- Begin function _ZN7rocprim17ROCPRIM_400000_NS6detail17trampoline_kernelINS0_14default_configENS1_33run_length_encode_config_selectorIN3c108BFloat16EjNS0_4plusIjEEEEZZNS1_33reduce_by_key_impl_wrapped_configILNS1_25lookback_scan_determinismE0ES3_S9_PKS6_NS0_17constant_iteratorIjlEEPS6_PlSH_S8_NS0_8equal_toIS6_EEEE10hipError_tPvRmT2_T3_mT4_T5_T6_T7_T8_P12ihipStream_tbENKUlT_T0_E_clISt17integral_constantIbLb0EES11_EEDaSW_SX_EUlSW_E_NS1_11comp_targetILNS1_3genE4ELNS1_11target_archE910ELNS1_3gpuE8ELNS1_3repE0EEENS1_30default_config_static_selectorELNS0_4arch9wavefront6targetE1EEEvT1_
	.globl	_ZN7rocprim17ROCPRIM_400000_NS6detail17trampoline_kernelINS0_14default_configENS1_33run_length_encode_config_selectorIN3c108BFloat16EjNS0_4plusIjEEEEZZNS1_33reduce_by_key_impl_wrapped_configILNS1_25lookback_scan_determinismE0ES3_S9_PKS6_NS0_17constant_iteratorIjlEEPS6_PlSH_S8_NS0_8equal_toIS6_EEEE10hipError_tPvRmT2_T3_mT4_T5_T6_T7_T8_P12ihipStream_tbENKUlT_T0_E_clISt17integral_constantIbLb0EES11_EEDaSW_SX_EUlSW_E_NS1_11comp_targetILNS1_3genE4ELNS1_11target_archE910ELNS1_3gpuE8ELNS1_3repE0EEENS1_30default_config_static_selectorELNS0_4arch9wavefront6targetE1EEEvT1_
	.p2align	8
	.type	_ZN7rocprim17ROCPRIM_400000_NS6detail17trampoline_kernelINS0_14default_configENS1_33run_length_encode_config_selectorIN3c108BFloat16EjNS0_4plusIjEEEEZZNS1_33reduce_by_key_impl_wrapped_configILNS1_25lookback_scan_determinismE0ES3_S9_PKS6_NS0_17constant_iteratorIjlEEPS6_PlSH_S8_NS0_8equal_toIS6_EEEE10hipError_tPvRmT2_T3_mT4_T5_T6_T7_T8_P12ihipStream_tbENKUlT_T0_E_clISt17integral_constantIbLb0EES11_EEDaSW_SX_EUlSW_E_NS1_11comp_targetILNS1_3genE4ELNS1_11target_archE910ELNS1_3gpuE8ELNS1_3repE0EEENS1_30default_config_static_selectorELNS0_4arch9wavefront6targetE1EEEvT1_,@function
_ZN7rocprim17ROCPRIM_400000_NS6detail17trampoline_kernelINS0_14default_configENS1_33run_length_encode_config_selectorIN3c108BFloat16EjNS0_4plusIjEEEEZZNS1_33reduce_by_key_impl_wrapped_configILNS1_25lookback_scan_determinismE0ES3_S9_PKS6_NS0_17constant_iteratorIjlEEPS6_PlSH_S8_NS0_8equal_toIS6_EEEE10hipError_tPvRmT2_T3_mT4_T5_T6_T7_T8_P12ihipStream_tbENKUlT_T0_E_clISt17integral_constantIbLb0EES11_EEDaSW_SX_EUlSW_E_NS1_11comp_targetILNS1_3genE4ELNS1_11target_archE910ELNS1_3gpuE8ELNS1_3repE0EEENS1_30default_config_static_selectorELNS0_4arch9wavefront6targetE1EEEvT1_: ; @_ZN7rocprim17ROCPRIM_400000_NS6detail17trampoline_kernelINS0_14default_configENS1_33run_length_encode_config_selectorIN3c108BFloat16EjNS0_4plusIjEEEEZZNS1_33reduce_by_key_impl_wrapped_configILNS1_25lookback_scan_determinismE0ES3_S9_PKS6_NS0_17constant_iteratorIjlEEPS6_PlSH_S8_NS0_8equal_toIS6_EEEE10hipError_tPvRmT2_T3_mT4_T5_T6_T7_T8_P12ihipStream_tbENKUlT_T0_E_clISt17integral_constantIbLb0EES11_EEDaSW_SX_EUlSW_E_NS1_11comp_targetILNS1_3genE4ELNS1_11target_archE910ELNS1_3gpuE8ELNS1_3repE0EEENS1_30default_config_static_selectorELNS0_4arch9wavefront6targetE1EEEvT1_
; %bb.0:
	s_load_dwordx4 s[0:3], s[4:5], 0x0
	s_load_dword s7, s[4:5], 0x10
	s_load_dwordx8 s[40:47], s[4:5], 0x40
	s_load_dwordx4 s[48:51], s[4:5], 0x20
	s_load_dwordx2 s[52:53], s[4:5], 0x30
	s_load_dwordx2 s[54:55], s[4:5], 0x70
	s_load_dwordx4 s[36:39], s[4:5], 0x60
	s_waitcnt lgkmcnt(0)
	s_mul_i32 s4, s44, s43
	s_mul_hi_u32 s5, s44, s42
	s_add_i32 s4, s5, s4
	s_mul_i32 s5, s45, s42
	s_add_i32 s4, s4, s5
	s_lshl_b64 s[2:3], s[2:3], 1
	s_add_u32 s2, s0, s2
	s_addc_u32 s3, s1, s3
	s_mul_i32 s0, s6, 0xf00
	s_mov_b32 s1, 0
	s_lshl_b64 s[0:1], s[0:1], 1
	s_add_u32 s2, s2, s0
	s_mul_i32 s5, s44, s42
	s_addc_u32 s3, s3, s1
	s_add_u32 s0, s5, s6
	s_addc_u32 s1, s4, 0
	s_add_u32 s10, s46, -1
	s_addc_u32 s11, s47, -1
	s_cmp_eq_u64 s[0:1], s[10:11]
	s_cselect_b64 s[44:45], -1, 0
	s_cmp_lg_u64 s[0:1], s[10:11]
	s_mov_b64 s[4:5], -1
	s_cselect_b64 s[8:9], -1, 0
	s_mul_i32 s33, s10, 0xfffff100
	s_and_b64 vcc, exec, s[44:45]
	s_cbranch_vccnz .LBB858_2
; %bb.1:
	v_lshlrev_b32_e32 v1, 1, v0
	v_mov_b32_e32 v2, s3
	v_add_co_u32_e32 v3, vcc, s2, v1
	v_addc_co_u32_e32 v4, vcc, 0, v2, vcc
	v_add_co_u32_e32 v2, vcc, 0x1000, v3
	v_addc_co_u32_e32 v3, vcc, 0, v4, vcc
	global_load_ushort v5, v1, s[2:3]
	global_load_ushort v12, v1, s[2:3] offset:512
	global_load_ushort v13, v1, s[2:3] offset:1024
	;; [unrolled: 1-line block ×7, first 2 shown]
	global_load_ushort v4, v[2:3], off
	global_load_ushort v21, v[2:3], off offset:512
	global_load_ushort v22, v[2:3], off offset:1024
	;; [unrolled: 1-line block ×6, first 2 shown]
	v_mad_u32_u24 v28, v0, 28, v1
	s_movk_i32 s4, 0xffe6
	v_mul_u32_u24_e32 v6, 15, v0
	v_mad_u32_u24 v16, v0, 15, 2
	v_mad_u32_u24 v9, v0, 15, 4
	;; [unrolled: 1-line block ×7, first 2 shown]
	v_mov_b32_e32 v27, s7
	v_mad_i32_i24 v29, v0, s4, v28
	s_waitcnt vmcnt(14)
	ds_write_b16 v1, v5
	s_waitcnt vmcnt(13)
	ds_write_b16 v1, v12 offset:512
	s_waitcnt vmcnt(12)
	ds_write_b16 v1, v13 offset:1024
	;; [unrolled: 2-line block ×14, first 2 shown]
	s_waitcnt lgkmcnt(0)
	s_barrier
	ds_read_b128 v[2:5], v28
	ds_read_b96 v[12:14], v28 offset:16
	ds_read_u16 v1, v28 offset:28
	s_waitcnt lgkmcnt(0)
	s_barrier
	ds_write2st64_b32 v29, v27, v27 offset1:4
	ds_write2st64_b32 v29, v27, v27 offset0:8 offset1:12
	ds_write2st64_b32 v29, v27, v27 offset0:16 offset1:20
	;; [unrolled: 1-line block ×6, first 2 shown]
	ds_write_b32 v29, v27 offset:14336
	s_waitcnt lgkmcnt(0)
	s_barrier
	s_add_i32 s33, s33, s36
	s_cbranch_execz .LBB858_3
	s_branch .LBB858_34
.LBB858_2:
                                        ; implicit-def: $vgpr14
                                        ; implicit-def: $vgpr5
                                        ; implicit-def: $vgpr10
                                        ; implicit-def: $vgpr11
                                        ; implicit-def: $vgpr15
                                        ; implicit-def: $vgpr7
                                        ; implicit-def: $vgpr8
                                        ; implicit-def: $vgpr9
                                        ; implicit-def: $vgpr16
                                        ; implicit-def: $vgpr6
                                        ; implicit-def: $vgpr1
	s_andn2_b64 vcc, exec, s[4:5]
	s_add_i32 s33, s33, s36
	s_cbranch_vccnz .LBB858_34
.LBB858_3:
	v_cmp_gt_u32_e32 vcc, s33, v0
                                        ; implicit-def: $vgpr1
	s_and_saveexec_b64 s[4:5], vcc
	s_cbranch_execz .LBB858_5
; %bb.4:
	v_lshlrev_b32_e32 v1, 1, v0
	global_load_ushort v1, v1, s[2:3]
.LBB858_5:
	s_or_b64 exec, exec, s[4:5]
	v_or_b32_e32 v2, 0x100, v0
	v_cmp_gt_u32_e32 vcc, s33, v2
                                        ; implicit-def: $vgpr2
	s_and_saveexec_b64 s[4:5], vcc
	s_cbranch_execz .LBB858_7
; %bb.6:
	v_lshlrev_b32_e32 v2, 1, v0
	global_load_ushort v2, v2, s[2:3] offset:512
.LBB858_7:
	s_or_b64 exec, exec, s[4:5]
	v_or_b32_e32 v3, 0x200, v0
	v_cmp_gt_u32_e32 vcc, s33, v3
                                        ; implicit-def: $vgpr3
	s_and_saveexec_b64 s[4:5], vcc
	s_cbranch_execz .LBB858_9
; %bb.8:
	v_lshlrev_b32_e32 v3, 1, v0
	global_load_ushort v3, v3, s[2:3] offset:1024
.LBB858_9:
	s_or_b64 exec, exec, s[4:5]
	v_or_b32_e32 v4, 0x300, v0
	v_cmp_gt_u32_e32 vcc, s33, v4
                                        ; implicit-def: $vgpr4
	s_and_saveexec_b64 s[4:5], vcc
	s_cbranch_execz .LBB858_11
; %bb.10:
	v_lshlrev_b32_e32 v4, 1, v0
	global_load_ushort v4, v4, s[2:3] offset:1536
.LBB858_11:
	s_or_b64 exec, exec, s[4:5]
	v_or_b32_e32 v5, 0x400, v0
	v_cmp_gt_u32_e32 vcc, s33, v5
                                        ; implicit-def: $vgpr5
	s_and_saveexec_b64 s[4:5], vcc
	s_cbranch_execz .LBB858_13
; %bb.12:
	v_lshlrev_b32_e32 v5, 1, v0
	global_load_ushort v5, v5, s[2:3] offset:2048
.LBB858_13:
	s_or_b64 exec, exec, s[4:5]
	v_or_b32_e32 v6, 0x500, v0
	v_cmp_gt_u32_e32 vcc, s33, v6
                                        ; implicit-def: $vgpr6
	s_and_saveexec_b64 s[4:5], vcc
	s_cbranch_execz .LBB858_15
; %bb.14:
	v_lshlrev_b32_e32 v6, 1, v0
	global_load_ushort v6, v6, s[2:3] offset:2560
.LBB858_15:
	s_or_b64 exec, exec, s[4:5]
	v_or_b32_e32 v7, 0x600, v0
	v_cmp_gt_u32_e32 vcc, s33, v7
                                        ; implicit-def: $vgpr7
	s_and_saveexec_b64 s[4:5], vcc
	s_cbranch_execz .LBB858_17
; %bb.16:
	v_lshlrev_b32_e32 v7, 1, v0
	global_load_ushort v7, v7, s[2:3] offset:3072
.LBB858_17:
	s_or_b64 exec, exec, s[4:5]
	v_or_b32_e32 v8, 0x700, v0
	v_cmp_gt_u32_e32 vcc, s33, v8
                                        ; implicit-def: $vgpr8
	s_and_saveexec_b64 s[4:5], vcc
	s_cbranch_execz .LBB858_19
; %bb.18:
	v_lshlrev_b32_e32 v8, 1, v0
	global_load_ushort v8, v8, s[2:3] offset:3584
.LBB858_19:
	s_or_b64 exec, exec, s[4:5]
	v_or_b32_e32 v10, 0x800, v0
	v_cmp_gt_u32_e32 vcc, s33, v10
                                        ; implicit-def: $vgpr9
	s_and_saveexec_b64 s[4:5], vcc
	s_cbranch_execz .LBB858_21
; %bb.20:
	v_lshlrev_b32_e32 v9, 1, v10
	global_load_ushort v9, v9, s[2:3]
.LBB858_21:
	s_or_b64 exec, exec, s[4:5]
	v_or_b32_e32 v11, 0x900, v0
	v_cmp_gt_u32_e32 vcc, s33, v11
                                        ; implicit-def: $vgpr10
	s_and_saveexec_b64 s[4:5], vcc
	s_cbranch_execz .LBB858_23
; %bb.22:
	v_lshlrev_b32_e32 v10, 1, v11
	global_load_ushort v10, v10, s[2:3]
.LBB858_23:
	s_or_b64 exec, exec, s[4:5]
	v_or_b32_e32 v12, 0xa00, v0
	v_cmp_gt_u32_e32 vcc, s33, v12
                                        ; implicit-def: $vgpr11
	s_and_saveexec_b64 s[4:5], vcc
	s_cbranch_execz .LBB858_25
; %bb.24:
	v_lshlrev_b32_e32 v11, 1, v12
	global_load_ushort v11, v11, s[2:3]
.LBB858_25:
	s_or_b64 exec, exec, s[4:5]
	v_or_b32_e32 v13, 0xb00, v0
	v_cmp_gt_u32_e32 vcc, s33, v13
                                        ; implicit-def: $vgpr12
	s_and_saveexec_b64 s[4:5], vcc
	s_cbranch_execz .LBB858_27
; %bb.26:
	v_lshlrev_b32_e32 v12, 1, v13
	global_load_ushort v12, v12, s[2:3]
.LBB858_27:
	s_or_b64 exec, exec, s[4:5]
	v_or_b32_e32 v14, 0xc00, v0
	v_cmp_gt_u32_e32 vcc, s33, v14
                                        ; implicit-def: $vgpr13
	s_and_saveexec_b64 s[4:5], vcc
	s_cbranch_execz .LBB858_29
; %bb.28:
	v_lshlrev_b32_e32 v13, 1, v14
	global_load_ushort v13, v13, s[2:3]
.LBB858_29:
	s_or_b64 exec, exec, s[4:5]
	v_or_b32_e32 v15, 0xd00, v0
	v_cmp_gt_u32_e32 vcc, s33, v15
                                        ; implicit-def: $vgpr14
	s_and_saveexec_b64 s[4:5], vcc
	s_cbranch_execz .LBB858_31
; %bb.30:
	v_lshlrev_b32_e32 v14, 1, v15
	global_load_ushort v14, v14, s[2:3]
.LBB858_31:
	s_or_b64 exec, exec, s[4:5]
	v_or_b32_e32 v16, 0xe00, v0
	v_cmp_gt_u32_e32 vcc, s33, v16
                                        ; implicit-def: $vgpr15
	s_and_saveexec_b64 s[4:5], vcc
	s_cbranch_execz .LBB858_33
; %bb.32:
	v_lshlrev_b32_e32 v15, 1, v16
	global_load_ushort v15, v15, s[2:3]
.LBB858_33:
	s_or_b64 exec, exec, s[4:5]
	v_lshlrev_b32_e32 v16, 1, v0
	v_mad_u32_u24 v17, v0, 28, v16
	s_waitcnt vmcnt(0)
	ds_write_b16 v16, v1
	ds_write_b16 v16, v2 offset:512
	ds_write_b16 v16, v3 offset:1024
	;; [unrolled: 1-line block ×14, first 2 shown]
	s_waitcnt lgkmcnt(0)
	s_barrier
	ds_read_b128 v[2:5], v17
	ds_read_b96 v[12:14], v17 offset:16
	ds_read_u16 v1, v17 offset:28
	s_movk_i32 s4, 0xffe6
	v_mul_u32_u24_e32 v6, 15, v0
	v_mad_u32_u24 v16, v0, 15, 2
	v_mad_u32_u24 v9, v0, 15, 4
	;; [unrolled: 1-line block ×7, first 2 shown]
	v_mad_i32_i24 v17, v0, s4, v17
	v_mov_b32_e32 v18, s7
	s_waitcnt lgkmcnt(0)
	s_barrier
	ds_write2st64_b32 v17, v18, v18 offset1:4
	ds_write2st64_b32 v17, v18, v18 offset0:8 offset1:12
	ds_write2st64_b32 v17, v18, v18 offset0:16 offset1:20
	;; [unrolled: 1-line block ×6, first 2 shown]
	ds_write_b32 v17, v18 offset:14336
	s_waitcnt lgkmcnt(0)
	s_barrier
.LBB858_34:
	v_lshlrev_b32_e32 v6, 2, v6
	v_lshlrev_b32_e32 v16, 2, v16
	ds_read2_b32 v[24:25], v6 offset0:3 offset1:5
	ds_read2_b32 v[20:21], v6 offset0:7 offset1:9
	;; [unrolled: 1-line block ×3, first 2 shown]
	v_lshlrev_b32_e32 v9, 2, v9
	v_lshlrev_b32_e32 v8, 2, v8
	;; [unrolled: 1-line block ×6, first 2 shown]
	ds_read2_b32 v[44:45], v6 offset1:1
	ds_read_b32 v75, v16
	ds_read_b32 v74, v9
	;; [unrolled: 1-line block ×7, first 2 shown]
	s_cmp_eq_u64 s[0:1], 0
	s_cselect_b64 s[46:47], -1, 0
	s_cmp_lg_u64 s[0:1], 0
	s_mov_b64 s[4:5], 0
	s_cselect_b64 s[10:11], -1, 0
	s_and_b64 vcc, exec, s[8:9]
	s_waitcnt lgkmcnt(0)
	s_barrier
	s_cbranch_vccz .LBB858_40
; %bb.35:
	s_and_b64 vcc, exec, s[10:11]
	s_cbranch_vccz .LBB858_41
; %bb.36:
	v_mov_b32_e32 v6, 0
	global_load_ushort v6, v6, s[2:3] offset:-2
	v_lshlrev_b32_e32 v7, 1, v0
	v_cmp_ne_u32_e32 vcc, 0, v0
	ds_write_b16 v7, v1
	s_waitcnt lgkmcnt(0)
	s_barrier
	s_and_saveexec_b64 s[4:5], vcc
	s_cbranch_execz .LBB858_38
; %bb.37:
	s_waitcnt vmcnt(0)
	v_add_u32_e32 v6, -2, v7
	ds_read_u16 v6, v6
.LBB858_38:
	s_or_b64 exec, exec, s[4:5]
	v_and_b32_e32 v28, 0xffff0000, v2
	v_lshlrev_b32_e32 v29, 16, v2
	v_lshlrev_b32_e32 v30, 16, v3
	v_cmp_neq_f32_e32 vcc, v28, v29
	v_and_b32_e32 v27, 0xffff0000, v3
	v_cndmask_b32_e64 v67, 0, 1, vcc
	v_cmp_neq_f32_e32 vcc, v28, v30
	v_lshlrev_b32_e32 v23, 16, v4
	v_cndmask_b32_e64 v68, 0, 1, vcc
	v_cmp_neq_f32_e32 vcc, v30, v27
	v_and_b32_e32 v22, 0xffff0000, v4
	v_cndmask_b32_e64 v66, 0, 1, vcc
	v_cmp_neq_f32_e32 vcc, v23, v27
	v_lshlrev_b32_e32 v26, 16, v5
	v_cndmask_b32_e64 v63, 0, 1, vcc
	v_cmp_neq_f32_e32 vcc, v22, v23
	v_and_b32_e32 v17, 0xffff0000, v5
	v_cndmask_b32_e64 v60, 0, 1, vcc
	v_cmp_neq_f32_e32 vcc, v22, v26
	v_lshlrev_b32_e32 v15, 16, v12
	v_cndmask_b32_e64 v65, 0, 1, vcc
	v_cmp_neq_f32_e32 vcc, v26, v17
	v_and_b32_e32 v11, 0xffff0000, v12
	v_cndmask_b32_e64 v64, 0, 1, vcc
	v_cmp_neq_f32_e32 vcc, v15, v17
	v_lshlrev_b32_e32 v16, 16, v13
	v_cndmask_b32_e64 v57, 0, 1, vcc
	v_cmp_neq_f32_e32 vcc, v11, v15
	v_and_b32_e32 v10, 0xffff0000, v13
	v_cndmask_b32_e64 v56, 0, 1, vcc
	v_cmp_neq_f32_e32 vcc, v11, v16
	v_lshlrev_b32_e32 v8, 16, v14
	v_cndmask_b32_e64 v62, 0, 1, vcc
	v_cmp_neq_f32_e32 vcc, v16, v10
	v_and_b32_e32 v7, 0xffff0000, v14
	v_cndmask_b32_e64 v61, 0, 1, vcc
	v_cmp_neq_f32_e32 vcc, v8, v10
	v_lshlrev_b32_e32 v9, 16, v1
	v_cndmask_b32_e64 v15, 0, 1, vcc
	v_cmp_neq_f32_e32 vcc, v7, v8
	v_cndmask_b32_e64 v58, 0, 1, vcc
	v_cmp_neq_f32_e32 vcc, v7, v9
	s_waitcnt vmcnt(0) lgkmcnt(0)
	v_lshlrev_b32_e32 v6, 16, v6
	v_cndmask_b32_e64 v59, 0, 1, vcc
	v_cmp_neq_f32_e64 s[8:9], v29, v6
	s_mov_b64 s[4:5], -1
.LBB858_39:
                                        ; implicit-def: $sgpr7
	s_branch .LBB858_53
.LBB858_40:
                                        ; implicit-def: $sgpr8_sgpr9
                                        ; implicit-def: $vgpr59
                                        ; implicit-def: $vgpr58
                                        ; implicit-def: $vgpr15
                                        ; implicit-def: $vgpr61
                                        ; implicit-def: $vgpr62
                                        ; implicit-def: $vgpr56
                                        ; implicit-def: $vgpr57
                                        ; implicit-def: $vgpr64
                                        ; implicit-def: $vgpr65
                                        ; implicit-def: $vgpr60
                                        ; implicit-def: $vgpr63
                                        ; implicit-def: $vgpr66
                                        ; implicit-def: $vgpr68
                                        ; implicit-def: $vgpr67
                                        ; implicit-def: $sgpr7
	s_cbranch_execnz .LBB858_45
	s_branch .LBB858_53
.LBB858_41:
                                        ; implicit-def: $sgpr8_sgpr9
                                        ; implicit-def: $vgpr59
                                        ; implicit-def: $vgpr58
                                        ; implicit-def: $vgpr15
                                        ; implicit-def: $vgpr61
                                        ; implicit-def: $vgpr62
                                        ; implicit-def: $vgpr56
                                        ; implicit-def: $vgpr57
                                        ; implicit-def: $vgpr64
                                        ; implicit-def: $vgpr65
                                        ; implicit-def: $vgpr60
                                        ; implicit-def: $vgpr63
                                        ; implicit-def: $vgpr66
                                        ; implicit-def: $vgpr68
                                        ; implicit-def: $vgpr67
	s_cbranch_execz .LBB858_39
; %bb.42:
	v_and_b32_e32 v29, 0xffff0000, v2
	v_lshlrev_b32_e32 v7, 16, v2
	v_lshlrev_b32_e32 v30, 16, v3
	v_cmp_neq_f32_e32 vcc, v29, v7
	v_and_b32_e32 v28, 0xffff0000, v3
	v_cndmask_b32_e64 v67, 0, 1, vcc
	v_cmp_neq_f32_e32 vcc, v29, v30
	v_lshlrev_b32_e32 v26, 16, v4
	v_cndmask_b32_e64 v68, 0, 1, vcc
	v_cmp_neq_f32_e32 vcc, v30, v28
	v_and_b32_e32 v23, 0xffff0000, v4
	v_cndmask_b32_e64 v66, 0, 1, vcc
	v_cmp_neq_f32_e32 vcc, v26, v28
	v_lshlrev_b32_e32 v27, 16, v5
	v_cndmask_b32_e64 v63, 0, 1, vcc
	v_cmp_neq_f32_e32 vcc, v23, v26
	v_and_b32_e32 v22, 0xffff0000, v5
	v_cndmask_b32_e64 v60, 0, 1, vcc
	v_cmp_neq_f32_e32 vcc, v23, v27
	v_lshlrev_b32_e32 v16, 16, v12
	v_cndmask_b32_e64 v65, 0, 1, vcc
	v_cmp_neq_f32_e32 vcc, v27, v22
	v_and_b32_e32 v15, 0xffff0000, v12
	v_cndmask_b32_e64 v64, 0, 1, vcc
	v_cmp_neq_f32_e32 vcc, v16, v22
	v_lshlrev_b32_e32 v17, 16, v13
	v_cndmask_b32_e64 v57, 0, 1, vcc
	v_cmp_neq_f32_e32 vcc, v15, v16
	v_and_b32_e32 v11, 0xffff0000, v13
	v_cndmask_b32_e64 v56, 0, 1, vcc
	v_cmp_neq_f32_e32 vcc, v15, v17
	v_lshlrev_b32_e32 v9, 16, v14
	v_cndmask_b32_e64 v62, 0, 1, vcc
	v_cmp_neq_f32_e32 vcc, v17, v11
	v_and_b32_e32 v8, 0xffff0000, v14
	v_cndmask_b32_e64 v61, 0, 1, vcc
	v_cmp_neq_f32_e32 vcc, v9, v11
	v_lshlrev_b32_e32 v10, 16, v1
	v_cndmask_b32_e64 v15, 0, 1, vcc
	v_cmp_neq_f32_e32 vcc, v8, v9
	v_cndmask_b32_e64 v58, 0, 1, vcc
	v_cmp_neq_f32_e32 vcc, v8, v10
	s_mov_b32 s7, 1
	v_lshlrev_b32_e32 v6, 1, v0
	v_cndmask_b32_e64 v59, 0, 1, vcc
	v_cmp_ne_u32_e32 vcc, 0, v0
	ds_write_b16 v6, v1
	s_waitcnt lgkmcnt(0)
	s_barrier
	s_waitcnt lgkmcnt(0)
                                        ; implicit-def: $sgpr8_sgpr9
	s_and_saveexec_b64 s[12:13], vcc
	s_xor_b64 s[12:13], exec, s[12:13]
	s_cbranch_execz .LBB858_44
; %bb.43:
	v_add_u32_e32 v6, -2, v6
	ds_read_u16 v6, v6
	s_or_b64 s[4:5], s[4:5], exec
	s_waitcnt lgkmcnt(0)
	v_lshlrev_b32_e32 v6, 16, v6
	v_cmp_neq_f32_e32 vcc, v7, v6
	s_and_b64 s[8:9], vcc, exec
.LBB858_44:
	s_or_b64 exec, exec, s[12:13]
	s_branch .LBB858_53
.LBB858_45:
	s_mul_hi_u32 s7, s0, 0xfffff100
	s_mulk_i32 s1, 0xf100
	s_sub_i32 s7, s7, s0
	s_add_i32 s7, s7, s1
	s_mulk_i32 s0, 0xf100
	s_add_u32 s56, s0, s36
	s_addc_u32 s57, s7, s37
	s_and_b64 vcc, exec, s[10:11]
	v_cmp_ne_u32_e64 s[0:1], 0, v0
	s_cbranch_vccz .LBB858_50
; %bb.46:
	v_mov_b32_e32 v7, 0
	global_load_ushort v10, v7, s[2:3] offset:-2
	v_lshlrev_b32_e32 v6, 1, v0
	v_mul_u32_u24_e32 v8, 15, v0
	ds_write_b16 v6, v1
	s_waitcnt lgkmcnt(0)
	s_barrier
	s_and_saveexec_b64 s[2:3], s[0:1]
	s_cbranch_execz .LBB858_48
; %bb.47:
	v_add_u32_e32 v6, -2, v6
	s_waitcnt vmcnt(0)
	ds_read_u16 v10, v6
.LBB858_48:
	s_or_b64 exec, exec, s[2:3]
	s_mov_b32 s0, 0xe000d
	v_pk_add_u16 v6, v8, s0 op_sel_hi:[0,1]
	v_alignbit_b32 v16, 0, v6, 16
	v_and_b32_e32 v6, 0xffff, v6
	v_and_b32_e32 v9, 0xffff0000, v14
	v_cmp_gt_u64_e32 vcc, s[56:57], v[6:7]
	v_lshlrev_b32_e32 v6, 16, v1
	v_lshlrev_b32_e32 v11, 16, v14
	v_cmp_neq_f32_e64 s[2:3], v9, v6
	v_add_u32_e32 v6, 12, v8
	v_and_b32_e32 v23, 0xffff0000, v13
	s_mov_b32 s7, 0xb000a
	v_mov_b32_e32 v17, v7
	v_cmp_gt_u64_e64 s[8:9], s[56:57], v[6:7]
	v_cmp_neq_f32_e64 s[10:11], v23, v11
	v_pk_add_u16 v6, v8, s7 op_sel_hi:[0,1]
	v_cmp_gt_u64_e64 s[0:1], s[56:57], v[16:17]
	v_cmp_neq_f32_e64 s[4:5], v9, v11
	v_lshlrev_b32_e32 v9, 16, v13
	v_and_b32_e32 v22, 0xffff0000, v12
	s_and_b64 s[8:9], s[8:9], s[10:11]
	v_alignbit_b32 v16, 0, v6, 16
	v_and_b32_e32 v6, 0xffff, v6
	v_cndmask_b32_e64 v15, 0, 1, s[8:9]
	v_cmp_gt_u64_e64 s[8:9], s[56:57], v[6:7]
	v_cmp_neq_f32_e64 s[12:13], v9, v22
	v_cmp_neq_f32_e64 s[14:15], v9, v23
	v_add_u32_e32 v6, 9, v8
	v_lshlrev_b32_e32 v9, 16, v12
	v_cmp_gt_u64_e64 s[16:17], s[56:57], v[6:7]
	v_cmp_neq_f32_e64 s[18:19], v22, v9
	s_and_b64 s[16:17], s[16:17], s[18:19]
	v_add_u32_e32 v6, 8, v8
	v_and_b32_e32 v23, 0xffff0000, v5
	s_mov_b32 s7, 0x70006
	v_cndmask_b32_e64 v56, 0, 1, s[16:17]
	v_cmp_gt_u64_e64 s[16:17], s[56:57], v[6:7]
	v_cmp_neq_f32_e64 s[18:19], v23, v9
	v_pk_add_u16 v6, v8, s7 op_sel_hi:[0,1]
	v_cmp_gt_u64_e64 s[10:11], s[56:57], v[16:17]
	s_and_b64 s[16:17], s[16:17], s[18:19]
	v_alignbit_b32 v16, 0, v6, 16
	v_and_b32_e32 v6, 0xffff, v6
	v_and_b32_e32 v22, 0xffff0000, v4
	v_cndmask_b32_e64 v57, 0, 1, s[16:17]
	v_cmp_gt_u64_e64 s[16:17], s[56:57], v[6:7]
	v_add_u32_e32 v6, 5, v8
	v_lshlrev_b32_e32 v9, 16, v4
	v_lshlrev_b32_e32 v11, 16, v5
	v_cmp_gt_u64_e64 s[24:25], s[56:57], v[6:7]
	v_cmp_neq_f32_e64 s[26:27], v22, v9
	v_cmp_neq_f32_e64 s[22:23], v11, v23
	s_and_b64 s[24:25], s[24:25], s[26:27]
	v_add_u32_e32 v6, 4, v8
	v_and_b32_e32 v23, 0xffff0000, v3
	s_mov_b32 s7, 0x30002
	v_cndmask_b32_e64 v60, 0, 1, s[24:25]
	v_cmp_gt_u64_e64 s[24:25], s[56:57], v[6:7]
	v_cmp_neq_f32_e64 s[26:27], v23, v9
	v_pk_add_u16 v6, v8, s7 op_sel_hi:[0,1]
	v_cmp_gt_u64_e64 s[18:19], s[56:57], v[16:17]
	s_and_b64 s[24:25], s[24:25], s[26:27]
	v_alignbit_b32 v16, 0, v6, 16
	v_and_b32_e32 v6, 0xffff, v6
	v_cmp_neq_f32_e64 s[20:21], v11, v22
	v_lshlrev_b32_e32 v11, 16, v3
	v_and_b32_e32 v22, 0xffff0000, v2
	v_cndmask_b32_e64 v63, 0, 1, s[24:25]
	v_cmp_gt_u64_e64 s[24:25], s[56:57], v[6:7]
	v_add_u32_e32 v6, 1, v8
	v_cmp_neq_f32_e64 s[28:29], v11, v22
	v_cmp_gt_u64_e64 s[34:35], s[56:57], v[6:7]
	v_lshlrev_b32_e32 v6, 16, v2
	v_cmp_gt_u64_e64 s[26:27], s[56:57], v[16:17]
	v_cmp_neq_f32_e64 s[30:31], v11, v23
	v_cmp_neq_f32_e64 s[36:37], v22, v6
	s_and_b64 s[24:25], s[24:25], s[28:29]
	s_and_b64 s[16:17], s[16:17], s[20:21]
	;; [unrolled: 1-line block ×4, first 2 shown]
	v_mov_b32_e32 v9, v7
	s_waitcnt vmcnt(0) lgkmcnt(0)
	v_lshlrev_b32_e32 v7, 16, v10
	s_and_b64 s[34:35], s[34:35], s[36:37]
	v_cndmask_b32_e64 v68, 0, 1, s[24:25]
	s_and_b64 s[24:25], s[26:27], s[30:31]
	v_cndmask_b32_e64 v65, 0, 1, s[16:17]
	s_and_b64 s[16:17], s[18:19], s[22:23]
	v_cndmask_b32_e64 v62, 0, 1, s[8:9]
	s_and_b64 s[8:9], s[10:11], s[14:15]
	s_and_b64 s[4:5], vcc, s[4:5]
	v_cndmask_b32_e64 v59, 0, 1, s[0:1]
	v_cmp_gt_u64_e32 vcc, s[56:57], v[8:9]
	v_cmp_neq_f32_e64 s[0:1], v7, v6
	v_cndmask_b32_e64 v67, 0, 1, s[34:35]
	v_cndmask_b32_e64 v66, 0, 1, s[24:25]
	v_cndmask_b32_e64 v64, 0, 1, s[16:17]
	v_cndmask_b32_e64 v61, 0, 1, s[8:9]
	v_cndmask_b32_e64 v58, 0, 1, s[4:5]
	s_and_b64 s[8:9], vcc, s[0:1]
	s_mov_b64 s[4:5], -1
.LBB858_49:
                                        ; implicit-def: $sgpr7
	v_mov_b32_e32 v69, s7
	s_and_saveexec_b64 s[0:1], s[4:5]
	s_cbranch_execnz .LBB858_54
	s_branch .LBB858_55
.LBB858_50:
                                        ; implicit-def: $sgpr8_sgpr9
                                        ; implicit-def: $vgpr59
                                        ; implicit-def: $vgpr58
                                        ; implicit-def: $vgpr15
                                        ; implicit-def: $vgpr61
                                        ; implicit-def: $vgpr62
                                        ; implicit-def: $vgpr56
                                        ; implicit-def: $vgpr57
                                        ; implicit-def: $vgpr64
                                        ; implicit-def: $vgpr65
                                        ; implicit-def: $vgpr60
                                        ; implicit-def: $vgpr63
                                        ; implicit-def: $vgpr66
                                        ; implicit-def: $vgpr68
                                        ; implicit-def: $vgpr67
	s_cbranch_execz .LBB858_49
; %bb.51:
	v_mad_u32_u24 v6, v0, 15, 14
	v_mov_b32_e32 v7, 0
	v_cmp_gt_u64_e32 vcc, s[56:57], v[6:7]
	v_mad_u32_u24 v6, v0, 15, 13
	v_lshlrev_b32_e32 v9, 16, v1
	v_cmp_gt_u64_e64 s[0:1], s[56:57], v[6:7]
	v_and_b32_e32 v6, 0xffff0000, v14
	v_lshlrev_b32_e32 v10, 16, v14
	v_cmp_neq_f32_e64 s[2:3], v6, v9
	s_and_b64 s[2:3], vcc, s[2:3]
	v_cmp_neq_f32_e32 vcc, v10, v6
	v_mad_u32_u24 v6, v0, 15, 12
	s_and_b64 s[0:1], s[0:1], vcc
	v_cmp_gt_u64_e32 vcc, s[56:57], v[6:7]
	v_mad_u32_u24 v6, v0, 15, 11
	v_cndmask_b32_e64 v58, 0, 1, s[0:1]
	v_cmp_gt_u64_e64 s[0:1], s[56:57], v[6:7]
	v_and_b32_e32 v6, 0xffff0000, v13
	v_cndmask_b32_e64 v59, 0, 1, s[2:3]
	v_lshlrev_b32_e32 v9, 16, v13
	v_cmp_neq_f32_e64 s[2:3], v6, v10
	s_and_b64 s[2:3], vcc, s[2:3]
	v_cmp_neq_f32_e32 vcc, v9, v6
	v_mad_u32_u24 v6, v0, 15, 10
	s_and_b64 s[0:1], s[0:1], vcc
	v_cmp_gt_u64_e32 vcc, s[56:57], v[6:7]
	v_mad_u32_u24 v6, v0, 15, 9
	v_cndmask_b32_e64 v61, 0, 1, s[0:1]
	v_cmp_gt_u64_e64 s[0:1], s[56:57], v[6:7]
	v_and_b32_e32 v6, 0xffff0000, v12
	v_cndmask_b32_e64 v15, 0, 1, s[2:3]
	;; [unrolled: 12-line block ×6, first 2 shown]
	v_lshlrev_b32_e32 v9, 16, v2
	v_cmp_neq_f32_e64 s[2:3], v6, v11
	s_and_b64 s[2:3], vcc, s[2:3]
	v_cmp_neq_f32_e32 vcc, v9, v6
	s_and_b64 s[0:1], s[0:1], vcc
	s_mov_b32 s7, 1
	v_lshlrev_b32_e32 v8, 1, v0
	v_cndmask_b32_e64 v68, 0, 1, s[2:3]
	v_cndmask_b32_e64 v67, 0, 1, s[0:1]
	v_cmp_ne_u32_e32 vcc, 0, v0
	ds_write_b16 v8, v1
	s_waitcnt lgkmcnt(0)
	s_barrier
	s_waitcnt lgkmcnt(0)
                                        ; implicit-def: $sgpr8_sgpr9
	s_and_saveexec_b64 s[2:3], vcc
	s_cbranch_execz .LBB858_146
; %bb.52:
	v_add_u32_e32 v6, -2, v8
	ds_read_u16 v8, v6
	v_mul_u32_u24_e32 v6, 15, v0
	v_cmp_gt_u64_e32 vcc, s[56:57], v[6:7]
	s_or_b64 s[4:5], s[4:5], exec
	s_waitcnt lgkmcnt(0)
	v_lshlrev_b32_e32 v6, 16, v8
	v_cmp_neq_f32_e64 s[0:1], v9, v6
	s_and_b64 s[0:1], vcc, s[0:1]
	s_and_b64 s[8:9], s[0:1], exec
	s_or_b64 exec, exec, s[2:3]
.LBB858_53:
	v_mov_b32_e32 v69, s7
	s_and_saveexec_b64 s[0:1], s[4:5]
.LBB858_54:
	v_cndmask_b32_e64 v69, 0, 1, s[8:9]
.LBB858_55:
	s_or_b64 exec, exec, s[0:1]
	s_cmp_eq_u64 s[42:43], 0
	v_add3_u32 v6, v67, v69, v68
	s_cselect_b64 s[34:35], -1, 0
	s_cmp_lg_u32 s6, 0
	v_cmp_eq_u32_e64 s[24:25], 0, v67
	v_cmp_eq_u32_e64 s[22:23], 0, v68
	;; [unrolled: 1-line block ×3, first 2 shown]
	v_add3_u32 v80, v6, v66, v63
	v_cmp_eq_u32_e64 s[18:19], 0, v63
	v_cmp_eq_u32_e64 s[16:17], 0, v60
	;; [unrolled: 1-line block ×10, first 2 shown]
	v_cmp_eq_u32_e32 vcc, 0, v59
	v_mbcnt_lo_u32_b32 v79, -1, 0
	v_lshrrev_b32_e32 v77, 6, v0
	v_or_b32_e32 v78, 63, v0
	s_cbranch_scc0 .LBB858_82
; %bb.56:
	v_cndmask_b32_e64 v6, 0, v44, s[24:25]
	v_add_u32_e32 v6, v6, v45
	v_cndmask_b32_e64 v6, 0, v6, s[22:23]
	v_add_u32_e32 v6, v6, v75
	;; [unrolled: 2-line block ×11, first 2 shown]
	v_cndmask_b32_e64 v6, 0, v6, s[2:3]
	v_add3_u32 v7, v80, v60, v65
	v_add_u32_e32 v6, v6, v70
	v_add3_u32 v7, v7, v64, v57
	v_cndmask_b32_e64 v6, 0, v6, s[0:1]
	v_add3_u32 v7, v7, v56, v62
	v_add_u32_e32 v6, v6, v19
	v_add3_u32 v7, v7, v61, v15
	v_cndmask_b32_e32 v6, 0, v6, vcc
	v_add3_u32 v7, v7, v58, v59
	v_add_u32_e32 v6, v6, v76
	v_mbcnt_hi_u32_b32 v23, -1, v79
	v_and_b32_e32 v8, 15, v23
	v_mov_b32_dpp v10, v6 row_shr:1 row_mask:0xf bank_mask:0xf
	v_cmp_eq_u32_e32 vcc, 0, v7
	v_mov_b32_dpp v9, v7 row_shr:1 row_mask:0xf bank_mask:0xf
	v_cndmask_b32_e32 v10, 0, v10, vcc
	v_cmp_eq_u32_e32 vcc, 0, v8
	v_cndmask_b32_e64 v9, v9, 0, vcc
	v_add_u32_e32 v7, v9, v7
	v_cndmask_b32_e64 v9, v10, 0, vcc
	v_add_u32_e32 v6, v9, v6
	v_cmp_eq_u32_e32 vcc, 0, v7
	v_mov_b32_dpp v9, v7 row_shr:2 row_mask:0xf bank_mask:0xf
	v_cmp_lt_u32_e64 s[26:27], 1, v8
	v_mov_b32_dpp v10, v6 row_shr:2 row_mask:0xf bank_mask:0xf
	v_cndmask_b32_e64 v9, 0, v9, s[26:27]
	s_and_b64 vcc, s[26:27], vcc
	v_cndmask_b32_e32 v10, 0, v10, vcc
	v_add_u32_e32 v7, v7, v9
	v_add_u32_e32 v6, v10, v6
	v_cmp_eq_u32_e32 vcc, 0, v7
	v_mov_b32_dpp v9, v7 row_shr:4 row_mask:0xf bank_mask:0xf
	v_cmp_lt_u32_e64 s[26:27], 3, v8
	v_mov_b32_dpp v10, v6 row_shr:4 row_mask:0xf bank_mask:0xf
	v_cndmask_b32_e64 v9, 0, v9, s[26:27]
	s_and_b64 vcc, s[26:27], vcc
	v_cndmask_b32_e32 v10, 0, v10, vcc
	v_add_u32_e32 v7, v9, v7
	v_add_u32_e32 v6, v6, v10
	v_cmp_eq_u32_e32 vcc, 0, v7
	v_cmp_lt_u32_e64 s[26:27], 7, v8
	v_mov_b32_dpp v9, v7 row_shr:8 row_mask:0xf bank_mask:0xf
	v_mov_b32_dpp v10, v6 row_shr:8 row_mask:0xf bank_mask:0xf
	s_and_b64 vcc, s[26:27], vcc
	v_cndmask_b32_e64 v8, 0, v9, s[26:27]
	v_cndmask_b32_e32 v9, 0, v10, vcc
	v_add_u32_e32 v6, v9, v6
	v_add_u32_e32 v7, v8, v7
	v_bfe_i32 v10, v23, 4, 1
	v_mov_b32_dpp v9, v6 row_bcast:15 row_mask:0xf bank_mask:0xf
	v_mov_b32_dpp v8, v7 row_bcast:15 row_mask:0xf bank_mask:0xf
	v_cmp_eq_u32_e32 vcc, 0, v7
	v_cndmask_b32_e32 v9, 0, v9, vcc
	v_and_b32_e32 v8, v10, v8
	v_add_u32_e32 v7, v8, v7
	v_and_b32_e32 v8, v10, v9
	v_add_u32_e32 v8, v8, v6
	v_mov_b32_dpp v6, v7 row_bcast:31 row_mask:0xf bank_mask:0xf
	v_cmp_eq_u32_e32 vcc, 0, v7
	v_cmp_lt_u32_e64 s[26:27], 31, v23
	v_mov_b32_dpp v9, v8 row_bcast:31 row_mask:0xf bank_mask:0xf
	v_cndmask_b32_e64 v6, 0, v6, s[26:27]
	s_and_b64 vcc, s[26:27], vcc
	v_add_u32_e32 v6, v6, v7
	v_cndmask_b32_e32 v7, 0, v9, vcc
	v_add_u32_e32 v7, v7, v8
	v_cmp_eq_u32_e32 vcc, v78, v0
	v_lshlrev_b32_e32 v8, 3, v77
	s_and_saveexec_b64 s[26:27], vcc
	s_cbranch_execz .LBB858_58
; %bb.57:
	ds_write_b64 v8, v[6:7] offset:1040
.LBB858_58:
	s_or_b64 exec, exec, s[26:27]
	v_cmp_gt_u32_e32 vcc, 4, v0
	s_waitcnt lgkmcnt(0)
	s_barrier
	s_and_saveexec_b64 s[30:31], vcc
	s_cbranch_execz .LBB858_60
; %bb.59:
	v_lshlrev_b32_e32 v9, 3, v0
	ds_read_b64 v[10:11], v9 offset:1040
	v_and_b32_e32 v16, 3, v23
	v_cmp_lt_u32_e64 s[26:27], 1, v16
	s_waitcnt lgkmcnt(0)
	v_mov_b32_dpp v22, v11 row_shr:1 row_mask:0xf bank_mask:0xf
	v_cmp_eq_u32_e32 vcc, 0, v10
	v_mov_b32_dpp v17, v10 row_shr:1 row_mask:0xf bank_mask:0xf
	v_cndmask_b32_e32 v22, 0, v22, vcc
	v_cmp_eq_u32_e32 vcc, 0, v16
	v_cndmask_b32_e64 v17, v17, 0, vcc
	v_add_u32_e32 v10, v17, v10
	v_cndmask_b32_e64 v17, v22, 0, vcc
	v_add_u32_e32 v11, v17, v11
	v_cmp_eq_u32_e32 vcc, 0, v10
	v_mov_b32_dpp v17, v10 row_shr:2 row_mask:0xf bank_mask:0xf
	v_mov_b32_dpp v22, v11 row_shr:2 row_mask:0xf bank_mask:0xf
	v_cndmask_b32_e64 v16, 0, v17, s[26:27]
	s_and_b64 vcc, s[26:27], vcc
	v_add_u32_e32 v10, v16, v10
	v_cndmask_b32_e32 v16, 0, v22, vcc
	v_add_u32_e32 v11, v16, v11
	ds_write_b64 v9, v[10:11] offset:1040
.LBB858_60:
	s_or_b64 exec, exec, s[30:31]
	v_cmp_gt_u32_e32 vcc, 64, v0
	v_cmp_lt_u32_e64 s[26:27], 63, v0
	v_mov_b32_e32 v16, 0
	v_mov_b32_e32 v17, 0
	s_waitcnt lgkmcnt(0)
	s_barrier
	s_and_saveexec_b64 s[30:31], s[26:27]
	s_cbranch_execz .LBB858_62
; %bb.61:
	ds_read_b64 v[16:17], v8 offset:1032
	v_cmp_eq_u32_e64 s[26:27], 0, v6
	s_waitcnt lgkmcnt(0)
	v_add_u32_e32 v8, v16, v6
	v_cndmask_b32_e64 v6, 0, v17, s[26:27]
	v_add_u32_e32 v7, v6, v7
	v_mov_b32_e32 v6, v8
.LBB858_62:
	s_or_b64 exec, exec, s[30:31]
	v_add_u32_e32 v8, -1, v23
	v_and_b32_e32 v9, 64, v23
	v_cmp_lt_i32_e64 s[26:27], v8, v9
	v_cndmask_b32_e64 v8, v8, v23, s[26:27]
	v_lshlrev_b32_e32 v8, 2, v8
	ds_bpermute_b32 v30, v8, v6
	ds_bpermute_b32 v31, v8, v7
	v_cmp_eq_u32_e64 s[26:27], 0, v23
	s_and_saveexec_b64 s[36:37], vcc
	s_cbranch_execz .LBB858_81
; %bb.63:
	v_mov_b32_e32 v11, 0
	ds_read_b64 v[6:7], v11 offset:1064
	s_waitcnt lgkmcnt(0)
	v_readfirstlane_b32 s7, v6
	v_readfirstlane_b32 s56, v7
	s_and_saveexec_b64 s[30:31], s[26:27]
	s_cbranch_execz .LBB858_65
; %bb.64:
	s_add_i32 s42, s6, 64
	s_mov_b32 s43, 0
	s_lshl_b64 s[58:59], s[42:43], 4
	s_add_u32 s58, s40, s58
	s_addc_u32 s59, s41, s59
	s_and_b32 s61, s56, 0xff000000
	s_mov_b32 s60, s43
	s_and_b32 s63, s56, 0xff0000
	s_mov_b32 s62, s43
	s_or_b64 s[60:61], s[62:63], s[60:61]
	s_and_b32 s63, s56, 0xff00
	s_or_b64 s[60:61], s[60:61], s[62:63]
	s_and_b32 s63, s56, 0xff
	s_or_b64 s[42:43], s[60:61], s[62:63]
	v_mov_b32_e32 v8, s7
	v_mov_b32_e32 v9, s43
	;; [unrolled: 1-line block ×3, first 2 shown]
	v_pk_mov_b32 v[6:7], s[58:59], s[58:59] op_sel:[0,1]
	;;#ASMSTART
	global_store_dwordx4 v[6:7], v[8:11] off	
s_waitcnt vmcnt(0)
	;;#ASMEND
.LBB858_65:
	s_or_b64 exec, exec, s[30:31]
	v_xad_u32 v22, v23, -1, s6
	v_add_u32_e32 v10, 64, v22
	v_lshlrev_b64 v[6:7], 4, v[10:11]
	v_mov_b32_e32 v8, s41
	v_add_co_u32_e32 v26, vcc, s40, v6
	v_addc_co_u32_e32 v27, vcc, v8, v7, vcc
	;;#ASMSTART
	global_load_dwordx4 v[6:9], v[26:27] off glc	
s_waitcnt vmcnt(0)
	;;#ASMEND
	v_and_b32_e32 v9, 0xff, v7
	v_and_b32_e32 v10, 0xff00, v7
	v_or3_b32 v9, 0, v9, v10
	v_or3_b32 v6, v6, 0, 0
	v_and_b32_e32 v10, 0xff000000, v7
	v_and_b32_e32 v7, 0xff0000, v7
	v_or3_b32 v7, v9, v7, v10
	v_or3_b32 v6, v6, 0, 0
	v_cmp_eq_u16_sdwa s[42:43], v8, v11 src0_sel:BYTE_0 src1_sel:DWORD
	s_and_saveexec_b64 s[30:31], s[42:43]
	s_cbranch_execz .LBB858_69
; %bb.66:
	s_mov_b64 s[42:43], 0
	v_mov_b32_e32 v10, 0
.LBB858_67:                             ; =>This Inner Loop Header: Depth=1
	;;#ASMSTART
	global_load_dwordx4 v[6:9], v[26:27] off glc	
s_waitcnt vmcnt(0)
	;;#ASMEND
	v_cmp_ne_u16_sdwa s[58:59], v8, v10 src0_sel:BYTE_0 src1_sel:DWORD
	s_or_b64 s[42:43], s[58:59], s[42:43]
	s_andn2_b64 exec, exec, s[42:43]
	s_cbranch_execnz .LBB858_67
; %bb.68:
	s_or_b64 exec, exec, s[42:43]
.LBB858_69:
	s_or_b64 exec, exec, s[30:31]
	v_mov_b32_e32 v32, 2
	v_cmp_eq_u16_sdwa s[30:31], v8, v32 src0_sel:BYTE_0 src1_sel:DWORD
	v_lshlrev_b64 v[26:27], v23, -1
	v_and_b32_e32 v9, s31, v27
	v_and_b32_e32 v33, 63, v23
	v_or_b32_e32 v9, 0x80000000, v9
	v_cmp_ne_u32_e32 vcc, 63, v33
	v_and_b32_e32 v10, s30, v26
	v_ffbl_b32_e32 v9, v9
	v_addc_co_u32_e32 v11, vcc, 0, v23, vcc
	v_add_u32_e32 v9, 32, v9
	v_ffbl_b32_e32 v10, v10
	v_lshlrev_b32_e32 v34, 2, v11
	v_min_u32_e32 v9, v10, v9
	ds_bpermute_b32 v10, v34, v7
	v_cmp_eq_u32_e32 vcc, 0, v6
	v_cmp_lt_u32_e64 s[30:31], v33, v9
	ds_bpermute_b32 v11, v34, v6
	s_and_b64 vcc, s[30:31], vcc
	s_waitcnt lgkmcnt(1)
	v_cndmask_b32_e32 v10, 0, v10, vcc
	v_cmp_gt_u32_e32 vcc, 62, v33
	v_add_u32_e32 v7, v10, v7
	v_cndmask_b32_e64 v10, 0, 1, vcc
	v_lshlrev_b32_e32 v10, 1, v10
	v_add_lshl_u32 v35, v10, v23, 2
	s_waitcnt lgkmcnt(0)
	v_cndmask_b32_e64 v11, 0, v11, s[30:31]
	ds_bpermute_b32 v10, v35, v7
	v_add_u32_e32 v6, v11, v6
	ds_bpermute_b32 v11, v35, v6
	v_add_u32_e32 v36, 2, v33
	v_cmp_eq_u32_e32 vcc, 0, v6
	s_waitcnt lgkmcnt(1)
	v_cndmask_b32_e32 v10, 0, v10, vcc
	v_cmp_gt_u32_e32 vcc, v36, v9
	v_cndmask_b32_e64 v10, v10, 0, vcc
	v_add_u32_e32 v7, v10, v7
	s_waitcnt lgkmcnt(0)
	v_cndmask_b32_e64 v10, v11, 0, vcc
	v_cmp_gt_u32_e32 vcc, 60, v33
	v_cndmask_b32_e64 v11, 0, 1, vcc
	v_lshlrev_b32_e32 v11, 2, v11
	v_add_lshl_u32 v37, v11, v23, 2
	ds_bpermute_b32 v11, v37, v7
	v_add_u32_e32 v6, v6, v10
	ds_bpermute_b32 v10, v37, v6
	v_add_u32_e32 v38, 4, v33
	v_cmp_eq_u32_e32 vcc, 0, v6
	s_waitcnt lgkmcnt(1)
	v_cndmask_b32_e32 v11, 0, v11, vcc
	v_cmp_gt_u32_e32 vcc, v38, v9
	v_cndmask_b32_e64 v11, v11, 0, vcc
	s_waitcnt lgkmcnt(0)
	v_cndmask_b32_e64 v10, v10, 0, vcc
	v_cmp_gt_u32_e32 vcc, 56, v33
	v_add_u32_e32 v7, v7, v11
	v_cndmask_b32_e64 v11, 0, 1, vcc
	v_lshlrev_b32_e32 v11, 3, v11
	v_add_lshl_u32 v39, v11, v23, 2
	ds_bpermute_b32 v11, v39, v7
	v_add_u32_e32 v6, v6, v10
	ds_bpermute_b32 v10, v39, v6
	v_add_u32_e32 v40, 8, v33
	v_cmp_eq_u32_e32 vcc, 0, v6
	s_waitcnt lgkmcnt(1)
	v_cndmask_b32_e32 v11, 0, v11, vcc
	v_cmp_gt_u32_e32 vcc, v40, v9
	v_cndmask_b32_e64 v11, v11, 0, vcc
	s_waitcnt lgkmcnt(0)
	v_cndmask_b32_e64 v10, v10, 0, vcc
	v_cmp_gt_u32_e32 vcc, 48, v33
	v_add_u32_e32 v7, v7, v11
	;; [unrolled: 16-line block ×3, first 2 shown]
	v_cndmask_b32_e64 v11, 0, 1, vcc
	v_lshlrev_b32_e32 v11, 5, v11
	v_add_lshl_u32 v43, v11, v23, 2
	ds_bpermute_b32 v11, v43, v7
	v_add_u32_e32 v6, v6, v10
	ds_bpermute_b32 v10, v43, v6
	v_add_u32_e32 v46, 32, v33
	v_cmp_eq_u32_e32 vcc, 0, v6
	s_waitcnt lgkmcnt(1)
	v_cndmask_b32_e32 v11, 0, v11, vcc
	v_cmp_gt_u32_e32 vcc, v46, v9
	v_cndmask_b32_e64 v9, v11, 0, vcc
	v_add_u32_e32 v7, v9, v7
	s_waitcnt lgkmcnt(0)
	v_cndmask_b32_e64 v9, v10, 0, vcc
	v_add_u32_e32 v6, v9, v6
	v_mov_b32_e32 v23, 0
	s_branch .LBB858_71
.LBB858_70:                             ;   in Loop: Header=BB858_71 Depth=1
	s_or_b64 exec, exec, s[30:31]
	v_cmp_eq_u16_sdwa s[30:31], v8, v32 src0_sel:BYTE_0 src1_sel:DWORD
	v_and_b32_e32 v9, s31, v27
	v_or_b32_e32 v9, 0x80000000, v9
	v_and_b32_e32 v28, s30, v26
	v_ffbl_b32_e32 v9, v9
	v_add_u32_e32 v9, 32, v9
	v_ffbl_b32_e32 v28, v28
	v_min_u32_e32 v9, v28, v9
	ds_bpermute_b32 v28, v34, v7
	v_cmp_eq_u32_e32 vcc, 0, v6
	v_cmp_lt_u32_e64 s[30:31], v33, v9
	ds_bpermute_b32 v29, v34, v6
	s_and_b64 vcc, s[30:31], vcc
	s_waitcnt lgkmcnt(1)
	v_cndmask_b32_e32 v28, 0, v28, vcc
	v_add_u32_e32 v7, v28, v7
	ds_bpermute_b32 v28, v35, v7
	s_waitcnt lgkmcnt(1)
	v_cndmask_b32_e64 v29, 0, v29, s[30:31]
	v_add_u32_e32 v6, v29, v6
	v_cmp_eq_u32_e32 vcc, 0, v6
	ds_bpermute_b32 v29, v35, v6
	s_waitcnt lgkmcnt(1)
	v_cndmask_b32_e32 v28, 0, v28, vcc
	v_cmp_gt_u32_e32 vcc, v36, v9
	v_cndmask_b32_e64 v28, v28, 0, vcc
	v_add_u32_e32 v7, v28, v7
	ds_bpermute_b32 v28, v37, v7
	s_waitcnt lgkmcnt(1)
	v_cndmask_b32_e64 v29, v29, 0, vcc
	v_add_u32_e32 v6, v6, v29
	v_cmp_eq_u32_e32 vcc, 0, v6
	ds_bpermute_b32 v29, v37, v6
	s_waitcnt lgkmcnt(1)
	v_cndmask_b32_e32 v28, 0, v28, vcc
	v_cmp_gt_u32_e32 vcc, v38, v9
	v_cndmask_b32_e64 v28, v28, 0, vcc
	v_add_u32_e32 v7, v7, v28
	ds_bpermute_b32 v28, v39, v7
	s_waitcnt lgkmcnt(1)
	v_cndmask_b32_e64 v29, v29, 0, vcc
	v_add_u32_e32 v6, v6, v29
	ds_bpermute_b32 v29, v39, v6
	v_cmp_eq_u32_e32 vcc, 0, v6
	s_waitcnt lgkmcnt(1)
	v_cndmask_b32_e32 v28, 0, v28, vcc
	v_cmp_gt_u32_e32 vcc, v40, v9
	v_cndmask_b32_e64 v28, v28, 0, vcc
	v_add_u32_e32 v7, v7, v28
	ds_bpermute_b32 v28, v41, v7
	s_waitcnt lgkmcnt(1)
	v_cndmask_b32_e64 v29, v29, 0, vcc
	v_add_u32_e32 v6, v6, v29
	ds_bpermute_b32 v29, v41, v6
	v_cmp_eq_u32_e32 vcc, 0, v6
	;; [unrolled: 11-line block ×3, first 2 shown]
	s_waitcnt lgkmcnt(1)
	v_cndmask_b32_e32 v28, 0, v28, vcc
	v_cmp_gt_u32_e32 vcc, v46, v9
	v_cndmask_b32_e64 v9, v28, 0, vcc
	v_add_u32_e32 v7, v9, v7
	s_waitcnt lgkmcnt(0)
	v_cndmask_b32_e64 v9, v29, 0, vcc
	v_cmp_eq_u32_e32 vcc, 0, v10
	v_cndmask_b32_e32 v7, 0, v7, vcc
	v_subrev_u32_e32 v22, 64, v22
	v_add3_u32 v6, v6, v10, v9
	v_add_u32_e32 v7, v7, v11
.LBB858_71:                             ; =>This Loop Header: Depth=1
                                        ;     Child Loop BB858_74 Depth 2
	v_cmp_ne_u16_sdwa s[30:31], v8, v32 src0_sel:BYTE_0 src1_sel:DWORD
	v_mov_b32_e32 v11, v7
	v_cndmask_b32_e64 v7, 0, 1, s[30:31]
	;;#ASMSTART
	;;#ASMEND
	v_cmp_ne_u32_e32 vcc, 0, v7
	s_cmp_lg_u64 vcc, exec
	v_mov_b32_e32 v10, v6
	s_cbranch_scc1 .LBB858_76
; %bb.72:                               ;   in Loop: Header=BB858_71 Depth=1
	v_lshlrev_b64 v[6:7], 4, v[22:23]
	v_mov_b32_e32 v8, s41
	v_add_co_u32_e32 v28, vcc, s40, v6
	v_addc_co_u32_e32 v29, vcc, v8, v7, vcc
	;;#ASMSTART
	global_load_dwordx4 v[6:9], v[28:29] off glc	
s_waitcnt vmcnt(0)
	;;#ASMEND
	v_and_b32_e32 v9, 0xff, v7
	v_and_b32_e32 v47, 0xff00, v7
	v_or3_b32 v9, 0, v9, v47
	v_or3_b32 v6, v6, 0, 0
	v_and_b32_e32 v47, 0xff000000, v7
	v_and_b32_e32 v7, 0xff0000, v7
	v_or3_b32 v7, v9, v7, v47
	v_or3_b32 v6, v6, 0, 0
	v_cmp_eq_u16_sdwa s[42:43], v8, v23 src0_sel:BYTE_0 src1_sel:DWORD
	s_and_saveexec_b64 s[30:31], s[42:43]
	s_cbranch_execz .LBB858_70
; %bb.73:                               ;   in Loop: Header=BB858_71 Depth=1
	s_mov_b64 s[42:43], 0
.LBB858_74:                             ;   Parent Loop BB858_71 Depth=1
                                        ; =>  This Inner Loop Header: Depth=2
	;;#ASMSTART
	global_load_dwordx4 v[6:9], v[28:29] off glc	
s_waitcnt vmcnt(0)
	;;#ASMEND
	v_cmp_ne_u16_sdwa s[58:59], v8, v23 src0_sel:BYTE_0 src1_sel:DWORD
	s_or_b64 s[42:43], s[58:59], s[42:43]
	s_andn2_b64 exec, exec, s[42:43]
	s_cbranch_execnz .LBB858_74
; %bb.75:                               ;   in Loop: Header=BB858_71 Depth=1
	s_or_b64 exec, exec, s[42:43]
	s_branch .LBB858_70
.LBB858_76:                             ;   in Loop: Header=BB858_71 Depth=1
                                        ; implicit-def: $vgpr7
                                        ; implicit-def: $vgpr6
                                        ; implicit-def: $vgpr8
	s_cbranch_execz .LBB858_71
; %bb.77:
	s_and_saveexec_b64 s[30:31], s[26:27]
	s_cbranch_execz .LBB858_79
; %bb.78:
	s_cmp_eq_u32 s7, 0
	s_cselect_b64 vcc, -1, 0
	s_mov_b32 s43, 0
	v_cndmask_b32_e32 v6, 0, v11, vcc
	s_add_i32 s42, s6, 64
	v_add_u32_e32 v6, s56, v6
	s_lshl_b64 s[42:43], s[42:43], 4
	s_add_u32 s42, s40, s42
	v_and_b32_e32 v7, 0xff000000, v6
	v_and_b32_e32 v8, 0xff0000, v6
	s_addc_u32 s43, s41, s43
	v_or_b32_e32 v7, v8, v7
	v_and_b32_e32 v8, 0xff00, v6
	v_and_b32_e32 v6, 0xff, v6
	v_add_u32_e32 v26, s7, v10
	v_mov_b32_e32 v29, 0
	v_or3_b32 v27, v7, v8, v6
	v_mov_b32_e32 v28, 2
	v_pk_mov_b32 v[6:7], s[42:43], s[42:43] op_sel:[0,1]
	;;#ASMSTART
	global_store_dwordx4 v[6:7], v[26:29] off	
s_waitcnt vmcnt(0)
	;;#ASMEND
	v_mov_b32_e32 v8, s7
	v_mov_b32_e32 v9, s56
	ds_write_b128 v29, v[8:11] offset:1024
.LBB858_79:
	s_or_b64 exec, exec, s[30:31]
	v_cmp_eq_u32_e32 vcc, 0, v0
	s_and_b64 exec, exec, vcc
	s_cbranch_execz .LBB858_81
; %bb.80:
	v_mov_b32_e32 v6, 0
	ds_write_b64 v6, v[10:11] offset:1064
.LBB858_81:
	s_or_b64 exec, exec, s[36:37]
	v_mov_b32_e32 v8, 0
	s_waitcnt lgkmcnt(0)
	s_barrier
	ds_read_b64 v[6:7], v8 offset:1064
	v_cndmask_b32_e64 v10, v30, v16, s[26:27]
	v_cmp_eq_u32_e32 vcc, 0, v10
	v_cndmask_b32_e64 v9, v31, v17, s[26:27]
	s_waitcnt lgkmcnt(0)
	v_cndmask_b32_e32 v11, 0, v7, vcc
	v_add_u32_e32 v9, v11, v9
	v_cmp_eq_u32_e32 vcc, 0, v0
	v_cndmask_b32_e32 v55, v9, v7, vcc
	v_cndmask_b32_e64 v7, v10, 0, vcc
	v_cmp_eq_u32_e32 vcc, 0, v69
	v_add_u32_e32 v54, v6, v7
	v_cndmask_b32_e32 v6, 0, v55, vcc
	v_add_u32_e32 v53, v6, v44
	v_cndmask_b32_e64 v6, 0, v53, s[24:25]
	v_add_u32_e32 v51, v6, v45
	v_cndmask_b32_e64 v6, 0, v51, s[22:23]
	;; [unrolled: 2-line block ×8, first 2 shown]
	v_add_u32_e32 v52, v54, v69
	v_add_u32_e32 v35, v6, v72
	v_add_u32_e32 v50, v52, v67
	v_cndmask_b32_e64 v6, 0, v35, s[8:9]
	v_add_u32_e32 v48, v50, v68
	v_add_u32_e32 v33, v6, v21
	v_add_u32_e32 v46, v48, v66
	v_cndmask_b32_e64 v6, 0, v33, s[28:29]
	;; [unrolled: 4-line block ×3, first 2 shown]
	v_add_u32_e32 v38, v40, v65
	v_add_u32_e32 v29, v6, v18
	s_barrier
	ds_read_b128 v[6:9], v8 offset:1024
	v_add_u32_e32 v36, v38, v64
	v_add_u32_e32 v34, v36, v57
	;; [unrolled: 1-line block ×4, first 2 shown]
	v_cndmask_b32_e64 v10, 0, v29, s[2:3]
	v_add_u32_e32 v28, v30, v61
	v_add_u32_e32 v27, v10, v70
	s_waitcnt lgkmcnt(0)
	v_cmp_eq_u32_e32 vcc, 0, v6
	v_add_u32_e32 v26, v28, v15
	v_cndmask_b32_e64 v10, 0, v27, s[0:1]
	v_cndmask_b32_e32 v9, 0, v9, vcc
	v_add_u32_e32 v22, v26, v58
	v_add_u32_e32 v23, v10, v19
	;; [unrolled: 1-line block ×3, first 2 shown]
	s_branch .LBB858_94
.LBB858_82:
                                        ; implicit-def: $vgpr6
                                        ; implicit-def: $vgpr16
                                        ; implicit-def: $vgpr54_vgpr55
                                        ; implicit-def: $vgpr52_vgpr53
                                        ; implicit-def: $vgpr50_vgpr51
                                        ; implicit-def: $vgpr48_vgpr49
                                        ; implicit-def: $vgpr46_vgpr47
                                        ; implicit-def: $vgpr42_vgpr43
                                        ; implicit-def: $vgpr40_vgpr41
                                        ; implicit-def: $vgpr38_vgpr39
                                        ; implicit-def: $vgpr36_vgpr37
                                        ; implicit-def: $vgpr34_vgpr35
                                        ; implicit-def: $vgpr32_vgpr33
                                        ; implicit-def: $vgpr30_vgpr31
                                        ; implicit-def: $vgpr28_vgpr29
                                        ; implicit-def: $vgpr26_vgpr27
                                        ; implicit-def: $vgpr22_vgpr23
	s_cbranch_execz .LBB858_94
; %bb.83:
	s_and_b64 s[0:1], s[34:35], exec
	s_cselect_b32 s1, 0, s55
	s_cselect_b32 s0, 0, s54
	s_cmp_eq_u64 s[0:1], 0
	v_mov_b32_e32 v10, v44
	s_cbranch_scc1 .LBB858_85
; %bb.84:
	v_mov_b32_e32 v6, 0
	global_load_dword v10, v6, s[0:1]
.LBB858_85:
	v_cmp_eq_u32_e64 s[0:1], 0, v67
	v_cndmask_b32_e64 v6, 0, v44, s[0:1]
	v_add_u32_e32 v6, v6, v45
	v_cmp_eq_u32_e64 s[2:3], 0, v68
	v_cndmask_b32_e64 v6, 0, v6, s[2:3]
	v_add_u32_e32 v6, v6, v75
	;; [unrolled: 3-line block ×11, first 2 shown]
	v_cmp_eq_u32_e64 s[22:23], 0, v15
	v_cndmask_b32_e64 v6, 0, v6, s[22:23]
	v_add3_u32 v7, v80, v60, v65
	v_add_u32_e32 v6, v6, v70
	v_cmp_eq_u32_e32 vcc, 0, v58
	v_add3_u32 v7, v7, v64, v57
	v_cndmask_b32_e32 v6, 0, v6, vcc
	v_add3_u32 v7, v7, v56, v62
	v_add_u32_e32 v6, v6, v19
	v_cmp_eq_u32_e64 s[24:25], 0, v59
	v_add3_u32 v7, v7, v61, v15
	v_cndmask_b32_e64 v6, 0, v6, s[24:25]
	v_add3_u32 v7, v7, v58, v59
	v_add_u32_e32 v6, v6, v76
	v_mbcnt_hi_u32_b32 v11, -1, v79
	v_and_b32_e32 v8, 15, v11
	v_mov_b32_dpp v16, v6 row_shr:1 row_mask:0xf bank_mask:0xf
	v_cmp_eq_u32_e64 s[24:25], 0, v7
	v_mov_b32_dpp v9, v7 row_shr:1 row_mask:0xf bank_mask:0xf
	v_cndmask_b32_e64 v16, 0, v16, s[24:25]
	v_cmp_eq_u32_e64 s[24:25], 0, v8
	v_cndmask_b32_e64 v9, v9, 0, s[24:25]
	v_add_u32_e32 v7, v9, v7
	v_cndmask_b32_e64 v9, v16, 0, s[24:25]
	v_add_u32_e32 v6, v9, v6
	v_cmp_eq_u32_e64 s[24:25], 0, v7
	v_mov_b32_dpp v9, v7 row_shr:2 row_mask:0xf bank_mask:0xf
	v_cmp_lt_u32_e64 s[26:27], 1, v8
	v_mov_b32_dpp v16, v6 row_shr:2 row_mask:0xf bank_mask:0xf
	v_cndmask_b32_e64 v9, 0, v9, s[26:27]
	s_and_b64 s[24:25], s[26:27], s[24:25]
	v_cndmask_b32_e64 v16, 0, v16, s[24:25]
	v_add_u32_e32 v7, v7, v9
	v_add_u32_e32 v6, v16, v6
	v_cmp_eq_u32_e64 s[24:25], 0, v7
	v_mov_b32_dpp v9, v7 row_shr:4 row_mask:0xf bank_mask:0xf
	v_cmp_lt_u32_e64 s[26:27], 3, v8
	v_mov_b32_dpp v16, v6 row_shr:4 row_mask:0xf bank_mask:0xf
	v_cndmask_b32_e64 v9, 0, v9, s[26:27]
	s_and_b64 s[24:25], s[26:27], s[24:25]
	v_cndmask_b32_e64 v16, 0, v16, s[24:25]
	v_add_u32_e32 v7, v9, v7
	v_add_u32_e32 v6, v6, v16
	v_cmp_eq_u32_e64 s[24:25], 0, v7
	v_cmp_lt_u32_e64 s[26:27], 7, v8
	v_mov_b32_dpp v9, v7 row_shr:8 row_mask:0xf bank_mask:0xf
	v_mov_b32_dpp v16, v6 row_shr:8 row_mask:0xf bank_mask:0xf
	s_and_b64 s[24:25], s[26:27], s[24:25]
	v_cndmask_b32_e64 v8, 0, v9, s[26:27]
	v_cndmask_b32_e64 v9, 0, v16, s[24:25]
	v_add_u32_e32 v6, v9, v6
	v_add_u32_e32 v7, v8, v7
	v_bfe_i32 v16, v11, 4, 1
	v_mov_b32_dpp v9, v6 row_bcast:15 row_mask:0xf bank_mask:0xf
	v_mov_b32_dpp v8, v7 row_bcast:15 row_mask:0xf bank_mask:0xf
	v_cmp_eq_u32_e64 s[24:25], 0, v7
	v_cndmask_b32_e64 v9, 0, v9, s[24:25]
	v_and_b32_e32 v8, v16, v8
	v_add_u32_e32 v7, v8, v7
	v_and_b32_e32 v8, v16, v9
	v_add_u32_e32 v8, v8, v6
	v_mov_b32_dpp v6, v7 row_bcast:31 row_mask:0xf bank_mask:0xf
	v_cmp_eq_u32_e64 s[24:25], 0, v7
	v_cmp_lt_u32_e64 s[26:27], 31, v11
	v_mov_b32_dpp v9, v8 row_bcast:31 row_mask:0xf bank_mask:0xf
	v_cndmask_b32_e64 v6, 0, v6, s[26:27]
	s_and_b64 s[24:25], s[26:27], s[24:25]
	v_add_u32_e32 v6, v6, v7
	v_cndmask_b32_e64 v7, 0, v9, s[24:25]
	v_add_u32_e32 v7, v7, v8
	v_cmp_eq_u32_e64 s[24:25], v78, v0
	v_lshlrev_b32_e32 v9, 3, v77
	s_and_saveexec_b64 s[26:27], s[24:25]
	s_cbranch_execz .LBB858_87
; %bb.86:
	ds_write_b64 v9, v[6:7] offset:1040
.LBB858_87:
	s_or_b64 exec, exec, s[26:27]
	v_cmp_gt_u32_e64 s[24:25], 4, v0
	s_waitcnt lgkmcnt(0)
	s_barrier
	s_and_saveexec_b64 s[28:29], s[24:25]
	s_cbranch_execz .LBB858_89
; %bb.88:
	v_lshlrev_b32_e32 v8, 3, v0
	ds_read_b64 v[16:17], v8 offset:1040
	v_and_b32_e32 v22, 3, v11
	v_cmp_lt_u32_e64 s[26:27], 1, v22
	s_waitcnt lgkmcnt(0)
	v_mov_b32_dpp v26, v17 row_shr:1 row_mask:0xf bank_mask:0xf
	v_cmp_eq_u32_e64 s[24:25], 0, v16
	v_mov_b32_dpp v23, v16 row_shr:1 row_mask:0xf bank_mask:0xf
	v_cndmask_b32_e64 v26, 0, v26, s[24:25]
	v_cmp_eq_u32_e64 s[24:25], 0, v22
	v_cndmask_b32_e64 v23, v23, 0, s[24:25]
	v_add_u32_e32 v16, v23, v16
	v_cndmask_b32_e64 v23, v26, 0, s[24:25]
	v_add_u32_e32 v17, v23, v17
	v_cmp_eq_u32_e64 s[24:25], 0, v16
	v_mov_b32_dpp v23, v16 row_shr:2 row_mask:0xf bank_mask:0xf
	v_mov_b32_dpp v26, v17 row_shr:2 row_mask:0xf bank_mask:0xf
	v_cndmask_b32_e64 v22, 0, v23, s[26:27]
	s_and_b64 s[24:25], s[26:27], s[24:25]
	v_add_u32_e32 v16, v22, v16
	v_cndmask_b32_e64 v22, 0, v26, s[24:25]
	v_add_u32_e32 v17, v22, v17
	ds_write_b64 v8, v[16:17] offset:1040
.LBB858_89:
	s_or_b64 exec, exec, s[28:29]
	v_cmp_lt_u32_e64 s[24:25], 63, v0
	v_mov_b32_e32 v16, 0
	v_mov_b32_e32 v8, 0
	s_waitcnt vmcnt(0)
	v_mov_b32_e32 v17, v10
	s_waitcnt lgkmcnt(0)
	s_barrier
	s_and_saveexec_b64 s[26:27], s[24:25]
	s_cbranch_execz .LBB858_91
; %bb.90:
	ds_read_b64 v[8:9], v9 offset:1032
	s_waitcnt lgkmcnt(0)
	v_cmp_eq_u32_e64 s[24:25], 0, v8
	v_cndmask_b32_e64 v17, 0, v10, s[24:25]
	v_add_u32_e32 v17, v17, v9
.LBB858_91:
	s_or_b64 exec, exec, s[26:27]
	v_cmp_eq_u32_e64 s[24:25], 0, v6
	v_add_u32_e32 v9, v8, v6
	v_cndmask_b32_e64 v6, 0, v17, s[24:25]
	v_add_u32_e32 v6, v6, v7
	v_add_u32_e32 v7, -1, v11
	v_and_b32_e32 v22, 64, v11
	v_cmp_lt_i32_e64 s[24:25], v7, v22
	v_cndmask_b32_e64 v7, v7, v11, s[24:25]
	v_lshlrev_b32_e32 v7, 2, v7
	ds_bpermute_b32 v9, v7, v9
	ds_bpermute_b32 v6, v7, v6
	v_cmp_eq_u32_e64 s[24:25], 0, v11
	v_cmp_eq_u32_e64 s[26:27], 0, v69
	s_waitcnt lgkmcnt(1)
	v_cndmask_b32_e64 v7, v9, v8, s[24:25]
	s_waitcnt lgkmcnt(0)
	v_cndmask_b32_e64 v6, v6, v17, s[24:25]
	v_cmp_eq_u32_e64 s[24:25], 0, v0
	v_cndmask_b32_e64 v55, v6, v10, s[24:25]
	v_cndmask_b32_e64 v6, 0, v55, s[26:27]
	v_add_u32_e32 v53, v6, v44
	v_cndmask_b32_e64 v6, 0, v53, s[0:1]
	v_add_u32_e32 v51, v6, v45
	;; [unrolled: 2-line block ×8, first 2 shown]
	v_cndmask_b32_e64 v54, v7, 0, s[24:25]
	v_cndmask_b32_e64 v6, 0, v37, s[14:15]
	v_add_u32_e32 v52, v54, v69
	v_add_u32_e32 v35, v6, v72
	v_add_u32_e32 v50, v52, v67
	v_cndmask_b32_e64 v6, 0, v35, s[16:17]
	v_add_u32_e32 v48, v50, v68
	v_add_u32_e32 v33, v6, v21
	v_add_u32_e32 v46, v48, v66
	;; [unrolled: 4-line block ×3, first 2 shown]
	v_cndmask_b32_e64 v6, 0, v31, s[20:21]
	v_add_u32_e32 v38, v40, v65
	v_add_u32_e32 v29, v6, v18
	ds_read_b64 v[6:7], v16 offset:1064
	v_add_u32_e32 v36, v38, v64
	v_add_u32_e32 v34, v36, v57
	;; [unrolled: 1-line block ×3, first 2 shown]
	v_cndmask_b32_e64 v8, 0, v29, s[22:23]
	v_add_u32_e32 v30, v32, v62
	v_add_u32_e32 v27, v8, v70
	;; [unrolled: 1-line block ×3, first 2 shown]
	v_cndmask_b32_e32 v8, 0, v27, vcc
	s_waitcnt lgkmcnt(0)
	v_cmp_eq_u32_e32 vcc, 0, v6
	v_add_u32_e32 v26, v28, v15
	v_add_u32_e32 v23, v8, v19
	v_cndmask_b32_e32 v8, 0, v10, vcc
	v_add_u32_e32 v22, v26, v58
	v_add_u32_e32 v16, v8, v7
	s_and_saveexec_b64 s[0:1], s[24:25]
	s_cbranch_execz .LBB858_93
; %bb.92:
	s_add_u32 s2, s40, 0x400
	v_and_b32_e32 v7, 0xff000000, v16
	v_and_b32_e32 v8, 0xff0000, v16
	s_addc_u32 s3, s41, 0
	v_or_b32_e32 v7, v8, v7
	v_and_b32_e32 v8, 0xff00, v16
	v_and_b32_e32 v10, 0xff, v16
	v_mov_b32_e32 v9, 0
	v_or3_b32 v7, v7, v8, v10
	v_mov_b32_e32 v8, 2
	v_pk_mov_b32 v[10:11], s[2:3], s[2:3] op_sel:[0,1]
	;;#ASMSTART
	global_store_dwordx4 v[10:11], v[6:9] off	
s_waitcnt vmcnt(0)
	;;#ASMEND
.LBB858_93:
	s_or_b64 exec, exec, s[0:1]
	v_mov_b32_e32 v8, 0
.LBB858_94:
	s_and_b64 s[0:1], s[34:35], exec
	s_cselect_b32 s1, 0, s39
	s_cselect_b32 s0, 0, s38
	s_cmp_eq_u64 s[0:1], 0
	v_pk_mov_b32 v[18:19], 0, 0
	s_barrier
	s_cbranch_scc1 .LBB858_96
; %bb.95:
	v_mov_b32_e32 v7, 0
	global_load_dwordx2 v[18:19], v7, s[0:1]
.LBB858_96:
	s_waitcnt vmcnt(0)
	v_lshlrev_b64 v[10:11], 1, v[18:19]
	v_mov_b32_e32 v7, s49
	v_add_co_u32_e32 v17, vcc, s48, v10
	v_mov_b32_e32 v9, 0
	v_addc_co_u32_e32 v20, vcc, v7, v11, vcc
	v_lshlrev_b64 v[10:11], 1, v[8:9]
	v_add_co_u32_e32 v7, vcc, v17, v10
	v_addc_co_u32_e32 v17, vcc, v20, v11, vcc
	v_cmp_eq_u32_e32 vcc, 0, v69
	v_cndmask_b32_e64 v10, 1, 2, vcc
	v_cmp_eq_u32_e32 vcc, 0, v67
	v_cndmask_b32_e64 v11, 1, 2, vcc
	v_cmp_eq_u32_e32 vcc, 0, v68
	v_and_b32_e32 v10, v11, v10
	v_cndmask_b32_e64 v11, 1, 2, vcc
	v_cmp_eq_u32_e32 vcc, 0, v66
	v_and_b32_e32 v10, v10, v11
	;; [unrolled: 3-line block ×13, first 2 shown]
	v_cndmask_b32_e64 v11, 1, 2, vcc
	s_movk_i32 s30, 0x100
	v_and_b32_e32 v10, v10, v11
	v_cmp_gt_u32_e32 vcc, s30, v6
	v_cmp_ne_u32_e64 s[28:29], 0, v69
	v_cmp_ne_u32_e64 s[26:27], 0, v67
	;; [unrolled: 1-line block ×15, first 2 shown]
	s_mov_b64 s[34:35], -1
	v_cmp_gt_i16_e64 s[30:31], 2, v10
	s_cbranch_vccz .LBB858_103
; %bb.97:
	s_and_saveexec_b64 s[34:35], s[30:31]
	s_cbranch_execz .LBB858_102
; %bb.98:
	v_cmp_ne_u16_e32 vcc, 1, v10
	s_mov_b64 s[36:37], 0
	s_and_saveexec_b64 s[30:31], vcc
	s_xor_b64 s[30:31], exec, s[30:31]
	s_cbranch_execnz .LBB858_147
; %bb.99:
	s_andn2_saveexec_b64 s[30:31], s[30:31]
	s_cbranch_execnz .LBB858_163
.LBB858_100:
	s_or_b64 exec, exec, s[30:31]
	s_and_b64 exec, exec, s[36:37]
	s_cbranch_execz .LBB858_102
.LBB858_101:
	v_sub_u32_e32 v20, v22, v8
	v_mov_b32_e32 v21, 0
	v_lshlrev_b64 v[20:21], 1, v[20:21]
	v_add_co_u32_e32 v20, vcc, v7, v20
	v_addc_co_u32_e32 v21, vcc, v17, v21, vcc
	global_store_short v[20:21], v1, off
.LBB858_102:
	s_or_b64 exec, exec, s[34:35]
	s_mov_b64 s[34:35], 0
.LBB858_103:
	s_and_b64 vcc, exec, s[34:35]
	s_cbranch_vccz .LBB858_125
; %bb.104:
	v_cmp_gt_i16_e32 vcc, 2, v10
	s_and_saveexec_b64 s[30:31], vcc
	s_cbranch_execz .LBB858_109
; %bb.105:
	v_cmp_ne_u16_e32 vcc, 1, v10
	s_mov_b64 s[36:37], 0
	s_and_saveexec_b64 s[34:35], vcc
	s_xor_b64 s[34:35], exec, s[34:35]
	s_cbranch_execnz .LBB858_164
; %bb.106:
	s_andn2_saveexec_b64 s[0:1], s[34:35]
	s_cbranch_execnz .LBB858_180
.LBB858_107:
	s_or_b64 exec, exec, s[0:1]
	s_and_b64 exec, exec, s[36:37]
	s_cbranch_execz .LBB858_109
.LBB858_108:
	v_sub_u32_e32 v2, v22, v8
	v_lshlrev_b32_e32 v2, 1, v2
	ds_write_b16 v2, v1
.LBB858_109:
	s_or_b64 exec, exec, s[30:31]
	v_cmp_lt_u32_e32 vcc, v0, v6
	s_waitcnt lgkmcnt(0)
	s_barrier
	s_and_saveexec_b64 s[2:3], vcc
	s_cbranch_execz .LBB858_124
; %bb.110:
	v_xad_u32 v1, v0, -1, v6
	s_movk_i32 s0, 0x1700
	v_cmp_gt_u32_e64 s[4:5], s0, v1
	s_movk_i32 s0, 0x16ff
	v_cmp_lt_u32_e32 vcc, s0, v1
	v_mov_b32_e32 v2, v0
	s_and_saveexec_b64 s[6:7], vcc
	s_cbranch_execz .LBB858_121
; %bb.111:
	v_sub_u32_e32 v2, v0, v6
	v_or_b32_e32 v2, 0xff, v2
	v_cmp_ge_u32_e32 vcc, v2, v0
	s_mov_b64 s[0:1], -1
	v_mov_b32_e32 v2, v0
	s_and_saveexec_b64 s[8:9], vcc
	s_cbranch_execz .LBB858_120
; %bb.112:
	v_lshrrev_b32_e32 v14, 8, v1
	v_or_b32_e32 v3, 0x300, v0
	v_or_b32_e32 v2, 0x200, v0
	v_add_u32_e32 v4, -3, v14
	v_or_b32_e32 v1, 0x100, v0
	v_lshrrev_b32_e32 v5, 2, v4
	v_pk_mov_b32 v[12:13], v[2:3], v[2:3] op_sel:[0,1]
	v_add_u32_e32 v21, 1, v5
	v_cmp_lt_u32_e32 vcc, 11, v4
	v_mov_b32_e32 v44, 0
	v_lshlrev_b32_e32 v20, 1, v0
	v_pk_mov_b32 v[10:11], v[0:1], v[0:1] op_sel:[0,1]
	s_and_saveexec_b64 s[10:11], vcc
	s_cbranch_execz .LBB858_116
; %bb.113:
	v_pk_mov_b32 v[12:13], v[2:3], v[2:3] op_sel:[0,1]
	v_and_b32_e32 v24, 0x7ffffffc, v21
	s_mov_b32 s14, 0
	s_mov_b64 s[12:13], 0
	v_mov_b32_e32 v5, 0
	v_mov_b32_e32 v25, v20
	v_pk_mov_b32 v[10:11], v[0:1], v[0:1] op_sel:[0,1]
.LBB858_114:                            ; =>This Inner Loop Header: Depth=1
	v_mov_b32_e32 v4, v10
	v_lshlrev_b64 v[84:85], 1, v[4:5]
	v_add_u32_e32 v70, 0x400, v11
	v_mov_b32_e32 v71, v5
	v_add_co_u32_e64 v84, s[0:1], v7, v84
	v_lshlrev_b64 v[70:71], 1, v[70:71]
	v_addc_co_u32_e64 v85, s[0:1], v17, v85, s[0:1]
	v_add_u32_e32 v44, 0x400, v12
	v_mov_b32_e32 v45, v5
	v_add_co_u32_e64 v70, s[0:1], v7, v70
	v_lshlrev_b64 v[86:87], 1, v[44:45]
	v_addc_co_u32_e64 v71, s[0:1], v17, v71, s[0:1]
	v_add_u32_e32 v2, 0x400, v13
	v_mov_b32_e32 v3, v5
	v_add_co_u32_e64 v86, s[0:1], v7, v86
	v_add_u32_e32 v24, -4, v24
	v_mov_b32_e32 v4, v11
	v_lshlrev_b64 v[2:3], 1, v[2:3]
	v_addc_co_u32_e64 v87, s[0:1], v17, v87, s[0:1]
	v_add_u32_e32 v76, 0x800, v11
	v_mov_b32_e32 v77, v5
	s_add_i32 s14, s14, 16
	v_cmp_eq_u32_e32 vcc, 0, v24
	v_lshlrev_b64 v[88:89], 1, v[4:5]
	v_add_co_u32_e64 v2, s[0:1], v7, v2
	v_lshlrev_b64 v[76:77], 1, v[76:77]
	v_mov_b32_e32 v4, v12
	v_addc_co_u32_e64 v3, s[0:1], v17, v3, s[0:1]
	s_or_b64 s[12:13], vcc, s[12:13]
	v_add_co_u32_e32 v88, vcc, v7, v88
	v_add_u32_e32 v74, 0x800, v12
	v_mov_b32_e32 v75, v5
	v_add_co_u32_e64 v76, s[0:1], v7, v76
	v_addc_co_u32_e32 v89, vcc, v17, v89, vcc
	v_lshlrev_b64 v[90:91], 1, v[4:5]
	v_lshlrev_b64 v[74:75], 1, v[74:75]
	v_addc_co_u32_e64 v77, s[0:1], v17, v77, s[0:1]
	v_mov_b32_e32 v4, v13
	v_add_co_u32_e32 v90, vcc, v7, v90
	ds_read_u16 v1, v25
	ds_read_u16 v94, v25 offset:512
	ds_read_u16 v95, v25 offset:1024
	;; [unrolled: 1-line block ×7, first 2 shown]
	v_add_u32_e32 v72, 0x800, v13
	v_mov_b32_e32 v73, v5
	v_add_co_u32_e64 v74, s[0:1], v7, v74
	v_addc_co_u32_e32 v91, vcc, v17, v91, vcc
	v_lshlrev_b64 v[92:93], 1, v[4:5]
	v_lshlrev_b64 v[72:73], 1, v[72:73]
	v_addc_co_u32_e64 v75, s[0:1], v17, v75, s[0:1]
	v_add_u32_e32 v4, 0x400, v10
	v_add_co_u32_e32 v92, vcc, v7, v92
	v_add_u32_e32 v82, 0xc00, v11
	v_mov_b32_e32 v83, v5
	ds_read_u16 v101, v25 offset:4096
	ds_read_u16 v102, v25 offset:4608
	;; [unrolled: 1-line block ×8, first 2 shown]
	v_add_co_u32_e64 v72, s[0:1], v7, v72
	v_addc_co_u32_e32 v93, vcc, v17, v93, vcc
	s_waitcnt lgkmcnt(14)
	global_store_short v[84:85], v1, off
	global_store_short v[88:89], v94, off
	s_waitcnt lgkmcnt(13)
	global_store_short v[90:91], v95, off
	v_lshlrev_b64 v[84:85], 1, v[4:5]
	v_lshlrev_b64 v[82:83], 1, v[82:83]
	v_addc_co_u32_e64 v73, s[0:1], v17, v73, s[0:1]
	v_add_u32_e32 v4, 0x800, v10
	v_add_co_u32_e32 v84, vcc, v7, v84
	v_add_u32_e32 v80, 0xc00, v12
	v_mov_b32_e32 v81, v5
	v_add_co_u32_e64 v82, s[0:1], v7, v82
	v_addc_co_u32_e32 v85, vcc, v17, v85, vcc
	v_lshlrev_b64 v[88:89], 1, v[4:5]
	v_lshlrev_b64 v[80:81], 1, v[80:81]
	v_addc_co_u32_e64 v83, s[0:1], v17, v83, s[0:1]
	s_waitcnt lgkmcnt(12)
	global_store_short v[92:93], v96, off
	v_add_u32_e32 v4, 0xc00, v10
	s_waitcnt lgkmcnt(11)
	global_store_short v[84:85], v97, off
	s_waitcnt lgkmcnt(10)
	global_store_short v[70:71], v98, off
	;; [unrolled: 2-line block ×4, first 2 shown]
	v_add_co_u32_e32 v2, vcc, v7, v88
	v_add_u32_e32 v78, 0xc00, v13
	v_mov_b32_e32 v79, v5
	v_add_co_u32_e64 v80, s[0:1], v7, v80
	v_addc_co_u32_e32 v3, vcc, v17, v89, vcc
	v_lshlrev_b64 v[70:71], 1, v[4:5]
	v_lshlrev_b64 v[78:79], 1, v[78:79]
	v_addc_co_u32_e64 v81, s[0:1], v17, v81, s[0:1]
	s_waitcnt lgkmcnt(7)
	global_store_short v[2:3], v101, off
	s_waitcnt lgkmcnt(6)
	global_store_short v[76:77], v102, off
	;; [unrolled: 2-line block ×4, first 2 shown]
	v_add_co_u32_e32 v2, vcc, v7, v70
	v_add_u32_e32 v25, 0x2000, v25
	v_add_u32_e32 v11, 0x1000, v11
	v_mov_b32_e32 v44, s14
	v_add_co_u32_e64 v78, s[0:1], v7, v78
	v_add_u32_e32 v12, 0x1000, v12
	v_add_u32_e32 v13, 0x1000, v13
	;; [unrolled: 1-line block ×3, first 2 shown]
	v_addc_co_u32_e32 v3, vcc, v17, v71, vcc
	v_addc_co_u32_e64 v79, s[0:1], v17, v79, s[0:1]
	s_waitcnt lgkmcnt(3)
	global_store_short v[2:3], v105, off
	s_waitcnt lgkmcnt(2)
	global_store_short v[82:83], v106, off
	;; [unrolled: 2-line block ×4, first 2 shown]
	s_andn2_b64 exec, exec, s[12:13]
	s_cbranch_execnz .LBB858_114
; %bb.115:
	s_or_b64 exec, exec, s[12:13]
.LBB858_116:
	s_or_b64 exec, exec, s[10:11]
	v_and_b32_e32 v1, 3, v21
	v_cmp_ne_u32_e32 vcc, 0, v1
	s_and_saveexec_b64 s[10:11], vcc
	s_cbranch_execz .LBB858_119
; %bb.117:
	v_lshl_or_b32 v4, v44, 9, v20
	s_mov_b64 s[12:13], 0
	v_mov_b32_e32 v3, 0
.LBB858_118:                            ; =>This Inner Loop Header: Depth=1
	v_mov_b32_e32 v2, v10
	v_add_u32_e32 v1, -1, v1
	v_lshlrev_b64 v[20:21], 1, v[2:3]
	v_mov_b32_e32 v2, v11
	v_cmp_eq_u32_e32 vcc, 0, v1
	v_lshlrev_b64 v[24:25], 1, v[2:3]
	ds_read_u16 v5, v4
	ds_read_u16 v72, v4 offset:512
	ds_read_u16 v73, v4 offset:1024
	;; [unrolled: 1-line block ×3, first 2 shown]
	v_mov_b32_e32 v2, v12
	s_or_b64 s[12:13], vcc, s[12:13]
	v_add_co_u32_e32 v24, vcc, v7, v24
	v_addc_co_u32_e32 v25, vcc, v17, v25, vcc
	v_lshlrev_b64 v[44:45], 1, v[2:3]
	v_mov_b32_e32 v2, v13
	v_add_co_u32_e32 v44, vcc, v7, v44
	v_add_co_u32_e64 v20, s[0:1], v7, v20
	v_addc_co_u32_e32 v45, vcc, v17, v45, vcc
	v_lshlrev_b64 v[70:71], 1, v[2:3]
	v_add_u32_e32 v10, 0x400, v10
	v_add_u32_e32 v4, 0x800, v4
	;; [unrolled: 1-line block ×3, first 2 shown]
	v_addc_co_u32_e64 v21, s[0:1], v17, v21, s[0:1]
	v_add_u32_e32 v12, 0x400, v12
	v_add_u32_e32 v13, 0x400, v13
	v_add_co_u32_e32 v70, vcc, v7, v70
	v_addc_co_u32_e32 v71, vcc, v17, v71, vcc
	s_waitcnt lgkmcnt(3)
	global_store_short v[20:21], v5, off
	s_waitcnt lgkmcnt(2)
	global_store_short v[24:25], v72, off
	;; [unrolled: 2-line block ×4, first 2 shown]
	s_andn2_b64 exec, exec, s[12:13]
	s_cbranch_execnz .LBB858_118
.LBB858_119:
	s_or_b64 exec, exec, s[10:11]
	v_add_u32_e32 v1, 1, v14
	v_and_b32_e32 v3, 0x1fffffc, v1
	v_cmp_ne_u32_e32 vcc, v1, v3
	v_lshl_or_b32 v2, v3, 8, v0
	s_orn2_b64 s[0:1], vcc, exec
.LBB858_120:
	s_or_b64 exec, exec, s[8:9]
	s_andn2_b64 s[4:5], s[4:5], exec
	s_and_b64 s[0:1], s[0:1], exec
	s_or_b64 s[4:5], s[4:5], s[0:1]
.LBB858_121:
	s_or_b64 exec, exec, s[6:7]
	s_and_b64 exec, exec, s[4:5]
	s_cbranch_execz .LBB858_124
; %bb.122:
	v_lshlrev_b32_e32 v1, 1, v2
	s_mov_b64 s[0:1], 0
	v_mov_b32_e32 v3, 0
.LBB858_123:                            ; =>This Inner Loop Header: Depth=1
	v_lshlrev_b64 v[4:5], 1, v[2:3]
	ds_read_u16 v10, v1
	v_add_co_u32_e32 v4, vcc, v7, v4
	v_add_u32_e32 v2, 0x100, v2
	v_addc_co_u32_e32 v5, vcc, v17, v5, vcc
	v_cmp_ge_u32_e32 vcc, v2, v6
	v_add_u32_e32 v1, 0x200, v1
	s_or_b64 s[0:1], vcc, s[0:1]
	s_waitcnt lgkmcnt(0)
	global_store_short v[4:5], v10, off
	s_andn2_b64 exec, exec, s[0:1]
	s_cbranch_execnz .LBB858_123
.LBB858_124:
	s_or_b64 exec, exec, s[2:3]
.LBB858_125:
	s_cmpk_lg_i32 s33, 0xf00
	s_cselect_b64 s[0:1], -1, 0
	v_cndmask_b32_e64 v10, 0, 1, s[46:47]
	s_and_b64 s[0:1], s[44:45], s[0:1]
	v_cmp_eq_u32_e32 vcc, 0, v0
	v_sub_u32_e32 v1, v6, v10
	v_cndmask_b32_e64 v2, 0, 1, s[0:1]
	s_and_b64 s[0:1], vcc, s[46:47]
	v_add_u32_e32 v1, v1, v2
	v_cndmask_b32_e64 v2, v69, 0, s[0:1]
	s_mul_hi_u32 s0, s33, 0x88888889
	s_lshr_b32 s0, s0, 3
	v_mad_i32_i24 v3, v0, -15, s33
	v_cmp_eq_u32_e32 vcc, s0, v0
	v_cmp_ne_u32_e64 s[0:1], 0, v3
	v_cndmask_b32_e64 v4, 1, v2, s[0:1]
	v_cmp_ne_u32_e64 s[0:1], 1, v3
	v_cndmask_b32_e64 v5, 1, v67, s[0:1]
	;; [unrolled: 2-line block ×15, first 2 shown]
	s_and_b64 vcc, s[44:45], vcc
	v_cndmask_b32_e32 v59, v59, v3, vcc
	v_cndmask_b32_e32 v20, v57, v20, vcc
	;; [unrolled: 1-line block ×3, first 2 shown]
	v_lshlrev_b64 v[2:3], 3, v[18:19]
	v_cndmask_b32_e32 v45, v58, v45, vcc
	v_cndmask_b32_e32 v15, v15, v44, vcc
	;; [unrolled: 1-line block ×12, first 2 shown]
	v_mov_b32_e32 v4, s51
	v_add_co_u32_e32 v5, vcc, s50, v2
	v_addc_co_u32_e32 v7, vcc, v4, v3, vcc
	v_lshlrev_b64 v[2:3], 3, v[8:9]
	v_add_co_u32_e32 v4, vcc, v5, v2
	v_addc_co_u32_e32 v5, vcc, v7, v3, vcc
	v_lshlrev_b32_e32 v2, 3, v10
	v_add_co_u32_e32 v2, vcc, v2, v4
	v_addc_co_u32_e32 v3, vcc, 0, v5, vcc
	v_add_co_u32_e32 v7, vcc, -8, v2
	v_addc_co_u32_e32 v9, vcc, -1, v3, vcc
	v_cmp_eq_u32_e32 vcc, 0, v57
	v_cndmask_b32_e64 v3, 1, 2, vcc
	v_cmp_eq_u32_e32 vcc, 0, v56
	v_add_u32_e32 v2, v8, v10
	v_cndmask_b32_e64 v10, 1, 2, vcc
	v_cmp_eq_u32_e32 vcc, 0, v44
	v_and_b32_e32 v3, v10, v3
	v_cndmask_b32_e64 v10, 1, 2, vcc
	v_cmp_eq_u32_e32 vcc, 0, v11
	v_and_b32_e32 v3, v3, v10
	;; [unrolled: 3-line block ×13, first 2 shown]
	v_cndmask_b32_e64 v10, 1, 2, vcc
	s_movk_i32 s30, 0x100
	v_and_b32_e32 v3, v3, v10
	v_cmp_gt_u32_e32 vcc, s30, v1
	v_cmp_ne_u32_e64 s[28:29], 0, v57
	v_cmp_ne_u32_e64 s[26:27], 0, v56
	;; [unrolled: 1-line block ×15, first 2 shown]
	s_mov_b64 s[34:35], -1
	v_cmp_gt_i16_e64 s[30:31], 2, v3
	s_barrier
	s_cbranch_vccz .LBB858_132
; %bb.126:
	s_and_saveexec_b64 s[34:35], s[30:31]
	s_cbranch_execz .LBB858_131
; %bb.127:
	v_cmp_ne_u16_e32 vcc, 1, v3
	s_mov_b64 s[36:37], 0
	s_and_saveexec_b64 s[30:31], vcc
	s_xor_b64 s[30:31], exec, s[30:31]
	s_cbranch_execnz .LBB858_181
; %bb.128:
	s_andn2_saveexec_b64 s[30:31], s[30:31]
	s_cbranch_execnz .LBB858_197
.LBB858_129:
	s_or_b64 exec, exec, s[30:31]
	s_and_b64 exec, exec, s[36:37]
	s_cbranch_execz .LBB858_131
.LBB858_130:
	v_mov_b32_e32 v11, 0
	v_sub_u32_e32 v12, v22, v2
	v_mov_b32_e32 v13, v11
	v_lshlrev_b64 v[12:13], 3, v[12:13]
	v_add_co_u32_e32 v12, vcc, v7, v12
	v_mov_b32_e32 v10, v23
	v_addc_co_u32_e32 v13, vcc, v9, v13, vcc
	global_store_dwordx2 v[12:13], v[10:11], off
.LBB858_131:
	s_or_b64 exec, exec, s[34:35]
	s_mov_b64 s[34:35], 0
.LBB858_132:
	s_and_b64 vcc, exec, s[34:35]
	s_cbranch_vccz .LBB858_142
; %bb.133:
	v_cmp_gt_i16_e32 vcc, 2, v3
	s_and_saveexec_b64 s[30:31], vcc
	s_cbranch_execz .LBB858_138
; %bb.134:
	v_cmp_ne_u16_e32 vcc, 1, v3
	s_mov_b64 s[36:37], 0
	s_and_saveexec_b64 s[34:35], vcc
	s_xor_b64 s[34:35], exec, s[34:35]
	s_cbranch_execnz .LBB858_198
; %bb.135:
	s_andn2_saveexec_b64 s[0:1], s[34:35]
	s_cbranch_execnz .LBB858_214
.LBB858_136:
	s_or_b64 exec, exec, s[0:1]
	s_and_b64 exec, exec, s[36:37]
	s_cbranch_execz .LBB858_138
.LBB858_137:
	v_sub_u32_e32 v2, v22, v2
	v_lshlrev_b32_e32 v2, 2, v2
	ds_write_b32 v2, v23
.LBB858_138:
	s_or_b64 exec, exec, s[30:31]
	v_cmp_lt_u32_e32 vcc, v0, v1
	s_waitcnt lgkmcnt(0)
	s_barrier
	s_and_saveexec_b64 s[0:1], vcc
	s_cbranch_execz .LBB858_141
; %bb.139:
	v_lshlrev_b32_e32 v10, 2, v0
	s_mov_b64 s[2:3], 0
	v_mov_b32_e32 v3, 0
	v_mov_b32_e32 v2, v0
.LBB858_140:                            ; =>This Inner Loop Header: Depth=1
	ds_read_b32 v12, v10
	v_lshlrev_b64 v[14:15], 3, v[2:3]
	v_add_co_u32_e32 v14, vcc, v7, v14
	v_add_u32_e32 v2, 0x100, v2
	v_addc_co_u32_e32 v15, vcc, v9, v15, vcc
	v_cmp_ge_u32_e32 vcc, v2, v1
	v_mov_b32_e32 v13, v3
	v_add_u32_e32 v10, 0x400, v10
	s_or_b64 s[2:3], vcc, s[2:3]
	s_waitcnt lgkmcnt(0)
	global_store_dwordx2 v[14:15], v[12:13], off
	s_andn2_b64 exec, exec, s[2:3]
	s_cbranch_execnz .LBB858_140
.LBB858_141:
	s_or_b64 exec, exec, s[0:1]
.LBB858_142:
	s_movk_i32 s0, 0xff
	v_cmp_eq_u32_e32 vcc, s0, v0
	s_and_b64 s[0:1], vcc, s[44:45]
	s_and_saveexec_b64 s[2:3], s[0:1]
	s_cbranch_execz .LBB858_145
; %bb.143:
	v_add_co_u32_e32 v0, vcc, v6, v8
	v_addc_co_u32_e64 v1, s[0:1], 0, 0, vcc
	v_add_co_u32_e32 v0, vcc, v0, v18
	v_mov_b32_e32 v7, 0
	v_addc_co_u32_e32 v1, vcc, v1, v19, vcc
	s_cmpk_lg_i32 s33, 0xf00
	global_store_dwordx2 v7, v[0:1], s[52:53]
	s_cbranch_scc1 .LBB858_145
; %bb.144:
	v_lshlrev_b64 v[0:1], 3, v[6:7]
	v_add_co_u32_e32 v0, vcc, v4, v0
	v_mov_b32_e32 v17, v7
	v_addc_co_u32_e32 v1, vcc, v5, v1, vcc
	global_store_dwordx2 v[0:1], v[16:17], off offset:-8
.LBB858_145:
	s_endpgm
.LBB858_146:
	s_or_b64 exec, exec, s[2:3]
	v_mov_b32_e32 v69, s7
	s_and_saveexec_b64 s[0:1], s[4:5]
	s_cbranch_execnz .LBB858_54
	s_branch .LBB858_55
.LBB858_147:
	s_and_saveexec_b64 s[36:37], s[28:29]
	s_cbranch_execnz .LBB858_215
; %bb.148:
	s_or_b64 exec, exec, s[36:37]
	s_and_saveexec_b64 s[36:37], s[26:27]
	s_cbranch_execnz .LBB858_216
.LBB858_149:
	s_or_b64 exec, exec, s[36:37]
	s_and_saveexec_b64 s[36:37], s[24:25]
	s_cbranch_execnz .LBB858_217
.LBB858_150:
	s_or_b64 exec, exec, s[36:37]
	s_and_saveexec_b64 s[36:37], s[22:23]
	s_cbranch_execnz .LBB858_218
.LBB858_151:
	s_or_b64 exec, exec, s[36:37]
	s_and_saveexec_b64 s[36:37], s[20:21]
	s_cbranch_execnz .LBB858_219
.LBB858_152:
	s_or_b64 exec, exec, s[36:37]
	s_and_saveexec_b64 s[36:37], s[18:19]
	s_cbranch_execnz .LBB858_220
.LBB858_153:
	s_or_b64 exec, exec, s[36:37]
	s_and_saveexec_b64 s[36:37], s[16:17]
	s_cbranch_execnz .LBB858_221
.LBB858_154:
	s_or_b64 exec, exec, s[36:37]
	s_and_saveexec_b64 s[36:37], s[14:15]
	s_cbranch_execnz .LBB858_222
.LBB858_155:
	s_or_b64 exec, exec, s[36:37]
	s_and_saveexec_b64 s[36:37], s[12:13]
	s_cbranch_execnz .LBB858_223
.LBB858_156:
	s_or_b64 exec, exec, s[36:37]
	s_and_saveexec_b64 s[36:37], s[10:11]
	s_cbranch_execnz .LBB858_224
.LBB858_157:
	s_or_b64 exec, exec, s[36:37]
	s_and_saveexec_b64 s[36:37], s[8:9]
	s_cbranch_execnz .LBB858_225
.LBB858_158:
	s_or_b64 exec, exec, s[36:37]
	s_and_saveexec_b64 s[36:37], s[6:7]
	s_cbranch_execnz .LBB858_226
.LBB858_159:
	s_or_b64 exec, exec, s[36:37]
	s_and_saveexec_b64 s[36:37], s[4:5]
	s_cbranch_execnz .LBB858_227
.LBB858_160:
	s_or_b64 exec, exec, s[36:37]
	s_and_saveexec_b64 s[36:37], s[2:3]
	s_cbranch_execz .LBB858_162
.LBB858_161:
	v_sub_u32_e32 v20, v26, v8
	v_mov_b32_e32 v21, 0
	v_lshlrev_b64 v[20:21], 1, v[20:21]
	v_add_co_u32_e32 v20, vcc, v7, v20
	v_addc_co_u32_e32 v21, vcc, v17, v21, vcc
	global_store_short_d16_hi v[20:21], v14, off
.LBB858_162:
	s_or_b64 exec, exec, s[36:37]
	s_and_b64 s[36:37], s[0:1], exec
	s_andn2_saveexec_b64 s[30:31], s[30:31]
	s_cbranch_execz .LBB858_100
.LBB858_163:
	v_sub_u32_e32 v20, v54, v8
	v_mov_b32_e32 v21, 0
	v_lshlrev_b64 v[24:25], 1, v[20:21]
	v_add_co_u32_e32 v24, vcc, v7, v24
	v_addc_co_u32_e32 v25, vcc, v17, v25, vcc
	v_sub_u32_e32 v20, v52, v8
	global_store_short v[24:25], v2, off
	v_lshlrev_b64 v[24:25], 1, v[20:21]
	v_add_co_u32_e32 v24, vcc, v7, v24
	v_addc_co_u32_e32 v25, vcc, v17, v25, vcc
	v_sub_u32_e32 v20, v50, v8
	global_store_short_d16_hi v[24:25], v2, off
	v_lshlrev_b64 v[24:25], 1, v[20:21]
	v_add_co_u32_e32 v24, vcc, v7, v24
	v_addc_co_u32_e32 v25, vcc, v17, v25, vcc
	v_sub_u32_e32 v20, v48, v8
	global_store_short v[24:25], v3, off
	v_lshlrev_b64 v[24:25], 1, v[20:21]
	v_add_co_u32_e32 v24, vcc, v7, v24
	v_addc_co_u32_e32 v25, vcc, v17, v25, vcc
	v_sub_u32_e32 v20, v46, v8
	global_store_short_d16_hi v[24:25], v3, off
	;; [unrolled: 10-line block ×6, first 2 shown]
	v_lshlrev_b64 v[24:25], 1, v[20:21]
	v_add_co_u32_e32 v24, vcc, v7, v24
	v_sub_u32_e32 v20, v26, v8
	v_addc_co_u32_e32 v25, vcc, v17, v25, vcc
	v_lshlrev_b64 v[20:21], 1, v[20:21]
	v_add_co_u32_e32 v20, vcc, v7, v20
	v_addc_co_u32_e32 v21, vcc, v17, v21, vcc
	s_or_b64 s[36:37], s[36:37], exec
	global_store_short v[24:25], v14, off
	global_store_short_d16_hi v[20:21], v14, off
	s_or_b64 exec, exec, s[30:31]
	s_and_b64 exec, exec, s[36:37]
	s_cbranch_execnz .LBB858_101
	s_branch .LBB858_102
.LBB858_164:
	s_and_saveexec_b64 s[36:37], s[28:29]
	s_cbranch_execnz .LBB858_228
; %bb.165:
	s_or_b64 exec, exec, s[36:37]
	s_and_saveexec_b64 s[28:29], s[26:27]
	s_cbranch_execnz .LBB858_229
.LBB858_166:
	s_or_b64 exec, exec, s[28:29]
	s_and_saveexec_b64 s[26:27], s[24:25]
	s_cbranch_execnz .LBB858_230
.LBB858_167:
	s_or_b64 exec, exec, s[26:27]
	s_and_saveexec_b64 s[24:25], s[22:23]
	s_cbranch_execnz .LBB858_231
.LBB858_168:
	s_or_b64 exec, exec, s[24:25]
	s_and_saveexec_b64 s[22:23], s[20:21]
	s_cbranch_execnz .LBB858_232
.LBB858_169:
	s_or_b64 exec, exec, s[22:23]
	s_and_saveexec_b64 s[20:21], s[18:19]
	s_cbranch_execnz .LBB858_233
.LBB858_170:
	s_or_b64 exec, exec, s[20:21]
	s_and_saveexec_b64 s[18:19], s[16:17]
	s_cbranch_execnz .LBB858_234
.LBB858_171:
	s_or_b64 exec, exec, s[18:19]
	s_and_saveexec_b64 s[16:17], s[14:15]
	s_cbranch_execnz .LBB858_235
.LBB858_172:
	s_or_b64 exec, exec, s[16:17]
	s_and_saveexec_b64 s[14:15], s[12:13]
	s_cbranch_execnz .LBB858_236
.LBB858_173:
	s_or_b64 exec, exec, s[14:15]
	s_and_saveexec_b64 s[12:13], s[10:11]
	s_cbranch_execnz .LBB858_237
.LBB858_174:
	s_or_b64 exec, exec, s[12:13]
	s_and_saveexec_b64 s[10:11], s[8:9]
	s_cbranch_execnz .LBB858_238
.LBB858_175:
	s_or_b64 exec, exec, s[10:11]
	s_and_saveexec_b64 s[8:9], s[6:7]
	s_cbranch_execnz .LBB858_239
.LBB858_176:
	s_or_b64 exec, exec, s[8:9]
	s_and_saveexec_b64 s[6:7], s[4:5]
	s_cbranch_execnz .LBB858_240
.LBB858_177:
	s_or_b64 exec, exec, s[6:7]
	s_and_saveexec_b64 s[4:5], s[2:3]
	s_cbranch_execz .LBB858_179
.LBB858_178:
	v_sub_u32_e32 v2, v26, v8
	v_lshlrev_b32_e32 v2, 1, v2
	ds_write_b16_d16_hi v2, v14
.LBB858_179:
	s_or_b64 exec, exec, s[4:5]
	s_and_b64 s[36:37], s[0:1], exec
                                        ; implicit-def: $vgpr2
                                        ; implicit-def: $vgpr12
	s_andn2_saveexec_b64 s[0:1], s[34:35]
	s_cbranch_execz .LBB858_107
.LBB858_180:
	v_sub_u32_e32 v10, v54, v8
	v_lshlrev_b32_e32 v10, 1, v10
	ds_write_b16 v10, v2
	v_sub_u32_e32 v10, v52, v8
	v_lshlrev_b32_e32 v10, 1, v10
	ds_write_b16_d16_hi v10, v2
	v_sub_u32_e32 v2, v50, v8
	v_lshlrev_b32_e32 v2, 1, v2
	ds_write_b16 v2, v3
	v_sub_u32_e32 v2, v48, v8
	v_lshlrev_b32_e32 v2, 1, v2
	ds_write_b16_d16_hi v2, v3
	v_sub_u32_e32 v2, v46, v8
	v_lshlrev_b32_e32 v2, 1, v2
	ds_write_b16 v2, v4
	v_sub_u32_e32 v2, v42, v8
	v_lshlrev_b32_e32 v2, 1, v2
	ds_write_b16_d16_hi v2, v4
	v_sub_u32_e32 v2, v40, v8
	v_lshlrev_b32_e32 v2, 1, v2
	ds_write_b16 v2, v5
	v_sub_u32_e32 v2, v38, v8
	v_lshlrev_b32_e32 v2, 1, v2
	ds_write_b16_d16_hi v2, v5
	v_sub_u32_e32 v2, v36, v8
	v_lshlrev_b32_e32 v2, 1, v2
	ds_write_b16 v2, v12
	v_sub_u32_e32 v2, v34, v8
	v_lshlrev_b32_e32 v2, 1, v2
	ds_write_b16_d16_hi v2, v12
	v_sub_u32_e32 v2, v32, v8
	v_lshlrev_b32_e32 v2, 1, v2
	ds_write_b16 v2, v13
	v_sub_u32_e32 v2, v30, v8
	v_lshlrev_b32_e32 v2, 1, v2
	ds_write_b16_d16_hi v2, v13
	v_sub_u32_e32 v2, v28, v8
	v_lshlrev_b32_e32 v2, 1, v2
	ds_write_b16 v2, v14
	v_sub_u32_e32 v2, v26, v8
	v_lshlrev_b32_e32 v2, 1, v2
	s_or_b64 s[36:37], s[36:37], exec
	ds_write_b16_d16_hi v2, v14
	s_or_b64 exec, exec, s[0:1]
	s_and_b64 exec, exec, s[36:37]
	s_cbranch_execnz .LBB858_108
	s_branch .LBB858_109
.LBB858_181:
	s_and_saveexec_b64 s[36:37], s[28:29]
	s_cbranch_execnz .LBB858_241
; %bb.182:
	s_or_b64 exec, exec, s[36:37]
	s_and_saveexec_b64 s[36:37], s[26:27]
	s_cbranch_execnz .LBB858_242
.LBB858_183:
	s_or_b64 exec, exec, s[36:37]
	s_and_saveexec_b64 s[36:37], s[24:25]
	s_cbranch_execnz .LBB858_243
.LBB858_184:
	s_or_b64 exec, exec, s[36:37]
	s_and_saveexec_b64 s[36:37], s[22:23]
	s_cbranch_execnz .LBB858_244
.LBB858_185:
	s_or_b64 exec, exec, s[36:37]
	s_and_saveexec_b64 s[36:37], s[20:21]
	s_cbranch_execnz .LBB858_245
.LBB858_186:
	s_or_b64 exec, exec, s[36:37]
	s_and_saveexec_b64 s[36:37], s[18:19]
	s_cbranch_execnz .LBB858_246
.LBB858_187:
	s_or_b64 exec, exec, s[36:37]
	s_and_saveexec_b64 s[36:37], s[16:17]
	s_cbranch_execnz .LBB858_247
.LBB858_188:
	s_or_b64 exec, exec, s[36:37]
	s_and_saveexec_b64 s[36:37], s[14:15]
	s_cbranch_execnz .LBB858_248
.LBB858_189:
	s_or_b64 exec, exec, s[36:37]
	s_and_saveexec_b64 s[36:37], s[12:13]
	s_cbranch_execnz .LBB858_249
.LBB858_190:
	s_or_b64 exec, exec, s[36:37]
	s_and_saveexec_b64 s[36:37], s[10:11]
	s_cbranch_execnz .LBB858_250
.LBB858_191:
	s_or_b64 exec, exec, s[36:37]
	s_and_saveexec_b64 s[36:37], s[8:9]
	s_cbranch_execnz .LBB858_251
.LBB858_192:
	s_or_b64 exec, exec, s[36:37]
	s_and_saveexec_b64 s[36:37], s[6:7]
	s_cbranch_execnz .LBB858_252
.LBB858_193:
	s_or_b64 exec, exec, s[36:37]
	s_and_saveexec_b64 s[36:37], s[4:5]
	s_cbranch_execnz .LBB858_253
.LBB858_194:
	s_or_b64 exec, exec, s[36:37]
	s_and_saveexec_b64 s[36:37], s[2:3]
	s_cbranch_execz .LBB858_196
.LBB858_195:
	v_sub_u32_e32 v10, v26, v2
	v_mov_b32_e32 v11, 0
	v_lshlrev_b64 v[12:13], 3, v[10:11]
	v_add_co_u32_e32 v12, vcc, v7, v12
	v_addc_co_u32_e32 v13, vcc, v9, v13, vcc
	v_mov_b32_e32 v10, v27
	global_store_dwordx2 v[12:13], v[10:11], off
.LBB858_196:
	s_or_b64 exec, exec, s[36:37]
	s_and_b64 s[36:37], s[0:1], exec
	s_andn2_saveexec_b64 s[30:31], s[30:31]
	s_cbranch_execz .LBB858_129
.LBB858_197:
	v_mov_b32_e32 v11, 0
	v_sub_u32_e32 v12, v54, v2
	v_mov_b32_e32 v13, v11
	v_lshlrev_b64 v[12:13], 3, v[12:13]
	v_add_co_u32_e32 v12, vcc, v7, v12
	v_mov_b32_e32 v10, v55
	v_addc_co_u32_e32 v13, vcc, v9, v13, vcc
	global_store_dwordx2 v[12:13], v[10:11], off
	v_sub_u32_e32 v12, v52, v2
	v_mov_b32_e32 v13, v11
	v_lshlrev_b64 v[12:13], 3, v[12:13]
	v_add_co_u32_e32 v12, vcc, v7, v12
	v_mov_b32_e32 v10, v53
	v_addc_co_u32_e32 v13, vcc, v9, v13, vcc
	global_store_dwordx2 v[12:13], v[10:11], off
	;; [unrolled: 7-line block ×13, first 2 shown]
	v_sub_u32_e32 v12, v26, v2
	v_mov_b32_e32 v13, v11
	v_lshlrev_b64 v[12:13], 3, v[12:13]
	v_add_co_u32_e32 v12, vcc, v7, v12
	v_mov_b32_e32 v10, v27
	v_addc_co_u32_e32 v13, vcc, v9, v13, vcc
	s_or_b64 s[36:37], s[36:37], exec
	global_store_dwordx2 v[12:13], v[10:11], off
	s_or_b64 exec, exec, s[30:31]
	s_and_b64 exec, exec, s[36:37]
	s_cbranch_execnz .LBB858_130
	s_branch .LBB858_131
.LBB858_198:
	s_and_saveexec_b64 s[36:37], s[28:29]
	s_cbranch_execnz .LBB858_254
; %bb.199:
	s_or_b64 exec, exec, s[36:37]
	s_and_saveexec_b64 s[28:29], s[26:27]
	s_cbranch_execnz .LBB858_255
.LBB858_200:
	s_or_b64 exec, exec, s[28:29]
	s_and_saveexec_b64 s[26:27], s[24:25]
	s_cbranch_execnz .LBB858_256
.LBB858_201:
	s_or_b64 exec, exec, s[26:27]
	s_and_saveexec_b64 s[24:25], s[22:23]
	s_cbranch_execnz .LBB858_257
.LBB858_202:
	s_or_b64 exec, exec, s[24:25]
	s_and_saveexec_b64 s[22:23], s[20:21]
	s_cbranch_execnz .LBB858_258
.LBB858_203:
	s_or_b64 exec, exec, s[22:23]
	s_and_saveexec_b64 s[20:21], s[18:19]
	s_cbranch_execnz .LBB858_259
.LBB858_204:
	s_or_b64 exec, exec, s[20:21]
	s_and_saveexec_b64 s[18:19], s[16:17]
	s_cbranch_execnz .LBB858_260
.LBB858_205:
	s_or_b64 exec, exec, s[18:19]
	s_and_saveexec_b64 s[16:17], s[14:15]
	s_cbranch_execnz .LBB858_261
.LBB858_206:
	s_or_b64 exec, exec, s[16:17]
	s_and_saveexec_b64 s[14:15], s[12:13]
	s_cbranch_execnz .LBB858_262
.LBB858_207:
	s_or_b64 exec, exec, s[14:15]
	s_and_saveexec_b64 s[12:13], s[10:11]
	s_cbranch_execnz .LBB858_263
.LBB858_208:
	s_or_b64 exec, exec, s[12:13]
	s_and_saveexec_b64 s[10:11], s[8:9]
	s_cbranch_execnz .LBB858_264
.LBB858_209:
	s_or_b64 exec, exec, s[10:11]
	s_and_saveexec_b64 s[8:9], s[6:7]
	s_cbranch_execnz .LBB858_265
.LBB858_210:
	s_or_b64 exec, exec, s[8:9]
	s_and_saveexec_b64 s[6:7], s[4:5]
	s_cbranch_execnz .LBB858_266
.LBB858_211:
	s_or_b64 exec, exec, s[6:7]
	s_and_saveexec_b64 s[4:5], s[2:3]
	s_cbranch_execz .LBB858_213
.LBB858_212:
	v_sub_u32_e32 v3, v26, v2
	v_lshlrev_b32_e32 v3, 2, v3
	ds_write_b32 v3, v27
.LBB858_213:
	s_or_b64 exec, exec, s[4:5]
	s_and_b64 s[36:37], s[0:1], exec
                                        ; implicit-def: $vgpr54_vgpr55
                                        ; implicit-def: $vgpr52_vgpr53
                                        ; implicit-def: $vgpr50_vgpr51
                                        ; implicit-def: $vgpr48_vgpr49
                                        ; implicit-def: $vgpr46_vgpr47
                                        ; implicit-def: $vgpr42_vgpr43
                                        ; implicit-def: $vgpr40_vgpr41
                                        ; implicit-def: $vgpr38_vgpr39
                                        ; implicit-def: $vgpr36_vgpr37
                                        ; implicit-def: $vgpr34_vgpr35
                                        ; implicit-def: $vgpr32_vgpr33
                                        ; implicit-def: $vgpr30_vgpr31
                                        ; implicit-def: $vgpr28_vgpr29
                                        ; implicit-def: $vgpr26_vgpr27
	s_andn2_saveexec_b64 s[0:1], s[34:35]
	s_cbranch_execz .LBB858_136
.LBB858_214:
	v_sub_u32_e32 v3, v54, v2
	v_lshlrev_b32_e32 v3, 2, v3
	ds_write_b32 v3, v55
	v_sub_u32_e32 v3, v52, v2
	v_lshlrev_b32_e32 v3, 2, v3
	ds_write_b32 v3, v53
	;; [unrolled: 3-line block ×13, first 2 shown]
	v_sub_u32_e32 v3, v26, v2
	v_lshlrev_b32_e32 v3, 2, v3
	s_or_b64 s[36:37], s[36:37], exec
	ds_write_b32 v3, v27
	s_or_b64 exec, exec, s[0:1]
	s_and_b64 exec, exec, s[36:37]
	s_cbranch_execnz .LBB858_137
	s_branch .LBB858_138
.LBB858_215:
	v_sub_u32_e32 v20, v54, v8
	v_mov_b32_e32 v21, 0
	v_lshlrev_b64 v[20:21], 1, v[20:21]
	v_add_co_u32_e32 v20, vcc, v7, v20
	v_addc_co_u32_e32 v21, vcc, v17, v21, vcc
	global_store_short v[20:21], v2, off
	s_or_b64 exec, exec, s[36:37]
	s_and_saveexec_b64 s[36:37], s[26:27]
	s_cbranch_execz .LBB858_149
.LBB858_216:
	v_sub_u32_e32 v20, v52, v8
	v_mov_b32_e32 v21, 0
	v_lshlrev_b64 v[20:21], 1, v[20:21]
	v_add_co_u32_e32 v20, vcc, v7, v20
	v_addc_co_u32_e32 v21, vcc, v17, v21, vcc
	global_store_short_d16_hi v[20:21], v2, off
	s_or_b64 exec, exec, s[36:37]
	s_and_saveexec_b64 s[36:37], s[24:25]
	s_cbranch_execz .LBB858_150
.LBB858_217:
	v_sub_u32_e32 v20, v50, v8
	v_mov_b32_e32 v21, 0
	v_lshlrev_b64 v[20:21], 1, v[20:21]
	v_add_co_u32_e32 v20, vcc, v7, v20
	v_addc_co_u32_e32 v21, vcc, v17, v21, vcc
	global_store_short v[20:21], v3, off
	s_or_b64 exec, exec, s[36:37]
	s_and_saveexec_b64 s[36:37], s[22:23]
	s_cbranch_execz .LBB858_151
.LBB858_218:
	v_sub_u32_e32 v20, v48, v8
	v_mov_b32_e32 v21, 0
	v_lshlrev_b64 v[20:21], 1, v[20:21]
	v_add_co_u32_e32 v20, vcc, v7, v20
	v_addc_co_u32_e32 v21, vcc, v17, v21, vcc
	global_store_short_d16_hi v[20:21], v3, off
	s_or_b64 exec, exec, s[36:37]
	s_and_saveexec_b64 s[36:37], s[20:21]
	s_cbranch_execz .LBB858_152
.LBB858_219:
	v_sub_u32_e32 v20, v46, v8
	v_mov_b32_e32 v21, 0
	v_lshlrev_b64 v[20:21], 1, v[20:21]
	v_add_co_u32_e32 v20, vcc, v7, v20
	v_addc_co_u32_e32 v21, vcc, v17, v21, vcc
	global_store_short v[20:21], v4, off
	s_or_b64 exec, exec, s[36:37]
	s_and_saveexec_b64 s[36:37], s[18:19]
	s_cbranch_execz .LBB858_153
.LBB858_220:
	v_sub_u32_e32 v20, v42, v8
	v_mov_b32_e32 v21, 0
	v_lshlrev_b64 v[20:21], 1, v[20:21]
	v_add_co_u32_e32 v20, vcc, v7, v20
	v_addc_co_u32_e32 v21, vcc, v17, v21, vcc
	global_store_short_d16_hi v[20:21], v4, off
	s_or_b64 exec, exec, s[36:37]
	s_and_saveexec_b64 s[36:37], s[16:17]
	s_cbranch_execz .LBB858_154
.LBB858_221:
	v_sub_u32_e32 v20, v40, v8
	v_mov_b32_e32 v21, 0
	v_lshlrev_b64 v[20:21], 1, v[20:21]
	v_add_co_u32_e32 v20, vcc, v7, v20
	v_addc_co_u32_e32 v21, vcc, v17, v21, vcc
	global_store_short v[20:21], v5, off
	s_or_b64 exec, exec, s[36:37]
	s_and_saveexec_b64 s[36:37], s[14:15]
	s_cbranch_execz .LBB858_155
.LBB858_222:
	v_sub_u32_e32 v20, v38, v8
	v_mov_b32_e32 v21, 0
	v_lshlrev_b64 v[20:21], 1, v[20:21]
	v_add_co_u32_e32 v20, vcc, v7, v20
	v_addc_co_u32_e32 v21, vcc, v17, v21, vcc
	global_store_short_d16_hi v[20:21], v5, off
	s_or_b64 exec, exec, s[36:37]
	s_and_saveexec_b64 s[36:37], s[12:13]
	s_cbranch_execz .LBB858_156
.LBB858_223:
	v_sub_u32_e32 v20, v36, v8
	v_mov_b32_e32 v21, 0
	v_lshlrev_b64 v[20:21], 1, v[20:21]
	v_add_co_u32_e32 v20, vcc, v7, v20
	v_addc_co_u32_e32 v21, vcc, v17, v21, vcc
	global_store_short v[20:21], v12, off
	s_or_b64 exec, exec, s[36:37]
	s_and_saveexec_b64 s[36:37], s[10:11]
	s_cbranch_execz .LBB858_157
.LBB858_224:
	v_sub_u32_e32 v20, v34, v8
	v_mov_b32_e32 v21, 0
	v_lshlrev_b64 v[20:21], 1, v[20:21]
	v_add_co_u32_e32 v20, vcc, v7, v20
	v_addc_co_u32_e32 v21, vcc, v17, v21, vcc
	global_store_short_d16_hi v[20:21], v12, off
	s_or_b64 exec, exec, s[36:37]
	s_and_saveexec_b64 s[36:37], s[8:9]
	s_cbranch_execz .LBB858_158
.LBB858_225:
	v_sub_u32_e32 v20, v32, v8
	v_mov_b32_e32 v21, 0
	v_lshlrev_b64 v[20:21], 1, v[20:21]
	v_add_co_u32_e32 v20, vcc, v7, v20
	v_addc_co_u32_e32 v21, vcc, v17, v21, vcc
	global_store_short v[20:21], v13, off
	s_or_b64 exec, exec, s[36:37]
	s_and_saveexec_b64 s[36:37], s[6:7]
	s_cbranch_execz .LBB858_159
.LBB858_226:
	v_sub_u32_e32 v20, v30, v8
	v_mov_b32_e32 v21, 0
	v_lshlrev_b64 v[20:21], 1, v[20:21]
	v_add_co_u32_e32 v20, vcc, v7, v20
	v_addc_co_u32_e32 v21, vcc, v17, v21, vcc
	global_store_short_d16_hi v[20:21], v13, off
	s_or_b64 exec, exec, s[36:37]
	s_and_saveexec_b64 s[36:37], s[4:5]
	s_cbranch_execz .LBB858_160
.LBB858_227:
	v_sub_u32_e32 v20, v28, v8
	v_mov_b32_e32 v21, 0
	v_lshlrev_b64 v[20:21], 1, v[20:21]
	v_add_co_u32_e32 v20, vcc, v7, v20
	v_addc_co_u32_e32 v21, vcc, v17, v21, vcc
	global_store_short v[20:21], v14, off
	s_or_b64 exec, exec, s[36:37]
	s_and_saveexec_b64 s[36:37], s[2:3]
	s_cbranch_execnz .LBB858_161
	s_branch .LBB858_162
.LBB858_228:
	v_sub_u32_e32 v10, v54, v8
	v_lshlrev_b32_e32 v10, 1, v10
	ds_write_b16 v10, v2
	s_or_b64 exec, exec, s[36:37]
	s_and_saveexec_b64 s[28:29], s[26:27]
	s_cbranch_execz .LBB858_166
.LBB858_229:
	v_sub_u32_e32 v10, v52, v8
	v_lshlrev_b32_e32 v10, 1, v10
	ds_write_b16_d16_hi v10, v2
	s_or_b64 exec, exec, s[28:29]
	s_and_saveexec_b64 s[26:27], s[24:25]
	s_cbranch_execz .LBB858_167
.LBB858_230:
	v_sub_u32_e32 v2, v50, v8
	v_lshlrev_b32_e32 v2, 1, v2
	ds_write_b16 v2, v3
	s_or_b64 exec, exec, s[26:27]
	s_and_saveexec_b64 s[24:25], s[22:23]
	s_cbranch_execz .LBB858_168
.LBB858_231:
	v_sub_u32_e32 v2, v48, v8
	v_lshlrev_b32_e32 v2, 1, v2
	ds_write_b16_d16_hi v2, v3
	s_or_b64 exec, exec, s[24:25]
	s_and_saveexec_b64 s[22:23], s[20:21]
	s_cbranch_execz .LBB858_169
.LBB858_232:
	v_sub_u32_e32 v2, v46, v8
	v_lshlrev_b32_e32 v2, 1, v2
	ds_write_b16 v2, v4
	s_or_b64 exec, exec, s[22:23]
	s_and_saveexec_b64 s[20:21], s[18:19]
	s_cbranch_execz .LBB858_170
.LBB858_233:
	v_sub_u32_e32 v2, v42, v8
	v_lshlrev_b32_e32 v2, 1, v2
	ds_write_b16_d16_hi v2, v4
	s_or_b64 exec, exec, s[20:21]
	s_and_saveexec_b64 s[18:19], s[16:17]
	s_cbranch_execz .LBB858_171
.LBB858_234:
	v_sub_u32_e32 v2, v40, v8
	v_lshlrev_b32_e32 v2, 1, v2
	ds_write_b16 v2, v5
	s_or_b64 exec, exec, s[18:19]
	s_and_saveexec_b64 s[16:17], s[14:15]
	s_cbranch_execz .LBB858_172
.LBB858_235:
	v_sub_u32_e32 v2, v38, v8
	v_lshlrev_b32_e32 v2, 1, v2
	ds_write_b16_d16_hi v2, v5
	s_or_b64 exec, exec, s[16:17]
	s_and_saveexec_b64 s[14:15], s[12:13]
	s_cbranch_execz .LBB858_173
.LBB858_236:
	v_sub_u32_e32 v2, v36, v8
	v_lshlrev_b32_e32 v2, 1, v2
	ds_write_b16 v2, v12
	s_or_b64 exec, exec, s[14:15]
	s_and_saveexec_b64 s[12:13], s[10:11]
	s_cbranch_execz .LBB858_174
.LBB858_237:
	v_sub_u32_e32 v2, v34, v8
	v_lshlrev_b32_e32 v2, 1, v2
	ds_write_b16_d16_hi v2, v12
	s_or_b64 exec, exec, s[12:13]
	s_and_saveexec_b64 s[10:11], s[8:9]
	s_cbranch_execz .LBB858_175
.LBB858_238:
	v_sub_u32_e32 v2, v32, v8
	v_lshlrev_b32_e32 v2, 1, v2
	ds_write_b16 v2, v13
	s_or_b64 exec, exec, s[10:11]
	s_and_saveexec_b64 s[8:9], s[6:7]
	s_cbranch_execz .LBB858_176
.LBB858_239:
	v_sub_u32_e32 v2, v30, v8
	v_lshlrev_b32_e32 v2, 1, v2
	ds_write_b16_d16_hi v2, v13
	s_or_b64 exec, exec, s[8:9]
	s_and_saveexec_b64 s[6:7], s[4:5]
	s_cbranch_execz .LBB858_177
.LBB858_240:
	v_sub_u32_e32 v2, v28, v8
	v_lshlrev_b32_e32 v2, 1, v2
	ds_write_b16 v2, v14
	s_or_b64 exec, exec, s[6:7]
	s_and_saveexec_b64 s[4:5], s[2:3]
	s_cbranch_execnz .LBB858_178
	s_branch .LBB858_179
.LBB858_241:
	v_sub_u32_e32 v10, v54, v2
	v_mov_b32_e32 v11, 0
	v_lshlrev_b64 v[12:13], 3, v[10:11]
	v_add_co_u32_e32 v12, vcc, v7, v12
	v_addc_co_u32_e32 v13, vcc, v9, v13, vcc
	v_mov_b32_e32 v10, v55
	global_store_dwordx2 v[12:13], v[10:11], off
	s_or_b64 exec, exec, s[36:37]
	s_and_saveexec_b64 s[36:37], s[26:27]
	s_cbranch_execz .LBB858_183
.LBB858_242:
	v_sub_u32_e32 v10, v52, v2
	v_mov_b32_e32 v11, 0
	v_lshlrev_b64 v[12:13], 3, v[10:11]
	v_add_co_u32_e32 v12, vcc, v7, v12
	v_addc_co_u32_e32 v13, vcc, v9, v13, vcc
	v_mov_b32_e32 v10, v53
	global_store_dwordx2 v[12:13], v[10:11], off
	s_or_b64 exec, exec, s[36:37]
	s_and_saveexec_b64 s[36:37], s[24:25]
	s_cbranch_execz .LBB858_184
.LBB858_243:
	v_sub_u32_e32 v10, v50, v2
	v_mov_b32_e32 v11, 0
	v_lshlrev_b64 v[12:13], 3, v[10:11]
	v_add_co_u32_e32 v12, vcc, v7, v12
	v_addc_co_u32_e32 v13, vcc, v9, v13, vcc
	v_mov_b32_e32 v10, v51
	global_store_dwordx2 v[12:13], v[10:11], off
	s_or_b64 exec, exec, s[36:37]
	s_and_saveexec_b64 s[36:37], s[22:23]
	s_cbranch_execz .LBB858_185
.LBB858_244:
	v_sub_u32_e32 v10, v48, v2
	v_mov_b32_e32 v11, 0
	v_lshlrev_b64 v[12:13], 3, v[10:11]
	v_add_co_u32_e32 v12, vcc, v7, v12
	v_addc_co_u32_e32 v13, vcc, v9, v13, vcc
	v_mov_b32_e32 v10, v49
	global_store_dwordx2 v[12:13], v[10:11], off
	s_or_b64 exec, exec, s[36:37]
	s_and_saveexec_b64 s[36:37], s[20:21]
	s_cbranch_execz .LBB858_186
.LBB858_245:
	v_sub_u32_e32 v10, v46, v2
	v_mov_b32_e32 v11, 0
	v_lshlrev_b64 v[12:13], 3, v[10:11]
	v_add_co_u32_e32 v12, vcc, v7, v12
	v_addc_co_u32_e32 v13, vcc, v9, v13, vcc
	v_mov_b32_e32 v10, v47
	global_store_dwordx2 v[12:13], v[10:11], off
	s_or_b64 exec, exec, s[36:37]
	s_and_saveexec_b64 s[36:37], s[18:19]
	s_cbranch_execz .LBB858_187
.LBB858_246:
	v_sub_u32_e32 v10, v42, v2
	v_mov_b32_e32 v11, 0
	v_lshlrev_b64 v[12:13], 3, v[10:11]
	v_add_co_u32_e32 v12, vcc, v7, v12
	v_addc_co_u32_e32 v13, vcc, v9, v13, vcc
	v_mov_b32_e32 v10, v43
	global_store_dwordx2 v[12:13], v[10:11], off
	s_or_b64 exec, exec, s[36:37]
	s_and_saveexec_b64 s[36:37], s[16:17]
	s_cbranch_execz .LBB858_188
.LBB858_247:
	v_sub_u32_e32 v10, v40, v2
	v_mov_b32_e32 v11, 0
	v_lshlrev_b64 v[12:13], 3, v[10:11]
	v_add_co_u32_e32 v12, vcc, v7, v12
	v_addc_co_u32_e32 v13, vcc, v9, v13, vcc
	v_mov_b32_e32 v10, v41
	global_store_dwordx2 v[12:13], v[10:11], off
	s_or_b64 exec, exec, s[36:37]
	s_and_saveexec_b64 s[36:37], s[14:15]
	s_cbranch_execz .LBB858_189
.LBB858_248:
	v_sub_u32_e32 v10, v38, v2
	v_mov_b32_e32 v11, 0
	v_lshlrev_b64 v[12:13], 3, v[10:11]
	v_add_co_u32_e32 v12, vcc, v7, v12
	v_addc_co_u32_e32 v13, vcc, v9, v13, vcc
	v_mov_b32_e32 v10, v39
	global_store_dwordx2 v[12:13], v[10:11], off
	s_or_b64 exec, exec, s[36:37]
	s_and_saveexec_b64 s[36:37], s[12:13]
	s_cbranch_execz .LBB858_190
.LBB858_249:
	v_sub_u32_e32 v10, v36, v2
	v_mov_b32_e32 v11, 0
	v_lshlrev_b64 v[12:13], 3, v[10:11]
	v_add_co_u32_e32 v12, vcc, v7, v12
	v_addc_co_u32_e32 v13, vcc, v9, v13, vcc
	v_mov_b32_e32 v10, v37
	global_store_dwordx2 v[12:13], v[10:11], off
	s_or_b64 exec, exec, s[36:37]
	s_and_saveexec_b64 s[36:37], s[10:11]
	s_cbranch_execz .LBB858_191
.LBB858_250:
	v_sub_u32_e32 v10, v34, v2
	v_mov_b32_e32 v11, 0
	v_lshlrev_b64 v[12:13], 3, v[10:11]
	v_add_co_u32_e32 v12, vcc, v7, v12
	v_addc_co_u32_e32 v13, vcc, v9, v13, vcc
	v_mov_b32_e32 v10, v35
	global_store_dwordx2 v[12:13], v[10:11], off
	s_or_b64 exec, exec, s[36:37]
	s_and_saveexec_b64 s[36:37], s[8:9]
	s_cbranch_execz .LBB858_192
.LBB858_251:
	v_sub_u32_e32 v10, v32, v2
	v_mov_b32_e32 v11, 0
	v_lshlrev_b64 v[12:13], 3, v[10:11]
	v_add_co_u32_e32 v12, vcc, v7, v12
	v_addc_co_u32_e32 v13, vcc, v9, v13, vcc
	v_mov_b32_e32 v10, v33
	global_store_dwordx2 v[12:13], v[10:11], off
	s_or_b64 exec, exec, s[36:37]
	s_and_saveexec_b64 s[36:37], s[6:7]
	s_cbranch_execz .LBB858_193
.LBB858_252:
	v_sub_u32_e32 v10, v30, v2
	v_mov_b32_e32 v11, 0
	v_lshlrev_b64 v[12:13], 3, v[10:11]
	v_add_co_u32_e32 v12, vcc, v7, v12
	v_addc_co_u32_e32 v13, vcc, v9, v13, vcc
	v_mov_b32_e32 v10, v31
	global_store_dwordx2 v[12:13], v[10:11], off
	s_or_b64 exec, exec, s[36:37]
	s_and_saveexec_b64 s[36:37], s[4:5]
	s_cbranch_execz .LBB858_194
.LBB858_253:
	v_sub_u32_e32 v10, v28, v2
	v_mov_b32_e32 v11, 0
	v_lshlrev_b64 v[12:13], 3, v[10:11]
	v_add_co_u32_e32 v12, vcc, v7, v12
	v_addc_co_u32_e32 v13, vcc, v9, v13, vcc
	v_mov_b32_e32 v10, v29
	global_store_dwordx2 v[12:13], v[10:11], off
	s_or_b64 exec, exec, s[36:37]
	s_and_saveexec_b64 s[36:37], s[2:3]
	s_cbranch_execnz .LBB858_195
	s_branch .LBB858_196
.LBB858_254:
	v_sub_u32_e32 v3, v54, v2
	v_lshlrev_b32_e32 v3, 2, v3
	ds_write_b32 v3, v55
	s_or_b64 exec, exec, s[36:37]
	s_and_saveexec_b64 s[28:29], s[26:27]
	s_cbranch_execz .LBB858_200
.LBB858_255:
	v_sub_u32_e32 v3, v52, v2
	v_lshlrev_b32_e32 v3, 2, v3
	ds_write_b32 v3, v53
	s_or_b64 exec, exec, s[28:29]
	s_and_saveexec_b64 s[26:27], s[24:25]
	s_cbranch_execz .LBB858_201
.LBB858_256:
	v_sub_u32_e32 v3, v50, v2
	v_lshlrev_b32_e32 v3, 2, v3
	ds_write_b32 v3, v51
	s_or_b64 exec, exec, s[26:27]
	s_and_saveexec_b64 s[24:25], s[22:23]
	s_cbranch_execz .LBB858_202
.LBB858_257:
	v_sub_u32_e32 v3, v48, v2
	v_lshlrev_b32_e32 v3, 2, v3
	ds_write_b32 v3, v49
	s_or_b64 exec, exec, s[24:25]
	s_and_saveexec_b64 s[22:23], s[20:21]
	s_cbranch_execz .LBB858_203
.LBB858_258:
	v_sub_u32_e32 v3, v46, v2
	v_lshlrev_b32_e32 v3, 2, v3
	ds_write_b32 v3, v47
	s_or_b64 exec, exec, s[22:23]
	s_and_saveexec_b64 s[20:21], s[18:19]
	s_cbranch_execz .LBB858_204
.LBB858_259:
	v_sub_u32_e32 v3, v42, v2
	v_lshlrev_b32_e32 v3, 2, v3
	ds_write_b32 v3, v43
	s_or_b64 exec, exec, s[20:21]
	s_and_saveexec_b64 s[18:19], s[16:17]
	s_cbranch_execz .LBB858_205
.LBB858_260:
	v_sub_u32_e32 v3, v40, v2
	v_lshlrev_b32_e32 v3, 2, v3
	ds_write_b32 v3, v41
	s_or_b64 exec, exec, s[18:19]
	s_and_saveexec_b64 s[16:17], s[14:15]
	s_cbranch_execz .LBB858_206
.LBB858_261:
	v_sub_u32_e32 v3, v38, v2
	v_lshlrev_b32_e32 v3, 2, v3
	ds_write_b32 v3, v39
	s_or_b64 exec, exec, s[16:17]
	s_and_saveexec_b64 s[14:15], s[12:13]
	s_cbranch_execz .LBB858_207
.LBB858_262:
	v_sub_u32_e32 v3, v36, v2
	v_lshlrev_b32_e32 v3, 2, v3
	ds_write_b32 v3, v37
	s_or_b64 exec, exec, s[14:15]
	s_and_saveexec_b64 s[12:13], s[10:11]
	s_cbranch_execz .LBB858_208
.LBB858_263:
	v_sub_u32_e32 v3, v34, v2
	v_lshlrev_b32_e32 v3, 2, v3
	ds_write_b32 v3, v35
	s_or_b64 exec, exec, s[12:13]
	s_and_saveexec_b64 s[10:11], s[8:9]
	s_cbranch_execz .LBB858_209
.LBB858_264:
	v_sub_u32_e32 v3, v32, v2
	v_lshlrev_b32_e32 v3, 2, v3
	ds_write_b32 v3, v33
	s_or_b64 exec, exec, s[10:11]
	s_and_saveexec_b64 s[8:9], s[6:7]
	s_cbranch_execz .LBB858_210
.LBB858_265:
	v_sub_u32_e32 v3, v30, v2
	v_lshlrev_b32_e32 v3, 2, v3
	ds_write_b32 v3, v31
	s_or_b64 exec, exec, s[8:9]
	s_and_saveexec_b64 s[6:7], s[4:5]
	s_cbranch_execz .LBB858_211
.LBB858_266:
	v_sub_u32_e32 v3, v28, v2
	v_lshlrev_b32_e32 v3, 2, v3
	ds_write_b32 v3, v29
	s_or_b64 exec, exec, s[6:7]
	s_and_saveexec_b64 s[4:5], s[2:3]
	s_cbranch_execnz .LBB858_212
	s_branch .LBB858_213
	.section	.rodata,"a",@progbits
	.p2align	6, 0x0
	.amdhsa_kernel _ZN7rocprim17ROCPRIM_400000_NS6detail17trampoline_kernelINS0_14default_configENS1_33run_length_encode_config_selectorIN3c108BFloat16EjNS0_4plusIjEEEEZZNS1_33reduce_by_key_impl_wrapped_configILNS1_25lookback_scan_determinismE0ES3_S9_PKS6_NS0_17constant_iteratorIjlEEPS6_PlSH_S8_NS0_8equal_toIS6_EEEE10hipError_tPvRmT2_T3_mT4_T5_T6_T7_T8_P12ihipStream_tbENKUlT_T0_E_clISt17integral_constantIbLb0EES11_EEDaSW_SX_EUlSW_E_NS1_11comp_targetILNS1_3genE4ELNS1_11target_archE910ELNS1_3gpuE8ELNS1_3repE0EEENS1_30default_config_static_selectorELNS0_4arch9wavefront6targetE1EEEvT1_
		.amdhsa_group_segment_fixed_size 15360
		.amdhsa_private_segment_fixed_size 0
		.amdhsa_kernarg_size 128
		.amdhsa_user_sgpr_count 6
		.amdhsa_user_sgpr_private_segment_buffer 1
		.amdhsa_user_sgpr_dispatch_ptr 0
		.amdhsa_user_sgpr_queue_ptr 0
		.amdhsa_user_sgpr_kernarg_segment_ptr 1
		.amdhsa_user_sgpr_dispatch_id 0
		.amdhsa_user_sgpr_flat_scratch_init 0
		.amdhsa_user_sgpr_kernarg_preload_length 0
		.amdhsa_user_sgpr_kernarg_preload_offset 0
		.amdhsa_user_sgpr_private_segment_size 0
		.amdhsa_uses_dynamic_stack 0
		.amdhsa_system_sgpr_private_segment_wavefront_offset 0
		.amdhsa_system_sgpr_workgroup_id_x 1
		.amdhsa_system_sgpr_workgroup_id_y 0
		.amdhsa_system_sgpr_workgroup_id_z 0
		.amdhsa_system_sgpr_workgroup_info 0
		.amdhsa_system_vgpr_workitem_id 0
		.amdhsa_next_free_vgpr 109
		.amdhsa_next_free_sgpr 64
		.amdhsa_accum_offset 112
		.amdhsa_reserve_vcc 1
		.amdhsa_reserve_flat_scratch 0
		.amdhsa_float_round_mode_32 0
		.amdhsa_float_round_mode_16_64 0
		.amdhsa_float_denorm_mode_32 3
		.amdhsa_float_denorm_mode_16_64 3
		.amdhsa_dx10_clamp 1
		.amdhsa_ieee_mode 1
		.amdhsa_fp16_overflow 0
		.amdhsa_tg_split 0
		.amdhsa_exception_fp_ieee_invalid_op 0
		.amdhsa_exception_fp_denorm_src 0
		.amdhsa_exception_fp_ieee_div_zero 0
		.amdhsa_exception_fp_ieee_overflow 0
		.amdhsa_exception_fp_ieee_underflow 0
		.amdhsa_exception_fp_ieee_inexact 0
		.amdhsa_exception_int_div_zero 0
	.end_amdhsa_kernel
	.section	.text._ZN7rocprim17ROCPRIM_400000_NS6detail17trampoline_kernelINS0_14default_configENS1_33run_length_encode_config_selectorIN3c108BFloat16EjNS0_4plusIjEEEEZZNS1_33reduce_by_key_impl_wrapped_configILNS1_25lookback_scan_determinismE0ES3_S9_PKS6_NS0_17constant_iteratorIjlEEPS6_PlSH_S8_NS0_8equal_toIS6_EEEE10hipError_tPvRmT2_T3_mT4_T5_T6_T7_T8_P12ihipStream_tbENKUlT_T0_E_clISt17integral_constantIbLb0EES11_EEDaSW_SX_EUlSW_E_NS1_11comp_targetILNS1_3genE4ELNS1_11target_archE910ELNS1_3gpuE8ELNS1_3repE0EEENS1_30default_config_static_selectorELNS0_4arch9wavefront6targetE1EEEvT1_,"axG",@progbits,_ZN7rocprim17ROCPRIM_400000_NS6detail17trampoline_kernelINS0_14default_configENS1_33run_length_encode_config_selectorIN3c108BFloat16EjNS0_4plusIjEEEEZZNS1_33reduce_by_key_impl_wrapped_configILNS1_25lookback_scan_determinismE0ES3_S9_PKS6_NS0_17constant_iteratorIjlEEPS6_PlSH_S8_NS0_8equal_toIS6_EEEE10hipError_tPvRmT2_T3_mT4_T5_T6_T7_T8_P12ihipStream_tbENKUlT_T0_E_clISt17integral_constantIbLb0EES11_EEDaSW_SX_EUlSW_E_NS1_11comp_targetILNS1_3genE4ELNS1_11target_archE910ELNS1_3gpuE8ELNS1_3repE0EEENS1_30default_config_static_selectorELNS0_4arch9wavefront6targetE1EEEvT1_,comdat
.Lfunc_end858:
	.size	_ZN7rocprim17ROCPRIM_400000_NS6detail17trampoline_kernelINS0_14default_configENS1_33run_length_encode_config_selectorIN3c108BFloat16EjNS0_4plusIjEEEEZZNS1_33reduce_by_key_impl_wrapped_configILNS1_25lookback_scan_determinismE0ES3_S9_PKS6_NS0_17constant_iteratorIjlEEPS6_PlSH_S8_NS0_8equal_toIS6_EEEE10hipError_tPvRmT2_T3_mT4_T5_T6_T7_T8_P12ihipStream_tbENKUlT_T0_E_clISt17integral_constantIbLb0EES11_EEDaSW_SX_EUlSW_E_NS1_11comp_targetILNS1_3genE4ELNS1_11target_archE910ELNS1_3gpuE8ELNS1_3repE0EEENS1_30default_config_static_selectorELNS0_4arch9wavefront6targetE1EEEvT1_, .Lfunc_end858-_ZN7rocprim17ROCPRIM_400000_NS6detail17trampoline_kernelINS0_14default_configENS1_33run_length_encode_config_selectorIN3c108BFloat16EjNS0_4plusIjEEEEZZNS1_33reduce_by_key_impl_wrapped_configILNS1_25lookback_scan_determinismE0ES3_S9_PKS6_NS0_17constant_iteratorIjlEEPS6_PlSH_S8_NS0_8equal_toIS6_EEEE10hipError_tPvRmT2_T3_mT4_T5_T6_T7_T8_P12ihipStream_tbENKUlT_T0_E_clISt17integral_constantIbLb0EES11_EEDaSW_SX_EUlSW_E_NS1_11comp_targetILNS1_3genE4ELNS1_11target_archE910ELNS1_3gpuE8ELNS1_3repE0EEENS1_30default_config_static_selectorELNS0_4arch9wavefront6targetE1EEEvT1_
                                        ; -- End function
	.section	.AMDGPU.csdata,"",@progbits
; Kernel info:
; codeLenInByte = 15948
; NumSgprs: 68
; NumVgprs: 109
; NumAgprs: 0
; TotalNumVgprs: 109
; ScratchSize: 0
; MemoryBound: 0
; FloatMode: 240
; IeeeMode: 1
; LDSByteSize: 15360 bytes/workgroup (compile time only)
; SGPRBlocks: 8
; VGPRBlocks: 13
; NumSGPRsForWavesPerEU: 68
; NumVGPRsForWavesPerEU: 109
; AccumOffset: 112
; Occupancy: 4
; WaveLimiterHint : 1
; COMPUTE_PGM_RSRC2:SCRATCH_EN: 0
; COMPUTE_PGM_RSRC2:USER_SGPR: 6
; COMPUTE_PGM_RSRC2:TRAP_HANDLER: 0
; COMPUTE_PGM_RSRC2:TGID_X_EN: 1
; COMPUTE_PGM_RSRC2:TGID_Y_EN: 0
; COMPUTE_PGM_RSRC2:TGID_Z_EN: 0
; COMPUTE_PGM_RSRC2:TIDIG_COMP_CNT: 0
; COMPUTE_PGM_RSRC3_GFX90A:ACCUM_OFFSET: 27
; COMPUTE_PGM_RSRC3_GFX90A:TG_SPLIT: 0
	.section	.text._ZN7rocprim17ROCPRIM_400000_NS6detail17trampoline_kernelINS0_14default_configENS1_33run_length_encode_config_selectorIN3c108BFloat16EjNS0_4plusIjEEEEZZNS1_33reduce_by_key_impl_wrapped_configILNS1_25lookback_scan_determinismE0ES3_S9_PKS6_NS0_17constant_iteratorIjlEEPS6_PlSH_S8_NS0_8equal_toIS6_EEEE10hipError_tPvRmT2_T3_mT4_T5_T6_T7_T8_P12ihipStream_tbENKUlT_T0_E_clISt17integral_constantIbLb0EES11_EEDaSW_SX_EUlSW_E_NS1_11comp_targetILNS1_3genE3ELNS1_11target_archE908ELNS1_3gpuE7ELNS1_3repE0EEENS1_30default_config_static_selectorELNS0_4arch9wavefront6targetE1EEEvT1_,"axG",@progbits,_ZN7rocprim17ROCPRIM_400000_NS6detail17trampoline_kernelINS0_14default_configENS1_33run_length_encode_config_selectorIN3c108BFloat16EjNS0_4plusIjEEEEZZNS1_33reduce_by_key_impl_wrapped_configILNS1_25lookback_scan_determinismE0ES3_S9_PKS6_NS0_17constant_iteratorIjlEEPS6_PlSH_S8_NS0_8equal_toIS6_EEEE10hipError_tPvRmT2_T3_mT4_T5_T6_T7_T8_P12ihipStream_tbENKUlT_T0_E_clISt17integral_constantIbLb0EES11_EEDaSW_SX_EUlSW_E_NS1_11comp_targetILNS1_3genE3ELNS1_11target_archE908ELNS1_3gpuE7ELNS1_3repE0EEENS1_30default_config_static_selectorELNS0_4arch9wavefront6targetE1EEEvT1_,comdat
	.protected	_ZN7rocprim17ROCPRIM_400000_NS6detail17trampoline_kernelINS0_14default_configENS1_33run_length_encode_config_selectorIN3c108BFloat16EjNS0_4plusIjEEEEZZNS1_33reduce_by_key_impl_wrapped_configILNS1_25lookback_scan_determinismE0ES3_S9_PKS6_NS0_17constant_iteratorIjlEEPS6_PlSH_S8_NS0_8equal_toIS6_EEEE10hipError_tPvRmT2_T3_mT4_T5_T6_T7_T8_P12ihipStream_tbENKUlT_T0_E_clISt17integral_constantIbLb0EES11_EEDaSW_SX_EUlSW_E_NS1_11comp_targetILNS1_3genE3ELNS1_11target_archE908ELNS1_3gpuE7ELNS1_3repE0EEENS1_30default_config_static_selectorELNS0_4arch9wavefront6targetE1EEEvT1_ ; -- Begin function _ZN7rocprim17ROCPRIM_400000_NS6detail17trampoline_kernelINS0_14default_configENS1_33run_length_encode_config_selectorIN3c108BFloat16EjNS0_4plusIjEEEEZZNS1_33reduce_by_key_impl_wrapped_configILNS1_25lookback_scan_determinismE0ES3_S9_PKS6_NS0_17constant_iteratorIjlEEPS6_PlSH_S8_NS0_8equal_toIS6_EEEE10hipError_tPvRmT2_T3_mT4_T5_T6_T7_T8_P12ihipStream_tbENKUlT_T0_E_clISt17integral_constantIbLb0EES11_EEDaSW_SX_EUlSW_E_NS1_11comp_targetILNS1_3genE3ELNS1_11target_archE908ELNS1_3gpuE7ELNS1_3repE0EEENS1_30default_config_static_selectorELNS0_4arch9wavefront6targetE1EEEvT1_
	.globl	_ZN7rocprim17ROCPRIM_400000_NS6detail17trampoline_kernelINS0_14default_configENS1_33run_length_encode_config_selectorIN3c108BFloat16EjNS0_4plusIjEEEEZZNS1_33reduce_by_key_impl_wrapped_configILNS1_25lookback_scan_determinismE0ES3_S9_PKS6_NS0_17constant_iteratorIjlEEPS6_PlSH_S8_NS0_8equal_toIS6_EEEE10hipError_tPvRmT2_T3_mT4_T5_T6_T7_T8_P12ihipStream_tbENKUlT_T0_E_clISt17integral_constantIbLb0EES11_EEDaSW_SX_EUlSW_E_NS1_11comp_targetILNS1_3genE3ELNS1_11target_archE908ELNS1_3gpuE7ELNS1_3repE0EEENS1_30default_config_static_selectorELNS0_4arch9wavefront6targetE1EEEvT1_
	.p2align	8
	.type	_ZN7rocprim17ROCPRIM_400000_NS6detail17trampoline_kernelINS0_14default_configENS1_33run_length_encode_config_selectorIN3c108BFloat16EjNS0_4plusIjEEEEZZNS1_33reduce_by_key_impl_wrapped_configILNS1_25lookback_scan_determinismE0ES3_S9_PKS6_NS0_17constant_iteratorIjlEEPS6_PlSH_S8_NS0_8equal_toIS6_EEEE10hipError_tPvRmT2_T3_mT4_T5_T6_T7_T8_P12ihipStream_tbENKUlT_T0_E_clISt17integral_constantIbLb0EES11_EEDaSW_SX_EUlSW_E_NS1_11comp_targetILNS1_3genE3ELNS1_11target_archE908ELNS1_3gpuE7ELNS1_3repE0EEENS1_30default_config_static_selectorELNS0_4arch9wavefront6targetE1EEEvT1_,@function
_ZN7rocprim17ROCPRIM_400000_NS6detail17trampoline_kernelINS0_14default_configENS1_33run_length_encode_config_selectorIN3c108BFloat16EjNS0_4plusIjEEEEZZNS1_33reduce_by_key_impl_wrapped_configILNS1_25lookback_scan_determinismE0ES3_S9_PKS6_NS0_17constant_iteratorIjlEEPS6_PlSH_S8_NS0_8equal_toIS6_EEEE10hipError_tPvRmT2_T3_mT4_T5_T6_T7_T8_P12ihipStream_tbENKUlT_T0_E_clISt17integral_constantIbLb0EES11_EEDaSW_SX_EUlSW_E_NS1_11comp_targetILNS1_3genE3ELNS1_11target_archE908ELNS1_3gpuE7ELNS1_3repE0EEENS1_30default_config_static_selectorELNS0_4arch9wavefront6targetE1EEEvT1_: ; @_ZN7rocprim17ROCPRIM_400000_NS6detail17trampoline_kernelINS0_14default_configENS1_33run_length_encode_config_selectorIN3c108BFloat16EjNS0_4plusIjEEEEZZNS1_33reduce_by_key_impl_wrapped_configILNS1_25lookback_scan_determinismE0ES3_S9_PKS6_NS0_17constant_iteratorIjlEEPS6_PlSH_S8_NS0_8equal_toIS6_EEEE10hipError_tPvRmT2_T3_mT4_T5_T6_T7_T8_P12ihipStream_tbENKUlT_T0_E_clISt17integral_constantIbLb0EES11_EEDaSW_SX_EUlSW_E_NS1_11comp_targetILNS1_3genE3ELNS1_11target_archE908ELNS1_3gpuE7ELNS1_3repE0EEENS1_30default_config_static_selectorELNS0_4arch9wavefront6targetE1EEEvT1_
; %bb.0:
	.section	.rodata,"a",@progbits
	.p2align	6, 0x0
	.amdhsa_kernel _ZN7rocprim17ROCPRIM_400000_NS6detail17trampoline_kernelINS0_14default_configENS1_33run_length_encode_config_selectorIN3c108BFloat16EjNS0_4plusIjEEEEZZNS1_33reduce_by_key_impl_wrapped_configILNS1_25lookback_scan_determinismE0ES3_S9_PKS6_NS0_17constant_iteratorIjlEEPS6_PlSH_S8_NS0_8equal_toIS6_EEEE10hipError_tPvRmT2_T3_mT4_T5_T6_T7_T8_P12ihipStream_tbENKUlT_T0_E_clISt17integral_constantIbLb0EES11_EEDaSW_SX_EUlSW_E_NS1_11comp_targetILNS1_3genE3ELNS1_11target_archE908ELNS1_3gpuE7ELNS1_3repE0EEENS1_30default_config_static_selectorELNS0_4arch9wavefront6targetE1EEEvT1_
		.amdhsa_group_segment_fixed_size 0
		.amdhsa_private_segment_fixed_size 0
		.amdhsa_kernarg_size 128
		.amdhsa_user_sgpr_count 6
		.amdhsa_user_sgpr_private_segment_buffer 1
		.amdhsa_user_sgpr_dispatch_ptr 0
		.amdhsa_user_sgpr_queue_ptr 0
		.amdhsa_user_sgpr_kernarg_segment_ptr 1
		.amdhsa_user_sgpr_dispatch_id 0
		.amdhsa_user_sgpr_flat_scratch_init 0
		.amdhsa_user_sgpr_kernarg_preload_length 0
		.amdhsa_user_sgpr_kernarg_preload_offset 0
		.amdhsa_user_sgpr_private_segment_size 0
		.amdhsa_uses_dynamic_stack 0
		.amdhsa_system_sgpr_private_segment_wavefront_offset 0
		.amdhsa_system_sgpr_workgroup_id_x 1
		.amdhsa_system_sgpr_workgroup_id_y 0
		.amdhsa_system_sgpr_workgroup_id_z 0
		.amdhsa_system_sgpr_workgroup_info 0
		.amdhsa_system_vgpr_workitem_id 0
		.amdhsa_next_free_vgpr 1
		.amdhsa_next_free_sgpr 0
		.amdhsa_accum_offset 4
		.amdhsa_reserve_vcc 0
		.amdhsa_reserve_flat_scratch 0
		.amdhsa_float_round_mode_32 0
		.amdhsa_float_round_mode_16_64 0
		.amdhsa_float_denorm_mode_32 3
		.amdhsa_float_denorm_mode_16_64 3
		.amdhsa_dx10_clamp 1
		.amdhsa_ieee_mode 1
		.amdhsa_fp16_overflow 0
		.amdhsa_tg_split 0
		.amdhsa_exception_fp_ieee_invalid_op 0
		.amdhsa_exception_fp_denorm_src 0
		.amdhsa_exception_fp_ieee_div_zero 0
		.amdhsa_exception_fp_ieee_overflow 0
		.amdhsa_exception_fp_ieee_underflow 0
		.amdhsa_exception_fp_ieee_inexact 0
		.amdhsa_exception_int_div_zero 0
	.end_amdhsa_kernel
	.section	.text._ZN7rocprim17ROCPRIM_400000_NS6detail17trampoline_kernelINS0_14default_configENS1_33run_length_encode_config_selectorIN3c108BFloat16EjNS0_4plusIjEEEEZZNS1_33reduce_by_key_impl_wrapped_configILNS1_25lookback_scan_determinismE0ES3_S9_PKS6_NS0_17constant_iteratorIjlEEPS6_PlSH_S8_NS0_8equal_toIS6_EEEE10hipError_tPvRmT2_T3_mT4_T5_T6_T7_T8_P12ihipStream_tbENKUlT_T0_E_clISt17integral_constantIbLb0EES11_EEDaSW_SX_EUlSW_E_NS1_11comp_targetILNS1_3genE3ELNS1_11target_archE908ELNS1_3gpuE7ELNS1_3repE0EEENS1_30default_config_static_selectorELNS0_4arch9wavefront6targetE1EEEvT1_,"axG",@progbits,_ZN7rocprim17ROCPRIM_400000_NS6detail17trampoline_kernelINS0_14default_configENS1_33run_length_encode_config_selectorIN3c108BFloat16EjNS0_4plusIjEEEEZZNS1_33reduce_by_key_impl_wrapped_configILNS1_25lookback_scan_determinismE0ES3_S9_PKS6_NS0_17constant_iteratorIjlEEPS6_PlSH_S8_NS0_8equal_toIS6_EEEE10hipError_tPvRmT2_T3_mT4_T5_T6_T7_T8_P12ihipStream_tbENKUlT_T0_E_clISt17integral_constantIbLb0EES11_EEDaSW_SX_EUlSW_E_NS1_11comp_targetILNS1_3genE3ELNS1_11target_archE908ELNS1_3gpuE7ELNS1_3repE0EEENS1_30default_config_static_selectorELNS0_4arch9wavefront6targetE1EEEvT1_,comdat
.Lfunc_end859:
	.size	_ZN7rocprim17ROCPRIM_400000_NS6detail17trampoline_kernelINS0_14default_configENS1_33run_length_encode_config_selectorIN3c108BFloat16EjNS0_4plusIjEEEEZZNS1_33reduce_by_key_impl_wrapped_configILNS1_25lookback_scan_determinismE0ES3_S9_PKS6_NS0_17constant_iteratorIjlEEPS6_PlSH_S8_NS0_8equal_toIS6_EEEE10hipError_tPvRmT2_T3_mT4_T5_T6_T7_T8_P12ihipStream_tbENKUlT_T0_E_clISt17integral_constantIbLb0EES11_EEDaSW_SX_EUlSW_E_NS1_11comp_targetILNS1_3genE3ELNS1_11target_archE908ELNS1_3gpuE7ELNS1_3repE0EEENS1_30default_config_static_selectorELNS0_4arch9wavefront6targetE1EEEvT1_, .Lfunc_end859-_ZN7rocprim17ROCPRIM_400000_NS6detail17trampoline_kernelINS0_14default_configENS1_33run_length_encode_config_selectorIN3c108BFloat16EjNS0_4plusIjEEEEZZNS1_33reduce_by_key_impl_wrapped_configILNS1_25lookback_scan_determinismE0ES3_S9_PKS6_NS0_17constant_iteratorIjlEEPS6_PlSH_S8_NS0_8equal_toIS6_EEEE10hipError_tPvRmT2_T3_mT4_T5_T6_T7_T8_P12ihipStream_tbENKUlT_T0_E_clISt17integral_constantIbLb0EES11_EEDaSW_SX_EUlSW_E_NS1_11comp_targetILNS1_3genE3ELNS1_11target_archE908ELNS1_3gpuE7ELNS1_3repE0EEENS1_30default_config_static_selectorELNS0_4arch9wavefront6targetE1EEEvT1_
                                        ; -- End function
	.section	.AMDGPU.csdata,"",@progbits
; Kernel info:
; codeLenInByte = 0
; NumSgprs: 4
; NumVgprs: 0
; NumAgprs: 0
; TotalNumVgprs: 0
; ScratchSize: 0
; MemoryBound: 0
; FloatMode: 240
; IeeeMode: 1
; LDSByteSize: 0 bytes/workgroup (compile time only)
; SGPRBlocks: 0
; VGPRBlocks: 0
; NumSGPRsForWavesPerEU: 4
; NumVGPRsForWavesPerEU: 1
; AccumOffset: 4
; Occupancy: 8
; WaveLimiterHint : 0
; COMPUTE_PGM_RSRC2:SCRATCH_EN: 0
; COMPUTE_PGM_RSRC2:USER_SGPR: 6
; COMPUTE_PGM_RSRC2:TRAP_HANDLER: 0
; COMPUTE_PGM_RSRC2:TGID_X_EN: 1
; COMPUTE_PGM_RSRC2:TGID_Y_EN: 0
; COMPUTE_PGM_RSRC2:TGID_Z_EN: 0
; COMPUTE_PGM_RSRC2:TIDIG_COMP_CNT: 0
; COMPUTE_PGM_RSRC3_GFX90A:ACCUM_OFFSET: 0
; COMPUTE_PGM_RSRC3_GFX90A:TG_SPLIT: 0
	.section	.text._ZN7rocprim17ROCPRIM_400000_NS6detail17trampoline_kernelINS0_14default_configENS1_33run_length_encode_config_selectorIN3c108BFloat16EjNS0_4plusIjEEEEZZNS1_33reduce_by_key_impl_wrapped_configILNS1_25lookback_scan_determinismE0ES3_S9_PKS6_NS0_17constant_iteratorIjlEEPS6_PlSH_S8_NS0_8equal_toIS6_EEEE10hipError_tPvRmT2_T3_mT4_T5_T6_T7_T8_P12ihipStream_tbENKUlT_T0_E_clISt17integral_constantIbLb0EES11_EEDaSW_SX_EUlSW_E_NS1_11comp_targetILNS1_3genE2ELNS1_11target_archE906ELNS1_3gpuE6ELNS1_3repE0EEENS1_30default_config_static_selectorELNS0_4arch9wavefront6targetE1EEEvT1_,"axG",@progbits,_ZN7rocprim17ROCPRIM_400000_NS6detail17trampoline_kernelINS0_14default_configENS1_33run_length_encode_config_selectorIN3c108BFloat16EjNS0_4plusIjEEEEZZNS1_33reduce_by_key_impl_wrapped_configILNS1_25lookback_scan_determinismE0ES3_S9_PKS6_NS0_17constant_iteratorIjlEEPS6_PlSH_S8_NS0_8equal_toIS6_EEEE10hipError_tPvRmT2_T3_mT4_T5_T6_T7_T8_P12ihipStream_tbENKUlT_T0_E_clISt17integral_constantIbLb0EES11_EEDaSW_SX_EUlSW_E_NS1_11comp_targetILNS1_3genE2ELNS1_11target_archE906ELNS1_3gpuE6ELNS1_3repE0EEENS1_30default_config_static_selectorELNS0_4arch9wavefront6targetE1EEEvT1_,comdat
	.protected	_ZN7rocprim17ROCPRIM_400000_NS6detail17trampoline_kernelINS0_14default_configENS1_33run_length_encode_config_selectorIN3c108BFloat16EjNS0_4plusIjEEEEZZNS1_33reduce_by_key_impl_wrapped_configILNS1_25lookback_scan_determinismE0ES3_S9_PKS6_NS0_17constant_iteratorIjlEEPS6_PlSH_S8_NS0_8equal_toIS6_EEEE10hipError_tPvRmT2_T3_mT4_T5_T6_T7_T8_P12ihipStream_tbENKUlT_T0_E_clISt17integral_constantIbLb0EES11_EEDaSW_SX_EUlSW_E_NS1_11comp_targetILNS1_3genE2ELNS1_11target_archE906ELNS1_3gpuE6ELNS1_3repE0EEENS1_30default_config_static_selectorELNS0_4arch9wavefront6targetE1EEEvT1_ ; -- Begin function _ZN7rocprim17ROCPRIM_400000_NS6detail17trampoline_kernelINS0_14default_configENS1_33run_length_encode_config_selectorIN3c108BFloat16EjNS0_4plusIjEEEEZZNS1_33reduce_by_key_impl_wrapped_configILNS1_25lookback_scan_determinismE0ES3_S9_PKS6_NS0_17constant_iteratorIjlEEPS6_PlSH_S8_NS0_8equal_toIS6_EEEE10hipError_tPvRmT2_T3_mT4_T5_T6_T7_T8_P12ihipStream_tbENKUlT_T0_E_clISt17integral_constantIbLb0EES11_EEDaSW_SX_EUlSW_E_NS1_11comp_targetILNS1_3genE2ELNS1_11target_archE906ELNS1_3gpuE6ELNS1_3repE0EEENS1_30default_config_static_selectorELNS0_4arch9wavefront6targetE1EEEvT1_
	.globl	_ZN7rocprim17ROCPRIM_400000_NS6detail17trampoline_kernelINS0_14default_configENS1_33run_length_encode_config_selectorIN3c108BFloat16EjNS0_4plusIjEEEEZZNS1_33reduce_by_key_impl_wrapped_configILNS1_25lookback_scan_determinismE0ES3_S9_PKS6_NS0_17constant_iteratorIjlEEPS6_PlSH_S8_NS0_8equal_toIS6_EEEE10hipError_tPvRmT2_T3_mT4_T5_T6_T7_T8_P12ihipStream_tbENKUlT_T0_E_clISt17integral_constantIbLb0EES11_EEDaSW_SX_EUlSW_E_NS1_11comp_targetILNS1_3genE2ELNS1_11target_archE906ELNS1_3gpuE6ELNS1_3repE0EEENS1_30default_config_static_selectorELNS0_4arch9wavefront6targetE1EEEvT1_
	.p2align	8
	.type	_ZN7rocprim17ROCPRIM_400000_NS6detail17trampoline_kernelINS0_14default_configENS1_33run_length_encode_config_selectorIN3c108BFloat16EjNS0_4plusIjEEEEZZNS1_33reduce_by_key_impl_wrapped_configILNS1_25lookback_scan_determinismE0ES3_S9_PKS6_NS0_17constant_iteratorIjlEEPS6_PlSH_S8_NS0_8equal_toIS6_EEEE10hipError_tPvRmT2_T3_mT4_T5_T6_T7_T8_P12ihipStream_tbENKUlT_T0_E_clISt17integral_constantIbLb0EES11_EEDaSW_SX_EUlSW_E_NS1_11comp_targetILNS1_3genE2ELNS1_11target_archE906ELNS1_3gpuE6ELNS1_3repE0EEENS1_30default_config_static_selectorELNS0_4arch9wavefront6targetE1EEEvT1_,@function
_ZN7rocprim17ROCPRIM_400000_NS6detail17trampoline_kernelINS0_14default_configENS1_33run_length_encode_config_selectorIN3c108BFloat16EjNS0_4plusIjEEEEZZNS1_33reduce_by_key_impl_wrapped_configILNS1_25lookback_scan_determinismE0ES3_S9_PKS6_NS0_17constant_iteratorIjlEEPS6_PlSH_S8_NS0_8equal_toIS6_EEEE10hipError_tPvRmT2_T3_mT4_T5_T6_T7_T8_P12ihipStream_tbENKUlT_T0_E_clISt17integral_constantIbLb0EES11_EEDaSW_SX_EUlSW_E_NS1_11comp_targetILNS1_3genE2ELNS1_11target_archE906ELNS1_3gpuE6ELNS1_3repE0EEENS1_30default_config_static_selectorELNS0_4arch9wavefront6targetE1EEEvT1_: ; @_ZN7rocprim17ROCPRIM_400000_NS6detail17trampoline_kernelINS0_14default_configENS1_33run_length_encode_config_selectorIN3c108BFloat16EjNS0_4plusIjEEEEZZNS1_33reduce_by_key_impl_wrapped_configILNS1_25lookback_scan_determinismE0ES3_S9_PKS6_NS0_17constant_iteratorIjlEEPS6_PlSH_S8_NS0_8equal_toIS6_EEEE10hipError_tPvRmT2_T3_mT4_T5_T6_T7_T8_P12ihipStream_tbENKUlT_T0_E_clISt17integral_constantIbLb0EES11_EEDaSW_SX_EUlSW_E_NS1_11comp_targetILNS1_3genE2ELNS1_11target_archE906ELNS1_3gpuE6ELNS1_3repE0EEENS1_30default_config_static_selectorELNS0_4arch9wavefront6targetE1EEEvT1_
; %bb.0:
	.section	.rodata,"a",@progbits
	.p2align	6, 0x0
	.amdhsa_kernel _ZN7rocprim17ROCPRIM_400000_NS6detail17trampoline_kernelINS0_14default_configENS1_33run_length_encode_config_selectorIN3c108BFloat16EjNS0_4plusIjEEEEZZNS1_33reduce_by_key_impl_wrapped_configILNS1_25lookback_scan_determinismE0ES3_S9_PKS6_NS0_17constant_iteratorIjlEEPS6_PlSH_S8_NS0_8equal_toIS6_EEEE10hipError_tPvRmT2_T3_mT4_T5_T6_T7_T8_P12ihipStream_tbENKUlT_T0_E_clISt17integral_constantIbLb0EES11_EEDaSW_SX_EUlSW_E_NS1_11comp_targetILNS1_3genE2ELNS1_11target_archE906ELNS1_3gpuE6ELNS1_3repE0EEENS1_30default_config_static_selectorELNS0_4arch9wavefront6targetE1EEEvT1_
		.amdhsa_group_segment_fixed_size 0
		.amdhsa_private_segment_fixed_size 0
		.amdhsa_kernarg_size 128
		.amdhsa_user_sgpr_count 6
		.amdhsa_user_sgpr_private_segment_buffer 1
		.amdhsa_user_sgpr_dispatch_ptr 0
		.amdhsa_user_sgpr_queue_ptr 0
		.amdhsa_user_sgpr_kernarg_segment_ptr 1
		.amdhsa_user_sgpr_dispatch_id 0
		.amdhsa_user_sgpr_flat_scratch_init 0
		.amdhsa_user_sgpr_kernarg_preload_length 0
		.amdhsa_user_sgpr_kernarg_preload_offset 0
		.amdhsa_user_sgpr_private_segment_size 0
		.amdhsa_uses_dynamic_stack 0
		.amdhsa_system_sgpr_private_segment_wavefront_offset 0
		.amdhsa_system_sgpr_workgroup_id_x 1
		.amdhsa_system_sgpr_workgroup_id_y 0
		.amdhsa_system_sgpr_workgroup_id_z 0
		.amdhsa_system_sgpr_workgroup_info 0
		.amdhsa_system_vgpr_workitem_id 0
		.amdhsa_next_free_vgpr 1
		.amdhsa_next_free_sgpr 0
		.amdhsa_accum_offset 4
		.amdhsa_reserve_vcc 0
		.amdhsa_reserve_flat_scratch 0
		.amdhsa_float_round_mode_32 0
		.amdhsa_float_round_mode_16_64 0
		.amdhsa_float_denorm_mode_32 3
		.amdhsa_float_denorm_mode_16_64 3
		.amdhsa_dx10_clamp 1
		.amdhsa_ieee_mode 1
		.amdhsa_fp16_overflow 0
		.amdhsa_tg_split 0
		.amdhsa_exception_fp_ieee_invalid_op 0
		.amdhsa_exception_fp_denorm_src 0
		.amdhsa_exception_fp_ieee_div_zero 0
		.amdhsa_exception_fp_ieee_overflow 0
		.amdhsa_exception_fp_ieee_underflow 0
		.amdhsa_exception_fp_ieee_inexact 0
		.amdhsa_exception_int_div_zero 0
	.end_amdhsa_kernel
	.section	.text._ZN7rocprim17ROCPRIM_400000_NS6detail17trampoline_kernelINS0_14default_configENS1_33run_length_encode_config_selectorIN3c108BFloat16EjNS0_4plusIjEEEEZZNS1_33reduce_by_key_impl_wrapped_configILNS1_25lookback_scan_determinismE0ES3_S9_PKS6_NS0_17constant_iteratorIjlEEPS6_PlSH_S8_NS0_8equal_toIS6_EEEE10hipError_tPvRmT2_T3_mT4_T5_T6_T7_T8_P12ihipStream_tbENKUlT_T0_E_clISt17integral_constantIbLb0EES11_EEDaSW_SX_EUlSW_E_NS1_11comp_targetILNS1_3genE2ELNS1_11target_archE906ELNS1_3gpuE6ELNS1_3repE0EEENS1_30default_config_static_selectorELNS0_4arch9wavefront6targetE1EEEvT1_,"axG",@progbits,_ZN7rocprim17ROCPRIM_400000_NS6detail17trampoline_kernelINS0_14default_configENS1_33run_length_encode_config_selectorIN3c108BFloat16EjNS0_4plusIjEEEEZZNS1_33reduce_by_key_impl_wrapped_configILNS1_25lookback_scan_determinismE0ES3_S9_PKS6_NS0_17constant_iteratorIjlEEPS6_PlSH_S8_NS0_8equal_toIS6_EEEE10hipError_tPvRmT2_T3_mT4_T5_T6_T7_T8_P12ihipStream_tbENKUlT_T0_E_clISt17integral_constantIbLb0EES11_EEDaSW_SX_EUlSW_E_NS1_11comp_targetILNS1_3genE2ELNS1_11target_archE906ELNS1_3gpuE6ELNS1_3repE0EEENS1_30default_config_static_selectorELNS0_4arch9wavefront6targetE1EEEvT1_,comdat
.Lfunc_end860:
	.size	_ZN7rocprim17ROCPRIM_400000_NS6detail17trampoline_kernelINS0_14default_configENS1_33run_length_encode_config_selectorIN3c108BFloat16EjNS0_4plusIjEEEEZZNS1_33reduce_by_key_impl_wrapped_configILNS1_25lookback_scan_determinismE0ES3_S9_PKS6_NS0_17constant_iteratorIjlEEPS6_PlSH_S8_NS0_8equal_toIS6_EEEE10hipError_tPvRmT2_T3_mT4_T5_T6_T7_T8_P12ihipStream_tbENKUlT_T0_E_clISt17integral_constantIbLb0EES11_EEDaSW_SX_EUlSW_E_NS1_11comp_targetILNS1_3genE2ELNS1_11target_archE906ELNS1_3gpuE6ELNS1_3repE0EEENS1_30default_config_static_selectorELNS0_4arch9wavefront6targetE1EEEvT1_, .Lfunc_end860-_ZN7rocprim17ROCPRIM_400000_NS6detail17trampoline_kernelINS0_14default_configENS1_33run_length_encode_config_selectorIN3c108BFloat16EjNS0_4plusIjEEEEZZNS1_33reduce_by_key_impl_wrapped_configILNS1_25lookback_scan_determinismE0ES3_S9_PKS6_NS0_17constant_iteratorIjlEEPS6_PlSH_S8_NS0_8equal_toIS6_EEEE10hipError_tPvRmT2_T3_mT4_T5_T6_T7_T8_P12ihipStream_tbENKUlT_T0_E_clISt17integral_constantIbLb0EES11_EEDaSW_SX_EUlSW_E_NS1_11comp_targetILNS1_3genE2ELNS1_11target_archE906ELNS1_3gpuE6ELNS1_3repE0EEENS1_30default_config_static_selectorELNS0_4arch9wavefront6targetE1EEEvT1_
                                        ; -- End function
	.section	.AMDGPU.csdata,"",@progbits
; Kernel info:
; codeLenInByte = 0
; NumSgprs: 4
; NumVgprs: 0
; NumAgprs: 0
; TotalNumVgprs: 0
; ScratchSize: 0
; MemoryBound: 0
; FloatMode: 240
; IeeeMode: 1
; LDSByteSize: 0 bytes/workgroup (compile time only)
; SGPRBlocks: 0
; VGPRBlocks: 0
; NumSGPRsForWavesPerEU: 4
; NumVGPRsForWavesPerEU: 1
; AccumOffset: 4
; Occupancy: 8
; WaveLimiterHint : 0
; COMPUTE_PGM_RSRC2:SCRATCH_EN: 0
; COMPUTE_PGM_RSRC2:USER_SGPR: 6
; COMPUTE_PGM_RSRC2:TRAP_HANDLER: 0
; COMPUTE_PGM_RSRC2:TGID_X_EN: 1
; COMPUTE_PGM_RSRC2:TGID_Y_EN: 0
; COMPUTE_PGM_RSRC2:TGID_Z_EN: 0
; COMPUTE_PGM_RSRC2:TIDIG_COMP_CNT: 0
; COMPUTE_PGM_RSRC3_GFX90A:ACCUM_OFFSET: 0
; COMPUTE_PGM_RSRC3_GFX90A:TG_SPLIT: 0
	.section	.text._ZN7rocprim17ROCPRIM_400000_NS6detail17trampoline_kernelINS0_14default_configENS1_33run_length_encode_config_selectorIN3c108BFloat16EjNS0_4plusIjEEEEZZNS1_33reduce_by_key_impl_wrapped_configILNS1_25lookback_scan_determinismE0ES3_S9_PKS6_NS0_17constant_iteratorIjlEEPS6_PlSH_S8_NS0_8equal_toIS6_EEEE10hipError_tPvRmT2_T3_mT4_T5_T6_T7_T8_P12ihipStream_tbENKUlT_T0_E_clISt17integral_constantIbLb0EES11_EEDaSW_SX_EUlSW_E_NS1_11comp_targetILNS1_3genE10ELNS1_11target_archE1201ELNS1_3gpuE5ELNS1_3repE0EEENS1_30default_config_static_selectorELNS0_4arch9wavefront6targetE1EEEvT1_,"axG",@progbits,_ZN7rocprim17ROCPRIM_400000_NS6detail17trampoline_kernelINS0_14default_configENS1_33run_length_encode_config_selectorIN3c108BFloat16EjNS0_4plusIjEEEEZZNS1_33reduce_by_key_impl_wrapped_configILNS1_25lookback_scan_determinismE0ES3_S9_PKS6_NS0_17constant_iteratorIjlEEPS6_PlSH_S8_NS0_8equal_toIS6_EEEE10hipError_tPvRmT2_T3_mT4_T5_T6_T7_T8_P12ihipStream_tbENKUlT_T0_E_clISt17integral_constantIbLb0EES11_EEDaSW_SX_EUlSW_E_NS1_11comp_targetILNS1_3genE10ELNS1_11target_archE1201ELNS1_3gpuE5ELNS1_3repE0EEENS1_30default_config_static_selectorELNS0_4arch9wavefront6targetE1EEEvT1_,comdat
	.protected	_ZN7rocprim17ROCPRIM_400000_NS6detail17trampoline_kernelINS0_14default_configENS1_33run_length_encode_config_selectorIN3c108BFloat16EjNS0_4plusIjEEEEZZNS1_33reduce_by_key_impl_wrapped_configILNS1_25lookback_scan_determinismE0ES3_S9_PKS6_NS0_17constant_iteratorIjlEEPS6_PlSH_S8_NS0_8equal_toIS6_EEEE10hipError_tPvRmT2_T3_mT4_T5_T6_T7_T8_P12ihipStream_tbENKUlT_T0_E_clISt17integral_constantIbLb0EES11_EEDaSW_SX_EUlSW_E_NS1_11comp_targetILNS1_3genE10ELNS1_11target_archE1201ELNS1_3gpuE5ELNS1_3repE0EEENS1_30default_config_static_selectorELNS0_4arch9wavefront6targetE1EEEvT1_ ; -- Begin function _ZN7rocprim17ROCPRIM_400000_NS6detail17trampoline_kernelINS0_14default_configENS1_33run_length_encode_config_selectorIN3c108BFloat16EjNS0_4plusIjEEEEZZNS1_33reduce_by_key_impl_wrapped_configILNS1_25lookback_scan_determinismE0ES3_S9_PKS6_NS0_17constant_iteratorIjlEEPS6_PlSH_S8_NS0_8equal_toIS6_EEEE10hipError_tPvRmT2_T3_mT4_T5_T6_T7_T8_P12ihipStream_tbENKUlT_T0_E_clISt17integral_constantIbLb0EES11_EEDaSW_SX_EUlSW_E_NS1_11comp_targetILNS1_3genE10ELNS1_11target_archE1201ELNS1_3gpuE5ELNS1_3repE0EEENS1_30default_config_static_selectorELNS0_4arch9wavefront6targetE1EEEvT1_
	.globl	_ZN7rocprim17ROCPRIM_400000_NS6detail17trampoline_kernelINS0_14default_configENS1_33run_length_encode_config_selectorIN3c108BFloat16EjNS0_4plusIjEEEEZZNS1_33reduce_by_key_impl_wrapped_configILNS1_25lookback_scan_determinismE0ES3_S9_PKS6_NS0_17constant_iteratorIjlEEPS6_PlSH_S8_NS0_8equal_toIS6_EEEE10hipError_tPvRmT2_T3_mT4_T5_T6_T7_T8_P12ihipStream_tbENKUlT_T0_E_clISt17integral_constantIbLb0EES11_EEDaSW_SX_EUlSW_E_NS1_11comp_targetILNS1_3genE10ELNS1_11target_archE1201ELNS1_3gpuE5ELNS1_3repE0EEENS1_30default_config_static_selectorELNS0_4arch9wavefront6targetE1EEEvT1_
	.p2align	8
	.type	_ZN7rocprim17ROCPRIM_400000_NS6detail17trampoline_kernelINS0_14default_configENS1_33run_length_encode_config_selectorIN3c108BFloat16EjNS0_4plusIjEEEEZZNS1_33reduce_by_key_impl_wrapped_configILNS1_25lookback_scan_determinismE0ES3_S9_PKS6_NS0_17constant_iteratorIjlEEPS6_PlSH_S8_NS0_8equal_toIS6_EEEE10hipError_tPvRmT2_T3_mT4_T5_T6_T7_T8_P12ihipStream_tbENKUlT_T0_E_clISt17integral_constantIbLb0EES11_EEDaSW_SX_EUlSW_E_NS1_11comp_targetILNS1_3genE10ELNS1_11target_archE1201ELNS1_3gpuE5ELNS1_3repE0EEENS1_30default_config_static_selectorELNS0_4arch9wavefront6targetE1EEEvT1_,@function
_ZN7rocprim17ROCPRIM_400000_NS6detail17trampoline_kernelINS0_14default_configENS1_33run_length_encode_config_selectorIN3c108BFloat16EjNS0_4plusIjEEEEZZNS1_33reduce_by_key_impl_wrapped_configILNS1_25lookback_scan_determinismE0ES3_S9_PKS6_NS0_17constant_iteratorIjlEEPS6_PlSH_S8_NS0_8equal_toIS6_EEEE10hipError_tPvRmT2_T3_mT4_T5_T6_T7_T8_P12ihipStream_tbENKUlT_T0_E_clISt17integral_constantIbLb0EES11_EEDaSW_SX_EUlSW_E_NS1_11comp_targetILNS1_3genE10ELNS1_11target_archE1201ELNS1_3gpuE5ELNS1_3repE0EEENS1_30default_config_static_selectorELNS0_4arch9wavefront6targetE1EEEvT1_: ; @_ZN7rocprim17ROCPRIM_400000_NS6detail17trampoline_kernelINS0_14default_configENS1_33run_length_encode_config_selectorIN3c108BFloat16EjNS0_4plusIjEEEEZZNS1_33reduce_by_key_impl_wrapped_configILNS1_25lookback_scan_determinismE0ES3_S9_PKS6_NS0_17constant_iteratorIjlEEPS6_PlSH_S8_NS0_8equal_toIS6_EEEE10hipError_tPvRmT2_T3_mT4_T5_T6_T7_T8_P12ihipStream_tbENKUlT_T0_E_clISt17integral_constantIbLb0EES11_EEDaSW_SX_EUlSW_E_NS1_11comp_targetILNS1_3genE10ELNS1_11target_archE1201ELNS1_3gpuE5ELNS1_3repE0EEENS1_30default_config_static_selectorELNS0_4arch9wavefront6targetE1EEEvT1_
; %bb.0:
	.section	.rodata,"a",@progbits
	.p2align	6, 0x0
	.amdhsa_kernel _ZN7rocprim17ROCPRIM_400000_NS6detail17trampoline_kernelINS0_14default_configENS1_33run_length_encode_config_selectorIN3c108BFloat16EjNS0_4plusIjEEEEZZNS1_33reduce_by_key_impl_wrapped_configILNS1_25lookback_scan_determinismE0ES3_S9_PKS6_NS0_17constant_iteratorIjlEEPS6_PlSH_S8_NS0_8equal_toIS6_EEEE10hipError_tPvRmT2_T3_mT4_T5_T6_T7_T8_P12ihipStream_tbENKUlT_T0_E_clISt17integral_constantIbLb0EES11_EEDaSW_SX_EUlSW_E_NS1_11comp_targetILNS1_3genE10ELNS1_11target_archE1201ELNS1_3gpuE5ELNS1_3repE0EEENS1_30default_config_static_selectorELNS0_4arch9wavefront6targetE1EEEvT1_
		.amdhsa_group_segment_fixed_size 0
		.amdhsa_private_segment_fixed_size 0
		.amdhsa_kernarg_size 128
		.amdhsa_user_sgpr_count 6
		.amdhsa_user_sgpr_private_segment_buffer 1
		.amdhsa_user_sgpr_dispatch_ptr 0
		.amdhsa_user_sgpr_queue_ptr 0
		.amdhsa_user_sgpr_kernarg_segment_ptr 1
		.amdhsa_user_sgpr_dispatch_id 0
		.amdhsa_user_sgpr_flat_scratch_init 0
		.amdhsa_user_sgpr_kernarg_preload_length 0
		.amdhsa_user_sgpr_kernarg_preload_offset 0
		.amdhsa_user_sgpr_private_segment_size 0
		.amdhsa_uses_dynamic_stack 0
		.amdhsa_system_sgpr_private_segment_wavefront_offset 0
		.amdhsa_system_sgpr_workgroup_id_x 1
		.amdhsa_system_sgpr_workgroup_id_y 0
		.amdhsa_system_sgpr_workgroup_id_z 0
		.amdhsa_system_sgpr_workgroup_info 0
		.amdhsa_system_vgpr_workitem_id 0
		.amdhsa_next_free_vgpr 1
		.amdhsa_next_free_sgpr 0
		.amdhsa_accum_offset 4
		.amdhsa_reserve_vcc 0
		.amdhsa_reserve_flat_scratch 0
		.amdhsa_float_round_mode_32 0
		.amdhsa_float_round_mode_16_64 0
		.amdhsa_float_denorm_mode_32 3
		.amdhsa_float_denorm_mode_16_64 3
		.amdhsa_dx10_clamp 1
		.amdhsa_ieee_mode 1
		.amdhsa_fp16_overflow 0
		.amdhsa_tg_split 0
		.amdhsa_exception_fp_ieee_invalid_op 0
		.amdhsa_exception_fp_denorm_src 0
		.amdhsa_exception_fp_ieee_div_zero 0
		.amdhsa_exception_fp_ieee_overflow 0
		.amdhsa_exception_fp_ieee_underflow 0
		.amdhsa_exception_fp_ieee_inexact 0
		.amdhsa_exception_int_div_zero 0
	.end_amdhsa_kernel
	.section	.text._ZN7rocprim17ROCPRIM_400000_NS6detail17trampoline_kernelINS0_14default_configENS1_33run_length_encode_config_selectorIN3c108BFloat16EjNS0_4plusIjEEEEZZNS1_33reduce_by_key_impl_wrapped_configILNS1_25lookback_scan_determinismE0ES3_S9_PKS6_NS0_17constant_iteratorIjlEEPS6_PlSH_S8_NS0_8equal_toIS6_EEEE10hipError_tPvRmT2_T3_mT4_T5_T6_T7_T8_P12ihipStream_tbENKUlT_T0_E_clISt17integral_constantIbLb0EES11_EEDaSW_SX_EUlSW_E_NS1_11comp_targetILNS1_3genE10ELNS1_11target_archE1201ELNS1_3gpuE5ELNS1_3repE0EEENS1_30default_config_static_selectorELNS0_4arch9wavefront6targetE1EEEvT1_,"axG",@progbits,_ZN7rocprim17ROCPRIM_400000_NS6detail17trampoline_kernelINS0_14default_configENS1_33run_length_encode_config_selectorIN3c108BFloat16EjNS0_4plusIjEEEEZZNS1_33reduce_by_key_impl_wrapped_configILNS1_25lookback_scan_determinismE0ES3_S9_PKS6_NS0_17constant_iteratorIjlEEPS6_PlSH_S8_NS0_8equal_toIS6_EEEE10hipError_tPvRmT2_T3_mT4_T5_T6_T7_T8_P12ihipStream_tbENKUlT_T0_E_clISt17integral_constantIbLb0EES11_EEDaSW_SX_EUlSW_E_NS1_11comp_targetILNS1_3genE10ELNS1_11target_archE1201ELNS1_3gpuE5ELNS1_3repE0EEENS1_30default_config_static_selectorELNS0_4arch9wavefront6targetE1EEEvT1_,comdat
.Lfunc_end861:
	.size	_ZN7rocprim17ROCPRIM_400000_NS6detail17trampoline_kernelINS0_14default_configENS1_33run_length_encode_config_selectorIN3c108BFloat16EjNS0_4plusIjEEEEZZNS1_33reduce_by_key_impl_wrapped_configILNS1_25lookback_scan_determinismE0ES3_S9_PKS6_NS0_17constant_iteratorIjlEEPS6_PlSH_S8_NS0_8equal_toIS6_EEEE10hipError_tPvRmT2_T3_mT4_T5_T6_T7_T8_P12ihipStream_tbENKUlT_T0_E_clISt17integral_constantIbLb0EES11_EEDaSW_SX_EUlSW_E_NS1_11comp_targetILNS1_3genE10ELNS1_11target_archE1201ELNS1_3gpuE5ELNS1_3repE0EEENS1_30default_config_static_selectorELNS0_4arch9wavefront6targetE1EEEvT1_, .Lfunc_end861-_ZN7rocprim17ROCPRIM_400000_NS6detail17trampoline_kernelINS0_14default_configENS1_33run_length_encode_config_selectorIN3c108BFloat16EjNS0_4plusIjEEEEZZNS1_33reduce_by_key_impl_wrapped_configILNS1_25lookback_scan_determinismE0ES3_S9_PKS6_NS0_17constant_iteratorIjlEEPS6_PlSH_S8_NS0_8equal_toIS6_EEEE10hipError_tPvRmT2_T3_mT4_T5_T6_T7_T8_P12ihipStream_tbENKUlT_T0_E_clISt17integral_constantIbLb0EES11_EEDaSW_SX_EUlSW_E_NS1_11comp_targetILNS1_3genE10ELNS1_11target_archE1201ELNS1_3gpuE5ELNS1_3repE0EEENS1_30default_config_static_selectorELNS0_4arch9wavefront6targetE1EEEvT1_
                                        ; -- End function
	.section	.AMDGPU.csdata,"",@progbits
; Kernel info:
; codeLenInByte = 0
; NumSgprs: 4
; NumVgprs: 0
; NumAgprs: 0
; TotalNumVgprs: 0
; ScratchSize: 0
; MemoryBound: 0
; FloatMode: 240
; IeeeMode: 1
; LDSByteSize: 0 bytes/workgroup (compile time only)
; SGPRBlocks: 0
; VGPRBlocks: 0
; NumSGPRsForWavesPerEU: 4
; NumVGPRsForWavesPerEU: 1
; AccumOffset: 4
; Occupancy: 8
; WaveLimiterHint : 0
; COMPUTE_PGM_RSRC2:SCRATCH_EN: 0
; COMPUTE_PGM_RSRC2:USER_SGPR: 6
; COMPUTE_PGM_RSRC2:TRAP_HANDLER: 0
; COMPUTE_PGM_RSRC2:TGID_X_EN: 1
; COMPUTE_PGM_RSRC2:TGID_Y_EN: 0
; COMPUTE_PGM_RSRC2:TGID_Z_EN: 0
; COMPUTE_PGM_RSRC2:TIDIG_COMP_CNT: 0
; COMPUTE_PGM_RSRC3_GFX90A:ACCUM_OFFSET: 0
; COMPUTE_PGM_RSRC3_GFX90A:TG_SPLIT: 0
	.section	.text._ZN7rocprim17ROCPRIM_400000_NS6detail17trampoline_kernelINS0_14default_configENS1_33run_length_encode_config_selectorIN3c108BFloat16EjNS0_4plusIjEEEEZZNS1_33reduce_by_key_impl_wrapped_configILNS1_25lookback_scan_determinismE0ES3_S9_PKS6_NS0_17constant_iteratorIjlEEPS6_PlSH_S8_NS0_8equal_toIS6_EEEE10hipError_tPvRmT2_T3_mT4_T5_T6_T7_T8_P12ihipStream_tbENKUlT_T0_E_clISt17integral_constantIbLb0EES11_EEDaSW_SX_EUlSW_E_NS1_11comp_targetILNS1_3genE10ELNS1_11target_archE1200ELNS1_3gpuE4ELNS1_3repE0EEENS1_30default_config_static_selectorELNS0_4arch9wavefront6targetE1EEEvT1_,"axG",@progbits,_ZN7rocprim17ROCPRIM_400000_NS6detail17trampoline_kernelINS0_14default_configENS1_33run_length_encode_config_selectorIN3c108BFloat16EjNS0_4plusIjEEEEZZNS1_33reduce_by_key_impl_wrapped_configILNS1_25lookback_scan_determinismE0ES3_S9_PKS6_NS0_17constant_iteratorIjlEEPS6_PlSH_S8_NS0_8equal_toIS6_EEEE10hipError_tPvRmT2_T3_mT4_T5_T6_T7_T8_P12ihipStream_tbENKUlT_T0_E_clISt17integral_constantIbLb0EES11_EEDaSW_SX_EUlSW_E_NS1_11comp_targetILNS1_3genE10ELNS1_11target_archE1200ELNS1_3gpuE4ELNS1_3repE0EEENS1_30default_config_static_selectorELNS0_4arch9wavefront6targetE1EEEvT1_,comdat
	.protected	_ZN7rocprim17ROCPRIM_400000_NS6detail17trampoline_kernelINS0_14default_configENS1_33run_length_encode_config_selectorIN3c108BFloat16EjNS0_4plusIjEEEEZZNS1_33reduce_by_key_impl_wrapped_configILNS1_25lookback_scan_determinismE0ES3_S9_PKS6_NS0_17constant_iteratorIjlEEPS6_PlSH_S8_NS0_8equal_toIS6_EEEE10hipError_tPvRmT2_T3_mT4_T5_T6_T7_T8_P12ihipStream_tbENKUlT_T0_E_clISt17integral_constantIbLb0EES11_EEDaSW_SX_EUlSW_E_NS1_11comp_targetILNS1_3genE10ELNS1_11target_archE1200ELNS1_3gpuE4ELNS1_3repE0EEENS1_30default_config_static_selectorELNS0_4arch9wavefront6targetE1EEEvT1_ ; -- Begin function _ZN7rocprim17ROCPRIM_400000_NS6detail17trampoline_kernelINS0_14default_configENS1_33run_length_encode_config_selectorIN3c108BFloat16EjNS0_4plusIjEEEEZZNS1_33reduce_by_key_impl_wrapped_configILNS1_25lookback_scan_determinismE0ES3_S9_PKS6_NS0_17constant_iteratorIjlEEPS6_PlSH_S8_NS0_8equal_toIS6_EEEE10hipError_tPvRmT2_T3_mT4_T5_T6_T7_T8_P12ihipStream_tbENKUlT_T0_E_clISt17integral_constantIbLb0EES11_EEDaSW_SX_EUlSW_E_NS1_11comp_targetILNS1_3genE10ELNS1_11target_archE1200ELNS1_3gpuE4ELNS1_3repE0EEENS1_30default_config_static_selectorELNS0_4arch9wavefront6targetE1EEEvT1_
	.globl	_ZN7rocprim17ROCPRIM_400000_NS6detail17trampoline_kernelINS0_14default_configENS1_33run_length_encode_config_selectorIN3c108BFloat16EjNS0_4plusIjEEEEZZNS1_33reduce_by_key_impl_wrapped_configILNS1_25lookback_scan_determinismE0ES3_S9_PKS6_NS0_17constant_iteratorIjlEEPS6_PlSH_S8_NS0_8equal_toIS6_EEEE10hipError_tPvRmT2_T3_mT4_T5_T6_T7_T8_P12ihipStream_tbENKUlT_T0_E_clISt17integral_constantIbLb0EES11_EEDaSW_SX_EUlSW_E_NS1_11comp_targetILNS1_3genE10ELNS1_11target_archE1200ELNS1_3gpuE4ELNS1_3repE0EEENS1_30default_config_static_selectorELNS0_4arch9wavefront6targetE1EEEvT1_
	.p2align	8
	.type	_ZN7rocprim17ROCPRIM_400000_NS6detail17trampoline_kernelINS0_14default_configENS1_33run_length_encode_config_selectorIN3c108BFloat16EjNS0_4plusIjEEEEZZNS1_33reduce_by_key_impl_wrapped_configILNS1_25lookback_scan_determinismE0ES3_S9_PKS6_NS0_17constant_iteratorIjlEEPS6_PlSH_S8_NS0_8equal_toIS6_EEEE10hipError_tPvRmT2_T3_mT4_T5_T6_T7_T8_P12ihipStream_tbENKUlT_T0_E_clISt17integral_constantIbLb0EES11_EEDaSW_SX_EUlSW_E_NS1_11comp_targetILNS1_3genE10ELNS1_11target_archE1200ELNS1_3gpuE4ELNS1_3repE0EEENS1_30default_config_static_selectorELNS0_4arch9wavefront6targetE1EEEvT1_,@function
_ZN7rocprim17ROCPRIM_400000_NS6detail17trampoline_kernelINS0_14default_configENS1_33run_length_encode_config_selectorIN3c108BFloat16EjNS0_4plusIjEEEEZZNS1_33reduce_by_key_impl_wrapped_configILNS1_25lookback_scan_determinismE0ES3_S9_PKS6_NS0_17constant_iteratorIjlEEPS6_PlSH_S8_NS0_8equal_toIS6_EEEE10hipError_tPvRmT2_T3_mT4_T5_T6_T7_T8_P12ihipStream_tbENKUlT_T0_E_clISt17integral_constantIbLb0EES11_EEDaSW_SX_EUlSW_E_NS1_11comp_targetILNS1_3genE10ELNS1_11target_archE1200ELNS1_3gpuE4ELNS1_3repE0EEENS1_30default_config_static_selectorELNS0_4arch9wavefront6targetE1EEEvT1_: ; @_ZN7rocprim17ROCPRIM_400000_NS6detail17trampoline_kernelINS0_14default_configENS1_33run_length_encode_config_selectorIN3c108BFloat16EjNS0_4plusIjEEEEZZNS1_33reduce_by_key_impl_wrapped_configILNS1_25lookback_scan_determinismE0ES3_S9_PKS6_NS0_17constant_iteratorIjlEEPS6_PlSH_S8_NS0_8equal_toIS6_EEEE10hipError_tPvRmT2_T3_mT4_T5_T6_T7_T8_P12ihipStream_tbENKUlT_T0_E_clISt17integral_constantIbLb0EES11_EEDaSW_SX_EUlSW_E_NS1_11comp_targetILNS1_3genE10ELNS1_11target_archE1200ELNS1_3gpuE4ELNS1_3repE0EEENS1_30default_config_static_selectorELNS0_4arch9wavefront6targetE1EEEvT1_
; %bb.0:
	.section	.rodata,"a",@progbits
	.p2align	6, 0x0
	.amdhsa_kernel _ZN7rocprim17ROCPRIM_400000_NS6detail17trampoline_kernelINS0_14default_configENS1_33run_length_encode_config_selectorIN3c108BFloat16EjNS0_4plusIjEEEEZZNS1_33reduce_by_key_impl_wrapped_configILNS1_25lookback_scan_determinismE0ES3_S9_PKS6_NS0_17constant_iteratorIjlEEPS6_PlSH_S8_NS0_8equal_toIS6_EEEE10hipError_tPvRmT2_T3_mT4_T5_T6_T7_T8_P12ihipStream_tbENKUlT_T0_E_clISt17integral_constantIbLb0EES11_EEDaSW_SX_EUlSW_E_NS1_11comp_targetILNS1_3genE10ELNS1_11target_archE1200ELNS1_3gpuE4ELNS1_3repE0EEENS1_30default_config_static_selectorELNS0_4arch9wavefront6targetE1EEEvT1_
		.amdhsa_group_segment_fixed_size 0
		.amdhsa_private_segment_fixed_size 0
		.amdhsa_kernarg_size 128
		.amdhsa_user_sgpr_count 6
		.amdhsa_user_sgpr_private_segment_buffer 1
		.amdhsa_user_sgpr_dispatch_ptr 0
		.amdhsa_user_sgpr_queue_ptr 0
		.amdhsa_user_sgpr_kernarg_segment_ptr 1
		.amdhsa_user_sgpr_dispatch_id 0
		.amdhsa_user_sgpr_flat_scratch_init 0
		.amdhsa_user_sgpr_kernarg_preload_length 0
		.amdhsa_user_sgpr_kernarg_preload_offset 0
		.amdhsa_user_sgpr_private_segment_size 0
		.amdhsa_uses_dynamic_stack 0
		.amdhsa_system_sgpr_private_segment_wavefront_offset 0
		.amdhsa_system_sgpr_workgroup_id_x 1
		.amdhsa_system_sgpr_workgroup_id_y 0
		.amdhsa_system_sgpr_workgroup_id_z 0
		.amdhsa_system_sgpr_workgroup_info 0
		.amdhsa_system_vgpr_workitem_id 0
		.amdhsa_next_free_vgpr 1
		.amdhsa_next_free_sgpr 0
		.amdhsa_accum_offset 4
		.amdhsa_reserve_vcc 0
		.amdhsa_reserve_flat_scratch 0
		.amdhsa_float_round_mode_32 0
		.amdhsa_float_round_mode_16_64 0
		.amdhsa_float_denorm_mode_32 3
		.amdhsa_float_denorm_mode_16_64 3
		.amdhsa_dx10_clamp 1
		.amdhsa_ieee_mode 1
		.amdhsa_fp16_overflow 0
		.amdhsa_tg_split 0
		.amdhsa_exception_fp_ieee_invalid_op 0
		.amdhsa_exception_fp_denorm_src 0
		.amdhsa_exception_fp_ieee_div_zero 0
		.amdhsa_exception_fp_ieee_overflow 0
		.amdhsa_exception_fp_ieee_underflow 0
		.amdhsa_exception_fp_ieee_inexact 0
		.amdhsa_exception_int_div_zero 0
	.end_amdhsa_kernel
	.section	.text._ZN7rocprim17ROCPRIM_400000_NS6detail17trampoline_kernelINS0_14default_configENS1_33run_length_encode_config_selectorIN3c108BFloat16EjNS0_4plusIjEEEEZZNS1_33reduce_by_key_impl_wrapped_configILNS1_25lookback_scan_determinismE0ES3_S9_PKS6_NS0_17constant_iteratorIjlEEPS6_PlSH_S8_NS0_8equal_toIS6_EEEE10hipError_tPvRmT2_T3_mT4_T5_T6_T7_T8_P12ihipStream_tbENKUlT_T0_E_clISt17integral_constantIbLb0EES11_EEDaSW_SX_EUlSW_E_NS1_11comp_targetILNS1_3genE10ELNS1_11target_archE1200ELNS1_3gpuE4ELNS1_3repE0EEENS1_30default_config_static_selectorELNS0_4arch9wavefront6targetE1EEEvT1_,"axG",@progbits,_ZN7rocprim17ROCPRIM_400000_NS6detail17trampoline_kernelINS0_14default_configENS1_33run_length_encode_config_selectorIN3c108BFloat16EjNS0_4plusIjEEEEZZNS1_33reduce_by_key_impl_wrapped_configILNS1_25lookback_scan_determinismE0ES3_S9_PKS6_NS0_17constant_iteratorIjlEEPS6_PlSH_S8_NS0_8equal_toIS6_EEEE10hipError_tPvRmT2_T3_mT4_T5_T6_T7_T8_P12ihipStream_tbENKUlT_T0_E_clISt17integral_constantIbLb0EES11_EEDaSW_SX_EUlSW_E_NS1_11comp_targetILNS1_3genE10ELNS1_11target_archE1200ELNS1_3gpuE4ELNS1_3repE0EEENS1_30default_config_static_selectorELNS0_4arch9wavefront6targetE1EEEvT1_,comdat
.Lfunc_end862:
	.size	_ZN7rocprim17ROCPRIM_400000_NS6detail17trampoline_kernelINS0_14default_configENS1_33run_length_encode_config_selectorIN3c108BFloat16EjNS0_4plusIjEEEEZZNS1_33reduce_by_key_impl_wrapped_configILNS1_25lookback_scan_determinismE0ES3_S9_PKS6_NS0_17constant_iteratorIjlEEPS6_PlSH_S8_NS0_8equal_toIS6_EEEE10hipError_tPvRmT2_T3_mT4_T5_T6_T7_T8_P12ihipStream_tbENKUlT_T0_E_clISt17integral_constantIbLb0EES11_EEDaSW_SX_EUlSW_E_NS1_11comp_targetILNS1_3genE10ELNS1_11target_archE1200ELNS1_3gpuE4ELNS1_3repE0EEENS1_30default_config_static_selectorELNS0_4arch9wavefront6targetE1EEEvT1_, .Lfunc_end862-_ZN7rocprim17ROCPRIM_400000_NS6detail17trampoline_kernelINS0_14default_configENS1_33run_length_encode_config_selectorIN3c108BFloat16EjNS0_4plusIjEEEEZZNS1_33reduce_by_key_impl_wrapped_configILNS1_25lookback_scan_determinismE0ES3_S9_PKS6_NS0_17constant_iteratorIjlEEPS6_PlSH_S8_NS0_8equal_toIS6_EEEE10hipError_tPvRmT2_T3_mT4_T5_T6_T7_T8_P12ihipStream_tbENKUlT_T0_E_clISt17integral_constantIbLb0EES11_EEDaSW_SX_EUlSW_E_NS1_11comp_targetILNS1_3genE10ELNS1_11target_archE1200ELNS1_3gpuE4ELNS1_3repE0EEENS1_30default_config_static_selectorELNS0_4arch9wavefront6targetE1EEEvT1_
                                        ; -- End function
	.section	.AMDGPU.csdata,"",@progbits
; Kernel info:
; codeLenInByte = 0
; NumSgprs: 4
; NumVgprs: 0
; NumAgprs: 0
; TotalNumVgprs: 0
; ScratchSize: 0
; MemoryBound: 0
; FloatMode: 240
; IeeeMode: 1
; LDSByteSize: 0 bytes/workgroup (compile time only)
; SGPRBlocks: 0
; VGPRBlocks: 0
; NumSGPRsForWavesPerEU: 4
; NumVGPRsForWavesPerEU: 1
; AccumOffset: 4
; Occupancy: 8
; WaveLimiterHint : 0
; COMPUTE_PGM_RSRC2:SCRATCH_EN: 0
; COMPUTE_PGM_RSRC2:USER_SGPR: 6
; COMPUTE_PGM_RSRC2:TRAP_HANDLER: 0
; COMPUTE_PGM_RSRC2:TGID_X_EN: 1
; COMPUTE_PGM_RSRC2:TGID_Y_EN: 0
; COMPUTE_PGM_RSRC2:TGID_Z_EN: 0
; COMPUTE_PGM_RSRC2:TIDIG_COMP_CNT: 0
; COMPUTE_PGM_RSRC3_GFX90A:ACCUM_OFFSET: 0
; COMPUTE_PGM_RSRC3_GFX90A:TG_SPLIT: 0
	.section	.text._ZN7rocprim17ROCPRIM_400000_NS6detail17trampoline_kernelINS0_14default_configENS1_33run_length_encode_config_selectorIN3c108BFloat16EjNS0_4plusIjEEEEZZNS1_33reduce_by_key_impl_wrapped_configILNS1_25lookback_scan_determinismE0ES3_S9_PKS6_NS0_17constant_iteratorIjlEEPS6_PlSH_S8_NS0_8equal_toIS6_EEEE10hipError_tPvRmT2_T3_mT4_T5_T6_T7_T8_P12ihipStream_tbENKUlT_T0_E_clISt17integral_constantIbLb0EES11_EEDaSW_SX_EUlSW_E_NS1_11comp_targetILNS1_3genE9ELNS1_11target_archE1100ELNS1_3gpuE3ELNS1_3repE0EEENS1_30default_config_static_selectorELNS0_4arch9wavefront6targetE1EEEvT1_,"axG",@progbits,_ZN7rocprim17ROCPRIM_400000_NS6detail17trampoline_kernelINS0_14default_configENS1_33run_length_encode_config_selectorIN3c108BFloat16EjNS0_4plusIjEEEEZZNS1_33reduce_by_key_impl_wrapped_configILNS1_25lookback_scan_determinismE0ES3_S9_PKS6_NS0_17constant_iteratorIjlEEPS6_PlSH_S8_NS0_8equal_toIS6_EEEE10hipError_tPvRmT2_T3_mT4_T5_T6_T7_T8_P12ihipStream_tbENKUlT_T0_E_clISt17integral_constantIbLb0EES11_EEDaSW_SX_EUlSW_E_NS1_11comp_targetILNS1_3genE9ELNS1_11target_archE1100ELNS1_3gpuE3ELNS1_3repE0EEENS1_30default_config_static_selectorELNS0_4arch9wavefront6targetE1EEEvT1_,comdat
	.protected	_ZN7rocprim17ROCPRIM_400000_NS6detail17trampoline_kernelINS0_14default_configENS1_33run_length_encode_config_selectorIN3c108BFloat16EjNS0_4plusIjEEEEZZNS1_33reduce_by_key_impl_wrapped_configILNS1_25lookback_scan_determinismE0ES3_S9_PKS6_NS0_17constant_iteratorIjlEEPS6_PlSH_S8_NS0_8equal_toIS6_EEEE10hipError_tPvRmT2_T3_mT4_T5_T6_T7_T8_P12ihipStream_tbENKUlT_T0_E_clISt17integral_constantIbLb0EES11_EEDaSW_SX_EUlSW_E_NS1_11comp_targetILNS1_3genE9ELNS1_11target_archE1100ELNS1_3gpuE3ELNS1_3repE0EEENS1_30default_config_static_selectorELNS0_4arch9wavefront6targetE1EEEvT1_ ; -- Begin function _ZN7rocprim17ROCPRIM_400000_NS6detail17trampoline_kernelINS0_14default_configENS1_33run_length_encode_config_selectorIN3c108BFloat16EjNS0_4plusIjEEEEZZNS1_33reduce_by_key_impl_wrapped_configILNS1_25lookback_scan_determinismE0ES3_S9_PKS6_NS0_17constant_iteratorIjlEEPS6_PlSH_S8_NS0_8equal_toIS6_EEEE10hipError_tPvRmT2_T3_mT4_T5_T6_T7_T8_P12ihipStream_tbENKUlT_T0_E_clISt17integral_constantIbLb0EES11_EEDaSW_SX_EUlSW_E_NS1_11comp_targetILNS1_3genE9ELNS1_11target_archE1100ELNS1_3gpuE3ELNS1_3repE0EEENS1_30default_config_static_selectorELNS0_4arch9wavefront6targetE1EEEvT1_
	.globl	_ZN7rocprim17ROCPRIM_400000_NS6detail17trampoline_kernelINS0_14default_configENS1_33run_length_encode_config_selectorIN3c108BFloat16EjNS0_4plusIjEEEEZZNS1_33reduce_by_key_impl_wrapped_configILNS1_25lookback_scan_determinismE0ES3_S9_PKS6_NS0_17constant_iteratorIjlEEPS6_PlSH_S8_NS0_8equal_toIS6_EEEE10hipError_tPvRmT2_T3_mT4_T5_T6_T7_T8_P12ihipStream_tbENKUlT_T0_E_clISt17integral_constantIbLb0EES11_EEDaSW_SX_EUlSW_E_NS1_11comp_targetILNS1_3genE9ELNS1_11target_archE1100ELNS1_3gpuE3ELNS1_3repE0EEENS1_30default_config_static_selectorELNS0_4arch9wavefront6targetE1EEEvT1_
	.p2align	8
	.type	_ZN7rocprim17ROCPRIM_400000_NS6detail17trampoline_kernelINS0_14default_configENS1_33run_length_encode_config_selectorIN3c108BFloat16EjNS0_4plusIjEEEEZZNS1_33reduce_by_key_impl_wrapped_configILNS1_25lookback_scan_determinismE0ES3_S9_PKS6_NS0_17constant_iteratorIjlEEPS6_PlSH_S8_NS0_8equal_toIS6_EEEE10hipError_tPvRmT2_T3_mT4_T5_T6_T7_T8_P12ihipStream_tbENKUlT_T0_E_clISt17integral_constantIbLb0EES11_EEDaSW_SX_EUlSW_E_NS1_11comp_targetILNS1_3genE9ELNS1_11target_archE1100ELNS1_3gpuE3ELNS1_3repE0EEENS1_30default_config_static_selectorELNS0_4arch9wavefront6targetE1EEEvT1_,@function
_ZN7rocprim17ROCPRIM_400000_NS6detail17trampoline_kernelINS0_14default_configENS1_33run_length_encode_config_selectorIN3c108BFloat16EjNS0_4plusIjEEEEZZNS1_33reduce_by_key_impl_wrapped_configILNS1_25lookback_scan_determinismE0ES3_S9_PKS6_NS0_17constant_iteratorIjlEEPS6_PlSH_S8_NS0_8equal_toIS6_EEEE10hipError_tPvRmT2_T3_mT4_T5_T6_T7_T8_P12ihipStream_tbENKUlT_T0_E_clISt17integral_constantIbLb0EES11_EEDaSW_SX_EUlSW_E_NS1_11comp_targetILNS1_3genE9ELNS1_11target_archE1100ELNS1_3gpuE3ELNS1_3repE0EEENS1_30default_config_static_selectorELNS0_4arch9wavefront6targetE1EEEvT1_: ; @_ZN7rocprim17ROCPRIM_400000_NS6detail17trampoline_kernelINS0_14default_configENS1_33run_length_encode_config_selectorIN3c108BFloat16EjNS0_4plusIjEEEEZZNS1_33reduce_by_key_impl_wrapped_configILNS1_25lookback_scan_determinismE0ES3_S9_PKS6_NS0_17constant_iteratorIjlEEPS6_PlSH_S8_NS0_8equal_toIS6_EEEE10hipError_tPvRmT2_T3_mT4_T5_T6_T7_T8_P12ihipStream_tbENKUlT_T0_E_clISt17integral_constantIbLb0EES11_EEDaSW_SX_EUlSW_E_NS1_11comp_targetILNS1_3genE9ELNS1_11target_archE1100ELNS1_3gpuE3ELNS1_3repE0EEENS1_30default_config_static_selectorELNS0_4arch9wavefront6targetE1EEEvT1_
; %bb.0:
	.section	.rodata,"a",@progbits
	.p2align	6, 0x0
	.amdhsa_kernel _ZN7rocprim17ROCPRIM_400000_NS6detail17trampoline_kernelINS0_14default_configENS1_33run_length_encode_config_selectorIN3c108BFloat16EjNS0_4plusIjEEEEZZNS1_33reduce_by_key_impl_wrapped_configILNS1_25lookback_scan_determinismE0ES3_S9_PKS6_NS0_17constant_iteratorIjlEEPS6_PlSH_S8_NS0_8equal_toIS6_EEEE10hipError_tPvRmT2_T3_mT4_T5_T6_T7_T8_P12ihipStream_tbENKUlT_T0_E_clISt17integral_constantIbLb0EES11_EEDaSW_SX_EUlSW_E_NS1_11comp_targetILNS1_3genE9ELNS1_11target_archE1100ELNS1_3gpuE3ELNS1_3repE0EEENS1_30default_config_static_selectorELNS0_4arch9wavefront6targetE1EEEvT1_
		.amdhsa_group_segment_fixed_size 0
		.amdhsa_private_segment_fixed_size 0
		.amdhsa_kernarg_size 128
		.amdhsa_user_sgpr_count 6
		.amdhsa_user_sgpr_private_segment_buffer 1
		.amdhsa_user_sgpr_dispatch_ptr 0
		.amdhsa_user_sgpr_queue_ptr 0
		.amdhsa_user_sgpr_kernarg_segment_ptr 1
		.amdhsa_user_sgpr_dispatch_id 0
		.amdhsa_user_sgpr_flat_scratch_init 0
		.amdhsa_user_sgpr_kernarg_preload_length 0
		.amdhsa_user_sgpr_kernarg_preload_offset 0
		.amdhsa_user_sgpr_private_segment_size 0
		.amdhsa_uses_dynamic_stack 0
		.amdhsa_system_sgpr_private_segment_wavefront_offset 0
		.amdhsa_system_sgpr_workgroup_id_x 1
		.amdhsa_system_sgpr_workgroup_id_y 0
		.amdhsa_system_sgpr_workgroup_id_z 0
		.amdhsa_system_sgpr_workgroup_info 0
		.amdhsa_system_vgpr_workitem_id 0
		.amdhsa_next_free_vgpr 1
		.amdhsa_next_free_sgpr 0
		.amdhsa_accum_offset 4
		.amdhsa_reserve_vcc 0
		.amdhsa_reserve_flat_scratch 0
		.amdhsa_float_round_mode_32 0
		.amdhsa_float_round_mode_16_64 0
		.amdhsa_float_denorm_mode_32 3
		.amdhsa_float_denorm_mode_16_64 3
		.amdhsa_dx10_clamp 1
		.amdhsa_ieee_mode 1
		.amdhsa_fp16_overflow 0
		.amdhsa_tg_split 0
		.amdhsa_exception_fp_ieee_invalid_op 0
		.amdhsa_exception_fp_denorm_src 0
		.amdhsa_exception_fp_ieee_div_zero 0
		.amdhsa_exception_fp_ieee_overflow 0
		.amdhsa_exception_fp_ieee_underflow 0
		.amdhsa_exception_fp_ieee_inexact 0
		.amdhsa_exception_int_div_zero 0
	.end_amdhsa_kernel
	.section	.text._ZN7rocprim17ROCPRIM_400000_NS6detail17trampoline_kernelINS0_14default_configENS1_33run_length_encode_config_selectorIN3c108BFloat16EjNS0_4plusIjEEEEZZNS1_33reduce_by_key_impl_wrapped_configILNS1_25lookback_scan_determinismE0ES3_S9_PKS6_NS0_17constant_iteratorIjlEEPS6_PlSH_S8_NS0_8equal_toIS6_EEEE10hipError_tPvRmT2_T3_mT4_T5_T6_T7_T8_P12ihipStream_tbENKUlT_T0_E_clISt17integral_constantIbLb0EES11_EEDaSW_SX_EUlSW_E_NS1_11comp_targetILNS1_3genE9ELNS1_11target_archE1100ELNS1_3gpuE3ELNS1_3repE0EEENS1_30default_config_static_selectorELNS0_4arch9wavefront6targetE1EEEvT1_,"axG",@progbits,_ZN7rocprim17ROCPRIM_400000_NS6detail17trampoline_kernelINS0_14default_configENS1_33run_length_encode_config_selectorIN3c108BFloat16EjNS0_4plusIjEEEEZZNS1_33reduce_by_key_impl_wrapped_configILNS1_25lookback_scan_determinismE0ES3_S9_PKS6_NS0_17constant_iteratorIjlEEPS6_PlSH_S8_NS0_8equal_toIS6_EEEE10hipError_tPvRmT2_T3_mT4_T5_T6_T7_T8_P12ihipStream_tbENKUlT_T0_E_clISt17integral_constantIbLb0EES11_EEDaSW_SX_EUlSW_E_NS1_11comp_targetILNS1_3genE9ELNS1_11target_archE1100ELNS1_3gpuE3ELNS1_3repE0EEENS1_30default_config_static_selectorELNS0_4arch9wavefront6targetE1EEEvT1_,comdat
.Lfunc_end863:
	.size	_ZN7rocprim17ROCPRIM_400000_NS6detail17trampoline_kernelINS0_14default_configENS1_33run_length_encode_config_selectorIN3c108BFloat16EjNS0_4plusIjEEEEZZNS1_33reduce_by_key_impl_wrapped_configILNS1_25lookback_scan_determinismE0ES3_S9_PKS6_NS0_17constant_iteratorIjlEEPS6_PlSH_S8_NS0_8equal_toIS6_EEEE10hipError_tPvRmT2_T3_mT4_T5_T6_T7_T8_P12ihipStream_tbENKUlT_T0_E_clISt17integral_constantIbLb0EES11_EEDaSW_SX_EUlSW_E_NS1_11comp_targetILNS1_3genE9ELNS1_11target_archE1100ELNS1_3gpuE3ELNS1_3repE0EEENS1_30default_config_static_selectorELNS0_4arch9wavefront6targetE1EEEvT1_, .Lfunc_end863-_ZN7rocprim17ROCPRIM_400000_NS6detail17trampoline_kernelINS0_14default_configENS1_33run_length_encode_config_selectorIN3c108BFloat16EjNS0_4plusIjEEEEZZNS1_33reduce_by_key_impl_wrapped_configILNS1_25lookback_scan_determinismE0ES3_S9_PKS6_NS0_17constant_iteratorIjlEEPS6_PlSH_S8_NS0_8equal_toIS6_EEEE10hipError_tPvRmT2_T3_mT4_T5_T6_T7_T8_P12ihipStream_tbENKUlT_T0_E_clISt17integral_constantIbLb0EES11_EEDaSW_SX_EUlSW_E_NS1_11comp_targetILNS1_3genE9ELNS1_11target_archE1100ELNS1_3gpuE3ELNS1_3repE0EEENS1_30default_config_static_selectorELNS0_4arch9wavefront6targetE1EEEvT1_
                                        ; -- End function
	.section	.AMDGPU.csdata,"",@progbits
; Kernel info:
; codeLenInByte = 0
; NumSgprs: 4
; NumVgprs: 0
; NumAgprs: 0
; TotalNumVgprs: 0
; ScratchSize: 0
; MemoryBound: 0
; FloatMode: 240
; IeeeMode: 1
; LDSByteSize: 0 bytes/workgroup (compile time only)
; SGPRBlocks: 0
; VGPRBlocks: 0
; NumSGPRsForWavesPerEU: 4
; NumVGPRsForWavesPerEU: 1
; AccumOffset: 4
; Occupancy: 8
; WaveLimiterHint : 0
; COMPUTE_PGM_RSRC2:SCRATCH_EN: 0
; COMPUTE_PGM_RSRC2:USER_SGPR: 6
; COMPUTE_PGM_RSRC2:TRAP_HANDLER: 0
; COMPUTE_PGM_RSRC2:TGID_X_EN: 1
; COMPUTE_PGM_RSRC2:TGID_Y_EN: 0
; COMPUTE_PGM_RSRC2:TGID_Z_EN: 0
; COMPUTE_PGM_RSRC2:TIDIG_COMP_CNT: 0
; COMPUTE_PGM_RSRC3_GFX90A:ACCUM_OFFSET: 0
; COMPUTE_PGM_RSRC3_GFX90A:TG_SPLIT: 0
	.section	.text._ZN7rocprim17ROCPRIM_400000_NS6detail17trampoline_kernelINS0_14default_configENS1_33run_length_encode_config_selectorIN3c108BFloat16EjNS0_4plusIjEEEEZZNS1_33reduce_by_key_impl_wrapped_configILNS1_25lookback_scan_determinismE0ES3_S9_PKS6_NS0_17constant_iteratorIjlEEPS6_PlSH_S8_NS0_8equal_toIS6_EEEE10hipError_tPvRmT2_T3_mT4_T5_T6_T7_T8_P12ihipStream_tbENKUlT_T0_E_clISt17integral_constantIbLb0EES11_EEDaSW_SX_EUlSW_E_NS1_11comp_targetILNS1_3genE8ELNS1_11target_archE1030ELNS1_3gpuE2ELNS1_3repE0EEENS1_30default_config_static_selectorELNS0_4arch9wavefront6targetE1EEEvT1_,"axG",@progbits,_ZN7rocprim17ROCPRIM_400000_NS6detail17trampoline_kernelINS0_14default_configENS1_33run_length_encode_config_selectorIN3c108BFloat16EjNS0_4plusIjEEEEZZNS1_33reduce_by_key_impl_wrapped_configILNS1_25lookback_scan_determinismE0ES3_S9_PKS6_NS0_17constant_iteratorIjlEEPS6_PlSH_S8_NS0_8equal_toIS6_EEEE10hipError_tPvRmT2_T3_mT4_T5_T6_T7_T8_P12ihipStream_tbENKUlT_T0_E_clISt17integral_constantIbLb0EES11_EEDaSW_SX_EUlSW_E_NS1_11comp_targetILNS1_3genE8ELNS1_11target_archE1030ELNS1_3gpuE2ELNS1_3repE0EEENS1_30default_config_static_selectorELNS0_4arch9wavefront6targetE1EEEvT1_,comdat
	.protected	_ZN7rocprim17ROCPRIM_400000_NS6detail17trampoline_kernelINS0_14default_configENS1_33run_length_encode_config_selectorIN3c108BFloat16EjNS0_4plusIjEEEEZZNS1_33reduce_by_key_impl_wrapped_configILNS1_25lookback_scan_determinismE0ES3_S9_PKS6_NS0_17constant_iteratorIjlEEPS6_PlSH_S8_NS0_8equal_toIS6_EEEE10hipError_tPvRmT2_T3_mT4_T5_T6_T7_T8_P12ihipStream_tbENKUlT_T0_E_clISt17integral_constantIbLb0EES11_EEDaSW_SX_EUlSW_E_NS1_11comp_targetILNS1_3genE8ELNS1_11target_archE1030ELNS1_3gpuE2ELNS1_3repE0EEENS1_30default_config_static_selectorELNS0_4arch9wavefront6targetE1EEEvT1_ ; -- Begin function _ZN7rocprim17ROCPRIM_400000_NS6detail17trampoline_kernelINS0_14default_configENS1_33run_length_encode_config_selectorIN3c108BFloat16EjNS0_4plusIjEEEEZZNS1_33reduce_by_key_impl_wrapped_configILNS1_25lookback_scan_determinismE0ES3_S9_PKS6_NS0_17constant_iteratorIjlEEPS6_PlSH_S8_NS0_8equal_toIS6_EEEE10hipError_tPvRmT2_T3_mT4_T5_T6_T7_T8_P12ihipStream_tbENKUlT_T0_E_clISt17integral_constantIbLb0EES11_EEDaSW_SX_EUlSW_E_NS1_11comp_targetILNS1_3genE8ELNS1_11target_archE1030ELNS1_3gpuE2ELNS1_3repE0EEENS1_30default_config_static_selectorELNS0_4arch9wavefront6targetE1EEEvT1_
	.globl	_ZN7rocprim17ROCPRIM_400000_NS6detail17trampoline_kernelINS0_14default_configENS1_33run_length_encode_config_selectorIN3c108BFloat16EjNS0_4plusIjEEEEZZNS1_33reduce_by_key_impl_wrapped_configILNS1_25lookback_scan_determinismE0ES3_S9_PKS6_NS0_17constant_iteratorIjlEEPS6_PlSH_S8_NS0_8equal_toIS6_EEEE10hipError_tPvRmT2_T3_mT4_T5_T6_T7_T8_P12ihipStream_tbENKUlT_T0_E_clISt17integral_constantIbLb0EES11_EEDaSW_SX_EUlSW_E_NS1_11comp_targetILNS1_3genE8ELNS1_11target_archE1030ELNS1_3gpuE2ELNS1_3repE0EEENS1_30default_config_static_selectorELNS0_4arch9wavefront6targetE1EEEvT1_
	.p2align	8
	.type	_ZN7rocprim17ROCPRIM_400000_NS6detail17trampoline_kernelINS0_14default_configENS1_33run_length_encode_config_selectorIN3c108BFloat16EjNS0_4plusIjEEEEZZNS1_33reduce_by_key_impl_wrapped_configILNS1_25lookback_scan_determinismE0ES3_S9_PKS6_NS0_17constant_iteratorIjlEEPS6_PlSH_S8_NS0_8equal_toIS6_EEEE10hipError_tPvRmT2_T3_mT4_T5_T6_T7_T8_P12ihipStream_tbENKUlT_T0_E_clISt17integral_constantIbLb0EES11_EEDaSW_SX_EUlSW_E_NS1_11comp_targetILNS1_3genE8ELNS1_11target_archE1030ELNS1_3gpuE2ELNS1_3repE0EEENS1_30default_config_static_selectorELNS0_4arch9wavefront6targetE1EEEvT1_,@function
_ZN7rocprim17ROCPRIM_400000_NS6detail17trampoline_kernelINS0_14default_configENS1_33run_length_encode_config_selectorIN3c108BFloat16EjNS0_4plusIjEEEEZZNS1_33reduce_by_key_impl_wrapped_configILNS1_25lookback_scan_determinismE0ES3_S9_PKS6_NS0_17constant_iteratorIjlEEPS6_PlSH_S8_NS0_8equal_toIS6_EEEE10hipError_tPvRmT2_T3_mT4_T5_T6_T7_T8_P12ihipStream_tbENKUlT_T0_E_clISt17integral_constantIbLb0EES11_EEDaSW_SX_EUlSW_E_NS1_11comp_targetILNS1_3genE8ELNS1_11target_archE1030ELNS1_3gpuE2ELNS1_3repE0EEENS1_30default_config_static_selectorELNS0_4arch9wavefront6targetE1EEEvT1_: ; @_ZN7rocprim17ROCPRIM_400000_NS6detail17trampoline_kernelINS0_14default_configENS1_33run_length_encode_config_selectorIN3c108BFloat16EjNS0_4plusIjEEEEZZNS1_33reduce_by_key_impl_wrapped_configILNS1_25lookback_scan_determinismE0ES3_S9_PKS6_NS0_17constant_iteratorIjlEEPS6_PlSH_S8_NS0_8equal_toIS6_EEEE10hipError_tPvRmT2_T3_mT4_T5_T6_T7_T8_P12ihipStream_tbENKUlT_T0_E_clISt17integral_constantIbLb0EES11_EEDaSW_SX_EUlSW_E_NS1_11comp_targetILNS1_3genE8ELNS1_11target_archE1030ELNS1_3gpuE2ELNS1_3repE0EEENS1_30default_config_static_selectorELNS0_4arch9wavefront6targetE1EEEvT1_
; %bb.0:
	.section	.rodata,"a",@progbits
	.p2align	6, 0x0
	.amdhsa_kernel _ZN7rocprim17ROCPRIM_400000_NS6detail17trampoline_kernelINS0_14default_configENS1_33run_length_encode_config_selectorIN3c108BFloat16EjNS0_4plusIjEEEEZZNS1_33reduce_by_key_impl_wrapped_configILNS1_25lookback_scan_determinismE0ES3_S9_PKS6_NS0_17constant_iteratorIjlEEPS6_PlSH_S8_NS0_8equal_toIS6_EEEE10hipError_tPvRmT2_T3_mT4_T5_T6_T7_T8_P12ihipStream_tbENKUlT_T0_E_clISt17integral_constantIbLb0EES11_EEDaSW_SX_EUlSW_E_NS1_11comp_targetILNS1_3genE8ELNS1_11target_archE1030ELNS1_3gpuE2ELNS1_3repE0EEENS1_30default_config_static_selectorELNS0_4arch9wavefront6targetE1EEEvT1_
		.amdhsa_group_segment_fixed_size 0
		.amdhsa_private_segment_fixed_size 0
		.amdhsa_kernarg_size 128
		.amdhsa_user_sgpr_count 6
		.amdhsa_user_sgpr_private_segment_buffer 1
		.amdhsa_user_sgpr_dispatch_ptr 0
		.amdhsa_user_sgpr_queue_ptr 0
		.amdhsa_user_sgpr_kernarg_segment_ptr 1
		.amdhsa_user_sgpr_dispatch_id 0
		.amdhsa_user_sgpr_flat_scratch_init 0
		.amdhsa_user_sgpr_kernarg_preload_length 0
		.amdhsa_user_sgpr_kernarg_preload_offset 0
		.amdhsa_user_sgpr_private_segment_size 0
		.amdhsa_uses_dynamic_stack 0
		.amdhsa_system_sgpr_private_segment_wavefront_offset 0
		.amdhsa_system_sgpr_workgroup_id_x 1
		.amdhsa_system_sgpr_workgroup_id_y 0
		.amdhsa_system_sgpr_workgroup_id_z 0
		.amdhsa_system_sgpr_workgroup_info 0
		.amdhsa_system_vgpr_workitem_id 0
		.amdhsa_next_free_vgpr 1
		.amdhsa_next_free_sgpr 0
		.amdhsa_accum_offset 4
		.amdhsa_reserve_vcc 0
		.amdhsa_reserve_flat_scratch 0
		.amdhsa_float_round_mode_32 0
		.amdhsa_float_round_mode_16_64 0
		.amdhsa_float_denorm_mode_32 3
		.amdhsa_float_denorm_mode_16_64 3
		.amdhsa_dx10_clamp 1
		.amdhsa_ieee_mode 1
		.amdhsa_fp16_overflow 0
		.amdhsa_tg_split 0
		.amdhsa_exception_fp_ieee_invalid_op 0
		.amdhsa_exception_fp_denorm_src 0
		.amdhsa_exception_fp_ieee_div_zero 0
		.amdhsa_exception_fp_ieee_overflow 0
		.amdhsa_exception_fp_ieee_underflow 0
		.amdhsa_exception_fp_ieee_inexact 0
		.amdhsa_exception_int_div_zero 0
	.end_amdhsa_kernel
	.section	.text._ZN7rocprim17ROCPRIM_400000_NS6detail17trampoline_kernelINS0_14default_configENS1_33run_length_encode_config_selectorIN3c108BFloat16EjNS0_4plusIjEEEEZZNS1_33reduce_by_key_impl_wrapped_configILNS1_25lookback_scan_determinismE0ES3_S9_PKS6_NS0_17constant_iteratorIjlEEPS6_PlSH_S8_NS0_8equal_toIS6_EEEE10hipError_tPvRmT2_T3_mT4_T5_T6_T7_T8_P12ihipStream_tbENKUlT_T0_E_clISt17integral_constantIbLb0EES11_EEDaSW_SX_EUlSW_E_NS1_11comp_targetILNS1_3genE8ELNS1_11target_archE1030ELNS1_3gpuE2ELNS1_3repE0EEENS1_30default_config_static_selectorELNS0_4arch9wavefront6targetE1EEEvT1_,"axG",@progbits,_ZN7rocprim17ROCPRIM_400000_NS6detail17trampoline_kernelINS0_14default_configENS1_33run_length_encode_config_selectorIN3c108BFloat16EjNS0_4plusIjEEEEZZNS1_33reduce_by_key_impl_wrapped_configILNS1_25lookback_scan_determinismE0ES3_S9_PKS6_NS0_17constant_iteratorIjlEEPS6_PlSH_S8_NS0_8equal_toIS6_EEEE10hipError_tPvRmT2_T3_mT4_T5_T6_T7_T8_P12ihipStream_tbENKUlT_T0_E_clISt17integral_constantIbLb0EES11_EEDaSW_SX_EUlSW_E_NS1_11comp_targetILNS1_3genE8ELNS1_11target_archE1030ELNS1_3gpuE2ELNS1_3repE0EEENS1_30default_config_static_selectorELNS0_4arch9wavefront6targetE1EEEvT1_,comdat
.Lfunc_end864:
	.size	_ZN7rocprim17ROCPRIM_400000_NS6detail17trampoline_kernelINS0_14default_configENS1_33run_length_encode_config_selectorIN3c108BFloat16EjNS0_4plusIjEEEEZZNS1_33reduce_by_key_impl_wrapped_configILNS1_25lookback_scan_determinismE0ES3_S9_PKS6_NS0_17constant_iteratorIjlEEPS6_PlSH_S8_NS0_8equal_toIS6_EEEE10hipError_tPvRmT2_T3_mT4_T5_T6_T7_T8_P12ihipStream_tbENKUlT_T0_E_clISt17integral_constantIbLb0EES11_EEDaSW_SX_EUlSW_E_NS1_11comp_targetILNS1_3genE8ELNS1_11target_archE1030ELNS1_3gpuE2ELNS1_3repE0EEENS1_30default_config_static_selectorELNS0_4arch9wavefront6targetE1EEEvT1_, .Lfunc_end864-_ZN7rocprim17ROCPRIM_400000_NS6detail17trampoline_kernelINS0_14default_configENS1_33run_length_encode_config_selectorIN3c108BFloat16EjNS0_4plusIjEEEEZZNS1_33reduce_by_key_impl_wrapped_configILNS1_25lookback_scan_determinismE0ES3_S9_PKS6_NS0_17constant_iteratorIjlEEPS6_PlSH_S8_NS0_8equal_toIS6_EEEE10hipError_tPvRmT2_T3_mT4_T5_T6_T7_T8_P12ihipStream_tbENKUlT_T0_E_clISt17integral_constantIbLb0EES11_EEDaSW_SX_EUlSW_E_NS1_11comp_targetILNS1_3genE8ELNS1_11target_archE1030ELNS1_3gpuE2ELNS1_3repE0EEENS1_30default_config_static_selectorELNS0_4arch9wavefront6targetE1EEEvT1_
                                        ; -- End function
	.section	.AMDGPU.csdata,"",@progbits
; Kernel info:
; codeLenInByte = 0
; NumSgprs: 4
; NumVgprs: 0
; NumAgprs: 0
; TotalNumVgprs: 0
; ScratchSize: 0
; MemoryBound: 0
; FloatMode: 240
; IeeeMode: 1
; LDSByteSize: 0 bytes/workgroup (compile time only)
; SGPRBlocks: 0
; VGPRBlocks: 0
; NumSGPRsForWavesPerEU: 4
; NumVGPRsForWavesPerEU: 1
; AccumOffset: 4
; Occupancy: 8
; WaveLimiterHint : 0
; COMPUTE_PGM_RSRC2:SCRATCH_EN: 0
; COMPUTE_PGM_RSRC2:USER_SGPR: 6
; COMPUTE_PGM_RSRC2:TRAP_HANDLER: 0
; COMPUTE_PGM_RSRC2:TGID_X_EN: 1
; COMPUTE_PGM_RSRC2:TGID_Y_EN: 0
; COMPUTE_PGM_RSRC2:TGID_Z_EN: 0
; COMPUTE_PGM_RSRC2:TIDIG_COMP_CNT: 0
; COMPUTE_PGM_RSRC3_GFX90A:ACCUM_OFFSET: 0
; COMPUTE_PGM_RSRC3_GFX90A:TG_SPLIT: 0
	.section	.text._ZN7rocprim17ROCPRIM_400000_NS6detail17trampoline_kernelINS0_14default_configENS1_33run_length_encode_config_selectorIN3c108BFloat16EjNS0_4plusIjEEEEZZNS1_33reduce_by_key_impl_wrapped_configILNS1_25lookback_scan_determinismE0ES3_S9_PKS6_NS0_17constant_iteratorIjlEEPS6_PlSH_S8_NS0_8equal_toIS6_EEEE10hipError_tPvRmT2_T3_mT4_T5_T6_T7_T8_P12ihipStream_tbENKUlT_T0_E_clISt17integral_constantIbLb1EES11_EEDaSW_SX_EUlSW_E_NS1_11comp_targetILNS1_3genE0ELNS1_11target_archE4294967295ELNS1_3gpuE0ELNS1_3repE0EEENS1_30default_config_static_selectorELNS0_4arch9wavefront6targetE1EEEvT1_,"axG",@progbits,_ZN7rocprim17ROCPRIM_400000_NS6detail17trampoline_kernelINS0_14default_configENS1_33run_length_encode_config_selectorIN3c108BFloat16EjNS0_4plusIjEEEEZZNS1_33reduce_by_key_impl_wrapped_configILNS1_25lookback_scan_determinismE0ES3_S9_PKS6_NS0_17constant_iteratorIjlEEPS6_PlSH_S8_NS0_8equal_toIS6_EEEE10hipError_tPvRmT2_T3_mT4_T5_T6_T7_T8_P12ihipStream_tbENKUlT_T0_E_clISt17integral_constantIbLb1EES11_EEDaSW_SX_EUlSW_E_NS1_11comp_targetILNS1_3genE0ELNS1_11target_archE4294967295ELNS1_3gpuE0ELNS1_3repE0EEENS1_30default_config_static_selectorELNS0_4arch9wavefront6targetE1EEEvT1_,comdat
	.protected	_ZN7rocprim17ROCPRIM_400000_NS6detail17trampoline_kernelINS0_14default_configENS1_33run_length_encode_config_selectorIN3c108BFloat16EjNS0_4plusIjEEEEZZNS1_33reduce_by_key_impl_wrapped_configILNS1_25lookback_scan_determinismE0ES3_S9_PKS6_NS0_17constant_iteratorIjlEEPS6_PlSH_S8_NS0_8equal_toIS6_EEEE10hipError_tPvRmT2_T3_mT4_T5_T6_T7_T8_P12ihipStream_tbENKUlT_T0_E_clISt17integral_constantIbLb1EES11_EEDaSW_SX_EUlSW_E_NS1_11comp_targetILNS1_3genE0ELNS1_11target_archE4294967295ELNS1_3gpuE0ELNS1_3repE0EEENS1_30default_config_static_selectorELNS0_4arch9wavefront6targetE1EEEvT1_ ; -- Begin function _ZN7rocprim17ROCPRIM_400000_NS6detail17trampoline_kernelINS0_14default_configENS1_33run_length_encode_config_selectorIN3c108BFloat16EjNS0_4plusIjEEEEZZNS1_33reduce_by_key_impl_wrapped_configILNS1_25lookback_scan_determinismE0ES3_S9_PKS6_NS0_17constant_iteratorIjlEEPS6_PlSH_S8_NS0_8equal_toIS6_EEEE10hipError_tPvRmT2_T3_mT4_T5_T6_T7_T8_P12ihipStream_tbENKUlT_T0_E_clISt17integral_constantIbLb1EES11_EEDaSW_SX_EUlSW_E_NS1_11comp_targetILNS1_3genE0ELNS1_11target_archE4294967295ELNS1_3gpuE0ELNS1_3repE0EEENS1_30default_config_static_selectorELNS0_4arch9wavefront6targetE1EEEvT1_
	.globl	_ZN7rocprim17ROCPRIM_400000_NS6detail17trampoline_kernelINS0_14default_configENS1_33run_length_encode_config_selectorIN3c108BFloat16EjNS0_4plusIjEEEEZZNS1_33reduce_by_key_impl_wrapped_configILNS1_25lookback_scan_determinismE0ES3_S9_PKS6_NS0_17constant_iteratorIjlEEPS6_PlSH_S8_NS0_8equal_toIS6_EEEE10hipError_tPvRmT2_T3_mT4_T5_T6_T7_T8_P12ihipStream_tbENKUlT_T0_E_clISt17integral_constantIbLb1EES11_EEDaSW_SX_EUlSW_E_NS1_11comp_targetILNS1_3genE0ELNS1_11target_archE4294967295ELNS1_3gpuE0ELNS1_3repE0EEENS1_30default_config_static_selectorELNS0_4arch9wavefront6targetE1EEEvT1_
	.p2align	8
	.type	_ZN7rocprim17ROCPRIM_400000_NS6detail17trampoline_kernelINS0_14default_configENS1_33run_length_encode_config_selectorIN3c108BFloat16EjNS0_4plusIjEEEEZZNS1_33reduce_by_key_impl_wrapped_configILNS1_25lookback_scan_determinismE0ES3_S9_PKS6_NS0_17constant_iteratorIjlEEPS6_PlSH_S8_NS0_8equal_toIS6_EEEE10hipError_tPvRmT2_T3_mT4_T5_T6_T7_T8_P12ihipStream_tbENKUlT_T0_E_clISt17integral_constantIbLb1EES11_EEDaSW_SX_EUlSW_E_NS1_11comp_targetILNS1_3genE0ELNS1_11target_archE4294967295ELNS1_3gpuE0ELNS1_3repE0EEENS1_30default_config_static_selectorELNS0_4arch9wavefront6targetE1EEEvT1_,@function
_ZN7rocprim17ROCPRIM_400000_NS6detail17trampoline_kernelINS0_14default_configENS1_33run_length_encode_config_selectorIN3c108BFloat16EjNS0_4plusIjEEEEZZNS1_33reduce_by_key_impl_wrapped_configILNS1_25lookback_scan_determinismE0ES3_S9_PKS6_NS0_17constant_iteratorIjlEEPS6_PlSH_S8_NS0_8equal_toIS6_EEEE10hipError_tPvRmT2_T3_mT4_T5_T6_T7_T8_P12ihipStream_tbENKUlT_T0_E_clISt17integral_constantIbLb1EES11_EEDaSW_SX_EUlSW_E_NS1_11comp_targetILNS1_3genE0ELNS1_11target_archE4294967295ELNS1_3gpuE0ELNS1_3repE0EEENS1_30default_config_static_selectorELNS0_4arch9wavefront6targetE1EEEvT1_: ; @_ZN7rocprim17ROCPRIM_400000_NS6detail17trampoline_kernelINS0_14default_configENS1_33run_length_encode_config_selectorIN3c108BFloat16EjNS0_4plusIjEEEEZZNS1_33reduce_by_key_impl_wrapped_configILNS1_25lookback_scan_determinismE0ES3_S9_PKS6_NS0_17constant_iteratorIjlEEPS6_PlSH_S8_NS0_8equal_toIS6_EEEE10hipError_tPvRmT2_T3_mT4_T5_T6_T7_T8_P12ihipStream_tbENKUlT_T0_E_clISt17integral_constantIbLb1EES11_EEDaSW_SX_EUlSW_E_NS1_11comp_targetILNS1_3genE0ELNS1_11target_archE4294967295ELNS1_3gpuE0ELNS1_3repE0EEENS1_30default_config_static_selectorELNS0_4arch9wavefront6targetE1EEEvT1_
; %bb.0:
	.section	.rodata,"a",@progbits
	.p2align	6, 0x0
	.amdhsa_kernel _ZN7rocprim17ROCPRIM_400000_NS6detail17trampoline_kernelINS0_14default_configENS1_33run_length_encode_config_selectorIN3c108BFloat16EjNS0_4plusIjEEEEZZNS1_33reduce_by_key_impl_wrapped_configILNS1_25lookback_scan_determinismE0ES3_S9_PKS6_NS0_17constant_iteratorIjlEEPS6_PlSH_S8_NS0_8equal_toIS6_EEEE10hipError_tPvRmT2_T3_mT4_T5_T6_T7_T8_P12ihipStream_tbENKUlT_T0_E_clISt17integral_constantIbLb1EES11_EEDaSW_SX_EUlSW_E_NS1_11comp_targetILNS1_3genE0ELNS1_11target_archE4294967295ELNS1_3gpuE0ELNS1_3repE0EEENS1_30default_config_static_selectorELNS0_4arch9wavefront6targetE1EEEvT1_
		.amdhsa_group_segment_fixed_size 0
		.amdhsa_private_segment_fixed_size 0
		.amdhsa_kernarg_size 128
		.amdhsa_user_sgpr_count 6
		.amdhsa_user_sgpr_private_segment_buffer 1
		.amdhsa_user_sgpr_dispatch_ptr 0
		.amdhsa_user_sgpr_queue_ptr 0
		.amdhsa_user_sgpr_kernarg_segment_ptr 1
		.amdhsa_user_sgpr_dispatch_id 0
		.amdhsa_user_sgpr_flat_scratch_init 0
		.amdhsa_user_sgpr_kernarg_preload_length 0
		.amdhsa_user_sgpr_kernarg_preload_offset 0
		.amdhsa_user_sgpr_private_segment_size 0
		.amdhsa_uses_dynamic_stack 0
		.amdhsa_system_sgpr_private_segment_wavefront_offset 0
		.amdhsa_system_sgpr_workgroup_id_x 1
		.amdhsa_system_sgpr_workgroup_id_y 0
		.amdhsa_system_sgpr_workgroup_id_z 0
		.amdhsa_system_sgpr_workgroup_info 0
		.amdhsa_system_vgpr_workitem_id 0
		.amdhsa_next_free_vgpr 1
		.amdhsa_next_free_sgpr 0
		.amdhsa_accum_offset 4
		.amdhsa_reserve_vcc 0
		.amdhsa_reserve_flat_scratch 0
		.amdhsa_float_round_mode_32 0
		.amdhsa_float_round_mode_16_64 0
		.amdhsa_float_denorm_mode_32 3
		.amdhsa_float_denorm_mode_16_64 3
		.amdhsa_dx10_clamp 1
		.amdhsa_ieee_mode 1
		.amdhsa_fp16_overflow 0
		.amdhsa_tg_split 0
		.amdhsa_exception_fp_ieee_invalid_op 0
		.amdhsa_exception_fp_denorm_src 0
		.amdhsa_exception_fp_ieee_div_zero 0
		.amdhsa_exception_fp_ieee_overflow 0
		.amdhsa_exception_fp_ieee_underflow 0
		.amdhsa_exception_fp_ieee_inexact 0
		.amdhsa_exception_int_div_zero 0
	.end_amdhsa_kernel
	.section	.text._ZN7rocprim17ROCPRIM_400000_NS6detail17trampoline_kernelINS0_14default_configENS1_33run_length_encode_config_selectorIN3c108BFloat16EjNS0_4plusIjEEEEZZNS1_33reduce_by_key_impl_wrapped_configILNS1_25lookback_scan_determinismE0ES3_S9_PKS6_NS0_17constant_iteratorIjlEEPS6_PlSH_S8_NS0_8equal_toIS6_EEEE10hipError_tPvRmT2_T3_mT4_T5_T6_T7_T8_P12ihipStream_tbENKUlT_T0_E_clISt17integral_constantIbLb1EES11_EEDaSW_SX_EUlSW_E_NS1_11comp_targetILNS1_3genE0ELNS1_11target_archE4294967295ELNS1_3gpuE0ELNS1_3repE0EEENS1_30default_config_static_selectorELNS0_4arch9wavefront6targetE1EEEvT1_,"axG",@progbits,_ZN7rocprim17ROCPRIM_400000_NS6detail17trampoline_kernelINS0_14default_configENS1_33run_length_encode_config_selectorIN3c108BFloat16EjNS0_4plusIjEEEEZZNS1_33reduce_by_key_impl_wrapped_configILNS1_25lookback_scan_determinismE0ES3_S9_PKS6_NS0_17constant_iteratorIjlEEPS6_PlSH_S8_NS0_8equal_toIS6_EEEE10hipError_tPvRmT2_T3_mT4_T5_T6_T7_T8_P12ihipStream_tbENKUlT_T0_E_clISt17integral_constantIbLb1EES11_EEDaSW_SX_EUlSW_E_NS1_11comp_targetILNS1_3genE0ELNS1_11target_archE4294967295ELNS1_3gpuE0ELNS1_3repE0EEENS1_30default_config_static_selectorELNS0_4arch9wavefront6targetE1EEEvT1_,comdat
.Lfunc_end865:
	.size	_ZN7rocprim17ROCPRIM_400000_NS6detail17trampoline_kernelINS0_14default_configENS1_33run_length_encode_config_selectorIN3c108BFloat16EjNS0_4plusIjEEEEZZNS1_33reduce_by_key_impl_wrapped_configILNS1_25lookback_scan_determinismE0ES3_S9_PKS6_NS0_17constant_iteratorIjlEEPS6_PlSH_S8_NS0_8equal_toIS6_EEEE10hipError_tPvRmT2_T3_mT4_T5_T6_T7_T8_P12ihipStream_tbENKUlT_T0_E_clISt17integral_constantIbLb1EES11_EEDaSW_SX_EUlSW_E_NS1_11comp_targetILNS1_3genE0ELNS1_11target_archE4294967295ELNS1_3gpuE0ELNS1_3repE0EEENS1_30default_config_static_selectorELNS0_4arch9wavefront6targetE1EEEvT1_, .Lfunc_end865-_ZN7rocprim17ROCPRIM_400000_NS6detail17trampoline_kernelINS0_14default_configENS1_33run_length_encode_config_selectorIN3c108BFloat16EjNS0_4plusIjEEEEZZNS1_33reduce_by_key_impl_wrapped_configILNS1_25lookback_scan_determinismE0ES3_S9_PKS6_NS0_17constant_iteratorIjlEEPS6_PlSH_S8_NS0_8equal_toIS6_EEEE10hipError_tPvRmT2_T3_mT4_T5_T6_T7_T8_P12ihipStream_tbENKUlT_T0_E_clISt17integral_constantIbLb1EES11_EEDaSW_SX_EUlSW_E_NS1_11comp_targetILNS1_3genE0ELNS1_11target_archE4294967295ELNS1_3gpuE0ELNS1_3repE0EEENS1_30default_config_static_selectorELNS0_4arch9wavefront6targetE1EEEvT1_
                                        ; -- End function
	.section	.AMDGPU.csdata,"",@progbits
; Kernel info:
; codeLenInByte = 0
; NumSgprs: 4
; NumVgprs: 0
; NumAgprs: 0
; TotalNumVgprs: 0
; ScratchSize: 0
; MemoryBound: 0
; FloatMode: 240
; IeeeMode: 1
; LDSByteSize: 0 bytes/workgroup (compile time only)
; SGPRBlocks: 0
; VGPRBlocks: 0
; NumSGPRsForWavesPerEU: 4
; NumVGPRsForWavesPerEU: 1
; AccumOffset: 4
; Occupancy: 8
; WaveLimiterHint : 0
; COMPUTE_PGM_RSRC2:SCRATCH_EN: 0
; COMPUTE_PGM_RSRC2:USER_SGPR: 6
; COMPUTE_PGM_RSRC2:TRAP_HANDLER: 0
; COMPUTE_PGM_RSRC2:TGID_X_EN: 1
; COMPUTE_PGM_RSRC2:TGID_Y_EN: 0
; COMPUTE_PGM_RSRC2:TGID_Z_EN: 0
; COMPUTE_PGM_RSRC2:TIDIG_COMP_CNT: 0
; COMPUTE_PGM_RSRC3_GFX90A:ACCUM_OFFSET: 0
; COMPUTE_PGM_RSRC3_GFX90A:TG_SPLIT: 0
	.section	.text._ZN7rocprim17ROCPRIM_400000_NS6detail17trampoline_kernelINS0_14default_configENS1_33run_length_encode_config_selectorIN3c108BFloat16EjNS0_4plusIjEEEEZZNS1_33reduce_by_key_impl_wrapped_configILNS1_25lookback_scan_determinismE0ES3_S9_PKS6_NS0_17constant_iteratorIjlEEPS6_PlSH_S8_NS0_8equal_toIS6_EEEE10hipError_tPvRmT2_T3_mT4_T5_T6_T7_T8_P12ihipStream_tbENKUlT_T0_E_clISt17integral_constantIbLb1EES11_EEDaSW_SX_EUlSW_E_NS1_11comp_targetILNS1_3genE5ELNS1_11target_archE942ELNS1_3gpuE9ELNS1_3repE0EEENS1_30default_config_static_selectorELNS0_4arch9wavefront6targetE1EEEvT1_,"axG",@progbits,_ZN7rocprim17ROCPRIM_400000_NS6detail17trampoline_kernelINS0_14default_configENS1_33run_length_encode_config_selectorIN3c108BFloat16EjNS0_4plusIjEEEEZZNS1_33reduce_by_key_impl_wrapped_configILNS1_25lookback_scan_determinismE0ES3_S9_PKS6_NS0_17constant_iteratorIjlEEPS6_PlSH_S8_NS0_8equal_toIS6_EEEE10hipError_tPvRmT2_T3_mT4_T5_T6_T7_T8_P12ihipStream_tbENKUlT_T0_E_clISt17integral_constantIbLb1EES11_EEDaSW_SX_EUlSW_E_NS1_11comp_targetILNS1_3genE5ELNS1_11target_archE942ELNS1_3gpuE9ELNS1_3repE0EEENS1_30default_config_static_selectorELNS0_4arch9wavefront6targetE1EEEvT1_,comdat
	.protected	_ZN7rocprim17ROCPRIM_400000_NS6detail17trampoline_kernelINS0_14default_configENS1_33run_length_encode_config_selectorIN3c108BFloat16EjNS0_4plusIjEEEEZZNS1_33reduce_by_key_impl_wrapped_configILNS1_25lookback_scan_determinismE0ES3_S9_PKS6_NS0_17constant_iteratorIjlEEPS6_PlSH_S8_NS0_8equal_toIS6_EEEE10hipError_tPvRmT2_T3_mT4_T5_T6_T7_T8_P12ihipStream_tbENKUlT_T0_E_clISt17integral_constantIbLb1EES11_EEDaSW_SX_EUlSW_E_NS1_11comp_targetILNS1_3genE5ELNS1_11target_archE942ELNS1_3gpuE9ELNS1_3repE0EEENS1_30default_config_static_selectorELNS0_4arch9wavefront6targetE1EEEvT1_ ; -- Begin function _ZN7rocprim17ROCPRIM_400000_NS6detail17trampoline_kernelINS0_14default_configENS1_33run_length_encode_config_selectorIN3c108BFloat16EjNS0_4plusIjEEEEZZNS1_33reduce_by_key_impl_wrapped_configILNS1_25lookback_scan_determinismE0ES3_S9_PKS6_NS0_17constant_iteratorIjlEEPS6_PlSH_S8_NS0_8equal_toIS6_EEEE10hipError_tPvRmT2_T3_mT4_T5_T6_T7_T8_P12ihipStream_tbENKUlT_T0_E_clISt17integral_constantIbLb1EES11_EEDaSW_SX_EUlSW_E_NS1_11comp_targetILNS1_3genE5ELNS1_11target_archE942ELNS1_3gpuE9ELNS1_3repE0EEENS1_30default_config_static_selectorELNS0_4arch9wavefront6targetE1EEEvT1_
	.globl	_ZN7rocprim17ROCPRIM_400000_NS6detail17trampoline_kernelINS0_14default_configENS1_33run_length_encode_config_selectorIN3c108BFloat16EjNS0_4plusIjEEEEZZNS1_33reduce_by_key_impl_wrapped_configILNS1_25lookback_scan_determinismE0ES3_S9_PKS6_NS0_17constant_iteratorIjlEEPS6_PlSH_S8_NS0_8equal_toIS6_EEEE10hipError_tPvRmT2_T3_mT4_T5_T6_T7_T8_P12ihipStream_tbENKUlT_T0_E_clISt17integral_constantIbLb1EES11_EEDaSW_SX_EUlSW_E_NS1_11comp_targetILNS1_3genE5ELNS1_11target_archE942ELNS1_3gpuE9ELNS1_3repE0EEENS1_30default_config_static_selectorELNS0_4arch9wavefront6targetE1EEEvT1_
	.p2align	8
	.type	_ZN7rocprim17ROCPRIM_400000_NS6detail17trampoline_kernelINS0_14default_configENS1_33run_length_encode_config_selectorIN3c108BFloat16EjNS0_4plusIjEEEEZZNS1_33reduce_by_key_impl_wrapped_configILNS1_25lookback_scan_determinismE0ES3_S9_PKS6_NS0_17constant_iteratorIjlEEPS6_PlSH_S8_NS0_8equal_toIS6_EEEE10hipError_tPvRmT2_T3_mT4_T5_T6_T7_T8_P12ihipStream_tbENKUlT_T0_E_clISt17integral_constantIbLb1EES11_EEDaSW_SX_EUlSW_E_NS1_11comp_targetILNS1_3genE5ELNS1_11target_archE942ELNS1_3gpuE9ELNS1_3repE0EEENS1_30default_config_static_selectorELNS0_4arch9wavefront6targetE1EEEvT1_,@function
_ZN7rocprim17ROCPRIM_400000_NS6detail17trampoline_kernelINS0_14default_configENS1_33run_length_encode_config_selectorIN3c108BFloat16EjNS0_4plusIjEEEEZZNS1_33reduce_by_key_impl_wrapped_configILNS1_25lookback_scan_determinismE0ES3_S9_PKS6_NS0_17constant_iteratorIjlEEPS6_PlSH_S8_NS0_8equal_toIS6_EEEE10hipError_tPvRmT2_T3_mT4_T5_T6_T7_T8_P12ihipStream_tbENKUlT_T0_E_clISt17integral_constantIbLb1EES11_EEDaSW_SX_EUlSW_E_NS1_11comp_targetILNS1_3genE5ELNS1_11target_archE942ELNS1_3gpuE9ELNS1_3repE0EEENS1_30default_config_static_selectorELNS0_4arch9wavefront6targetE1EEEvT1_: ; @_ZN7rocprim17ROCPRIM_400000_NS6detail17trampoline_kernelINS0_14default_configENS1_33run_length_encode_config_selectorIN3c108BFloat16EjNS0_4plusIjEEEEZZNS1_33reduce_by_key_impl_wrapped_configILNS1_25lookback_scan_determinismE0ES3_S9_PKS6_NS0_17constant_iteratorIjlEEPS6_PlSH_S8_NS0_8equal_toIS6_EEEE10hipError_tPvRmT2_T3_mT4_T5_T6_T7_T8_P12ihipStream_tbENKUlT_T0_E_clISt17integral_constantIbLb1EES11_EEDaSW_SX_EUlSW_E_NS1_11comp_targetILNS1_3genE5ELNS1_11target_archE942ELNS1_3gpuE9ELNS1_3repE0EEENS1_30default_config_static_selectorELNS0_4arch9wavefront6targetE1EEEvT1_
; %bb.0:
	.section	.rodata,"a",@progbits
	.p2align	6, 0x0
	.amdhsa_kernel _ZN7rocprim17ROCPRIM_400000_NS6detail17trampoline_kernelINS0_14default_configENS1_33run_length_encode_config_selectorIN3c108BFloat16EjNS0_4plusIjEEEEZZNS1_33reduce_by_key_impl_wrapped_configILNS1_25lookback_scan_determinismE0ES3_S9_PKS6_NS0_17constant_iteratorIjlEEPS6_PlSH_S8_NS0_8equal_toIS6_EEEE10hipError_tPvRmT2_T3_mT4_T5_T6_T7_T8_P12ihipStream_tbENKUlT_T0_E_clISt17integral_constantIbLb1EES11_EEDaSW_SX_EUlSW_E_NS1_11comp_targetILNS1_3genE5ELNS1_11target_archE942ELNS1_3gpuE9ELNS1_3repE0EEENS1_30default_config_static_selectorELNS0_4arch9wavefront6targetE1EEEvT1_
		.amdhsa_group_segment_fixed_size 0
		.amdhsa_private_segment_fixed_size 0
		.amdhsa_kernarg_size 128
		.amdhsa_user_sgpr_count 6
		.amdhsa_user_sgpr_private_segment_buffer 1
		.amdhsa_user_sgpr_dispatch_ptr 0
		.amdhsa_user_sgpr_queue_ptr 0
		.amdhsa_user_sgpr_kernarg_segment_ptr 1
		.amdhsa_user_sgpr_dispatch_id 0
		.amdhsa_user_sgpr_flat_scratch_init 0
		.amdhsa_user_sgpr_kernarg_preload_length 0
		.amdhsa_user_sgpr_kernarg_preload_offset 0
		.amdhsa_user_sgpr_private_segment_size 0
		.amdhsa_uses_dynamic_stack 0
		.amdhsa_system_sgpr_private_segment_wavefront_offset 0
		.amdhsa_system_sgpr_workgroup_id_x 1
		.amdhsa_system_sgpr_workgroup_id_y 0
		.amdhsa_system_sgpr_workgroup_id_z 0
		.amdhsa_system_sgpr_workgroup_info 0
		.amdhsa_system_vgpr_workitem_id 0
		.amdhsa_next_free_vgpr 1
		.amdhsa_next_free_sgpr 0
		.amdhsa_accum_offset 4
		.amdhsa_reserve_vcc 0
		.amdhsa_reserve_flat_scratch 0
		.amdhsa_float_round_mode_32 0
		.amdhsa_float_round_mode_16_64 0
		.amdhsa_float_denorm_mode_32 3
		.amdhsa_float_denorm_mode_16_64 3
		.amdhsa_dx10_clamp 1
		.amdhsa_ieee_mode 1
		.amdhsa_fp16_overflow 0
		.amdhsa_tg_split 0
		.amdhsa_exception_fp_ieee_invalid_op 0
		.amdhsa_exception_fp_denorm_src 0
		.amdhsa_exception_fp_ieee_div_zero 0
		.amdhsa_exception_fp_ieee_overflow 0
		.amdhsa_exception_fp_ieee_underflow 0
		.amdhsa_exception_fp_ieee_inexact 0
		.amdhsa_exception_int_div_zero 0
	.end_amdhsa_kernel
	.section	.text._ZN7rocprim17ROCPRIM_400000_NS6detail17trampoline_kernelINS0_14default_configENS1_33run_length_encode_config_selectorIN3c108BFloat16EjNS0_4plusIjEEEEZZNS1_33reduce_by_key_impl_wrapped_configILNS1_25lookback_scan_determinismE0ES3_S9_PKS6_NS0_17constant_iteratorIjlEEPS6_PlSH_S8_NS0_8equal_toIS6_EEEE10hipError_tPvRmT2_T3_mT4_T5_T6_T7_T8_P12ihipStream_tbENKUlT_T0_E_clISt17integral_constantIbLb1EES11_EEDaSW_SX_EUlSW_E_NS1_11comp_targetILNS1_3genE5ELNS1_11target_archE942ELNS1_3gpuE9ELNS1_3repE0EEENS1_30default_config_static_selectorELNS0_4arch9wavefront6targetE1EEEvT1_,"axG",@progbits,_ZN7rocprim17ROCPRIM_400000_NS6detail17trampoline_kernelINS0_14default_configENS1_33run_length_encode_config_selectorIN3c108BFloat16EjNS0_4plusIjEEEEZZNS1_33reduce_by_key_impl_wrapped_configILNS1_25lookback_scan_determinismE0ES3_S9_PKS6_NS0_17constant_iteratorIjlEEPS6_PlSH_S8_NS0_8equal_toIS6_EEEE10hipError_tPvRmT2_T3_mT4_T5_T6_T7_T8_P12ihipStream_tbENKUlT_T0_E_clISt17integral_constantIbLb1EES11_EEDaSW_SX_EUlSW_E_NS1_11comp_targetILNS1_3genE5ELNS1_11target_archE942ELNS1_3gpuE9ELNS1_3repE0EEENS1_30default_config_static_selectorELNS0_4arch9wavefront6targetE1EEEvT1_,comdat
.Lfunc_end866:
	.size	_ZN7rocprim17ROCPRIM_400000_NS6detail17trampoline_kernelINS0_14default_configENS1_33run_length_encode_config_selectorIN3c108BFloat16EjNS0_4plusIjEEEEZZNS1_33reduce_by_key_impl_wrapped_configILNS1_25lookback_scan_determinismE0ES3_S9_PKS6_NS0_17constant_iteratorIjlEEPS6_PlSH_S8_NS0_8equal_toIS6_EEEE10hipError_tPvRmT2_T3_mT4_T5_T6_T7_T8_P12ihipStream_tbENKUlT_T0_E_clISt17integral_constantIbLb1EES11_EEDaSW_SX_EUlSW_E_NS1_11comp_targetILNS1_3genE5ELNS1_11target_archE942ELNS1_3gpuE9ELNS1_3repE0EEENS1_30default_config_static_selectorELNS0_4arch9wavefront6targetE1EEEvT1_, .Lfunc_end866-_ZN7rocprim17ROCPRIM_400000_NS6detail17trampoline_kernelINS0_14default_configENS1_33run_length_encode_config_selectorIN3c108BFloat16EjNS0_4plusIjEEEEZZNS1_33reduce_by_key_impl_wrapped_configILNS1_25lookback_scan_determinismE0ES3_S9_PKS6_NS0_17constant_iteratorIjlEEPS6_PlSH_S8_NS0_8equal_toIS6_EEEE10hipError_tPvRmT2_T3_mT4_T5_T6_T7_T8_P12ihipStream_tbENKUlT_T0_E_clISt17integral_constantIbLb1EES11_EEDaSW_SX_EUlSW_E_NS1_11comp_targetILNS1_3genE5ELNS1_11target_archE942ELNS1_3gpuE9ELNS1_3repE0EEENS1_30default_config_static_selectorELNS0_4arch9wavefront6targetE1EEEvT1_
                                        ; -- End function
	.section	.AMDGPU.csdata,"",@progbits
; Kernel info:
; codeLenInByte = 0
; NumSgprs: 4
; NumVgprs: 0
; NumAgprs: 0
; TotalNumVgprs: 0
; ScratchSize: 0
; MemoryBound: 0
; FloatMode: 240
; IeeeMode: 1
; LDSByteSize: 0 bytes/workgroup (compile time only)
; SGPRBlocks: 0
; VGPRBlocks: 0
; NumSGPRsForWavesPerEU: 4
; NumVGPRsForWavesPerEU: 1
; AccumOffset: 4
; Occupancy: 8
; WaveLimiterHint : 0
; COMPUTE_PGM_RSRC2:SCRATCH_EN: 0
; COMPUTE_PGM_RSRC2:USER_SGPR: 6
; COMPUTE_PGM_RSRC2:TRAP_HANDLER: 0
; COMPUTE_PGM_RSRC2:TGID_X_EN: 1
; COMPUTE_PGM_RSRC2:TGID_Y_EN: 0
; COMPUTE_PGM_RSRC2:TGID_Z_EN: 0
; COMPUTE_PGM_RSRC2:TIDIG_COMP_CNT: 0
; COMPUTE_PGM_RSRC3_GFX90A:ACCUM_OFFSET: 0
; COMPUTE_PGM_RSRC3_GFX90A:TG_SPLIT: 0
	.section	.text._ZN7rocprim17ROCPRIM_400000_NS6detail17trampoline_kernelINS0_14default_configENS1_33run_length_encode_config_selectorIN3c108BFloat16EjNS0_4plusIjEEEEZZNS1_33reduce_by_key_impl_wrapped_configILNS1_25lookback_scan_determinismE0ES3_S9_PKS6_NS0_17constant_iteratorIjlEEPS6_PlSH_S8_NS0_8equal_toIS6_EEEE10hipError_tPvRmT2_T3_mT4_T5_T6_T7_T8_P12ihipStream_tbENKUlT_T0_E_clISt17integral_constantIbLb1EES11_EEDaSW_SX_EUlSW_E_NS1_11comp_targetILNS1_3genE4ELNS1_11target_archE910ELNS1_3gpuE8ELNS1_3repE0EEENS1_30default_config_static_selectorELNS0_4arch9wavefront6targetE1EEEvT1_,"axG",@progbits,_ZN7rocprim17ROCPRIM_400000_NS6detail17trampoline_kernelINS0_14default_configENS1_33run_length_encode_config_selectorIN3c108BFloat16EjNS0_4plusIjEEEEZZNS1_33reduce_by_key_impl_wrapped_configILNS1_25lookback_scan_determinismE0ES3_S9_PKS6_NS0_17constant_iteratorIjlEEPS6_PlSH_S8_NS0_8equal_toIS6_EEEE10hipError_tPvRmT2_T3_mT4_T5_T6_T7_T8_P12ihipStream_tbENKUlT_T0_E_clISt17integral_constantIbLb1EES11_EEDaSW_SX_EUlSW_E_NS1_11comp_targetILNS1_3genE4ELNS1_11target_archE910ELNS1_3gpuE8ELNS1_3repE0EEENS1_30default_config_static_selectorELNS0_4arch9wavefront6targetE1EEEvT1_,comdat
	.protected	_ZN7rocprim17ROCPRIM_400000_NS6detail17trampoline_kernelINS0_14default_configENS1_33run_length_encode_config_selectorIN3c108BFloat16EjNS0_4plusIjEEEEZZNS1_33reduce_by_key_impl_wrapped_configILNS1_25lookback_scan_determinismE0ES3_S9_PKS6_NS0_17constant_iteratorIjlEEPS6_PlSH_S8_NS0_8equal_toIS6_EEEE10hipError_tPvRmT2_T3_mT4_T5_T6_T7_T8_P12ihipStream_tbENKUlT_T0_E_clISt17integral_constantIbLb1EES11_EEDaSW_SX_EUlSW_E_NS1_11comp_targetILNS1_3genE4ELNS1_11target_archE910ELNS1_3gpuE8ELNS1_3repE0EEENS1_30default_config_static_selectorELNS0_4arch9wavefront6targetE1EEEvT1_ ; -- Begin function _ZN7rocprim17ROCPRIM_400000_NS6detail17trampoline_kernelINS0_14default_configENS1_33run_length_encode_config_selectorIN3c108BFloat16EjNS0_4plusIjEEEEZZNS1_33reduce_by_key_impl_wrapped_configILNS1_25lookback_scan_determinismE0ES3_S9_PKS6_NS0_17constant_iteratorIjlEEPS6_PlSH_S8_NS0_8equal_toIS6_EEEE10hipError_tPvRmT2_T3_mT4_T5_T6_T7_T8_P12ihipStream_tbENKUlT_T0_E_clISt17integral_constantIbLb1EES11_EEDaSW_SX_EUlSW_E_NS1_11comp_targetILNS1_3genE4ELNS1_11target_archE910ELNS1_3gpuE8ELNS1_3repE0EEENS1_30default_config_static_selectorELNS0_4arch9wavefront6targetE1EEEvT1_
	.globl	_ZN7rocprim17ROCPRIM_400000_NS6detail17trampoline_kernelINS0_14default_configENS1_33run_length_encode_config_selectorIN3c108BFloat16EjNS0_4plusIjEEEEZZNS1_33reduce_by_key_impl_wrapped_configILNS1_25lookback_scan_determinismE0ES3_S9_PKS6_NS0_17constant_iteratorIjlEEPS6_PlSH_S8_NS0_8equal_toIS6_EEEE10hipError_tPvRmT2_T3_mT4_T5_T6_T7_T8_P12ihipStream_tbENKUlT_T0_E_clISt17integral_constantIbLb1EES11_EEDaSW_SX_EUlSW_E_NS1_11comp_targetILNS1_3genE4ELNS1_11target_archE910ELNS1_3gpuE8ELNS1_3repE0EEENS1_30default_config_static_selectorELNS0_4arch9wavefront6targetE1EEEvT1_
	.p2align	8
	.type	_ZN7rocprim17ROCPRIM_400000_NS6detail17trampoline_kernelINS0_14default_configENS1_33run_length_encode_config_selectorIN3c108BFloat16EjNS0_4plusIjEEEEZZNS1_33reduce_by_key_impl_wrapped_configILNS1_25lookback_scan_determinismE0ES3_S9_PKS6_NS0_17constant_iteratorIjlEEPS6_PlSH_S8_NS0_8equal_toIS6_EEEE10hipError_tPvRmT2_T3_mT4_T5_T6_T7_T8_P12ihipStream_tbENKUlT_T0_E_clISt17integral_constantIbLb1EES11_EEDaSW_SX_EUlSW_E_NS1_11comp_targetILNS1_3genE4ELNS1_11target_archE910ELNS1_3gpuE8ELNS1_3repE0EEENS1_30default_config_static_selectorELNS0_4arch9wavefront6targetE1EEEvT1_,@function
_ZN7rocprim17ROCPRIM_400000_NS6detail17trampoline_kernelINS0_14default_configENS1_33run_length_encode_config_selectorIN3c108BFloat16EjNS0_4plusIjEEEEZZNS1_33reduce_by_key_impl_wrapped_configILNS1_25lookback_scan_determinismE0ES3_S9_PKS6_NS0_17constant_iteratorIjlEEPS6_PlSH_S8_NS0_8equal_toIS6_EEEE10hipError_tPvRmT2_T3_mT4_T5_T6_T7_T8_P12ihipStream_tbENKUlT_T0_E_clISt17integral_constantIbLb1EES11_EEDaSW_SX_EUlSW_E_NS1_11comp_targetILNS1_3genE4ELNS1_11target_archE910ELNS1_3gpuE8ELNS1_3repE0EEENS1_30default_config_static_selectorELNS0_4arch9wavefront6targetE1EEEvT1_: ; @_ZN7rocprim17ROCPRIM_400000_NS6detail17trampoline_kernelINS0_14default_configENS1_33run_length_encode_config_selectorIN3c108BFloat16EjNS0_4plusIjEEEEZZNS1_33reduce_by_key_impl_wrapped_configILNS1_25lookback_scan_determinismE0ES3_S9_PKS6_NS0_17constant_iteratorIjlEEPS6_PlSH_S8_NS0_8equal_toIS6_EEEE10hipError_tPvRmT2_T3_mT4_T5_T6_T7_T8_P12ihipStream_tbENKUlT_T0_E_clISt17integral_constantIbLb1EES11_EEDaSW_SX_EUlSW_E_NS1_11comp_targetILNS1_3genE4ELNS1_11target_archE910ELNS1_3gpuE8ELNS1_3repE0EEENS1_30default_config_static_selectorELNS0_4arch9wavefront6targetE1EEEvT1_
; %bb.0:
	s_load_dword s12, s[4:5], 0x10
	s_load_dwordx4 s[48:51], s[4:5], 0x20
	s_load_dwordx2 s[56:57], s[4:5], 0x30
	s_load_dwordx2 s[58:59], s[4:5], 0x70
	s_load_dwordx4 s[52:55], s[4:5], 0x60
	s_load_dwordx8 s[40:47], s[4:5], 0x40
	v_cmp_ne_u32_e64 s[2:3], 0, v0
	v_cmp_eq_u32_e64 s[0:1], 0, v0
	s_and_saveexec_b64 s[6:7], s[0:1]
	s_cbranch_execz .LBB867_4
; %bb.1:
	s_mov_b64 s[10:11], exec
	v_mbcnt_lo_u32_b32 v1, s10, 0
	v_mbcnt_hi_u32_b32 v1, s11, v1
	v_cmp_eq_u32_e32 vcc, 0, v1
                                        ; implicit-def: $vgpr2
	s_and_saveexec_b64 s[8:9], vcc
	s_cbranch_execz .LBB867_3
; %bb.2:
	s_load_dwordx2 s[14:15], s[4:5], 0x78
	s_bcnt1_i32_b64 s10, s[10:11]
	v_mov_b32_e32 v2, 0
	v_mov_b32_e32 v3, s10
	s_waitcnt lgkmcnt(0)
	global_atomic_add v2, v2, v3, s[14:15] glc
.LBB867_3:
	s_or_b64 exec, exec, s[8:9]
	s_waitcnt vmcnt(0)
	v_readfirstlane_b32 s8, v2
	v_add_u32_e32 v1, s8, v1
	v_mov_b32_e32 v2, 0
	ds_write_b32 v2, v1
.LBB867_4:
	s_or_b64 exec, exec, s[6:7]
	s_load_dwordx4 s[4:7], s[4:5], 0x0
	v_mov_b32_e32 v3, 0
	s_waitcnt lgkmcnt(0)
	s_barrier
	ds_read_b32 v1, v3
	s_mul_i32 s8, s44, s43
	s_mul_hi_u32 s9, s44, s42
	s_add_i32 s8, s9, s8
	s_mul_i32 s9, s45, s42
	s_add_i32 s8, s8, s9
	s_lshl_b64 s[6:7], s[6:7], 1
	s_add_u32 s4, s4, s6
	s_movk_i32 s6, 0xf00
	s_waitcnt lgkmcnt(0)
	v_mul_lo_u32 v2, v1, s6
	s_mul_i32 s9, s44, s42
	s_addc_u32 s5, s5, s7
	v_readfirstlane_b32 s60, v1
	v_lshlrev_b64 v[2:3], 1, v[2:3]
	v_add_co_u32_e32 v6, vcc, s4, v2
	s_add_u32 s4, s9, s60
	v_mov_b32_e32 v1, s5
	s_addc_u32 s5, s8, 0
	s_add_u32 s10, s46, -1
	s_addc_u32 s11, s47, -1
	s_cmp_eq_u64 s[4:5], s[10:11]
	v_addc_co_u32_e32 v7, vcc, v1, v3, vcc
	s_cselect_b64 s[44:45], -1, 0
	s_cmp_lg_u64 s[4:5], s[10:11]
	s_mov_b64 s[8:9], -1
	s_cselect_b64 s[6:7], -1, 0
	s_mul_i32 s33, s10, 0xfffff100
	s_and_b64 vcc, exec, s[44:45]
	s_barrier
	s_cbranch_vccnz .LBB867_6
; %bb.5:
	v_lshlrev_b32_e32 v1, 1, v0
	v_add_co_u32_e32 v2, vcc, v6, v1
	v_addc_co_u32_e32 v3, vcc, 0, v7, vcc
	v_add_co_u32_e32 v2, vcc, 0x1000, v2
	v_readfirstlane_b32 s8, v6
	v_readfirstlane_b32 s9, v7
	v_addc_co_u32_e32 v3, vcc, 0, v3, vcc
	s_nop 3
	global_load_ushort v4, v1, s[8:9]
	global_load_ushort v5, v1, s[8:9] offset:512
	global_load_ushort v12, v1, s[8:9] offset:1024
	;; [unrolled: 1-line block ×7, first 2 shown]
	global_load_ushort v22, v[2:3], off
	global_load_ushort v23, v[2:3], off offset:512
	global_load_ushort v24, v[2:3], off offset:1024
	;; [unrolled: 1-line block ×6, first 2 shown]
	v_mad_u32_u24 v30, v0, 28, v1
	s_movk_i32 s8, 0xffe6
	v_mul_u32_u24_e32 v8, 15, v0
	v_mad_u32_u24 v18, v0, 15, 2
	v_mad_u32_u24 v11, v0, 15, 4
	;; [unrolled: 1-line block ×7, first 2 shown]
	v_mov_b32_e32 v29, s12
	v_mad_i32_i24 v31, v0, s8, v30
	s_waitcnt vmcnt(14)
	ds_write_b16 v1, v4
	s_waitcnt vmcnt(13)
	ds_write_b16 v1, v5 offset:512
	s_waitcnt vmcnt(12)
	ds_write_b16 v1, v12 offset:1024
	;; [unrolled: 2-line block ×14, first 2 shown]
	s_waitcnt lgkmcnt(0)
	s_barrier
	ds_read_b128 v[2:5], v30
	ds_read_b96 v[12:14], v30 offset:16
	ds_read_u16 v1, v30 offset:28
	s_waitcnt lgkmcnt(0)
	s_barrier
	ds_write2st64_b32 v31, v29, v29 offset1:4
	ds_write2st64_b32 v31, v29, v29 offset0:8 offset1:12
	ds_write2st64_b32 v31, v29, v29 offset0:16 offset1:20
	;; [unrolled: 1-line block ×6, first 2 shown]
	ds_write_b32 v31, v29 offset:14336
	s_waitcnt lgkmcnt(0)
	s_barrier
	s_add_i32 s33, s33, s52
	s_cbranch_execz .LBB867_7
	s_branch .LBB867_38
.LBB867_6:
                                        ; implicit-def: $vgpr14
                                        ; implicit-def: $vgpr5
                                        ; implicit-def: $vgpr15
                                        ; implicit-def: $vgpr16
                                        ; implicit-def: $vgpr17
                                        ; implicit-def: $vgpr9
                                        ; implicit-def: $vgpr10
                                        ; implicit-def: $vgpr11
                                        ; implicit-def: $vgpr18
                                        ; implicit-def: $vgpr8
                                        ; implicit-def: $vgpr1
	s_andn2_b64 vcc, exec, s[8:9]
	s_add_i32 s33, s33, s52
	s_cbranch_vccnz .LBB867_38
.LBB867_7:
	v_cmp_gt_u32_e32 vcc, s33, v0
                                        ; implicit-def: $vgpr1
	s_and_saveexec_b64 s[8:9], vcc
	s_cbranch_execz .LBB867_9
; %bb.8:
	v_lshlrev_b32_e32 v1, 1, v0
	v_readfirstlane_b32 s10, v6
	v_readfirstlane_b32 s11, v7
	s_nop 4
	global_load_ushort v1, v1, s[10:11]
.LBB867_9:
	s_or_b64 exec, exec, s[8:9]
	v_or_b32_e32 v2, 0x100, v0
	v_cmp_gt_u32_e32 vcc, s33, v2
                                        ; implicit-def: $vgpr2
	s_and_saveexec_b64 s[8:9], vcc
	s_cbranch_execz .LBB867_11
; %bb.10:
	v_lshlrev_b32_e32 v2, 1, v0
	v_readfirstlane_b32 s10, v6
	v_readfirstlane_b32 s11, v7
	s_nop 4
	global_load_ushort v2, v2, s[10:11] offset:512
.LBB867_11:
	s_or_b64 exec, exec, s[8:9]
	v_or_b32_e32 v3, 0x200, v0
	v_cmp_gt_u32_e32 vcc, s33, v3
                                        ; implicit-def: $vgpr3
	s_and_saveexec_b64 s[8:9], vcc
	s_cbranch_execz .LBB867_13
; %bb.12:
	v_lshlrev_b32_e32 v3, 1, v0
	v_readfirstlane_b32 s10, v6
	v_readfirstlane_b32 s11, v7
	s_nop 4
	global_load_ushort v3, v3, s[10:11] offset:1024
.LBB867_13:
	s_or_b64 exec, exec, s[8:9]
	v_or_b32_e32 v4, 0x300, v0
	v_cmp_gt_u32_e32 vcc, s33, v4
                                        ; implicit-def: $vgpr4
	s_and_saveexec_b64 s[8:9], vcc
	s_cbranch_execz .LBB867_15
; %bb.14:
	v_lshlrev_b32_e32 v4, 1, v0
	v_readfirstlane_b32 s10, v6
	v_readfirstlane_b32 s11, v7
	s_nop 4
	global_load_ushort v4, v4, s[10:11] offset:1536
.LBB867_15:
	s_or_b64 exec, exec, s[8:9]
	v_or_b32_e32 v5, 0x400, v0
	v_cmp_gt_u32_e32 vcc, s33, v5
                                        ; implicit-def: $vgpr5
	s_and_saveexec_b64 s[8:9], vcc
	s_cbranch_execz .LBB867_17
; %bb.16:
	v_lshlrev_b32_e32 v5, 1, v0
	v_readfirstlane_b32 s10, v6
	v_readfirstlane_b32 s11, v7
	s_nop 4
	global_load_ushort v5, v5, s[10:11] offset:2048
.LBB867_17:
	s_or_b64 exec, exec, s[8:9]
	v_or_b32_e32 v8, 0x500, v0
	v_cmp_gt_u32_e32 vcc, s33, v8
                                        ; implicit-def: $vgpr8
	s_and_saveexec_b64 s[8:9], vcc
	s_cbranch_execz .LBB867_19
; %bb.18:
	v_lshlrev_b32_e32 v8, 1, v0
	v_readfirstlane_b32 s10, v6
	v_readfirstlane_b32 s11, v7
	s_nop 4
	global_load_ushort v8, v8, s[10:11] offset:2560
.LBB867_19:
	s_or_b64 exec, exec, s[8:9]
	v_or_b32_e32 v9, 0x600, v0
	v_cmp_gt_u32_e32 vcc, s33, v9
                                        ; implicit-def: $vgpr9
	s_and_saveexec_b64 s[8:9], vcc
	s_cbranch_execz .LBB867_21
; %bb.20:
	v_lshlrev_b32_e32 v9, 1, v0
	v_readfirstlane_b32 s10, v6
	v_readfirstlane_b32 s11, v7
	s_nop 4
	global_load_ushort v9, v9, s[10:11] offset:3072
.LBB867_21:
	s_or_b64 exec, exec, s[8:9]
	v_or_b32_e32 v10, 0x700, v0
	v_cmp_gt_u32_e32 vcc, s33, v10
                                        ; implicit-def: $vgpr10
	s_and_saveexec_b64 s[8:9], vcc
	s_cbranch_execz .LBB867_23
; %bb.22:
	v_lshlrev_b32_e32 v10, 1, v0
	v_readfirstlane_b32 s10, v6
	v_readfirstlane_b32 s11, v7
	s_nop 4
	global_load_ushort v10, v10, s[10:11] offset:3584
.LBB867_23:
	s_or_b64 exec, exec, s[8:9]
	v_or_b32_e32 v12, 0x800, v0
	v_cmp_gt_u32_e32 vcc, s33, v12
                                        ; implicit-def: $vgpr11
	s_and_saveexec_b64 s[8:9], vcc
	s_cbranch_execz .LBB867_25
; %bb.24:
	v_lshlrev_b32_e32 v11, 1, v12
	v_readfirstlane_b32 s10, v6
	v_readfirstlane_b32 s11, v7
	s_nop 4
	global_load_ushort v11, v11, s[10:11]
.LBB867_25:
	s_or_b64 exec, exec, s[8:9]
	v_or_b32_e32 v13, 0x900, v0
	v_cmp_gt_u32_e32 vcc, s33, v13
                                        ; implicit-def: $vgpr12
	s_and_saveexec_b64 s[8:9], vcc
	s_cbranch_execz .LBB867_27
; %bb.26:
	v_lshlrev_b32_e32 v12, 1, v13
	v_readfirstlane_b32 s10, v6
	v_readfirstlane_b32 s11, v7
	s_nop 4
	global_load_ushort v12, v12, s[10:11]
.LBB867_27:
	s_or_b64 exec, exec, s[8:9]
	v_or_b32_e32 v14, 0xa00, v0
	v_cmp_gt_u32_e32 vcc, s33, v14
                                        ; implicit-def: $vgpr13
	s_and_saveexec_b64 s[8:9], vcc
	s_cbranch_execz .LBB867_29
; %bb.28:
	v_lshlrev_b32_e32 v13, 1, v14
	v_readfirstlane_b32 s10, v6
	v_readfirstlane_b32 s11, v7
	s_nop 4
	global_load_ushort v13, v13, s[10:11]
.LBB867_29:
	s_or_b64 exec, exec, s[8:9]
	v_or_b32_e32 v15, 0xb00, v0
	v_cmp_gt_u32_e32 vcc, s33, v15
                                        ; implicit-def: $vgpr14
	s_and_saveexec_b64 s[8:9], vcc
	s_cbranch_execz .LBB867_31
; %bb.30:
	v_lshlrev_b32_e32 v14, 1, v15
	v_readfirstlane_b32 s10, v6
	v_readfirstlane_b32 s11, v7
	s_nop 4
	global_load_ushort v14, v14, s[10:11]
.LBB867_31:
	s_or_b64 exec, exec, s[8:9]
	v_or_b32_e32 v16, 0xc00, v0
	v_cmp_gt_u32_e32 vcc, s33, v16
                                        ; implicit-def: $vgpr15
	s_and_saveexec_b64 s[8:9], vcc
	s_cbranch_execz .LBB867_33
; %bb.32:
	v_lshlrev_b32_e32 v15, 1, v16
	v_readfirstlane_b32 s10, v6
	v_readfirstlane_b32 s11, v7
	s_nop 4
	global_load_ushort v15, v15, s[10:11]
.LBB867_33:
	s_or_b64 exec, exec, s[8:9]
	v_or_b32_e32 v17, 0xd00, v0
	v_cmp_gt_u32_e32 vcc, s33, v17
                                        ; implicit-def: $vgpr16
	s_and_saveexec_b64 s[8:9], vcc
	s_cbranch_execz .LBB867_35
; %bb.34:
	v_lshlrev_b32_e32 v16, 1, v17
	v_readfirstlane_b32 s10, v6
	v_readfirstlane_b32 s11, v7
	s_nop 4
	global_load_ushort v16, v16, s[10:11]
.LBB867_35:
	s_or_b64 exec, exec, s[8:9]
	v_or_b32_e32 v18, 0xe00, v0
	v_cmp_gt_u32_e32 vcc, s33, v18
                                        ; implicit-def: $vgpr17
	s_and_saveexec_b64 s[8:9], vcc
	s_cbranch_execz .LBB867_37
; %bb.36:
	v_lshlrev_b32_e32 v17, 1, v18
	v_readfirstlane_b32 s10, v6
	v_readfirstlane_b32 s11, v7
	s_nop 4
	global_load_ushort v17, v17, s[10:11]
.LBB867_37:
	s_or_b64 exec, exec, s[8:9]
	v_lshlrev_b32_e32 v18, 1, v0
	v_mad_u32_u24 v19, v0, 28, v18
	s_waitcnt vmcnt(0)
	ds_write_b16 v18, v1
	ds_write_b16 v18, v2 offset:512
	ds_write_b16 v18, v3 offset:1024
	;; [unrolled: 1-line block ×14, first 2 shown]
	s_waitcnt lgkmcnt(0)
	s_barrier
	ds_read_b128 v[2:5], v19
	ds_read_b96 v[12:14], v19 offset:16
	ds_read_u16 v1, v19 offset:28
	s_movk_i32 s8, 0xffe6
	v_mul_u32_u24_e32 v8, 15, v0
	v_mad_u32_u24 v18, v0, 15, 2
	v_mad_u32_u24 v11, v0, 15, 4
	v_mad_u32_u24 v10, v0, 15, 6
	v_mad_u32_u24 v9, v0, 15, 8
	v_mad_u32_u24 v17, v0, 15, 10
	v_mad_u32_u24 v16, v0, 15, 12
	v_mad_u32_u24 v15, v0, 15, 14
	v_mad_i32_i24 v19, v0, s8, v19
	v_mov_b32_e32 v20, s12
	s_waitcnt lgkmcnt(0)
	s_barrier
	ds_write2st64_b32 v19, v20, v20 offset1:4
	ds_write2st64_b32 v19, v20, v20 offset0:8 offset1:12
	ds_write2st64_b32 v19, v20, v20 offset0:16 offset1:20
	ds_write2st64_b32 v19, v20, v20 offset0:24 offset1:28
	ds_write2st64_b32 v19, v20, v20 offset0:32 offset1:36
	ds_write2st64_b32 v19, v20, v20 offset0:40 offset1:44
	ds_write2st64_b32 v19, v20, v20 offset0:48 offset1:52
	ds_write_b32 v19, v20 offset:14336
	s_waitcnt lgkmcnt(0)
	s_barrier
.LBB867_38:
	v_lshlrev_b32_e32 v8, 2, v8
	v_lshlrev_b32_e32 v26, 2, v18
	ds_read2_b32 v[22:23], v8 offset0:3 offset1:5
	ds_read2_b32 v[20:21], v8 offset0:7 offset1:9
	;; [unrolled: 1-line block ×3, first 2 shown]
	v_lshlrev_b32_e32 v11, 2, v11
	v_lshlrev_b32_e32 v10, 2, v10
	;; [unrolled: 1-line block ×6, first 2 shown]
	ds_read2_b32 v[24:25], v8 offset1:1
	ds_read_b32 v75, v26
	ds_read_b32 v74, v11
	;; [unrolled: 1-line block ×7, first 2 shown]
	s_cmp_eq_u64 s[4:5], 0
	s_cselect_b64 s[46:47], -1, 0
	s_cmp_lg_u64 s[4:5], 0
	s_mov_b64 s[8:9], 0
	s_cselect_b64 s[10:11], -1, 0
	s_and_b64 vcc, exec, s[6:7]
	s_waitcnt lgkmcnt(0)
	s_barrier
	s_cbranch_vccz .LBB867_44
; %bb.39:
	s_and_b64 vcc, exec, s[10:11]
	s_cbranch_vccz .LBB867_45
; %bb.40:
	global_load_ushort v8, v[6:7], off offset:-2
	v_lshlrev_b32_e32 v9, 1, v0
	ds_write_b16 v9, v1
	s_waitcnt lgkmcnt(0)
	s_barrier
	s_and_saveexec_b64 s[6:7], s[2:3]
	s_cbranch_execz .LBB867_42
; %bb.41:
	s_waitcnt vmcnt(0)
	v_add_u32_e32 v8, -2, v9
	ds_read_u16 v8, v8
.LBB867_42:
	s_or_b64 exec, exec, s[6:7]
	v_and_b32_e32 v32, 0xffff0000, v2
	v_lshlrev_b32_e32 v33, 16, v2
	v_lshlrev_b32_e32 v34, 16, v3
	v_cmp_neq_f32_e32 vcc, v32, v33
	v_and_b32_e32 v31, 0xffff0000, v3
	v_cndmask_b32_e64 v67, 0, 1, vcc
	v_cmp_neq_f32_e32 vcc, v32, v34
	v_lshlrev_b32_e32 v29, 16, v4
	v_cndmask_b32_e64 v68, 0, 1, vcc
	v_cmp_neq_f32_e32 vcc, v34, v31
	v_and_b32_e32 v28, 0xffff0000, v4
	v_cndmask_b32_e64 v66, 0, 1, vcc
	v_cmp_neq_f32_e32 vcc, v29, v31
	v_lshlrev_b32_e32 v30, 16, v5
	v_cndmask_b32_e64 v63, 0, 1, vcc
	;; [unrolled: 6-line block ×6, first 2 shown]
	v_cmp_neq_f32_e32 vcc, v9, v10
	v_cndmask_b32_e64 v58, 0, 1, vcc
	v_cmp_neq_f32_e32 vcc, v9, v11
	s_waitcnt vmcnt(0) lgkmcnt(0)
	v_lshlrev_b32_e32 v8, 16, v8
	v_cndmask_b32_e64 v59, 0, 1, vcc
	v_cmp_neq_f32_e64 s[6:7], v33, v8
	s_mov_b64 s[8:9], -1
.LBB867_43:
                                        ; implicit-def: $sgpr14
	s_branch .LBB867_57
.LBB867_44:
                                        ; implicit-def: $sgpr6_sgpr7
                                        ; implicit-def: $vgpr59
                                        ; implicit-def: $vgpr58
                                        ; implicit-def: $vgpr15
                                        ; implicit-def: $vgpr61
                                        ; implicit-def: $vgpr62
                                        ; implicit-def: $vgpr56
                                        ; implicit-def: $vgpr57
                                        ; implicit-def: $vgpr64
                                        ; implicit-def: $vgpr65
                                        ; implicit-def: $vgpr60
                                        ; implicit-def: $vgpr63
                                        ; implicit-def: $vgpr66
                                        ; implicit-def: $vgpr68
                                        ; implicit-def: $vgpr67
                                        ; implicit-def: $sgpr14
	s_cbranch_execnz .LBB867_49
	s_branch .LBB867_57
.LBB867_45:
                                        ; implicit-def: $sgpr6_sgpr7
                                        ; implicit-def: $vgpr59
                                        ; implicit-def: $vgpr58
                                        ; implicit-def: $vgpr15
                                        ; implicit-def: $vgpr61
                                        ; implicit-def: $vgpr62
                                        ; implicit-def: $vgpr56
                                        ; implicit-def: $vgpr57
                                        ; implicit-def: $vgpr64
                                        ; implicit-def: $vgpr65
                                        ; implicit-def: $vgpr60
                                        ; implicit-def: $vgpr63
                                        ; implicit-def: $vgpr66
                                        ; implicit-def: $vgpr68
                                        ; implicit-def: $vgpr67
	s_cbranch_execz .LBB867_43
; %bb.46:
	v_and_b32_e32 v33, 0xffff0000, v2
	v_lshlrev_b32_e32 v9, 16, v2
	v_lshlrev_b32_e32 v34, 16, v3
	v_cmp_neq_f32_e32 vcc, v33, v9
	v_and_b32_e32 v32, 0xffff0000, v3
	v_cndmask_b32_e64 v67, 0, 1, vcc
	v_cmp_neq_f32_e32 vcc, v33, v34
	v_lshlrev_b32_e32 v30, 16, v4
	v_cndmask_b32_e64 v68, 0, 1, vcc
	v_cmp_neq_f32_e32 vcc, v34, v32
	v_and_b32_e32 v29, 0xffff0000, v4
	v_cndmask_b32_e64 v66, 0, 1, vcc
	v_cmp_neq_f32_e32 vcc, v30, v32
	v_lshlrev_b32_e32 v31, 16, v5
	v_cndmask_b32_e64 v63, 0, 1, vcc
	v_cmp_neq_f32_e32 vcc, v29, v30
	v_and_b32_e32 v28, 0xffff0000, v5
	v_cndmask_b32_e64 v60, 0, 1, vcc
	v_cmp_neq_f32_e32 vcc, v29, v31
	v_lshlrev_b32_e32 v26, 16, v12
	v_cndmask_b32_e64 v65, 0, 1, vcc
	v_cmp_neq_f32_e32 vcc, v31, v28
	v_and_b32_e32 v17, 0xffff0000, v12
	v_cndmask_b32_e64 v64, 0, 1, vcc
	v_cmp_neq_f32_e32 vcc, v26, v28
	v_lshlrev_b32_e32 v27, 16, v13
	v_cndmask_b32_e64 v57, 0, 1, vcc
	v_cmp_neq_f32_e32 vcc, v17, v26
	v_and_b32_e32 v15, 0xffff0000, v13
	v_cndmask_b32_e64 v56, 0, 1, vcc
	v_cmp_neq_f32_e32 vcc, v17, v27
	v_lshlrev_b32_e32 v11, 16, v14
	v_cndmask_b32_e64 v62, 0, 1, vcc
	v_cmp_neq_f32_e32 vcc, v27, v15
	v_and_b32_e32 v10, 0xffff0000, v14
	v_cndmask_b32_e64 v61, 0, 1, vcc
	v_cmp_neq_f32_e32 vcc, v11, v15
	v_lshlrev_b32_e32 v16, 16, v1
	v_cndmask_b32_e64 v15, 0, 1, vcc
	v_cmp_neq_f32_e32 vcc, v10, v11
	v_cndmask_b32_e64 v58, 0, 1, vcc
	v_cmp_neq_f32_e32 vcc, v10, v16
	s_mov_b32 s14, 1
	v_lshlrev_b32_e32 v8, 1, v0
	v_cndmask_b32_e64 v59, 0, 1, vcc
	ds_write_b16 v8, v1
	s_waitcnt lgkmcnt(0)
	s_barrier
	s_waitcnt lgkmcnt(0)
                                        ; implicit-def: $sgpr6_sgpr7
	s_and_saveexec_b64 s[12:13], s[2:3]
	s_xor_b64 s[12:13], exec, s[12:13]
	s_cbranch_execz .LBB867_48
; %bb.47:
	v_add_u32_e32 v8, -2, v8
	ds_read_u16 v8, v8
	s_or_b64 s[8:9], s[8:9], exec
	s_waitcnt lgkmcnt(0)
	v_lshlrev_b32_e32 v8, 16, v8
	v_cmp_neq_f32_e32 vcc, v9, v8
	s_and_b64 s[6:7], vcc, exec
.LBB867_48:
	s_or_b64 exec, exec, s[12:13]
	s_branch .LBB867_57
.LBB867_49:
	s_mul_hi_u32 s6, s4, 0xfffff100
	s_mulk_i32 s5, 0xf100
	s_sub_i32 s6, s6, s4
	s_add_i32 s6, s6, s5
	s_mulk_i32 s4, 0xf100
	s_add_u32 s52, s4, s52
	s_addc_u32 s53, s6, s53
	s_and_b64 vcc, exec, s[10:11]
	s_cbranch_vccz .LBB867_54
; %bb.50:
	global_load_ushort v8, v[6:7], off offset:-2
	v_lshlrev_b32_e32 v7, 1, v0
	v_mul_u32_u24_e32 v6, 15, v0
	ds_write_b16 v7, v1
	s_waitcnt lgkmcnt(0)
	s_barrier
	s_and_saveexec_b64 s[4:5], s[2:3]
	s_cbranch_execz .LBB867_52
; %bb.51:
	v_add_u32_e32 v7, -2, v7
	s_waitcnt vmcnt(0)
	ds_read_u16 v8, v7
.LBB867_52:
	s_or_b64 exec, exec, s[4:5]
	s_mov_b32 s4, 0xe000d
	v_pk_add_u16 v9, v6, s4 op_sel_hi:[0,1]
	v_mov_b32_e32 v17, 0
	v_alignbit_b32 v10, 0, v9, 16
	v_and_b32_e32 v16, 0xffff, v9
	v_mov_b32_e32 v11, v17
	v_cmp_gt_u64_e32 vcc, s[52:53], v[16:17]
	v_cmp_gt_u64_e64 s[4:5], s[52:53], v[10:11]
	v_lshlrev_b32_e32 v10, 16, v14
	v_add_u32_e32 v16, 12, v6
	v_and_b32_e32 v26, 0xffff0000, v13
	v_cmp_gt_u64_e64 s[10:11], s[52:53], v[16:17]
	v_cmp_neq_f32_e64 s[12:13], v26, v10
	s_and_b64 s[10:11], s[10:11], s[12:13]
	v_cndmask_b32_e64 v15, 0, 1, s[10:11]
	s_mov_b32 s10, 0xb000a
	v_and_b32_e32 v7, 0xffff0000, v14
	v_lshlrev_b32_e32 v9, 16, v1
	v_pk_add_u16 v11, v6, s10 op_sel_hi:[0,1]
	v_cmp_neq_f32_e64 s[8:9], v7, v10
	v_cmp_neq_f32_e64 s[6:7], v7, v9
	v_lshlrev_b32_e32 v7, 16, v13
	v_and_b32_e32 v9, 0xffff0000, v12
	v_and_b32_e32 v16, 0xffff, v11
	v_cmp_gt_u64_e64 s[10:11], s[52:53], v[16:17]
	v_cmp_neq_f32_e64 s[14:15], v7, v9
	v_cmp_neq_f32_e64 s[16:17], v7, v26
	v_add_u32_e32 v16, 9, v6
	v_lshlrev_b32_e32 v7, 16, v12
	v_cmp_gt_u64_e64 s[18:19], s[52:53], v[16:17]
	v_cmp_neq_f32_e64 s[20:21], v9, v7
	s_and_b64 s[18:19], s[18:19], s[20:21]
	v_add_u32_e32 v16, 8, v6
	v_and_b32_e32 v27, 0xffff0000, v5
	v_cndmask_b32_e64 v56, 0, 1, s[18:19]
	v_cmp_gt_u64_e64 s[18:19], s[52:53], v[16:17]
	v_cmp_neq_f32_e64 s[20:21], v27, v7
	s_and_b64 s[18:19], s[18:19], s[20:21]
	v_cndmask_b32_e64 v57, 0, 1, s[18:19]
	s_mov_b32 s18, 0x70006
	v_pk_add_u16 v7, v6, s18 op_sel_hi:[0,1]
	v_alignbit_b32 v10, 0, v11, 16
	v_mov_b32_e32 v11, v17
	v_and_b32_e32 v16, 0xffff, v7
	v_cmp_gt_u64_e64 s[12:13], s[52:53], v[10:11]
	v_and_b32_e32 v26, 0xffff0000, v4
	v_alignbit_b32 v10, 0, v7, 16
	v_cmp_gt_u64_e64 s[18:19], s[52:53], v[16:17]
	v_add_u32_e32 v16, 5, v6
	v_lshlrev_b32_e32 v7, 16, v4
	v_lshlrev_b32_e32 v9, 16, v5
	v_cmp_gt_u64_e64 s[26:27], s[52:53], v[16:17]
	v_cmp_neq_f32_e64 s[28:29], v26, v7
	v_cmp_neq_f32_e64 s[24:25], v9, v27
	s_and_b64 s[26:27], s[26:27], s[28:29]
	v_add_u32_e32 v16, 4, v6
	v_and_b32_e32 v27, 0xffff0000, v3
	v_cndmask_b32_e64 v60, 0, 1, s[26:27]
	v_cmp_gt_u64_e64 s[26:27], s[52:53], v[16:17]
	v_cmp_neq_f32_e64 s[28:29], v27, v7
	s_and_b64 s[26:27], s[26:27], s[28:29]
	v_cndmask_b32_e64 v63, 0, 1, s[26:27]
	s_mov_b32 s26, 0x30002
	v_pk_add_u16 v7, v6, s26 op_sel_hi:[0,1]
	v_cmp_neq_f32_e64 s[22:23], v9, v26
	v_lshlrev_b32_e32 v9, 16, v3
	v_and_b32_e32 v26, 0xffff0000, v2
	v_and_b32_e32 v16, 0xffff, v7
	v_cmp_gt_u64_e64 s[20:21], s[52:53], v[10:11]
	v_alignbit_b32 v10, 0, v7, 16
	v_cmp_gt_u64_e64 s[26:27], s[52:53], v[16:17]
	v_cmp_neq_f32_e64 s[30:31], v9, v26
	v_cmp_neq_f32_e64 s[34:35], v9, v27
	v_add_u32_e32 v16, 1, v6
	v_lshlrev_b32_e32 v9, 16, v2
	v_mov_b32_e32 v7, v17
	v_cmp_gt_u64_e64 s[28:29], s[52:53], v[10:11]
	v_cmp_gt_u64_e64 s[36:37], s[52:53], v[16:17]
	v_cmp_neq_f32_e64 s[38:39], v26, v9
	s_and_b64 s[26:27], s[26:27], s[30:31]
	s_and_b64 s[18:19], s[18:19], s[22:23]
	s_and_b64 s[10:11], s[10:11], s[14:15]
	s_and_b64 s[8:9], vcc, s[8:9]
	s_and_b64 s[4:5], s[4:5], s[6:7]
	v_cmp_gt_u64_e32 vcc, s[52:53], v[6:7]
	s_waitcnt vmcnt(0) lgkmcnt(0)
	v_lshlrev_b32_e32 v6, 16, v8
	s_and_b64 s[36:37], s[36:37], s[38:39]
	v_cndmask_b32_e64 v68, 0, 1, s[26:27]
	s_and_b64 s[26:27], s[28:29], s[34:35]
	v_cndmask_b32_e64 v65, 0, 1, s[18:19]
	;; [unrolled: 2-line block ×4, first 2 shown]
	v_cmp_neq_f32_e64 s[4:5], v6, v9
	v_cndmask_b32_e64 v67, 0, 1, s[36:37]
	v_cndmask_b32_e64 v66, 0, 1, s[26:27]
	;; [unrolled: 1-line block ×5, first 2 shown]
	s_and_b64 s[6:7], vcc, s[4:5]
	s_mov_b64 s[8:9], -1
.LBB867_53:
                                        ; implicit-def: $sgpr14
	v_mov_b32_e32 v69, s14
	s_and_saveexec_b64 s[2:3], s[8:9]
	s_cbranch_execnz .LBB867_58
	s_branch .LBB867_59
.LBB867_54:
                                        ; implicit-def: $sgpr6_sgpr7
                                        ; implicit-def: $vgpr59
                                        ; implicit-def: $vgpr58
                                        ; implicit-def: $vgpr15
                                        ; implicit-def: $vgpr61
                                        ; implicit-def: $vgpr62
                                        ; implicit-def: $vgpr56
                                        ; implicit-def: $vgpr57
                                        ; implicit-def: $vgpr64
                                        ; implicit-def: $vgpr65
                                        ; implicit-def: $vgpr60
                                        ; implicit-def: $vgpr63
                                        ; implicit-def: $vgpr66
                                        ; implicit-def: $vgpr68
                                        ; implicit-def: $vgpr67
	s_cbranch_execz .LBB867_53
; %bb.55:
	v_mad_u32_u24 v6, v0, 15, 14
	v_mov_b32_e32 v7, 0
	v_cmp_gt_u64_e32 vcc, s[52:53], v[6:7]
	v_mad_u32_u24 v6, v0, 15, 13
	v_lshlrev_b32_e32 v9, 16, v1
	v_cmp_gt_u64_e64 s[4:5], s[52:53], v[6:7]
	v_and_b32_e32 v6, 0xffff0000, v14
	v_lshlrev_b32_e32 v10, 16, v14
	v_cmp_neq_f32_e64 s[6:7], v6, v9
	s_and_b64 s[6:7], vcc, s[6:7]
	v_cmp_neq_f32_e32 vcc, v10, v6
	v_mad_u32_u24 v6, v0, 15, 12
	s_and_b64 s[4:5], s[4:5], vcc
	v_cmp_gt_u64_e32 vcc, s[52:53], v[6:7]
	v_mad_u32_u24 v6, v0, 15, 11
	v_cndmask_b32_e64 v58, 0, 1, s[4:5]
	v_cmp_gt_u64_e64 s[4:5], s[52:53], v[6:7]
	v_and_b32_e32 v6, 0xffff0000, v13
	v_cndmask_b32_e64 v59, 0, 1, s[6:7]
	v_lshlrev_b32_e32 v9, 16, v13
	v_cmp_neq_f32_e64 s[6:7], v6, v10
	s_and_b64 s[6:7], vcc, s[6:7]
	v_cmp_neq_f32_e32 vcc, v9, v6
	v_mad_u32_u24 v6, v0, 15, 10
	s_and_b64 s[4:5], s[4:5], vcc
	v_cmp_gt_u64_e32 vcc, s[52:53], v[6:7]
	v_mad_u32_u24 v6, v0, 15, 9
	v_cndmask_b32_e64 v61, 0, 1, s[4:5]
	v_cmp_gt_u64_e64 s[4:5], s[52:53], v[6:7]
	v_and_b32_e32 v6, 0xffff0000, v12
	v_cndmask_b32_e64 v15, 0, 1, s[6:7]
	;; [unrolled: 12-line block ×6, first 2 shown]
	v_lshlrev_b32_e32 v9, 16, v2
	v_cmp_neq_f32_e64 s[6:7], v6, v11
	s_and_b64 s[6:7], vcc, s[6:7]
	v_cmp_neq_f32_e32 vcc, v9, v6
	s_and_b64 s[4:5], s[4:5], vcc
	s_mov_b32 s14, 1
	v_lshlrev_b32_e32 v8, 1, v0
	v_cndmask_b32_e64 v68, 0, 1, s[6:7]
	v_cndmask_b32_e64 v67, 0, 1, s[4:5]
	ds_write_b16 v8, v1
	s_waitcnt lgkmcnt(0)
	s_barrier
	s_waitcnt lgkmcnt(0)
                                        ; implicit-def: $sgpr6_sgpr7
	s_and_saveexec_b64 s[4:5], s[2:3]
	s_cbranch_execz .LBB867_154
; %bb.56:
	v_add_u32_e32 v6, -2, v8
	ds_read_u16 v8, v6
	v_mul_u32_u24_e32 v6, 15, v0
	v_cmp_gt_u64_e32 vcc, s[52:53], v[6:7]
	s_or_b64 s[8:9], s[8:9], exec
	s_waitcnt lgkmcnt(0)
	v_lshlrev_b32_e32 v6, 16, v8
	v_cmp_neq_f32_e64 s[2:3], v9, v6
	s_and_b64 s[2:3], vcc, s[2:3]
	s_and_b64 s[6:7], s[2:3], exec
	s_or_b64 exec, exec, s[4:5]
.LBB867_57:
	v_mov_b32_e32 v69, s14
	s_and_saveexec_b64 s[2:3], s[8:9]
.LBB867_58:
	v_cndmask_b32_e64 v69, 0, 1, s[6:7]
.LBB867_59:
	s_or_b64 exec, exec, s[2:3]
	s_cmp_eq_u64 s[42:43], 0
	v_add3_u32 v6, v67, v69, v68
	s_cselect_b64 s[34:35], -1, 0
	s_cmp_lg_u32 s60, 0
	v_cmp_eq_u32_e64 s[26:27], 0, v67
	v_cmp_eq_u32_e64 s[24:25], 0, v68
	;; [unrolled: 1-line block ×3, first 2 shown]
	v_add3_u32 v80, v6, v66, v63
	v_cmp_eq_u32_e64 s[20:21], 0, v63
	v_cmp_eq_u32_e64 s[18:19], 0, v60
	v_cmp_eq_u32_e64 s[16:17], 0, v65
	v_cmp_eq_u32_e64 s[14:15], 0, v64
	v_cmp_eq_u32_e64 s[12:13], 0, v57
	v_cmp_eq_u32_e64 s[10:11], 0, v56
	v_cmp_eq_u32_e64 s[8:9], 0, v62
	v_cmp_eq_u32_e64 s[6:7], 0, v61
	v_cmp_eq_u32_e64 s[4:5], 0, v15
	v_cmp_eq_u32_e64 s[2:3], 0, v58
	v_cmp_eq_u32_e32 vcc, 0, v59
	v_mbcnt_lo_u32_b32 v79, -1, 0
	v_lshrrev_b32_e32 v77, 6, v0
	v_or_b32_e32 v78, 63, v0
	s_cbranch_scc0 .LBB867_90
; %bb.60:
	v_cndmask_b32_e64 v6, 0, v24, s[26:27]
	v_add_u32_e32 v6, v6, v25
	v_cndmask_b32_e64 v6, 0, v6, s[24:25]
	v_add_u32_e32 v6, v6, v75
	;; [unrolled: 2-line block ×11, first 2 shown]
	v_cndmask_b32_e64 v6, 0, v6, s[4:5]
	v_add3_u32 v7, v80, v60, v65
	v_add_u32_e32 v6, v6, v70
	v_add3_u32 v7, v7, v64, v57
	v_cndmask_b32_e64 v6, 0, v6, s[2:3]
	v_add3_u32 v7, v7, v56, v62
	v_add_u32_e32 v6, v6, v19
	v_add3_u32 v7, v7, v61, v15
	v_cndmask_b32_e32 v6, 0, v6, vcc
	v_add3_u32 v7, v7, v58, v59
	v_add_u32_e32 v6, v6, v76
	v_mbcnt_hi_u32_b32 v27, -1, v79
	v_and_b32_e32 v8, 15, v27
	v_mov_b32_dpp v10, v6 row_shr:1 row_mask:0xf bank_mask:0xf
	v_cmp_eq_u32_e32 vcc, 0, v7
	v_mov_b32_dpp v9, v7 row_shr:1 row_mask:0xf bank_mask:0xf
	v_cndmask_b32_e32 v10, 0, v10, vcc
	v_cmp_eq_u32_e32 vcc, 0, v8
	v_cndmask_b32_e64 v9, v9, 0, vcc
	v_add_u32_e32 v7, v9, v7
	v_cndmask_b32_e64 v9, v10, 0, vcc
	v_add_u32_e32 v6, v9, v6
	v_cmp_eq_u32_e32 vcc, 0, v7
	v_mov_b32_dpp v9, v7 row_shr:2 row_mask:0xf bank_mask:0xf
	v_cmp_lt_u32_e64 s[28:29], 1, v8
	v_mov_b32_dpp v10, v6 row_shr:2 row_mask:0xf bank_mask:0xf
	v_cndmask_b32_e64 v9, 0, v9, s[28:29]
	s_and_b64 vcc, s[28:29], vcc
	v_cndmask_b32_e32 v10, 0, v10, vcc
	v_add_u32_e32 v7, v7, v9
	v_add_u32_e32 v6, v10, v6
	v_cmp_eq_u32_e32 vcc, 0, v7
	v_mov_b32_dpp v9, v7 row_shr:4 row_mask:0xf bank_mask:0xf
	v_cmp_lt_u32_e64 s[28:29], 3, v8
	v_mov_b32_dpp v10, v6 row_shr:4 row_mask:0xf bank_mask:0xf
	v_cndmask_b32_e64 v9, 0, v9, s[28:29]
	s_and_b64 vcc, s[28:29], vcc
	v_cndmask_b32_e32 v10, 0, v10, vcc
	v_add_u32_e32 v7, v9, v7
	v_add_u32_e32 v6, v6, v10
	v_cmp_eq_u32_e32 vcc, 0, v7
	v_cmp_lt_u32_e64 s[28:29], 7, v8
	v_mov_b32_dpp v9, v7 row_shr:8 row_mask:0xf bank_mask:0xf
	v_mov_b32_dpp v10, v6 row_shr:8 row_mask:0xf bank_mask:0xf
	s_and_b64 vcc, s[28:29], vcc
	v_cndmask_b32_e64 v8, 0, v9, s[28:29]
	v_cndmask_b32_e32 v9, 0, v10, vcc
	v_add_u32_e32 v6, v9, v6
	v_add_u32_e32 v7, v8, v7
	v_bfe_i32 v10, v27, 4, 1
	v_mov_b32_dpp v9, v6 row_bcast:15 row_mask:0xf bank_mask:0xf
	v_mov_b32_dpp v8, v7 row_bcast:15 row_mask:0xf bank_mask:0xf
	v_cmp_eq_u32_e32 vcc, 0, v7
	v_cndmask_b32_e32 v9, 0, v9, vcc
	v_and_b32_e32 v8, v10, v8
	v_add_u32_e32 v7, v8, v7
	v_and_b32_e32 v8, v10, v9
	v_add_u32_e32 v8, v8, v6
	v_mov_b32_dpp v6, v7 row_bcast:31 row_mask:0xf bank_mask:0xf
	v_cmp_eq_u32_e32 vcc, 0, v7
	v_cmp_lt_u32_e64 s[28:29], 31, v27
	v_mov_b32_dpp v9, v8 row_bcast:31 row_mask:0xf bank_mask:0xf
	v_cndmask_b32_e64 v6, 0, v6, s[28:29]
	s_and_b64 vcc, s[28:29], vcc
	v_add_u32_e32 v6, v6, v7
	v_cndmask_b32_e32 v7, 0, v9, vcc
	v_add_u32_e32 v7, v7, v8
	v_cmp_eq_u32_e32 vcc, v78, v0
	v_lshlrev_b32_e32 v8, 3, v77
	s_and_saveexec_b64 s[28:29], vcc
	s_cbranch_execz .LBB867_62
; %bb.61:
	ds_write_b64 v8, v[6:7] offset:1040
.LBB867_62:
	s_or_b64 exec, exec, s[28:29]
	v_cmp_gt_u32_e32 vcc, 4, v0
	s_waitcnt lgkmcnt(0)
	s_barrier
	s_and_saveexec_b64 s[30:31], vcc
	s_cbranch_execz .LBB867_64
; %bb.63:
	v_lshlrev_b32_e32 v9, 3, v0
	ds_read_b64 v[10:11], v9 offset:1040
	v_and_b32_e32 v16, 3, v27
	v_cmp_lt_u32_e64 s[28:29], 1, v16
	s_waitcnt lgkmcnt(0)
	v_mov_b32_dpp v26, v11 row_shr:1 row_mask:0xf bank_mask:0xf
	v_cmp_eq_u32_e32 vcc, 0, v10
	v_mov_b32_dpp v17, v10 row_shr:1 row_mask:0xf bank_mask:0xf
	v_cndmask_b32_e32 v26, 0, v26, vcc
	v_cmp_eq_u32_e32 vcc, 0, v16
	v_cndmask_b32_e64 v17, v17, 0, vcc
	v_add_u32_e32 v10, v17, v10
	v_cndmask_b32_e64 v17, v26, 0, vcc
	v_add_u32_e32 v11, v17, v11
	v_cmp_eq_u32_e32 vcc, 0, v10
	v_mov_b32_dpp v17, v10 row_shr:2 row_mask:0xf bank_mask:0xf
	v_mov_b32_dpp v26, v11 row_shr:2 row_mask:0xf bank_mask:0xf
	v_cndmask_b32_e64 v16, 0, v17, s[28:29]
	s_and_b64 vcc, s[28:29], vcc
	v_add_u32_e32 v10, v16, v10
	v_cndmask_b32_e32 v16, 0, v26, vcc
	v_add_u32_e32 v11, v16, v11
	ds_write_b64 v9, v[10:11] offset:1040
.LBB867_64:
	s_or_b64 exec, exec, s[30:31]
	v_cmp_gt_u32_e32 vcc, 64, v0
	v_cmp_lt_u32_e64 s[28:29], 63, v0
	v_mov_b32_e32 v16, 0
	v_mov_b32_e32 v17, 0
	s_waitcnt lgkmcnt(0)
	s_barrier
	s_and_saveexec_b64 s[30:31], s[28:29]
	s_cbranch_execz .LBB867_66
; %bb.65:
	ds_read_b64 v[16:17], v8 offset:1032
	v_cmp_eq_u32_e64 s[28:29], 0, v6
	s_waitcnt lgkmcnt(0)
	v_add_u32_e32 v8, v16, v6
	v_cndmask_b32_e64 v6, 0, v17, s[28:29]
	v_add_u32_e32 v7, v6, v7
	v_mov_b32_e32 v6, v8
.LBB867_66:
	s_or_b64 exec, exec, s[30:31]
	v_add_u32_e32 v8, -1, v27
	v_and_b32_e32 v9, 64, v27
	v_cmp_lt_i32_e64 s[28:29], v8, v9
	v_cndmask_b32_e64 v8, v8, v27, s[28:29]
	v_lshlrev_b32_e32 v8, 2, v8
	ds_bpermute_b32 v32, v8, v6
	ds_bpermute_b32 v33, v8, v7
	v_cmp_eq_u32_e64 s[28:29], 0, v27
	s_and_saveexec_b64 s[36:37], vcc
	s_cbranch_execz .LBB867_89
; %bb.67:
	v_mov_b32_e32 v11, 0
	ds_read_b64 v[6:7], v11 offset:1064
	s_waitcnt lgkmcnt(0)
	v_readfirstlane_b32 s42, v6
	v_readfirstlane_b32 s43, v7
	s_and_saveexec_b64 s[30:31], s[28:29]
	s_cbranch_execz .LBB867_69
; %bb.68:
	s_add_i32 s38, s60, 64
	s_mov_b32 s39, 0
	s_lshl_b64 s[52:53], s[38:39], 4
	s_add_u32 s52, s40, s52
	s_addc_u32 s53, s41, s53
	s_and_b32 s63, s43, 0xff000000
	s_mov_b32 s62, s39
	s_and_b32 s65, s43, 0xff0000
	s_mov_b32 s64, s39
	s_or_b64 s[62:63], s[64:65], s[62:63]
	s_and_b32 s65, s43, 0xff00
	s_or_b64 s[62:63], s[62:63], s[64:65]
	s_and_b32 s65, s43, 0xff
	s_or_b64 s[38:39], s[62:63], s[64:65]
	v_mov_b32_e32 v8, s42
	v_mov_b32_e32 v9, s39
	;; [unrolled: 1-line block ×3, first 2 shown]
	v_pk_mov_b32 v[6:7], s[52:53], s[52:53] op_sel:[0,1]
	;;#ASMSTART
	global_store_dwordx4 v[6:7], v[8:11] off	
s_waitcnt vmcnt(0)
	;;#ASMEND
.LBB867_69:
	s_or_b64 exec, exec, s[30:31]
	v_xad_u32 v26, v27, -1, s60
	v_add_u32_e32 v10, 64, v26
	v_lshlrev_b64 v[6:7], 4, v[10:11]
	v_mov_b32_e32 v8, s41
	v_add_co_u32_e32 v28, vcc, s40, v6
	v_addc_co_u32_e32 v29, vcc, v8, v7, vcc
	;;#ASMSTART
	global_load_dwordx4 v[6:9], v[28:29] off glc	
s_waitcnt vmcnt(0)
	;;#ASMEND
	v_and_b32_e32 v9, 0xff, v7
	v_and_b32_e32 v10, 0xff00, v7
	v_or3_b32 v9, 0, v9, v10
	v_or3_b32 v6, v6, 0, 0
	v_and_b32_e32 v10, 0xff000000, v7
	v_and_b32_e32 v7, 0xff0000, v7
	v_or3_b32 v7, v9, v7, v10
	v_or3_b32 v6, v6, 0, 0
	v_cmp_eq_u16_sdwa s[38:39], v8, v11 src0_sel:BYTE_0 src1_sel:DWORD
	s_and_saveexec_b64 s[30:31], s[38:39]
	s_cbranch_execz .LBB867_75
; %bb.70:
	s_mov_b32 s52, 1
	s_mov_b64 s[38:39], 0
	v_mov_b32_e32 v10, 0
.LBB867_71:                             ; =>This Loop Header: Depth=1
                                        ;     Child Loop BB867_72 Depth 2
	s_max_u32 s53, s52, 1
.LBB867_72:                             ;   Parent Loop BB867_71 Depth=1
                                        ; =>  This Inner Loop Header: Depth=2
	s_add_i32 s53, s53, -1
	s_cmp_eq_u32 s53, 0
	s_sleep 1
	s_cbranch_scc0 .LBB867_72
; %bb.73:                               ;   in Loop: Header=BB867_71 Depth=1
	s_cmp_lt_u32 s52, 32
	s_cselect_b64 s[62:63], -1, 0
	s_cmp_lg_u64 s[62:63], 0
	s_addc_u32 s52, s52, 0
	;;#ASMSTART
	global_load_dwordx4 v[6:9], v[28:29] off glc	
s_waitcnt vmcnt(0)
	;;#ASMEND
	v_cmp_ne_u16_sdwa s[62:63], v8, v10 src0_sel:BYTE_0 src1_sel:DWORD
	s_or_b64 s[38:39], s[62:63], s[38:39]
	s_andn2_b64 exec, exec, s[38:39]
	s_cbranch_execnz .LBB867_71
; %bb.74:
	s_or_b64 exec, exec, s[38:39]
.LBB867_75:
	s_or_b64 exec, exec, s[30:31]
	v_mov_b32_e32 v34, 2
	v_cmp_eq_u16_sdwa s[30:31], v8, v34 src0_sel:BYTE_0 src1_sel:DWORD
	v_lshlrev_b64 v[28:29], v27, -1
	v_and_b32_e32 v9, s31, v29
	v_and_b32_e32 v35, 63, v27
	v_or_b32_e32 v9, 0x80000000, v9
	v_cmp_ne_u32_e32 vcc, 63, v35
	v_and_b32_e32 v10, s30, v28
	v_ffbl_b32_e32 v9, v9
	v_addc_co_u32_e32 v11, vcc, 0, v27, vcc
	v_add_u32_e32 v9, 32, v9
	v_ffbl_b32_e32 v10, v10
	v_lshlrev_b32_e32 v36, 2, v11
	v_min_u32_e32 v9, v10, v9
	ds_bpermute_b32 v10, v36, v7
	v_cmp_eq_u32_e32 vcc, 0, v6
	v_cmp_lt_u32_e64 s[30:31], v35, v9
	ds_bpermute_b32 v11, v36, v6
	s_and_b64 vcc, s[30:31], vcc
	s_waitcnt lgkmcnt(1)
	v_cndmask_b32_e32 v10, 0, v10, vcc
	v_cmp_gt_u32_e32 vcc, 62, v35
	v_add_u32_e32 v7, v10, v7
	v_cndmask_b32_e64 v10, 0, 1, vcc
	v_lshlrev_b32_e32 v10, 1, v10
	v_add_lshl_u32 v37, v10, v27, 2
	s_waitcnt lgkmcnt(0)
	v_cndmask_b32_e64 v11, 0, v11, s[30:31]
	ds_bpermute_b32 v10, v37, v7
	v_add_u32_e32 v6, v11, v6
	ds_bpermute_b32 v11, v37, v6
	v_add_u32_e32 v38, 2, v35
	v_cmp_eq_u32_e32 vcc, 0, v6
	s_waitcnt lgkmcnt(1)
	v_cndmask_b32_e32 v10, 0, v10, vcc
	v_cmp_gt_u32_e32 vcc, v38, v9
	v_cndmask_b32_e64 v10, v10, 0, vcc
	v_add_u32_e32 v7, v10, v7
	s_waitcnt lgkmcnt(0)
	v_cndmask_b32_e64 v10, v11, 0, vcc
	v_cmp_gt_u32_e32 vcc, 60, v35
	v_cndmask_b32_e64 v11, 0, 1, vcc
	v_lshlrev_b32_e32 v11, 2, v11
	v_add_lshl_u32 v39, v11, v27, 2
	ds_bpermute_b32 v11, v39, v7
	v_add_u32_e32 v6, v6, v10
	ds_bpermute_b32 v10, v39, v6
	v_add_u32_e32 v40, 4, v35
	v_cmp_eq_u32_e32 vcc, 0, v6
	s_waitcnt lgkmcnt(1)
	v_cndmask_b32_e32 v11, 0, v11, vcc
	v_cmp_gt_u32_e32 vcc, v40, v9
	v_cndmask_b32_e64 v11, v11, 0, vcc
	s_waitcnt lgkmcnt(0)
	v_cndmask_b32_e64 v10, v10, 0, vcc
	v_cmp_gt_u32_e32 vcc, 56, v35
	v_add_u32_e32 v7, v7, v11
	v_cndmask_b32_e64 v11, 0, 1, vcc
	v_lshlrev_b32_e32 v11, 3, v11
	v_add_lshl_u32 v41, v11, v27, 2
	ds_bpermute_b32 v11, v41, v7
	v_add_u32_e32 v6, v6, v10
	ds_bpermute_b32 v10, v41, v6
	v_add_u32_e32 v42, 8, v35
	v_cmp_eq_u32_e32 vcc, 0, v6
	s_waitcnt lgkmcnt(1)
	v_cndmask_b32_e32 v11, 0, v11, vcc
	v_cmp_gt_u32_e32 vcc, v42, v9
	v_cndmask_b32_e64 v11, v11, 0, vcc
	s_waitcnt lgkmcnt(0)
	v_cndmask_b32_e64 v10, v10, 0, vcc
	v_cmp_gt_u32_e32 vcc, 48, v35
	v_add_u32_e32 v7, v7, v11
	;; [unrolled: 16-line block ×3, first 2 shown]
	v_cndmask_b32_e64 v11, 0, 1, vcc
	v_lshlrev_b32_e32 v11, 5, v11
	v_add_lshl_u32 v45, v11, v27, 2
	ds_bpermute_b32 v11, v45, v7
	v_add_u32_e32 v6, v6, v10
	ds_bpermute_b32 v10, v45, v6
	v_add_u32_e32 v46, 32, v35
	v_cmp_eq_u32_e32 vcc, 0, v6
	s_waitcnt lgkmcnt(1)
	v_cndmask_b32_e32 v11, 0, v11, vcc
	v_cmp_gt_u32_e32 vcc, v46, v9
	v_cndmask_b32_e64 v9, v11, 0, vcc
	v_add_u32_e32 v7, v9, v7
	s_waitcnt lgkmcnt(0)
	v_cndmask_b32_e64 v9, v10, 0, vcc
	v_add_u32_e32 v6, v9, v6
	v_mov_b32_e32 v27, 0
	s_branch .LBB867_77
.LBB867_76:                             ;   in Loop: Header=BB867_77 Depth=1
	s_or_b64 exec, exec, s[30:31]
	v_cmp_eq_u16_sdwa s[30:31], v8, v34 src0_sel:BYTE_0 src1_sel:DWORD
	v_and_b32_e32 v9, s31, v29
	v_or_b32_e32 v9, 0x80000000, v9
	v_and_b32_e32 v30, s30, v28
	v_ffbl_b32_e32 v9, v9
	v_add_u32_e32 v9, 32, v9
	v_ffbl_b32_e32 v30, v30
	v_min_u32_e32 v9, v30, v9
	ds_bpermute_b32 v30, v36, v7
	v_cmp_eq_u32_e32 vcc, 0, v6
	v_cmp_lt_u32_e64 s[30:31], v35, v9
	ds_bpermute_b32 v31, v36, v6
	s_and_b64 vcc, s[30:31], vcc
	s_waitcnt lgkmcnt(1)
	v_cndmask_b32_e32 v30, 0, v30, vcc
	v_add_u32_e32 v7, v30, v7
	ds_bpermute_b32 v30, v37, v7
	s_waitcnt lgkmcnt(1)
	v_cndmask_b32_e64 v31, 0, v31, s[30:31]
	v_add_u32_e32 v6, v31, v6
	v_cmp_eq_u32_e32 vcc, 0, v6
	ds_bpermute_b32 v31, v37, v6
	s_waitcnt lgkmcnt(1)
	v_cndmask_b32_e32 v30, 0, v30, vcc
	v_cmp_gt_u32_e32 vcc, v38, v9
	v_cndmask_b32_e64 v30, v30, 0, vcc
	v_add_u32_e32 v7, v30, v7
	ds_bpermute_b32 v30, v39, v7
	s_waitcnt lgkmcnt(1)
	v_cndmask_b32_e64 v31, v31, 0, vcc
	v_add_u32_e32 v6, v6, v31
	v_cmp_eq_u32_e32 vcc, 0, v6
	ds_bpermute_b32 v31, v39, v6
	s_waitcnt lgkmcnt(1)
	v_cndmask_b32_e32 v30, 0, v30, vcc
	v_cmp_gt_u32_e32 vcc, v40, v9
	v_cndmask_b32_e64 v30, v30, 0, vcc
	v_add_u32_e32 v7, v7, v30
	ds_bpermute_b32 v30, v41, v7
	s_waitcnt lgkmcnt(1)
	v_cndmask_b32_e64 v31, v31, 0, vcc
	v_add_u32_e32 v6, v6, v31
	ds_bpermute_b32 v31, v41, v6
	v_cmp_eq_u32_e32 vcc, 0, v6
	s_waitcnt lgkmcnt(1)
	v_cndmask_b32_e32 v30, 0, v30, vcc
	v_cmp_gt_u32_e32 vcc, v42, v9
	v_cndmask_b32_e64 v30, v30, 0, vcc
	v_add_u32_e32 v7, v7, v30
	ds_bpermute_b32 v30, v43, v7
	s_waitcnt lgkmcnt(1)
	v_cndmask_b32_e64 v31, v31, 0, vcc
	v_add_u32_e32 v6, v6, v31
	ds_bpermute_b32 v31, v43, v6
	v_cmp_eq_u32_e32 vcc, 0, v6
	;; [unrolled: 11-line block ×3, first 2 shown]
	s_waitcnt lgkmcnt(1)
	v_cndmask_b32_e32 v30, 0, v30, vcc
	v_cmp_gt_u32_e32 vcc, v46, v9
	v_cndmask_b32_e64 v9, v30, 0, vcc
	v_add_u32_e32 v7, v9, v7
	s_waitcnt lgkmcnt(0)
	v_cndmask_b32_e64 v9, v31, 0, vcc
	v_cmp_eq_u32_e32 vcc, 0, v10
	v_cndmask_b32_e32 v7, 0, v7, vcc
	v_subrev_u32_e32 v26, 64, v26
	v_add3_u32 v6, v6, v10, v9
	v_add_u32_e32 v7, v7, v11
.LBB867_77:                             ; =>This Loop Header: Depth=1
                                        ;     Child Loop BB867_80 Depth 2
                                        ;       Child Loop BB867_81 Depth 3
	v_cmp_ne_u16_sdwa s[30:31], v8, v34 src0_sel:BYTE_0 src1_sel:DWORD
	v_mov_b32_e32 v11, v7
	v_cndmask_b32_e64 v7, 0, 1, s[30:31]
	;;#ASMSTART
	;;#ASMEND
	v_cmp_ne_u32_e32 vcc, 0, v7
	s_cmp_lg_u64 vcc, exec
	v_mov_b32_e32 v10, v6
	s_cbranch_scc1 .LBB867_84
; %bb.78:                               ;   in Loop: Header=BB867_77 Depth=1
	v_lshlrev_b64 v[6:7], 4, v[26:27]
	v_mov_b32_e32 v8, s41
	v_add_co_u32_e32 v30, vcc, s40, v6
	v_addc_co_u32_e32 v31, vcc, v8, v7, vcc
	;;#ASMSTART
	global_load_dwordx4 v[6:9], v[30:31] off glc	
s_waitcnt vmcnt(0)
	;;#ASMEND
	v_and_b32_e32 v9, 0xff, v7
	v_and_b32_e32 v47, 0xff00, v7
	v_or3_b32 v9, 0, v9, v47
	v_or3_b32 v6, v6, 0, 0
	v_and_b32_e32 v47, 0xff000000, v7
	v_and_b32_e32 v7, 0xff0000, v7
	v_or3_b32 v7, v9, v7, v47
	v_or3_b32 v6, v6, 0, 0
	v_cmp_eq_u16_sdwa s[38:39], v8, v27 src0_sel:BYTE_0 src1_sel:DWORD
	s_and_saveexec_b64 s[30:31], s[38:39]
	s_cbranch_execz .LBB867_76
; %bb.79:                               ;   in Loop: Header=BB867_77 Depth=1
	s_mov_b32 s52, 1
	s_mov_b64 s[38:39], 0
.LBB867_80:                             ;   Parent Loop BB867_77 Depth=1
                                        ; =>  This Loop Header: Depth=2
                                        ;       Child Loop BB867_81 Depth 3
	s_max_u32 s53, s52, 1
.LBB867_81:                             ;   Parent Loop BB867_77 Depth=1
                                        ;     Parent Loop BB867_80 Depth=2
                                        ; =>    This Inner Loop Header: Depth=3
	s_add_i32 s53, s53, -1
	s_cmp_eq_u32 s53, 0
	s_sleep 1
	s_cbranch_scc0 .LBB867_81
; %bb.82:                               ;   in Loop: Header=BB867_80 Depth=2
	s_cmp_lt_u32 s52, 32
	s_cselect_b64 s[62:63], -1, 0
	s_cmp_lg_u64 s[62:63], 0
	s_addc_u32 s52, s52, 0
	;;#ASMSTART
	global_load_dwordx4 v[6:9], v[30:31] off glc	
s_waitcnt vmcnt(0)
	;;#ASMEND
	v_cmp_ne_u16_sdwa s[62:63], v8, v27 src0_sel:BYTE_0 src1_sel:DWORD
	s_or_b64 s[38:39], s[62:63], s[38:39]
	s_andn2_b64 exec, exec, s[38:39]
	s_cbranch_execnz .LBB867_80
; %bb.83:                               ;   in Loop: Header=BB867_77 Depth=1
	s_or_b64 exec, exec, s[38:39]
	s_branch .LBB867_76
.LBB867_84:                             ;   in Loop: Header=BB867_77 Depth=1
                                        ; implicit-def: $vgpr7
                                        ; implicit-def: $vgpr6
                                        ; implicit-def: $vgpr8
	s_cbranch_execz .LBB867_77
; %bb.85:
	s_and_saveexec_b64 s[30:31], s[28:29]
	s_cbranch_execz .LBB867_87
; %bb.86:
	s_cmp_eq_u32 s42, 0
	s_cselect_b64 vcc, -1, 0
	s_mov_b32 s39, 0
	v_cndmask_b32_e32 v6, 0, v11, vcc
	s_add_i32 s38, s60, 64
	v_add_u32_e32 v6, s43, v6
	s_lshl_b64 s[38:39], s[38:39], 4
	s_add_u32 s38, s40, s38
	v_and_b32_e32 v7, 0xff000000, v6
	v_and_b32_e32 v8, 0xff0000, v6
	s_addc_u32 s39, s41, s39
	v_or_b32_e32 v7, v8, v7
	v_and_b32_e32 v8, 0xff00, v6
	v_and_b32_e32 v6, 0xff, v6
	v_add_u32_e32 v26, s42, v10
	v_mov_b32_e32 v29, 0
	v_or3_b32 v27, v7, v8, v6
	v_mov_b32_e32 v28, 2
	v_pk_mov_b32 v[6:7], s[38:39], s[38:39] op_sel:[0,1]
	;;#ASMSTART
	global_store_dwordx4 v[6:7], v[26:29] off	
s_waitcnt vmcnt(0)
	;;#ASMEND
	v_mov_b32_e32 v8, s42
	v_mov_b32_e32 v9, s43
	ds_write_b128 v29, v[8:11] offset:1024
.LBB867_87:
	s_or_b64 exec, exec, s[30:31]
	s_and_b64 exec, exec, s[0:1]
	s_cbranch_execz .LBB867_89
; %bb.88:
	v_mov_b32_e32 v6, 0
	ds_write_b64 v6, v[10:11] offset:1064
.LBB867_89:
	s_or_b64 exec, exec, s[36:37]
	v_mov_b32_e32 v8, 0
	s_waitcnt lgkmcnt(0)
	s_barrier
	ds_read_b64 v[6:7], v8 offset:1064
	v_cndmask_b32_e64 v10, v32, v16, s[28:29]
	v_cmp_eq_u32_e32 vcc, 0, v10
	v_cndmask_b32_e64 v9, v33, v17, s[28:29]
	s_waitcnt lgkmcnt(0)
	v_cndmask_b32_e32 v11, 0, v7, vcc
	v_add_u32_e32 v9, v11, v9
	v_cndmask_b32_e64 v55, v9, v7, s[0:1]
	v_cndmask_b32_e64 v7, v10, 0, s[0:1]
	v_cmp_eq_u32_e32 vcc, 0, v69
	v_add_u32_e32 v54, v6, v7
	v_cndmask_b32_e32 v6, 0, v55, vcc
	v_add_u32_e32 v53, v6, v24
	v_cndmask_b32_e64 v6, 0, v53, s[26:27]
	v_add_u32_e32 v51, v6, v25
	v_cndmask_b32_e64 v6, 0, v51, s[24:25]
	v_add_u32_e32 v49, v6, v75
	v_cndmask_b32_e64 v6, 0, v49, s[22:23]
	v_add_u32_e32 v47, v6, v22
	v_cndmask_b32_e64 v6, 0, v47, s[20:21]
	v_add_u32_e32 v45, v6, v74
	v_cndmask_b32_e64 v6, 0, v45, s[18:19]
	v_add_u32_e32 v43, v6, v23
	v_cndmask_b32_e64 v6, 0, v43, s[16:17]
	v_add_u32_e32 v41, v6, v73
	v_cndmask_b32_e64 v6, 0, v41, s[14:15]
	v_add_u32_e32 v39, v6, v20
	v_cndmask_b32_e64 v6, 0, v39, s[12:13]
	v_add_u32_e32 v52, v54, v69
	v_add_u32_e32 v37, v6, v72
	v_add_u32_e32 v50, v52, v67
	v_cndmask_b32_e64 v6, 0, v37, s[10:11]
	v_add_u32_e32 v48, v50, v68
	v_add_u32_e32 v35, v6, v21
	v_add_u32_e32 v46, v48, v66
	v_cndmask_b32_e64 v6, 0, v35, s[8:9]
	;; [unrolled: 4-line block ×3, first 2 shown]
	v_add_u32_e32 v40, v42, v65
	v_add_u32_e32 v31, v6, v18
	s_barrier
	ds_read_b128 v[6:9], v8 offset:1024
	v_add_u32_e32 v38, v40, v64
	v_add_u32_e32 v36, v38, v57
	;; [unrolled: 1-line block ×4, first 2 shown]
	v_cndmask_b32_e64 v10, 0, v31, s[4:5]
	v_add_u32_e32 v30, v32, v61
	v_add_u32_e32 v29, v10, v70
	s_waitcnt lgkmcnt(0)
	v_cmp_eq_u32_e32 vcc, 0, v6
	v_add_u32_e32 v28, v30, v15
	v_cndmask_b32_e64 v10, 0, v29, s[2:3]
	v_cndmask_b32_e32 v9, 0, v9, vcc
	v_add_u32_e32 v26, v28, v58
	v_add_u32_e32 v27, v10, v19
	v_add_u32_e32 v16, v9, v7
	s_branch .LBB867_102
.LBB867_90:
                                        ; implicit-def: $vgpr6
                                        ; implicit-def: $vgpr16
                                        ; implicit-def: $vgpr54_vgpr55
                                        ; implicit-def: $vgpr52_vgpr53
                                        ; implicit-def: $vgpr50_vgpr51
                                        ; implicit-def: $vgpr48_vgpr49
                                        ; implicit-def: $vgpr46_vgpr47
                                        ; implicit-def: $vgpr44_vgpr45
                                        ; implicit-def: $vgpr42_vgpr43
                                        ; implicit-def: $vgpr40_vgpr41
                                        ; implicit-def: $vgpr38_vgpr39
                                        ; implicit-def: $vgpr36_vgpr37
                                        ; implicit-def: $vgpr34_vgpr35
                                        ; implicit-def: $vgpr32_vgpr33
                                        ; implicit-def: $vgpr30_vgpr31
                                        ; implicit-def: $vgpr28_vgpr29
                                        ; implicit-def: $vgpr26_vgpr27
	s_cbranch_execz .LBB867_102
; %bb.91:
	s_and_b64 s[2:3], s[34:35], exec
	s_cselect_b32 s3, 0, s59
	s_cselect_b32 s2, 0, s58
	s_cmp_eq_u64 s[2:3], 0
	v_mov_b32_e32 v10, v24
	s_cbranch_scc1 .LBB867_93
; %bb.92:
	v_mov_b32_e32 v6, 0
	global_load_dword v10, v6, s[2:3]
.LBB867_93:
	v_cmp_eq_u32_e64 s[2:3], 0, v67
	v_cndmask_b32_e64 v6, 0, v24, s[2:3]
	v_add_u32_e32 v6, v6, v25
	v_cmp_eq_u32_e64 s[4:5], 0, v68
	v_cndmask_b32_e64 v6, 0, v6, s[4:5]
	v_add_u32_e32 v6, v6, v75
	v_cmp_eq_u32_e64 s[6:7], 0, v66
	v_cndmask_b32_e64 v6, 0, v6, s[6:7]
	v_add_u32_e32 v6, v6, v22
	v_cmp_eq_u32_e64 s[8:9], 0, v63
	v_cndmask_b32_e64 v6, 0, v6, s[8:9]
	v_add_u32_e32 v6, v6, v74
	v_cmp_eq_u32_e64 s[10:11], 0, v60
	v_cndmask_b32_e64 v6, 0, v6, s[10:11]
	v_add_u32_e32 v6, v6, v23
	v_cmp_eq_u32_e64 s[12:13], 0, v65
	v_cndmask_b32_e64 v6, 0, v6, s[12:13]
	v_add_u32_e32 v6, v6, v73
	v_cmp_eq_u32_e64 s[14:15], 0, v64
	v_cndmask_b32_e64 v6, 0, v6, s[14:15]
	v_add_u32_e32 v6, v6, v20
	v_cmp_eq_u32_e64 s[16:17], 0, v57
	v_cndmask_b32_e64 v6, 0, v6, s[16:17]
	v_add_u32_e32 v6, v6, v72
	v_cmp_eq_u32_e64 s[18:19], 0, v56
	v_cndmask_b32_e64 v6, 0, v6, s[18:19]
	v_add_u32_e32 v6, v6, v21
	v_cmp_eq_u32_e64 s[20:21], 0, v62
	v_cndmask_b32_e64 v6, 0, v6, s[20:21]
	v_add_u32_e32 v6, v6, v71
	v_cmp_eq_u32_e64 s[22:23], 0, v61
	v_cndmask_b32_e64 v6, 0, v6, s[22:23]
	v_add_u32_e32 v6, v6, v18
	v_cmp_eq_u32_e64 s[24:25], 0, v15
	v_cndmask_b32_e64 v6, 0, v6, s[24:25]
	v_add3_u32 v7, v80, v60, v65
	v_add_u32_e32 v6, v6, v70
	v_cmp_eq_u32_e32 vcc, 0, v58
	v_add3_u32 v7, v7, v64, v57
	v_cndmask_b32_e32 v6, 0, v6, vcc
	v_add3_u32 v7, v7, v56, v62
	v_add_u32_e32 v6, v6, v19
	v_cmp_eq_u32_e64 s[26:27], 0, v59
	v_add3_u32 v7, v7, v61, v15
	v_cndmask_b32_e64 v6, 0, v6, s[26:27]
	v_add3_u32 v7, v7, v58, v59
	v_add_u32_e32 v6, v6, v76
	v_mbcnt_hi_u32_b32 v11, -1, v79
	v_and_b32_e32 v8, 15, v11
	v_mov_b32_dpp v16, v6 row_shr:1 row_mask:0xf bank_mask:0xf
	v_cmp_eq_u32_e64 s[26:27], 0, v7
	v_mov_b32_dpp v9, v7 row_shr:1 row_mask:0xf bank_mask:0xf
	v_cndmask_b32_e64 v16, 0, v16, s[26:27]
	v_cmp_eq_u32_e64 s[26:27], 0, v8
	v_cndmask_b32_e64 v9, v9, 0, s[26:27]
	v_add_u32_e32 v7, v9, v7
	v_cndmask_b32_e64 v9, v16, 0, s[26:27]
	v_add_u32_e32 v6, v9, v6
	v_cmp_eq_u32_e64 s[26:27], 0, v7
	v_mov_b32_dpp v9, v7 row_shr:2 row_mask:0xf bank_mask:0xf
	v_cmp_lt_u32_e64 s[28:29], 1, v8
	v_mov_b32_dpp v16, v6 row_shr:2 row_mask:0xf bank_mask:0xf
	v_cndmask_b32_e64 v9, 0, v9, s[28:29]
	s_and_b64 s[26:27], s[28:29], s[26:27]
	v_cndmask_b32_e64 v16, 0, v16, s[26:27]
	v_add_u32_e32 v7, v7, v9
	v_add_u32_e32 v6, v16, v6
	v_cmp_eq_u32_e64 s[26:27], 0, v7
	v_mov_b32_dpp v9, v7 row_shr:4 row_mask:0xf bank_mask:0xf
	v_cmp_lt_u32_e64 s[28:29], 3, v8
	v_mov_b32_dpp v16, v6 row_shr:4 row_mask:0xf bank_mask:0xf
	v_cndmask_b32_e64 v9, 0, v9, s[28:29]
	s_and_b64 s[26:27], s[28:29], s[26:27]
	v_cndmask_b32_e64 v16, 0, v16, s[26:27]
	v_add_u32_e32 v7, v9, v7
	v_add_u32_e32 v6, v6, v16
	v_cmp_eq_u32_e64 s[26:27], 0, v7
	v_cmp_lt_u32_e64 s[28:29], 7, v8
	v_mov_b32_dpp v9, v7 row_shr:8 row_mask:0xf bank_mask:0xf
	v_mov_b32_dpp v16, v6 row_shr:8 row_mask:0xf bank_mask:0xf
	s_and_b64 s[26:27], s[28:29], s[26:27]
	v_cndmask_b32_e64 v8, 0, v9, s[28:29]
	v_cndmask_b32_e64 v9, 0, v16, s[26:27]
	v_add_u32_e32 v6, v9, v6
	v_add_u32_e32 v7, v8, v7
	v_bfe_i32 v16, v11, 4, 1
	v_mov_b32_dpp v9, v6 row_bcast:15 row_mask:0xf bank_mask:0xf
	v_mov_b32_dpp v8, v7 row_bcast:15 row_mask:0xf bank_mask:0xf
	v_cmp_eq_u32_e64 s[26:27], 0, v7
	v_cndmask_b32_e64 v9, 0, v9, s[26:27]
	v_and_b32_e32 v8, v16, v8
	v_add_u32_e32 v7, v8, v7
	v_and_b32_e32 v8, v16, v9
	v_add_u32_e32 v8, v8, v6
	v_mov_b32_dpp v6, v7 row_bcast:31 row_mask:0xf bank_mask:0xf
	v_cmp_eq_u32_e64 s[26:27], 0, v7
	v_cmp_lt_u32_e64 s[28:29], 31, v11
	v_mov_b32_dpp v9, v8 row_bcast:31 row_mask:0xf bank_mask:0xf
	v_cndmask_b32_e64 v6, 0, v6, s[28:29]
	s_and_b64 s[26:27], s[28:29], s[26:27]
	v_add_u32_e32 v6, v6, v7
	v_cndmask_b32_e64 v7, 0, v9, s[26:27]
	v_add_u32_e32 v7, v7, v8
	v_cmp_eq_u32_e64 s[26:27], v78, v0
	s_and_saveexec_b64 s[28:29], s[26:27]
	s_cbranch_execz .LBB867_95
; %bb.94:
	v_lshlrev_b32_e32 v8, 3, v77
	ds_write_b64 v8, v[6:7] offset:1040
.LBB867_95:
	s_or_b64 exec, exec, s[28:29]
	v_cmp_gt_u32_e64 s[26:27], 4, v0
	s_waitcnt lgkmcnt(0)
	s_barrier
	s_and_saveexec_b64 s[30:31], s[26:27]
	s_cbranch_execz .LBB867_97
; %bb.96:
	v_lshlrev_b32_e32 v16, 3, v0
	ds_read_b64 v[8:9], v16 offset:1040
	v_and_b32_e32 v17, 3, v11
	v_cmp_lt_u32_e64 s[28:29], 1, v17
	s_waitcnt lgkmcnt(0)
	v_mov_b32_dpp v27, v9 row_shr:1 row_mask:0xf bank_mask:0xf
	v_cmp_eq_u32_e64 s[26:27], 0, v8
	v_mov_b32_dpp v26, v8 row_shr:1 row_mask:0xf bank_mask:0xf
	v_cndmask_b32_e64 v27, 0, v27, s[26:27]
	v_cmp_eq_u32_e64 s[26:27], 0, v17
	v_cndmask_b32_e64 v26, v26, 0, s[26:27]
	v_add_u32_e32 v8, v26, v8
	v_cndmask_b32_e64 v26, v27, 0, s[26:27]
	v_add_u32_e32 v9, v26, v9
	v_cmp_eq_u32_e64 s[26:27], 0, v8
	v_mov_b32_dpp v26, v8 row_shr:2 row_mask:0xf bank_mask:0xf
	v_mov_b32_dpp v27, v9 row_shr:2 row_mask:0xf bank_mask:0xf
	v_cndmask_b32_e64 v17, 0, v26, s[28:29]
	s_and_b64 s[26:27], s[28:29], s[26:27]
	v_add_u32_e32 v8, v17, v8
	v_cndmask_b32_e64 v17, 0, v27, s[26:27]
	v_add_u32_e32 v9, v17, v9
	ds_write_b64 v16, v[8:9] offset:1040
.LBB867_97:
	s_or_b64 exec, exec, s[30:31]
	v_cmp_lt_u32_e64 s[26:27], 63, v0
	v_mov_b32_e32 v16, 0
	v_mov_b32_e32 v8, 0
	s_waitcnt vmcnt(0)
	v_mov_b32_e32 v9, v10
	s_waitcnt lgkmcnt(0)
	s_barrier
	s_and_saveexec_b64 s[28:29], s[26:27]
	s_cbranch_execz .LBB867_99
; %bb.98:
	v_lshlrev_b32_e32 v8, 3, v77
	ds_read_b64 v[8:9], v8 offset:1032
	s_waitcnt lgkmcnt(0)
	v_cmp_eq_u32_e64 s[26:27], 0, v8
	v_cndmask_b32_e64 v17, 0, v10, s[26:27]
	v_add_u32_e32 v9, v17, v9
.LBB867_99:
	s_or_b64 exec, exec, s[28:29]
	v_cmp_eq_u32_e64 s[26:27], 0, v6
	v_add_u32_e32 v17, v8, v6
	v_cndmask_b32_e64 v6, 0, v9, s[26:27]
	v_add_u32_e32 v6, v6, v7
	v_add_u32_e32 v7, -1, v11
	v_and_b32_e32 v26, 64, v11
	v_cmp_lt_i32_e64 s[26:27], v7, v26
	v_cndmask_b32_e64 v7, v7, v11, s[26:27]
	v_lshlrev_b32_e32 v7, 2, v7
	ds_bpermute_b32 v6, v7, v6
	ds_bpermute_b32 v17, v7, v17
	v_cmp_eq_u32_e64 s[26:27], 0, v11
	s_waitcnt lgkmcnt(1)
	v_cndmask_b32_e64 v6, v6, v9, s[26:27]
	s_waitcnt lgkmcnt(0)
	v_cndmask_b32_e64 v7, v17, v8, s[26:27]
	v_cndmask_b32_e64 v55, v6, v10, s[0:1]
	v_cmp_eq_u32_e64 s[26:27], 0, v69
	v_cndmask_b32_e64 v6, 0, v55, s[26:27]
	v_add_u32_e32 v53, v6, v24
	v_cndmask_b32_e64 v6, 0, v53, s[2:3]
	v_add_u32_e32 v51, v6, v25
	;; [unrolled: 2-line block ×8, first 2 shown]
	v_cndmask_b32_e64 v54, v7, 0, s[0:1]
	v_cndmask_b32_e64 v6, 0, v39, s[16:17]
	v_add_u32_e32 v52, v54, v69
	v_add_u32_e32 v37, v6, v72
	v_add_u32_e32 v50, v52, v67
	v_cndmask_b32_e64 v6, 0, v37, s[18:19]
	v_add_u32_e32 v48, v50, v68
	v_add_u32_e32 v35, v6, v21
	v_add_u32_e32 v46, v48, v66
	;; [unrolled: 4-line block ×3, first 2 shown]
	v_cndmask_b32_e64 v6, 0, v33, s[22:23]
	v_add_u32_e32 v40, v42, v65
	v_add_u32_e32 v31, v6, v18
	ds_read_b64 v[6:7], v16 offset:1064
	v_add_u32_e32 v38, v40, v64
	v_add_u32_e32 v36, v38, v57
	v_add_u32_e32 v34, v36, v56
	v_cndmask_b32_e64 v8, 0, v31, s[24:25]
	v_add_u32_e32 v32, v34, v62
	v_add_u32_e32 v29, v8, v70
	;; [unrolled: 1-line block ×3, first 2 shown]
	v_cndmask_b32_e32 v8, 0, v29, vcc
	s_waitcnt lgkmcnt(0)
	v_cmp_eq_u32_e32 vcc, 0, v6
	v_add_u32_e32 v28, v30, v15
	v_add_u32_e32 v27, v8, v19
	v_cndmask_b32_e32 v8, 0, v10, vcc
	v_add_u32_e32 v26, v28, v58
	v_add_u32_e32 v16, v8, v7
	s_and_saveexec_b64 s[2:3], s[0:1]
	s_cbranch_execz .LBB867_101
; %bb.100:
	s_add_u32 s4, s40, 0x400
	v_and_b32_e32 v7, 0xff000000, v16
	v_and_b32_e32 v8, 0xff0000, v16
	s_addc_u32 s5, s41, 0
	v_or_b32_e32 v7, v8, v7
	v_and_b32_e32 v8, 0xff00, v16
	v_and_b32_e32 v10, 0xff, v16
	v_mov_b32_e32 v9, 0
	v_or3_b32 v7, v7, v8, v10
	v_mov_b32_e32 v8, 2
	v_pk_mov_b32 v[10:11], s[4:5], s[4:5] op_sel:[0,1]
	;;#ASMSTART
	global_store_dwordx4 v[10:11], v[6:9] off	
s_waitcnt vmcnt(0)
	;;#ASMEND
.LBB867_101:
	s_or_b64 exec, exec, s[2:3]
	v_mov_b32_e32 v8, 0
.LBB867_102:
	s_and_b64 s[2:3], s[34:35], exec
	s_cselect_b32 s3, 0, s55
	s_cselect_b32 s2, 0, s54
	s_cmp_eq_u64 s[2:3], 0
	v_pk_mov_b32 v[18:19], 0, 0
	s_barrier
	s_cbranch_scc1 .LBB867_104
; %bb.103:
	v_mov_b32_e32 v7, 0
	global_load_dwordx2 v[18:19], v7, s[2:3]
.LBB867_104:
	s_waitcnt vmcnt(0)
	v_lshlrev_b64 v[10:11], 1, v[18:19]
	v_mov_b32_e32 v7, s49
	v_add_co_u32_e32 v17, vcc, s48, v10
	v_mov_b32_e32 v9, 0
	v_addc_co_u32_e32 v20, vcc, v7, v11, vcc
	v_lshlrev_b64 v[10:11], 1, v[8:9]
	v_add_co_u32_e32 v7, vcc, v17, v10
	v_addc_co_u32_e32 v17, vcc, v20, v11, vcc
	v_cmp_eq_u32_e32 vcc, 0, v69
	v_cndmask_b32_e64 v10, 1, 2, vcc
	v_cmp_eq_u32_e32 vcc, 0, v67
	v_cndmask_b32_e64 v11, 1, 2, vcc
	v_cmp_eq_u32_e32 vcc, 0, v68
	v_and_b32_e32 v10, v11, v10
	v_cndmask_b32_e64 v11, 1, 2, vcc
	v_cmp_eq_u32_e32 vcc, 0, v66
	v_and_b32_e32 v10, v10, v11
	;; [unrolled: 3-line block ×13, first 2 shown]
	v_cndmask_b32_e64 v11, 1, 2, vcc
	s_movk_i32 s34, 0x100
	v_and_b32_e32 v10, v10, v11
	v_cmp_gt_u32_e32 vcc, s34, v6
	v_cmp_ne_u32_e64 s[30:31], 0, v69
	v_cmp_ne_u32_e64 s[28:29], 0, v67
	;; [unrolled: 1-line block ×15, first 2 shown]
	s_mov_b64 s[36:37], -1
	v_cmp_gt_i16_e64 s[34:35], 2, v10
	s_cbranch_vccz .LBB867_111
; %bb.105:
	s_and_saveexec_b64 s[36:37], s[34:35]
	s_cbranch_execz .LBB867_110
; %bb.106:
	v_cmp_ne_u16_e32 vcc, 1, v10
	s_mov_b64 s[38:39], 0
	s_and_saveexec_b64 s[34:35], vcc
	s_xor_b64 s[34:35], exec, s[34:35]
	s_cbranch_execnz .LBB867_155
; %bb.107:
	s_andn2_saveexec_b64 s[34:35], s[34:35]
	s_cbranch_execnz .LBB867_171
.LBB867_108:
	s_or_b64 exec, exec, s[34:35]
	s_and_b64 exec, exec, s[38:39]
	s_cbranch_execz .LBB867_110
.LBB867_109:
	v_sub_u32_e32 v20, v26, v8
	v_mov_b32_e32 v21, 0
	v_lshlrev_b64 v[20:21], 1, v[20:21]
	v_add_co_u32_e32 v20, vcc, v7, v20
	v_addc_co_u32_e32 v21, vcc, v17, v21, vcc
	global_store_short v[20:21], v1, off
.LBB867_110:
	s_or_b64 exec, exec, s[36:37]
	s_mov_b64 s[36:37], 0
.LBB867_111:
	s_and_b64 vcc, exec, s[36:37]
	s_cbranch_vccz .LBB867_133
; %bb.112:
	v_cmp_gt_i16_e32 vcc, 2, v10
	s_and_saveexec_b64 s[34:35], vcc
	s_cbranch_execz .LBB867_117
; %bb.113:
	v_cmp_ne_u16_e32 vcc, 1, v10
	s_mov_b64 s[38:39], 0
	s_and_saveexec_b64 s[36:37], vcc
	s_xor_b64 s[36:37], exec, s[36:37]
	s_cbranch_execnz .LBB867_172
; %bb.114:
	s_andn2_saveexec_b64 s[2:3], s[36:37]
	s_cbranch_execnz .LBB867_188
.LBB867_115:
	s_or_b64 exec, exec, s[2:3]
	s_and_b64 exec, exec, s[38:39]
	s_cbranch_execz .LBB867_117
.LBB867_116:
	v_sub_u32_e32 v2, v26, v8
	v_lshlrev_b32_e32 v2, 1, v2
	ds_write_b16 v2, v1
.LBB867_117:
	s_or_b64 exec, exec, s[34:35]
	v_cmp_lt_u32_e32 vcc, v0, v6
	s_waitcnt lgkmcnt(0)
	s_barrier
	s_and_saveexec_b64 s[4:5], vcc
	s_cbranch_execz .LBB867_132
; %bb.118:
	v_xad_u32 v1, v0, -1, v6
	s_movk_i32 s2, 0x1700
	v_cmp_gt_u32_e64 s[6:7], s2, v1
	s_movk_i32 s2, 0x16ff
	v_cmp_lt_u32_e32 vcc, s2, v1
	v_mov_b32_e32 v2, v0
	s_and_saveexec_b64 s[8:9], vcc
	s_cbranch_execz .LBB867_129
; %bb.119:
	v_sub_u32_e32 v2, v0, v6
	v_or_b32_e32 v2, 0xff, v2
	v_cmp_ge_u32_e32 vcc, v2, v0
	s_mov_b64 s[2:3], -1
	v_mov_b32_e32 v2, v0
	s_and_saveexec_b64 s[10:11], vcc
	s_cbranch_execz .LBB867_128
; %bb.120:
	v_lshrrev_b32_e32 v14, 8, v1
	v_or_b32_e32 v3, 0x300, v0
	v_or_b32_e32 v2, 0x200, v0
	v_add_u32_e32 v4, -3, v14
	v_or_b32_e32 v1, 0x100, v0
	v_lshrrev_b32_e32 v5, 2, v4
	v_pk_mov_b32 v[12:13], v[2:3], v[2:3] op_sel:[0,1]
	v_add_u32_e32 v21, 1, v5
	v_cmp_lt_u32_e32 vcc, 11, v4
	v_mov_b32_e32 v24, 0
	v_lshlrev_b32_e32 v20, 1, v0
	v_pk_mov_b32 v[10:11], v[0:1], v[0:1] op_sel:[0,1]
	s_and_saveexec_b64 s[12:13], vcc
	s_cbranch_execz .LBB867_124
; %bb.121:
	v_pk_mov_b32 v[12:13], v[2:3], v[2:3] op_sel:[0,1]
	v_and_b32_e32 v22, 0x7ffffffc, v21
	s_mov_b32 s16, 0
	s_mov_b64 s[14:15], 0
	v_mov_b32_e32 v5, 0
	v_mov_b32_e32 v23, v20
	v_pk_mov_b32 v[10:11], v[0:1], v[0:1] op_sel:[0,1]
.LBB867_122:                            ; =>This Inner Loop Header: Depth=1
	v_mov_b32_e32 v4, v10
	v_lshlrev_b64 v[84:85], 1, v[4:5]
	v_add_u32_e32 v70, 0x400, v11
	v_mov_b32_e32 v71, v5
	v_add_co_u32_e64 v84, s[2:3], v7, v84
	v_lshlrev_b64 v[70:71], 1, v[70:71]
	v_addc_co_u32_e64 v85, s[2:3], v17, v85, s[2:3]
	v_add_u32_e32 v24, 0x400, v12
	v_mov_b32_e32 v25, v5
	v_add_co_u32_e64 v70, s[2:3], v7, v70
	v_lshlrev_b64 v[86:87], 1, v[24:25]
	v_addc_co_u32_e64 v71, s[2:3], v17, v71, s[2:3]
	v_add_u32_e32 v2, 0x400, v13
	v_mov_b32_e32 v3, v5
	v_add_co_u32_e64 v86, s[2:3], v7, v86
	v_add_u32_e32 v22, -4, v22
	v_mov_b32_e32 v4, v11
	v_lshlrev_b64 v[2:3], 1, v[2:3]
	v_addc_co_u32_e64 v87, s[2:3], v17, v87, s[2:3]
	v_add_u32_e32 v76, 0x800, v11
	v_mov_b32_e32 v77, v5
	s_add_i32 s16, s16, 16
	v_cmp_eq_u32_e32 vcc, 0, v22
	v_lshlrev_b64 v[88:89], 1, v[4:5]
	v_add_co_u32_e64 v2, s[2:3], v7, v2
	v_lshlrev_b64 v[76:77], 1, v[76:77]
	v_mov_b32_e32 v4, v12
	v_addc_co_u32_e64 v3, s[2:3], v17, v3, s[2:3]
	s_or_b64 s[14:15], vcc, s[14:15]
	v_add_co_u32_e32 v88, vcc, v7, v88
	v_add_u32_e32 v74, 0x800, v12
	v_mov_b32_e32 v75, v5
	v_add_co_u32_e64 v76, s[2:3], v7, v76
	v_addc_co_u32_e32 v89, vcc, v17, v89, vcc
	v_lshlrev_b64 v[90:91], 1, v[4:5]
	v_lshlrev_b64 v[74:75], 1, v[74:75]
	v_addc_co_u32_e64 v77, s[2:3], v17, v77, s[2:3]
	v_mov_b32_e32 v4, v13
	v_add_co_u32_e32 v90, vcc, v7, v90
	ds_read_u16 v1, v23
	ds_read_u16 v94, v23 offset:512
	ds_read_u16 v95, v23 offset:1024
	;; [unrolled: 1-line block ×7, first 2 shown]
	v_add_u32_e32 v72, 0x800, v13
	v_mov_b32_e32 v73, v5
	v_add_co_u32_e64 v74, s[2:3], v7, v74
	v_addc_co_u32_e32 v91, vcc, v17, v91, vcc
	v_lshlrev_b64 v[92:93], 1, v[4:5]
	v_lshlrev_b64 v[72:73], 1, v[72:73]
	v_addc_co_u32_e64 v75, s[2:3], v17, v75, s[2:3]
	v_add_u32_e32 v4, 0x400, v10
	v_add_co_u32_e32 v92, vcc, v7, v92
	v_add_u32_e32 v82, 0xc00, v11
	v_mov_b32_e32 v83, v5
	ds_read_u16 v101, v23 offset:4096
	ds_read_u16 v102, v23 offset:4608
	;; [unrolled: 1-line block ×8, first 2 shown]
	v_add_co_u32_e64 v72, s[2:3], v7, v72
	v_addc_co_u32_e32 v93, vcc, v17, v93, vcc
	s_waitcnt lgkmcnt(14)
	global_store_short v[84:85], v1, off
	global_store_short v[88:89], v94, off
	s_waitcnt lgkmcnt(13)
	global_store_short v[90:91], v95, off
	v_lshlrev_b64 v[84:85], 1, v[4:5]
	v_lshlrev_b64 v[82:83], 1, v[82:83]
	v_addc_co_u32_e64 v73, s[2:3], v17, v73, s[2:3]
	v_add_u32_e32 v4, 0x800, v10
	v_add_co_u32_e32 v84, vcc, v7, v84
	v_add_u32_e32 v80, 0xc00, v12
	v_mov_b32_e32 v81, v5
	v_add_co_u32_e64 v82, s[2:3], v7, v82
	v_addc_co_u32_e32 v85, vcc, v17, v85, vcc
	v_lshlrev_b64 v[88:89], 1, v[4:5]
	v_lshlrev_b64 v[80:81], 1, v[80:81]
	v_addc_co_u32_e64 v83, s[2:3], v17, v83, s[2:3]
	s_waitcnt lgkmcnt(12)
	global_store_short v[92:93], v96, off
	v_add_u32_e32 v4, 0xc00, v10
	s_waitcnt lgkmcnt(11)
	global_store_short v[84:85], v97, off
	s_waitcnt lgkmcnt(10)
	global_store_short v[70:71], v98, off
	;; [unrolled: 2-line block ×4, first 2 shown]
	v_add_co_u32_e32 v2, vcc, v7, v88
	v_add_u32_e32 v78, 0xc00, v13
	v_mov_b32_e32 v79, v5
	v_add_co_u32_e64 v80, s[2:3], v7, v80
	v_addc_co_u32_e32 v3, vcc, v17, v89, vcc
	v_lshlrev_b64 v[70:71], 1, v[4:5]
	v_lshlrev_b64 v[78:79], 1, v[78:79]
	v_addc_co_u32_e64 v81, s[2:3], v17, v81, s[2:3]
	s_waitcnt lgkmcnt(7)
	global_store_short v[2:3], v101, off
	s_waitcnt lgkmcnt(6)
	global_store_short v[76:77], v102, off
	;; [unrolled: 2-line block ×4, first 2 shown]
	v_add_co_u32_e32 v2, vcc, v7, v70
	v_add_u32_e32 v23, 0x2000, v23
	v_add_u32_e32 v11, 0x1000, v11
	v_mov_b32_e32 v24, s16
	v_add_co_u32_e64 v78, s[2:3], v7, v78
	v_add_u32_e32 v12, 0x1000, v12
	v_add_u32_e32 v13, 0x1000, v13
	;; [unrolled: 1-line block ×3, first 2 shown]
	v_addc_co_u32_e32 v3, vcc, v17, v71, vcc
	v_addc_co_u32_e64 v79, s[2:3], v17, v79, s[2:3]
	s_waitcnt lgkmcnt(3)
	global_store_short v[2:3], v105, off
	s_waitcnt lgkmcnt(2)
	global_store_short v[82:83], v106, off
	;; [unrolled: 2-line block ×4, first 2 shown]
	s_andn2_b64 exec, exec, s[14:15]
	s_cbranch_execnz .LBB867_122
; %bb.123:
	s_or_b64 exec, exec, s[14:15]
.LBB867_124:
	s_or_b64 exec, exec, s[12:13]
	v_and_b32_e32 v1, 3, v21
	v_cmp_ne_u32_e32 vcc, 0, v1
	s_and_saveexec_b64 s[12:13], vcc
	s_cbranch_execz .LBB867_127
; %bb.125:
	v_lshl_or_b32 v4, v24, 9, v20
	s_mov_b64 s[14:15], 0
	v_mov_b32_e32 v3, 0
.LBB867_126:                            ; =>This Inner Loop Header: Depth=1
	v_mov_b32_e32 v2, v10
	v_add_u32_e32 v1, -1, v1
	v_lshlrev_b64 v[20:21], 1, v[2:3]
	v_mov_b32_e32 v2, v11
	v_cmp_eq_u32_e32 vcc, 0, v1
	v_lshlrev_b64 v[22:23], 1, v[2:3]
	ds_read_u16 v5, v4
	ds_read_u16 v72, v4 offset:512
	ds_read_u16 v73, v4 offset:1024
	;; [unrolled: 1-line block ×3, first 2 shown]
	v_mov_b32_e32 v2, v12
	s_or_b64 s[14:15], vcc, s[14:15]
	v_add_co_u32_e32 v22, vcc, v7, v22
	v_addc_co_u32_e32 v23, vcc, v17, v23, vcc
	v_lshlrev_b64 v[24:25], 1, v[2:3]
	v_mov_b32_e32 v2, v13
	v_add_co_u32_e32 v24, vcc, v7, v24
	v_add_co_u32_e64 v20, s[2:3], v7, v20
	v_addc_co_u32_e32 v25, vcc, v17, v25, vcc
	v_lshlrev_b64 v[70:71], 1, v[2:3]
	v_add_u32_e32 v10, 0x400, v10
	v_add_u32_e32 v4, 0x800, v4
	;; [unrolled: 1-line block ×3, first 2 shown]
	v_addc_co_u32_e64 v21, s[2:3], v17, v21, s[2:3]
	v_add_u32_e32 v12, 0x400, v12
	v_add_u32_e32 v13, 0x400, v13
	v_add_co_u32_e32 v70, vcc, v7, v70
	v_addc_co_u32_e32 v71, vcc, v17, v71, vcc
	s_waitcnt lgkmcnt(3)
	global_store_short v[20:21], v5, off
	s_waitcnt lgkmcnt(2)
	global_store_short v[22:23], v72, off
	;; [unrolled: 2-line block ×4, first 2 shown]
	s_andn2_b64 exec, exec, s[14:15]
	s_cbranch_execnz .LBB867_126
.LBB867_127:
	s_or_b64 exec, exec, s[12:13]
	v_add_u32_e32 v1, 1, v14
	v_and_b32_e32 v3, 0x1fffffc, v1
	v_cmp_ne_u32_e32 vcc, v1, v3
	v_lshl_or_b32 v2, v3, 8, v0
	s_orn2_b64 s[2:3], vcc, exec
.LBB867_128:
	s_or_b64 exec, exec, s[10:11]
	s_andn2_b64 s[6:7], s[6:7], exec
	s_and_b64 s[2:3], s[2:3], exec
	s_or_b64 s[6:7], s[6:7], s[2:3]
.LBB867_129:
	s_or_b64 exec, exec, s[8:9]
	s_and_b64 exec, exec, s[6:7]
	s_cbranch_execz .LBB867_132
; %bb.130:
	v_lshlrev_b32_e32 v1, 1, v2
	s_mov_b64 s[2:3], 0
	v_mov_b32_e32 v3, 0
.LBB867_131:                            ; =>This Inner Loop Header: Depth=1
	v_lshlrev_b64 v[4:5], 1, v[2:3]
	ds_read_u16 v10, v1
	v_add_co_u32_e32 v4, vcc, v7, v4
	v_add_u32_e32 v2, 0x100, v2
	v_addc_co_u32_e32 v5, vcc, v17, v5, vcc
	v_cmp_ge_u32_e32 vcc, v2, v6
	v_add_u32_e32 v1, 0x200, v1
	s_or_b64 s[2:3], vcc, s[2:3]
	s_waitcnt lgkmcnt(0)
	global_store_short v[4:5], v10, off
	s_andn2_b64 exec, exec, s[2:3]
	s_cbranch_execnz .LBB867_131
.LBB867_132:
	s_or_b64 exec, exec, s[4:5]
.LBB867_133:
	s_cmpk_lg_i32 s33, 0xf00
	s_cselect_b64 s[2:3], -1, 0
	v_cndmask_b32_e64 v10, 0, 1, s[46:47]
	s_and_b64 s[2:3], s[2:3], s[44:45]
	v_sub_u32_e32 v1, v6, v10
	v_cndmask_b32_e64 v2, 0, 1, s[2:3]
	s_and_b64 s[0:1], s[0:1], s[46:47]
	v_add_u32_e32 v1, v1, v2
	v_cndmask_b32_e64 v2, v69, 0, s[0:1]
	s_mul_hi_u32 s0, s33, 0x88888889
	s_lshr_b32 s0, s0, 3
	v_mad_i32_i24 v3, v0, -15, s33
	v_cmp_eq_u32_e32 vcc, s0, v0
	v_cmp_ne_u32_e64 s[0:1], 0, v3
	v_cndmask_b32_e64 v4, 1, v2, s[0:1]
	v_cmp_ne_u32_e64 s[0:1], 1, v3
	v_cndmask_b32_e64 v5, 1, v67, s[0:1]
	;; [unrolled: 2-line block ×15, first 2 shown]
	s_and_b64 vcc, vcc, s[44:45]
	v_cndmask_b32_e32 v59, v59, v3, vcc
	v_cndmask_b32_e32 v20, v57, v20, vcc
	;; [unrolled: 1-line block ×3, first 2 shown]
	v_lshlrev_b64 v[2:3], 3, v[18:19]
	v_cndmask_b32_e32 v25, v58, v25, vcc
	v_cndmask_b32_e32 v15, v15, v24, vcc
	;; [unrolled: 1-line block ×12, first 2 shown]
	v_mov_b32_e32 v4, s51
	v_add_co_u32_e32 v5, vcc, s50, v2
	v_addc_co_u32_e32 v7, vcc, v4, v3, vcc
	v_lshlrev_b64 v[2:3], 3, v[8:9]
	v_add_co_u32_e32 v4, vcc, v5, v2
	v_addc_co_u32_e32 v5, vcc, v7, v3, vcc
	v_lshlrev_b32_e32 v2, 3, v10
	v_add_co_u32_e32 v2, vcc, v2, v4
	v_addc_co_u32_e32 v3, vcc, 0, v5, vcc
	v_add_co_u32_e32 v7, vcc, -8, v2
	v_addc_co_u32_e32 v9, vcc, -1, v3, vcc
	v_cmp_eq_u32_e32 vcc, 0, v57
	v_cndmask_b32_e64 v3, 1, 2, vcc
	v_cmp_eq_u32_e32 vcc, 0, v56
	v_add_u32_e32 v2, v8, v10
	v_cndmask_b32_e64 v10, 1, 2, vcc
	v_cmp_eq_u32_e32 vcc, 0, v24
	v_and_b32_e32 v3, v10, v3
	v_cndmask_b32_e64 v10, 1, 2, vcc
	v_cmp_eq_u32_e32 vcc, 0, v11
	v_and_b32_e32 v3, v3, v10
	;; [unrolled: 3-line block ×13, first 2 shown]
	v_cndmask_b32_e64 v10, 1, 2, vcc
	s_movk_i32 s30, 0x100
	v_and_b32_e32 v3, v3, v10
	v_cmp_gt_u32_e32 vcc, s30, v1
	v_cmp_ne_u32_e64 s[28:29], 0, v57
	v_cmp_ne_u32_e64 s[26:27], 0, v56
	;; [unrolled: 1-line block ×15, first 2 shown]
	s_mov_b64 s[34:35], -1
	v_cmp_gt_i16_e64 s[30:31], 2, v3
	s_barrier
	s_cbranch_vccz .LBB867_140
; %bb.134:
	s_and_saveexec_b64 s[34:35], s[30:31]
	s_cbranch_execz .LBB867_139
; %bb.135:
	v_cmp_ne_u16_e32 vcc, 1, v3
	s_mov_b64 s[36:37], 0
	s_and_saveexec_b64 s[30:31], vcc
	s_xor_b64 s[30:31], exec, s[30:31]
	s_cbranch_execnz .LBB867_189
; %bb.136:
	s_andn2_saveexec_b64 s[30:31], s[30:31]
	s_cbranch_execnz .LBB867_205
.LBB867_137:
	s_or_b64 exec, exec, s[30:31]
	s_and_b64 exec, exec, s[36:37]
	s_cbranch_execz .LBB867_139
.LBB867_138:
	v_mov_b32_e32 v11, 0
	v_sub_u32_e32 v12, v26, v2
	v_mov_b32_e32 v13, v11
	v_lshlrev_b64 v[12:13], 3, v[12:13]
	v_add_co_u32_e32 v12, vcc, v7, v12
	v_mov_b32_e32 v10, v27
	v_addc_co_u32_e32 v13, vcc, v9, v13, vcc
	global_store_dwordx2 v[12:13], v[10:11], off
.LBB867_139:
	s_or_b64 exec, exec, s[34:35]
	s_mov_b64 s[34:35], 0
.LBB867_140:
	s_and_b64 vcc, exec, s[34:35]
	s_cbranch_vccz .LBB867_150
; %bb.141:
	v_cmp_gt_i16_e32 vcc, 2, v3
	s_and_saveexec_b64 s[30:31], vcc
	s_cbranch_execz .LBB867_146
; %bb.142:
	v_cmp_ne_u16_e32 vcc, 1, v3
	s_mov_b64 s[36:37], 0
	s_and_saveexec_b64 s[34:35], vcc
	s_xor_b64 s[34:35], exec, s[34:35]
	s_cbranch_execnz .LBB867_206
; %bb.143:
	s_andn2_saveexec_b64 s[0:1], s[34:35]
	s_cbranch_execnz .LBB867_222
.LBB867_144:
	s_or_b64 exec, exec, s[0:1]
	s_and_b64 exec, exec, s[36:37]
	s_cbranch_execz .LBB867_146
.LBB867_145:
	v_sub_u32_e32 v2, v26, v2
	v_lshlrev_b32_e32 v2, 2, v2
	ds_write_b32 v2, v27
.LBB867_146:
	s_or_b64 exec, exec, s[30:31]
	v_cmp_lt_u32_e32 vcc, v0, v1
	s_waitcnt lgkmcnt(0)
	s_barrier
	s_and_saveexec_b64 s[0:1], vcc
	s_cbranch_execz .LBB867_149
; %bb.147:
	v_lshlrev_b32_e32 v10, 2, v0
	s_mov_b64 s[2:3], 0
	v_mov_b32_e32 v3, 0
	v_mov_b32_e32 v2, v0
.LBB867_148:                            ; =>This Inner Loop Header: Depth=1
	ds_read_b32 v12, v10
	v_lshlrev_b64 v[14:15], 3, v[2:3]
	v_add_co_u32_e32 v14, vcc, v7, v14
	v_add_u32_e32 v2, 0x100, v2
	v_addc_co_u32_e32 v15, vcc, v9, v15, vcc
	v_cmp_ge_u32_e32 vcc, v2, v1
	v_mov_b32_e32 v13, v3
	v_add_u32_e32 v10, 0x400, v10
	s_or_b64 s[2:3], vcc, s[2:3]
	s_waitcnt lgkmcnt(0)
	global_store_dwordx2 v[14:15], v[12:13], off
	s_andn2_b64 exec, exec, s[2:3]
	s_cbranch_execnz .LBB867_148
.LBB867_149:
	s_or_b64 exec, exec, s[0:1]
.LBB867_150:
	s_movk_i32 s0, 0xff
	v_cmp_eq_u32_e32 vcc, s0, v0
	s_and_b64 s[0:1], vcc, s[44:45]
	s_and_saveexec_b64 s[2:3], s[0:1]
	s_cbranch_execz .LBB867_153
; %bb.151:
	v_add_co_u32_e32 v0, vcc, v6, v8
	v_addc_co_u32_e64 v1, s[0:1], 0, 0, vcc
	v_add_co_u32_e32 v0, vcc, v0, v18
	v_mov_b32_e32 v7, 0
	v_addc_co_u32_e32 v1, vcc, v1, v19, vcc
	s_cmpk_lg_i32 s33, 0xf00
	global_store_dwordx2 v7, v[0:1], s[56:57]
	s_cbranch_scc1 .LBB867_153
; %bb.152:
	v_lshlrev_b64 v[0:1], 3, v[6:7]
	v_add_co_u32_e32 v0, vcc, v4, v0
	v_mov_b32_e32 v17, v7
	v_addc_co_u32_e32 v1, vcc, v5, v1, vcc
	global_store_dwordx2 v[0:1], v[16:17], off offset:-8
.LBB867_153:
	s_endpgm
.LBB867_154:
	s_or_b64 exec, exec, s[4:5]
	v_mov_b32_e32 v69, s14
	s_and_saveexec_b64 s[2:3], s[8:9]
	s_cbranch_execnz .LBB867_58
	s_branch .LBB867_59
.LBB867_155:
	s_and_saveexec_b64 s[38:39], s[30:31]
	s_cbranch_execnz .LBB867_223
; %bb.156:
	s_or_b64 exec, exec, s[38:39]
	s_and_saveexec_b64 s[38:39], s[28:29]
	s_cbranch_execnz .LBB867_224
.LBB867_157:
	s_or_b64 exec, exec, s[38:39]
	s_and_saveexec_b64 s[38:39], s[26:27]
	s_cbranch_execnz .LBB867_225
.LBB867_158:
	s_or_b64 exec, exec, s[38:39]
	s_and_saveexec_b64 s[38:39], s[24:25]
	s_cbranch_execnz .LBB867_226
.LBB867_159:
	s_or_b64 exec, exec, s[38:39]
	s_and_saveexec_b64 s[38:39], s[22:23]
	s_cbranch_execnz .LBB867_227
.LBB867_160:
	s_or_b64 exec, exec, s[38:39]
	s_and_saveexec_b64 s[38:39], s[20:21]
	s_cbranch_execnz .LBB867_228
.LBB867_161:
	s_or_b64 exec, exec, s[38:39]
	s_and_saveexec_b64 s[38:39], s[18:19]
	s_cbranch_execnz .LBB867_229
.LBB867_162:
	s_or_b64 exec, exec, s[38:39]
	s_and_saveexec_b64 s[38:39], s[16:17]
	s_cbranch_execnz .LBB867_230
.LBB867_163:
	s_or_b64 exec, exec, s[38:39]
	s_and_saveexec_b64 s[38:39], s[14:15]
	s_cbranch_execnz .LBB867_231
.LBB867_164:
	s_or_b64 exec, exec, s[38:39]
	s_and_saveexec_b64 s[38:39], s[12:13]
	s_cbranch_execnz .LBB867_232
.LBB867_165:
	s_or_b64 exec, exec, s[38:39]
	s_and_saveexec_b64 s[38:39], s[10:11]
	s_cbranch_execnz .LBB867_233
.LBB867_166:
	s_or_b64 exec, exec, s[38:39]
	s_and_saveexec_b64 s[38:39], s[8:9]
	s_cbranch_execnz .LBB867_234
.LBB867_167:
	s_or_b64 exec, exec, s[38:39]
	s_and_saveexec_b64 s[38:39], s[6:7]
	s_cbranch_execnz .LBB867_235
.LBB867_168:
	s_or_b64 exec, exec, s[38:39]
	s_and_saveexec_b64 s[38:39], s[4:5]
	s_cbranch_execz .LBB867_170
.LBB867_169:
	v_sub_u32_e32 v20, v28, v8
	v_mov_b32_e32 v21, 0
	v_lshlrev_b64 v[20:21], 1, v[20:21]
	v_add_co_u32_e32 v20, vcc, v7, v20
	v_addc_co_u32_e32 v21, vcc, v17, v21, vcc
	global_store_short_d16_hi v[20:21], v14, off
.LBB867_170:
	s_or_b64 exec, exec, s[38:39]
	s_and_b64 s[38:39], s[2:3], exec
	s_andn2_saveexec_b64 s[34:35], s[34:35]
	s_cbranch_execz .LBB867_108
.LBB867_171:
	v_sub_u32_e32 v20, v54, v8
	v_mov_b32_e32 v21, 0
	v_lshlrev_b64 v[22:23], 1, v[20:21]
	v_add_co_u32_e32 v22, vcc, v7, v22
	v_addc_co_u32_e32 v23, vcc, v17, v23, vcc
	v_sub_u32_e32 v20, v52, v8
	global_store_short v[22:23], v2, off
	v_lshlrev_b64 v[22:23], 1, v[20:21]
	v_add_co_u32_e32 v22, vcc, v7, v22
	v_addc_co_u32_e32 v23, vcc, v17, v23, vcc
	v_sub_u32_e32 v20, v50, v8
	global_store_short_d16_hi v[22:23], v2, off
	v_lshlrev_b64 v[22:23], 1, v[20:21]
	v_add_co_u32_e32 v22, vcc, v7, v22
	v_addc_co_u32_e32 v23, vcc, v17, v23, vcc
	v_sub_u32_e32 v20, v48, v8
	global_store_short v[22:23], v3, off
	v_lshlrev_b64 v[22:23], 1, v[20:21]
	v_add_co_u32_e32 v22, vcc, v7, v22
	v_addc_co_u32_e32 v23, vcc, v17, v23, vcc
	v_sub_u32_e32 v20, v46, v8
	global_store_short_d16_hi v[22:23], v3, off
	;; [unrolled: 10-line block ×6, first 2 shown]
	v_lshlrev_b64 v[22:23], 1, v[20:21]
	v_add_co_u32_e32 v22, vcc, v7, v22
	v_sub_u32_e32 v20, v28, v8
	v_addc_co_u32_e32 v23, vcc, v17, v23, vcc
	v_lshlrev_b64 v[20:21], 1, v[20:21]
	v_add_co_u32_e32 v20, vcc, v7, v20
	v_addc_co_u32_e32 v21, vcc, v17, v21, vcc
	s_or_b64 s[38:39], s[38:39], exec
	global_store_short v[22:23], v14, off
	global_store_short_d16_hi v[20:21], v14, off
	s_or_b64 exec, exec, s[34:35]
	s_and_b64 exec, exec, s[38:39]
	s_cbranch_execnz .LBB867_109
	s_branch .LBB867_110
.LBB867_172:
	s_and_saveexec_b64 s[38:39], s[30:31]
	s_cbranch_execnz .LBB867_236
; %bb.173:
	s_or_b64 exec, exec, s[38:39]
	s_and_saveexec_b64 s[30:31], s[28:29]
	s_cbranch_execnz .LBB867_237
.LBB867_174:
	s_or_b64 exec, exec, s[30:31]
	s_and_saveexec_b64 s[28:29], s[26:27]
	s_cbranch_execnz .LBB867_238
.LBB867_175:
	s_or_b64 exec, exec, s[28:29]
	s_and_saveexec_b64 s[26:27], s[24:25]
	s_cbranch_execnz .LBB867_239
.LBB867_176:
	s_or_b64 exec, exec, s[26:27]
	s_and_saveexec_b64 s[24:25], s[22:23]
	s_cbranch_execnz .LBB867_240
.LBB867_177:
	s_or_b64 exec, exec, s[24:25]
	s_and_saveexec_b64 s[22:23], s[20:21]
	s_cbranch_execnz .LBB867_241
.LBB867_178:
	s_or_b64 exec, exec, s[22:23]
	s_and_saveexec_b64 s[20:21], s[18:19]
	s_cbranch_execnz .LBB867_242
.LBB867_179:
	s_or_b64 exec, exec, s[20:21]
	s_and_saveexec_b64 s[18:19], s[16:17]
	s_cbranch_execnz .LBB867_243
.LBB867_180:
	s_or_b64 exec, exec, s[18:19]
	s_and_saveexec_b64 s[16:17], s[14:15]
	s_cbranch_execnz .LBB867_244
.LBB867_181:
	s_or_b64 exec, exec, s[16:17]
	s_and_saveexec_b64 s[14:15], s[12:13]
	s_cbranch_execnz .LBB867_245
.LBB867_182:
	s_or_b64 exec, exec, s[14:15]
	s_and_saveexec_b64 s[12:13], s[10:11]
	s_cbranch_execnz .LBB867_246
.LBB867_183:
	s_or_b64 exec, exec, s[12:13]
	s_and_saveexec_b64 s[10:11], s[8:9]
	s_cbranch_execnz .LBB867_247
.LBB867_184:
	s_or_b64 exec, exec, s[10:11]
	s_and_saveexec_b64 s[8:9], s[6:7]
	s_cbranch_execnz .LBB867_248
.LBB867_185:
	s_or_b64 exec, exec, s[8:9]
	s_and_saveexec_b64 s[6:7], s[4:5]
	s_cbranch_execz .LBB867_187
.LBB867_186:
	v_sub_u32_e32 v2, v28, v8
	v_lshlrev_b32_e32 v2, 1, v2
	ds_write_b16_d16_hi v2, v14
.LBB867_187:
	s_or_b64 exec, exec, s[6:7]
	s_and_b64 s[38:39], s[2:3], exec
                                        ; implicit-def: $vgpr2
                                        ; implicit-def: $vgpr12
	s_andn2_saveexec_b64 s[2:3], s[36:37]
	s_cbranch_execz .LBB867_115
.LBB867_188:
	v_sub_u32_e32 v10, v54, v8
	v_lshlrev_b32_e32 v10, 1, v10
	ds_write_b16 v10, v2
	v_sub_u32_e32 v10, v52, v8
	v_lshlrev_b32_e32 v10, 1, v10
	ds_write_b16_d16_hi v10, v2
	v_sub_u32_e32 v2, v50, v8
	v_lshlrev_b32_e32 v2, 1, v2
	ds_write_b16 v2, v3
	v_sub_u32_e32 v2, v48, v8
	v_lshlrev_b32_e32 v2, 1, v2
	ds_write_b16_d16_hi v2, v3
	v_sub_u32_e32 v2, v46, v8
	v_lshlrev_b32_e32 v2, 1, v2
	ds_write_b16 v2, v4
	v_sub_u32_e32 v2, v44, v8
	v_lshlrev_b32_e32 v2, 1, v2
	ds_write_b16_d16_hi v2, v4
	v_sub_u32_e32 v2, v42, v8
	v_lshlrev_b32_e32 v2, 1, v2
	ds_write_b16 v2, v5
	v_sub_u32_e32 v2, v40, v8
	v_lshlrev_b32_e32 v2, 1, v2
	ds_write_b16_d16_hi v2, v5
	v_sub_u32_e32 v2, v38, v8
	v_lshlrev_b32_e32 v2, 1, v2
	ds_write_b16 v2, v12
	v_sub_u32_e32 v2, v36, v8
	v_lshlrev_b32_e32 v2, 1, v2
	ds_write_b16_d16_hi v2, v12
	v_sub_u32_e32 v2, v34, v8
	v_lshlrev_b32_e32 v2, 1, v2
	ds_write_b16 v2, v13
	v_sub_u32_e32 v2, v32, v8
	v_lshlrev_b32_e32 v2, 1, v2
	ds_write_b16_d16_hi v2, v13
	v_sub_u32_e32 v2, v30, v8
	v_lshlrev_b32_e32 v2, 1, v2
	ds_write_b16 v2, v14
	v_sub_u32_e32 v2, v28, v8
	v_lshlrev_b32_e32 v2, 1, v2
	s_or_b64 s[38:39], s[38:39], exec
	ds_write_b16_d16_hi v2, v14
	s_or_b64 exec, exec, s[2:3]
	s_and_b64 exec, exec, s[38:39]
	s_cbranch_execnz .LBB867_116
	s_branch .LBB867_117
.LBB867_189:
	s_and_saveexec_b64 s[36:37], s[28:29]
	s_cbranch_execnz .LBB867_249
; %bb.190:
	s_or_b64 exec, exec, s[36:37]
	s_and_saveexec_b64 s[36:37], s[26:27]
	s_cbranch_execnz .LBB867_250
.LBB867_191:
	s_or_b64 exec, exec, s[36:37]
	s_and_saveexec_b64 s[36:37], s[24:25]
	s_cbranch_execnz .LBB867_251
.LBB867_192:
	s_or_b64 exec, exec, s[36:37]
	s_and_saveexec_b64 s[36:37], s[22:23]
	s_cbranch_execnz .LBB867_252
.LBB867_193:
	s_or_b64 exec, exec, s[36:37]
	s_and_saveexec_b64 s[36:37], s[20:21]
	s_cbranch_execnz .LBB867_253
.LBB867_194:
	s_or_b64 exec, exec, s[36:37]
	s_and_saveexec_b64 s[36:37], s[18:19]
	s_cbranch_execnz .LBB867_254
.LBB867_195:
	s_or_b64 exec, exec, s[36:37]
	s_and_saveexec_b64 s[36:37], s[16:17]
	s_cbranch_execnz .LBB867_255
.LBB867_196:
	s_or_b64 exec, exec, s[36:37]
	s_and_saveexec_b64 s[36:37], s[14:15]
	s_cbranch_execnz .LBB867_256
.LBB867_197:
	s_or_b64 exec, exec, s[36:37]
	s_and_saveexec_b64 s[36:37], s[12:13]
	s_cbranch_execnz .LBB867_257
.LBB867_198:
	s_or_b64 exec, exec, s[36:37]
	s_and_saveexec_b64 s[36:37], s[10:11]
	s_cbranch_execnz .LBB867_258
.LBB867_199:
	s_or_b64 exec, exec, s[36:37]
	s_and_saveexec_b64 s[36:37], s[8:9]
	s_cbranch_execnz .LBB867_259
.LBB867_200:
	s_or_b64 exec, exec, s[36:37]
	s_and_saveexec_b64 s[36:37], s[6:7]
	s_cbranch_execnz .LBB867_260
.LBB867_201:
	s_or_b64 exec, exec, s[36:37]
	s_and_saveexec_b64 s[36:37], s[4:5]
	s_cbranch_execnz .LBB867_261
.LBB867_202:
	s_or_b64 exec, exec, s[36:37]
	s_and_saveexec_b64 s[36:37], s[2:3]
	s_cbranch_execz .LBB867_204
.LBB867_203:
	v_sub_u32_e32 v10, v28, v2
	v_mov_b32_e32 v11, 0
	v_lshlrev_b64 v[12:13], 3, v[10:11]
	v_add_co_u32_e32 v12, vcc, v7, v12
	v_addc_co_u32_e32 v13, vcc, v9, v13, vcc
	v_mov_b32_e32 v10, v29
	global_store_dwordx2 v[12:13], v[10:11], off
.LBB867_204:
	s_or_b64 exec, exec, s[36:37]
	s_and_b64 s[36:37], s[0:1], exec
	s_andn2_saveexec_b64 s[30:31], s[30:31]
	s_cbranch_execz .LBB867_137
.LBB867_205:
	v_mov_b32_e32 v11, 0
	v_sub_u32_e32 v12, v54, v2
	v_mov_b32_e32 v13, v11
	v_lshlrev_b64 v[12:13], 3, v[12:13]
	v_add_co_u32_e32 v12, vcc, v7, v12
	v_mov_b32_e32 v10, v55
	v_addc_co_u32_e32 v13, vcc, v9, v13, vcc
	global_store_dwordx2 v[12:13], v[10:11], off
	v_sub_u32_e32 v12, v52, v2
	v_mov_b32_e32 v13, v11
	v_lshlrev_b64 v[12:13], 3, v[12:13]
	v_add_co_u32_e32 v12, vcc, v7, v12
	v_mov_b32_e32 v10, v53
	v_addc_co_u32_e32 v13, vcc, v9, v13, vcc
	global_store_dwordx2 v[12:13], v[10:11], off
	;; [unrolled: 7-line block ×13, first 2 shown]
	v_sub_u32_e32 v12, v28, v2
	v_mov_b32_e32 v13, v11
	v_lshlrev_b64 v[12:13], 3, v[12:13]
	v_add_co_u32_e32 v12, vcc, v7, v12
	v_mov_b32_e32 v10, v29
	v_addc_co_u32_e32 v13, vcc, v9, v13, vcc
	s_or_b64 s[36:37], s[36:37], exec
	global_store_dwordx2 v[12:13], v[10:11], off
	s_or_b64 exec, exec, s[30:31]
	s_and_b64 exec, exec, s[36:37]
	s_cbranch_execnz .LBB867_138
	s_branch .LBB867_139
.LBB867_206:
	s_and_saveexec_b64 s[36:37], s[28:29]
	s_cbranch_execnz .LBB867_262
; %bb.207:
	s_or_b64 exec, exec, s[36:37]
	s_and_saveexec_b64 s[28:29], s[26:27]
	s_cbranch_execnz .LBB867_263
.LBB867_208:
	s_or_b64 exec, exec, s[28:29]
	s_and_saveexec_b64 s[26:27], s[24:25]
	s_cbranch_execnz .LBB867_264
.LBB867_209:
	s_or_b64 exec, exec, s[26:27]
	s_and_saveexec_b64 s[24:25], s[22:23]
	s_cbranch_execnz .LBB867_265
.LBB867_210:
	s_or_b64 exec, exec, s[24:25]
	s_and_saveexec_b64 s[22:23], s[20:21]
	s_cbranch_execnz .LBB867_266
.LBB867_211:
	s_or_b64 exec, exec, s[22:23]
	s_and_saveexec_b64 s[20:21], s[18:19]
	s_cbranch_execnz .LBB867_267
.LBB867_212:
	s_or_b64 exec, exec, s[20:21]
	s_and_saveexec_b64 s[18:19], s[16:17]
	s_cbranch_execnz .LBB867_268
.LBB867_213:
	s_or_b64 exec, exec, s[18:19]
	s_and_saveexec_b64 s[16:17], s[14:15]
	s_cbranch_execnz .LBB867_269
.LBB867_214:
	s_or_b64 exec, exec, s[16:17]
	s_and_saveexec_b64 s[14:15], s[12:13]
	s_cbranch_execnz .LBB867_270
.LBB867_215:
	s_or_b64 exec, exec, s[14:15]
	s_and_saveexec_b64 s[12:13], s[10:11]
	s_cbranch_execnz .LBB867_271
.LBB867_216:
	s_or_b64 exec, exec, s[12:13]
	s_and_saveexec_b64 s[10:11], s[8:9]
	s_cbranch_execnz .LBB867_272
.LBB867_217:
	s_or_b64 exec, exec, s[10:11]
	s_and_saveexec_b64 s[8:9], s[6:7]
	s_cbranch_execnz .LBB867_273
.LBB867_218:
	s_or_b64 exec, exec, s[8:9]
	s_and_saveexec_b64 s[6:7], s[4:5]
	s_cbranch_execnz .LBB867_274
.LBB867_219:
	s_or_b64 exec, exec, s[6:7]
	s_and_saveexec_b64 s[4:5], s[2:3]
	s_cbranch_execz .LBB867_221
.LBB867_220:
	v_sub_u32_e32 v3, v28, v2
	v_lshlrev_b32_e32 v3, 2, v3
	ds_write_b32 v3, v29
.LBB867_221:
	s_or_b64 exec, exec, s[4:5]
	s_and_b64 s[36:37], s[0:1], exec
                                        ; implicit-def: $vgpr54_vgpr55
                                        ; implicit-def: $vgpr52_vgpr53
                                        ; implicit-def: $vgpr50_vgpr51
                                        ; implicit-def: $vgpr48_vgpr49
                                        ; implicit-def: $vgpr46_vgpr47
                                        ; implicit-def: $vgpr44_vgpr45
                                        ; implicit-def: $vgpr42_vgpr43
                                        ; implicit-def: $vgpr40_vgpr41
                                        ; implicit-def: $vgpr38_vgpr39
                                        ; implicit-def: $vgpr36_vgpr37
                                        ; implicit-def: $vgpr34_vgpr35
                                        ; implicit-def: $vgpr32_vgpr33
                                        ; implicit-def: $vgpr30_vgpr31
                                        ; implicit-def: $vgpr28_vgpr29
	s_andn2_saveexec_b64 s[0:1], s[34:35]
	s_cbranch_execz .LBB867_144
.LBB867_222:
	v_sub_u32_e32 v3, v54, v2
	v_lshlrev_b32_e32 v3, 2, v3
	ds_write_b32 v3, v55
	v_sub_u32_e32 v3, v52, v2
	v_lshlrev_b32_e32 v3, 2, v3
	ds_write_b32 v3, v53
	;; [unrolled: 3-line block ×13, first 2 shown]
	v_sub_u32_e32 v3, v28, v2
	v_lshlrev_b32_e32 v3, 2, v3
	s_or_b64 s[36:37], s[36:37], exec
	ds_write_b32 v3, v29
	s_or_b64 exec, exec, s[0:1]
	s_and_b64 exec, exec, s[36:37]
	s_cbranch_execnz .LBB867_145
	s_branch .LBB867_146
.LBB867_223:
	v_sub_u32_e32 v20, v54, v8
	v_mov_b32_e32 v21, 0
	v_lshlrev_b64 v[20:21], 1, v[20:21]
	v_add_co_u32_e32 v20, vcc, v7, v20
	v_addc_co_u32_e32 v21, vcc, v17, v21, vcc
	global_store_short v[20:21], v2, off
	s_or_b64 exec, exec, s[38:39]
	s_and_saveexec_b64 s[38:39], s[28:29]
	s_cbranch_execz .LBB867_157
.LBB867_224:
	v_sub_u32_e32 v20, v52, v8
	v_mov_b32_e32 v21, 0
	v_lshlrev_b64 v[20:21], 1, v[20:21]
	v_add_co_u32_e32 v20, vcc, v7, v20
	v_addc_co_u32_e32 v21, vcc, v17, v21, vcc
	global_store_short_d16_hi v[20:21], v2, off
	s_or_b64 exec, exec, s[38:39]
	s_and_saveexec_b64 s[38:39], s[26:27]
	s_cbranch_execz .LBB867_158
.LBB867_225:
	v_sub_u32_e32 v20, v50, v8
	v_mov_b32_e32 v21, 0
	v_lshlrev_b64 v[20:21], 1, v[20:21]
	v_add_co_u32_e32 v20, vcc, v7, v20
	v_addc_co_u32_e32 v21, vcc, v17, v21, vcc
	global_store_short v[20:21], v3, off
	s_or_b64 exec, exec, s[38:39]
	s_and_saveexec_b64 s[38:39], s[24:25]
	s_cbranch_execz .LBB867_159
.LBB867_226:
	v_sub_u32_e32 v20, v48, v8
	v_mov_b32_e32 v21, 0
	v_lshlrev_b64 v[20:21], 1, v[20:21]
	v_add_co_u32_e32 v20, vcc, v7, v20
	v_addc_co_u32_e32 v21, vcc, v17, v21, vcc
	global_store_short_d16_hi v[20:21], v3, off
	s_or_b64 exec, exec, s[38:39]
	s_and_saveexec_b64 s[38:39], s[22:23]
	s_cbranch_execz .LBB867_160
.LBB867_227:
	v_sub_u32_e32 v20, v46, v8
	v_mov_b32_e32 v21, 0
	v_lshlrev_b64 v[20:21], 1, v[20:21]
	v_add_co_u32_e32 v20, vcc, v7, v20
	v_addc_co_u32_e32 v21, vcc, v17, v21, vcc
	global_store_short v[20:21], v4, off
	s_or_b64 exec, exec, s[38:39]
	s_and_saveexec_b64 s[38:39], s[20:21]
	s_cbranch_execz .LBB867_161
.LBB867_228:
	v_sub_u32_e32 v20, v44, v8
	v_mov_b32_e32 v21, 0
	v_lshlrev_b64 v[20:21], 1, v[20:21]
	v_add_co_u32_e32 v20, vcc, v7, v20
	v_addc_co_u32_e32 v21, vcc, v17, v21, vcc
	global_store_short_d16_hi v[20:21], v4, off
	s_or_b64 exec, exec, s[38:39]
	s_and_saveexec_b64 s[38:39], s[18:19]
	s_cbranch_execz .LBB867_162
.LBB867_229:
	v_sub_u32_e32 v20, v42, v8
	v_mov_b32_e32 v21, 0
	v_lshlrev_b64 v[20:21], 1, v[20:21]
	v_add_co_u32_e32 v20, vcc, v7, v20
	v_addc_co_u32_e32 v21, vcc, v17, v21, vcc
	global_store_short v[20:21], v5, off
	s_or_b64 exec, exec, s[38:39]
	s_and_saveexec_b64 s[38:39], s[16:17]
	s_cbranch_execz .LBB867_163
.LBB867_230:
	v_sub_u32_e32 v20, v40, v8
	v_mov_b32_e32 v21, 0
	v_lshlrev_b64 v[20:21], 1, v[20:21]
	v_add_co_u32_e32 v20, vcc, v7, v20
	v_addc_co_u32_e32 v21, vcc, v17, v21, vcc
	global_store_short_d16_hi v[20:21], v5, off
	s_or_b64 exec, exec, s[38:39]
	s_and_saveexec_b64 s[38:39], s[14:15]
	s_cbranch_execz .LBB867_164
.LBB867_231:
	v_sub_u32_e32 v20, v38, v8
	v_mov_b32_e32 v21, 0
	v_lshlrev_b64 v[20:21], 1, v[20:21]
	v_add_co_u32_e32 v20, vcc, v7, v20
	v_addc_co_u32_e32 v21, vcc, v17, v21, vcc
	global_store_short v[20:21], v12, off
	s_or_b64 exec, exec, s[38:39]
	s_and_saveexec_b64 s[38:39], s[12:13]
	s_cbranch_execz .LBB867_165
.LBB867_232:
	v_sub_u32_e32 v20, v36, v8
	v_mov_b32_e32 v21, 0
	v_lshlrev_b64 v[20:21], 1, v[20:21]
	v_add_co_u32_e32 v20, vcc, v7, v20
	v_addc_co_u32_e32 v21, vcc, v17, v21, vcc
	global_store_short_d16_hi v[20:21], v12, off
	s_or_b64 exec, exec, s[38:39]
	s_and_saveexec_b64 s[38:39], s[10:11]
	s_cbranch_execz .LBB867_166
.LBB867_233:
	v_sub_u32_e32 v20, v34, v8
	v_mov_b32_e32 v21, 0
	v_lshlrev_b64 v[20:21], 1, v[20:21]
	v_add_co_u32_e32 v20, vcc, v7, v20
	v_addc_co_u32_e32 v21, vcc, v17, v21, vcc
	global_store_short v[20:21], v13, off
	s_or_b64 exec, exec, s[38:39]
	s_and_saveexec_b64 s[38:39], s[8:9]
	s_cbranch_execz .LBB867_167
.LBB867_234:
	v_sub_u32_e32 v20, v32, v8
	v_mov_b32_e32 v21, 0
	v_lshlrev_b64 v[20:21], 1, v[20:21]
	v_add_co_u32_e32 v20, vcc, v7, v20
	v_addc_co_u32_e32 v21, vcc, v17, v21, vcc
	global_store_short_d16_hi v[20:21], v13, off
	s_or_b64 exec, exec, s[38:39]
	s_and_saveexec_b64 s[38:39], s[6:7]
	s_cbranch_execz .LBB867_168
.LBB867_235:
	v_sub_u32_e32 v20, v30, v8
	v_mov_b32_e32 v21, 0
	v_lshlrev_b64 v[20:21], 1, v[20:21]
	v_add_co_u32_e32 v20, vcc, v7, v20
	v_addc_co_u32_e32 v21, vcc, v17, v21, vcc
	global_store_short v[20:21], v14, off
	s_or_b64 exec, exec, s[38:39]
	s_and_saveexec_b64 s[38:39], s[4:5]
	s_cbranch_execnz .LBB867_169
	s_branch .LBB867_170
.LBB867_236:
	v_sub_u32_e32 v10, v54, v8
	v_lshlrev_b32_e32 v10, 1, v10
	ds_write_b16 v10, v2
	s_or_b64 exec, exec, s[38:39]
	s_and_saveexec_b64 s[30:31], s[28:29]
	s_cbranch_execz .LBB867_174
.LBB867_237:
	v_sub_u32_e32 v10, v52, v8
	v_lshlrev_b32_e32 v10, 1, v10
	ds_write_b16_d16_hi v10, v2
	s_or_b64 exec, exec, s[30:31]
	s_and_saveexec_b64 s[28:29], s[26:27]
	s_cbranch_execz .LBB867_175
.LBB867_238:
	v_sub_u32_e32 v2, v50, v8
	v_lshlrev_b32_e32 v2, 1, v2
	ds_write_b16 v2, v3
	s_or_b64 exec, exec, s[28:29]
	s_and_saveexec_b64 s[26:27], s[24:25]
	s_cbranch_execz .LBB867_176
.LBB867_239:
	v_sub_u32_e32 v2, v48, v8
	v_lshlrev_b32_e32 v2, 1, v2
	ds_write_b16_d16_hi v2, v3
	s_or_b64 exec, exec, s[26:27]
	s_and_saveexec_b64 s[24:25], s[22:23]
	s_cbranch_execz .LBB867_177
.LBB867_240:
	v_sub_u32_e32 v2, v46, v8
	v_lshlrev_b32_e32 v2, 1, v2
	ds_write_b16 v2, v4
	s_or_b64 exec, exec, s[24:25]
	s_and_saveexec_b64 s[22:23], s[20:21]
	s_cbranch_execz .LBB867_178
.LBB867_241:
	v_sub_u32_e32 v2, v44, v8
	v_lshlrev_b32_e32 v2, 1, v2
	ds_write_b16_d16_hi v2, v4
	s_or_b64 exec, exec, s[22:23]
	s_and_saveexec_b64 s[20:21], s[18:19]
	s_cbranch_execz .LBB867_179
.LBB867_242:
	v_sub_u32_e32 v2, v42, v8
	v_lshlrev_b32_e32 v2, 1, v2
	ds_write_b16 v2, v5
	s_or_b64 exec, exec, s[20:21]
	s_and_saveexec_b64 s[18:19], s[16:17]
	s_cbranch_execz .LBB867_180
.LBB867_243:
	v_sub_u32_e32 v2, v40, v8
	v_lshlrev_b32_e32 v2, 1, v2
	ds_write_b16_d16_hi v2, v5
	s_or_b64 exec, exec, s[18:19]
	s_and_saveexec_b64 s[16:17], s[14:15]
	s_cbranch_execz .LBB867_181
.LBB867_244:
	v_sub_u32_e32 v2, v38, v8
	v_lshlrev_b32_e32 v2, 1, v2
	ds_write_b16 v2, v12
	s_or_b64 exec, exec, s[16:17]
	s_and_saveexec_b64 s[14:15], s[12:13]
	s_cbranch_execz .LBB867_182
.LBB867_245:
	v_sub_u32_e32 v2, v36, v8
	v_lshlrev_b32_e32 v2, 1, v2
	ds_write_b16_d16_hi v2, v12
	s_or_b64 exec, exec, s[14:15]
	s_and_saveexec_b64 s[12:13], s[10:11]
	s_cbranch_execz .LBB867_183
.LBB867_246:
	v_sub_u32_e32 v2, v34, v8
	v_lshlrev_b32_e32 v2, 1, v2
	ds_write_b16 v2, v13
	s_or_b64 exec, exec, s[12:13]
	s_and_saveexec_b64 s[10:11], s[8:9]
	s_cbranch_execz .LBB867_184
.LBB867_247:
	v_sub_u32_e32 v2, v32, v8
	v_lshlrev_b32_e32 v2, 1, v2
	ds_write_b16_d16_hi v2, v13
	s_or_b64 exec, exec, s[10:11]
	s_and_saveexec_b64 s[8:9], s[6:7]
	s_cbranch_execz .LBB867_185
.LBB867_248:
	v_sub_u32_e32 v2, v30, v8
	v_lshlrev_b32_e32 v2, 1, v2
	ds_write_b16 v2, v14
	s_or_b64 exec, exec, s[8:9]
	s_and_saveexec_b64 s[6:7], s[4:5]
	s_cbranch_execnz .LBB867_186
	s_branch .LBB867_187
.LBB867_249:
	v_sub_u32_e32 v10, v54, v2
	v_mov_b32_e32 v11, 0
	v_lshlrev_b64 v[12:13], 3, v[10:11]
	v_add_co_u32_e32 v12, vcc, v7, v12
	v_addc_co_u32_e32 v13, vcc, v9, v13, vcc
	v_mov_b32_e32 v10, v55
	global_store_dwordx2 v[12:13], v[10:11], off
	s_or_b64 exec, exec, s[36:37]
	s_and_saveexec_b64 s[36:37], s[26:27]
	s_cbranch_execz .LBB867_191
.LBB867_250:
	v_sub_u32_e32 v10, v52, v2
	v_mov_b32_e32 v11, 0
	v_lshlrev_b64 v[12:13], 3, v[10:11]
	v_add_co_u32_e32 v12, vcc, v7, v12
	v_addc_co_u32_e32 v13, vcc, v9, v13, vcc
	v_mov_b32_e32 v10, v53
	global_store_dwordx2 v[12:13], v[10:11], off
	s_or_b64 exec, exec, s[36:37]
	s_and_saveexec_b64 s[36:37], s[24:25]
	s_cbranch_execz .LBB867_192
.LBB867_251:
	v_sub_u32_e32 v10, v50, v2
	v_mov_b32_e32 v11, 0
	v_lshlrev_b64 v[12:13], 3, v[10:11]
	v_add_co_u32_e32 v12, vcc, v7, v12
	v_addc_co_u32_e32 v13, vcc, v9, v13, vcc
	v_mov_b32_e32 v10, v51
	global_store_dwordx2 v[12:13], v[10:11], off
	s_or_b64 exec, exec, s[36:37]
	s_and_saveexec_b64 s[36:37], s[22:23]
	s_cbranch_execz .LBB867_193
.LBB867_252:
	v_sub_u32_e32 v10, v48, v2
	v_mov_b32_e32 v11, 0
	v_lshlrev_b64 v[12:13], 3, v[10:11]
	v_add_co_u32_e32 v12, vcc, v7, v12
	v_addc_co_u32_e32 v13, vcc, v9, v13, vcc
	v_mov_b32_e32 v10, v49
	global_store_dwordx2 v[12:13], v[10:11], off
	s_or_b64 exec, exec, s[36:37]
	s_and_saveexec_b64 s[36:37], s[20:21]
	s_cbranch_execz .LBB867_194
.LBB867_253:
	v_sub_u32_e32 v10, v46, v2
	v_mov_b32_e32 v11, 0
	v_lshlrev_b64 v[12:13], 3, v[10:11]
	v_add_co_u32_e32 v12, vcc, v7, v12
	v_addc_co_u32_e32 v13, vcc, v9, v13, vcc
	v_mov_b32_e32 v10, v47
	global_store_dwordx2 v[12:13], v[10:11], off
	s_or_b64 exec, exec, s[36:37]
	s_and_saveexec_b64 s[36:37], s[18:19]
	s_cbranch_execz .LBB867_195
.LBB867_254:
	v_sub_u32_e32 v10, v44, v2
	v_mov_b32_e32 v11, 0
	v_lshlrev_b64 v[12:13], 3, v[10:11]
	v_add_co_u32_e32 v12, vcc, v7, v12
	v_addc_co_u32_e32 v13, vcc, v9, v13, vcc
	v_mov_b32_e32 v10, v45
	global_store_dwordx2 v[12:13], v[10:11], off
	s_or_b64 exec, exec, s[36:37]
	s_and_saveexec_b64 s[36:37], s[16:17]
	s_cbranch_execz .LBB867_196
.LBB867_255:
	v_sub_u32_e32 v10, v42, v2
	v_mov_b32_e32 v11, 0
	v_lshlrev_b64 v[12:13], 3, v[10:11]
	v_add_co_u32_e32 v12, vcc, v7, v12
	v_addc_co_u32_e32 v13, vcc, v9, v13, vcc
	v_mov_b32_e32 v10, v43
	global_store_dwordx2 v[12:13], v[10:11], off
	s_or_b64 exec, exec, s[36:37]
	s_and_saveexec_b64 s[36:37], s[14:15]
	s_cbranch_execz .LBB867_197
.LBB867_256:
	v_sub_u32_e32 v10, v40, v2
	v_mov_b32_e32 v11, 0
	v_lshlrev_b64 v[12:13], 3, v[10:11]
	v_add_co_u32_e32 v12, vcc, v7, v12
	v_addc_co_u32_e32 v13, vcc, v9, v13, vcc
	v_mov_b32_e32 v10, v41
	global_store_dwordx2 v[12:13], v[10:11], off
	s_or_b64 exec, exec, s[36:37]
	s_and_saveexec_b64 s[36:37], s[12:13]
	s_cbranch_execz .LBB867_198
.LBB867_257:
	v_sub_u32_e32 v10, v38, v2
	v_mov_b32_e32 v11, 0
	v_lshlrev_b64 v[12:13], 3, v[10:11]
	v_add_co_u32_e32 v12, vcc, v7, v12
	v_addc_co_u32_e32 v13, vcc, v9, v13, vcc
	v_mov_b32_e32 v10, v39
	global_store_dwordx2 v[12:13], v[10:11], off
	s_or_b64 exec, exec, s[36:37]
	s_and_saveexec_b64 s[36:37], s[10:11]
	s_cbranch_execz .LBB867_199
.LBB867_258:
	v_sub_u32_e32 v10, v36, v2
	v_mov_b32_e32 v11, 0
	v_lshlrev_b64 v[12:13], 3, v[10:11]
	v_add_co_u32_e32 v12, vcc, v7, v12
	v_addc_co_u32_e32 v13, vcc, v9, v13, vcc
	v_mov_b32_e32 v10, v37
	global_store_dwordx2 v[12:13], v[10:11], off
	s_or_b64 exec, exec, s[36:37]
	s_and_saveexec_b64 s[36:37], s[8:9]
	s_cbranch_execz .LBB867_200
.LBB867_259:
	v_sub_u32_e32 v10, v34, v2
	v_mov_b32_e32 v11, 0
	v_lshlrev_b64 v[12:13], 3, v[10:11]
	v_add_co_u32_e32 v12, vcc, v7, v12
	v_addc_co_u32_e32 v13, vcc, v9, v13, vcc
	v_mov_b32_e32 v10, v35
	global_store_dwordx2 v[12:13], v[10:11], off
	s_or_b64 exec, exec, s[36:37]
	s_and_saveexec_b64 s[36:37], s[6:7]
	s_cbranch_execz .LBB867_201
.LBB867_260:
	v_sub_u32_e32 v10, v32, v2
	v_mov_b32_e32 v11, 0
	v_lshlrev_b64 v[12:13], 3, v[10:11]
	v_add_co_u32_e32 v12, vcc, v7, v12
	v_addc_co_u32_e32 v13, vcc, v9, v13, vcc
	v_mov_b32_e32 v10, v33
	global_store_dwordx2 v[12:13], v[10:11], off
	s_or_b64 exec, exec, s[36:37]
	s_and_saveexec_b64 s[36:37], s[4:5]
	s_cbranch_execz .LBB867_202
.LBB867_261:
	v_sub_u32_e32 v10, v30, v2
	v_mov_b32_e32 v11, 0
	v_lshlrev_b64 v[12:13], 3, v[10:11]
	v_add_co_u32_e32 v12, vcc, v7, v12
	v_addc_co_u32_e32 v13, vcc, v9, v13, vcc
	v_mov_b32_e32 v10, v31
	global_store_dwordx2 v[12:13], v[10:11], off
	s_or_b64 exec, exec, s[36:37]
	s_and_saveexec_b64 s[36:37], s[2:3]
	s_cbranch_execnz .LBB867_203
	s_branch .LBB867_204
.LBB867_262:
	v_sub_u32_e32 v3, v54, v2
	v_lshlrev_b32_e32 v3, 2, v3
	ds_write_b32 v3, v55
	s_or_b64 exec, exec, s[36:37]
	s_and_saveexec_b64 s[28:29], s[26:27]
	s_cbranch_execz .LBB867_208
.LBB867_263:
	v_sub_u32_e32 v3, v52, v2
	v_lshlrev_b32_e32 v3, 2, v3
	ds_write_b32 v3, v53
	s_or_b64 exec, exec, s[28:29]
	s_and_saveexec_b64 s[26:27], s[24:25]
	s_cbranch_execz .LBB867_209
.LBB867_264:
	v_sub_u32_e32 v3, v50, v2
	v_lshlrev_b32_e32 v3, 2, v3
	ds_write_b32 v3, v51
	s_or_b64 exec, exec, s[26:27]
	s_and_saveexec_b64 s[24:25], s[22:23]
	s_cbranch_execz .LBB867_210
.LBB867_265:
	v_sub_u32_e32 v3, v48, v2
	v_lshlrev_b32_e32 v3, 2, v3
	ds_write_b32 v3, v49
	s_or_b64 exec, exec, s[24:25]
	s_and_saveexec_b64 s[22:23], s[20:21]
	s_cbranch_execz .LBB867_211
.LBB867_266:
	v_sub_u32_e32 v3, v46, v2
	v_lshlrev_b32_e32 v3, 2, v3
	ds_write_b32 v3, v47
	s_or_b64 exec, exec, s[22:23]
	s_and_saveexec_b64 s[20:21], s[18:19]
	s_cbranch_execz .LBB867_212
.LBB867_267:
	v_sub_u32_e32 v3, v44, v2
	v_lshlrev_b32_e32 v3, 2, v3
	ds_write_b32 v3, v45
	s_or_b64 exec, exec, s[20:21]
	s_and_saveexec_b64 s[18:19], s[16:17]
	s_cbranch_execz .LBB867_213
.LBB867_268:
	v_sub_u32_e32 v3, v42, v2
	v_lshlrev_b32_e32 v3, 2, v3
	ds_write_b32 v3, v43
	s_or_b64 exec, exec, s[18:19]
	s_and_saveexec_b64 s[16:17], s[14:15]
	s_cbranch_execz .LBB867_214
.LBB867_269:
	v_sub_u32_e32 v3, v40, v2
	v_lshlrev_b32_e32 v3, 2, v3
	ds_write_b32 v3, v41
	s_or_b64 exec, exec, s[16:17]
	s_and_saveexec_b64 s[14:15], s[12:13]
	s_cbranch_execz .LBB867_215
.LBB867_270:
	v_sub_u32_e32 v3, v38, v2
	v_lshlrev_b32_e32 v3, 2, v3
	ds_write_b32 v3, v39
	s_or_b64 exec, exec, s[14:15]
	s_and_saveexec_b64 s[12:13], s[10:11]
	s_cbranch_execz .LBB867_216
.LBB867_271:
	v_sub_u32_e32 v3, v36, v2
	v_lshlrev_b32_e32 v3, 2, v3
	ds_write_b32 v3, v37
	s_or_b64 exec, exec, s[12:13]
	s_and_saveexec_b64 s[10:11], s[8:9]
	s_cbranch_execz .LBB867_217
.LBB867_272:
	v_sub_u32_e32 v3, v34, v2
	v_lshlrev_b32_e32 v3, 2, v3
	ds_write_b32 v3, v35
	s_or_b64 exec, exec, s[10:11]
	s_and_saveexec_b64 s[8:9], s[6:7]
	s_cbranch_execz .LBB867_218
.LBB867_273:
	v_sub_u32_e32 v3, v32, v2
	v_lshlrev_b32_e32 v3, 2, v3
	ds_write_b32 v3, v33
	s_or_b64 exec, exec, s[8:9]
	s_and_saveexec_b64 s[6:7], s[4:5]
	s_cbranch_execz .LBB867_219
.LBB867_274:
	v_sub_u32_e32 v3, v30, v2
	v_lshlrev_b32_e32 v3, 2, v3
	ds_write_b32 v3, v31
	s_or_b64 exec, exec, s[6:7]
	s_and_saveexec_b64 s[4:5], s[2:3]
	s_cbranch_execnz .LBB867_220
	s_branch .LBB867_221
	.section	.rodata,"a",@progbits
	.p2align	6, 0x0
	.amdhsa_kernel _ZN7rocprim17ROCPRIM_400000_NS6detail17trampoline_kernelINS0_14default_configENS1_33run_length_encode_config_selectorIN3c108BFloat16EjNS0_4plusIjEEEEZZNS1_33reduce_by_key_impl_wrapped_configILNS1_25lookback_scan_determinismE0ES3_S9_PKS6_NS0_17constant_iteratorIjlEEPS6_PlSH_S8_NS0_8equal_toIS6_EEEE10hipError_tPvRmT2_T3_mT4_T5_T6_T7_T8_P12ihipStream_tbENKUlT_T0_E_clISt17integral_constantIbLb1EES11_EEDaSW_SX_EUlSW_E_NS1_11comp_targetILNS1_3genE4ELNS1_11target_archE910ELNS1_3gpuE8ELNS1_3repE0EEENS1_30default_config_static_selectorELNS0_4arch9wavefront6targetE1EEEvT1_
		.amdhsa_group_segment_fixed_size 15360
		.amdhsa_private_segment_fixed_size 0
		.amdhsa_kernarg_size 128
		.amdhsa_user_sgpr_count 6
		.amdhsa_user_sgpr_private_segment_buffer 1
		.amdhsa_user_sgpr_dispatch_ptr 0
		.amdhsa_user_sgpr_queue_ptr 0
		.amdhsa_user_sgpr_kernarg_segment_ptr 1
		.amdhsa_user_sgpr_dispatch_id 0
		.amdhsa_user_sgpr_flat_scratch_init 0
		.amdhsa_user_sgpr_kernarg_preload_length 0
		.amdhsa_user_sgpr_kernarg_preload_offset 0
		.amdhsa_user_sgpr_private_segment_size 0
		.amdhsa_uses_dynamic_stack 0
		.amdhsa_system_sgpr_private_segment_wavefront_offset 0
		.amdhsa_system_sgpr_workgroup_id_x 1
		.amdhsa_system_sgpr_workgroup_id_y 0
		.amdhsa_system_sgpr_workgroup_id_z 0
		.amdhsa_system_sgpr_workgroup_info 0
		.amdhsa_system_vgpr_workitem_id 0
		.amdhsa_next_free_vgpr 109
		.amdhsa_next_free_sgpr 66
		.amdhsa_accum_offset 112
		.amdhsa_reserve_vcc 1
		.amdhsa_reserve_flat_scratch 0
		.amdhsa_float_round_mode_32 0
		.amdhsa_float_round_mode_16_64 0
		.amdhsa_float_denorm_mode_32 3
		.amdhsa_float_denorm_mode_16_64 3
		.amdhsa_dx10_clamp 1
		.amdhsa_ieee_mode 1
		.amdhsa_fp16_overflow 0
		.amdhsa_tg_split 0
		.amdhsa_exception_fp_ieee_invalid_op 0
		.amdhsa_exception_fp_denorm_src 0
		.amdhsa_exception_fp_ieee_div_zero 0
		.amdhsa_exception_fp_ieee_overflow 0
		.amdhsa_exception_fp_ieee_underflow 0
		.amdhsa_exception_fp_ieee_inexact 0
		.amdhsa_exception_int_div_zero 0
	.end_amdhsa_kernel
	.section	.text._ZN7rocprim17ROCPRIM_400000_NS6detail17trampoline_kernelINS0_14default_configENS1_33run_length_encode_config_selectorIN3c108BFloat16EjNS0_4plusIjEEEEZZNS1_33reduce_by_key_impl_wrapped_configILNS1_25lookback_scan_determinismE0ES3_S9_PKS6_NS0_17constant_iteratorIjlEEPS6_PlSH_S8_NS0_8equal_toIS6_EEEE10hipError_tPvRmT2_T3_mT4_T5_T6_T7_T8_P12ihipStream_tbENKUlT_T0_E_clISt17integral_constantIbLb1EES11_EEDaSW_SX_EUlSW_E_NS1_11comp_targetILNS1_3genE4ELNS1_11target_archE910ELNS1_3gpuE8ELNS1_3repE0EEENS1_30default_config_static_selectorELNS0_4arch9wavefront6targetE1EEEvT1_,"axG",@progbits,_ZN7rocprim17ROCPRIM_400000_NS6detail17trampoline_kernelINS0_14default_configENS1_33run_length_encode_config_selectorIN3c108BFloat16EjNS0_4plusIjEEEEZZNS1_33reduce_by_key_impl_wrapped_configILNS1_25lookback_scan_determinismE0ES3_S9_PKS6_NS0_17constant_iteratorIjlEEPS6_PlSH_S8_NS0_8equal_toIS6_EEEE10hipError_tPvRmT2_T3_mT4_T5_T6_T7_T8_P12ihipStream_tbENKUlT_T0_E_clISt17integral_constantIbLb1EES11_EEDaSW_SX_EUlSW_E_NS1_11comp_targetILNS1_3genE4ELNS1_11target_archE910ELNS1_3gpuE8ELNS1_3repE0EEENS1_30default_config_static_selectorELNS0_4arch9wavefront6targetE1EEEvT1_,comdat
.Lfunc_end867:
	.size	_ZN7rocprim17ROCPRIM_400000_NS6detail17trampoline_kernelINS0_14default_configENS1_33run_length_encode_config_selectorIN3c108BFloat16EjNS0_4plusIjEEEEZZNS1_33reduce_by_key_impl_wrapped_configILNS1_25lookback_scan_determinismE0ES3_S9_PKS6_NS0_17constant_iteratorIjlEEPS6_PlSH_S8_NS0_8equal_toIS6_EEEE10hipError_tPvRmT2_T3_mT4_T5_T6_T7_T8_P12ihipStream_tbENKUlT_T0_E_clISt17integral_constantIbLb1EES11_EEDaSW_SX_EUlSW_E_NS1_11comp_targetILNS1_3genE4ELNS1_11target_archE910ELNS1_3gpuE8ELNS1_3repE0EEENS1_30default_config_static_selectorELNS0_4arch9wavefront6targetE1EEEvT1_, .Lfunc_end867-_ZN7rocprim17ROCPRIM_400000_NS6detail17trampoline_kernelINS0_14default_configENS1_33run_length_encode_config_selectorIN3c108BFloat16EjNS0_4plusIjEEEEZZNS1_33reduce_by_key_impl_wrapped_configILNS1_25lookback_scan_determinismE0ES3_S9_PKS6_NS0_17constant_iteratorIjlEEPS6_PlSH_S8_NS0_8equal_toIS6_EEEE10hipError_tPvRmT2_T3_mT4_T5_T6_T7_T8_P12ihipStream_tbENKUlT_T0_E_clISt17integral_constantIbLb1EES11_EEDaSW_SX_EUlSW_E_NS1_11comp_targetILNS1_3genE4ELNS1_11target_archE910ELNS1_3gpuE8ELNS1_3repE0EEENS1_30default_config_static_selectorELNS0_4arch9wavefront6targetE1EEEvT1_
                                        ; -- End function
	.section	.AMDGPU.csdata,"",@progbits
; Kernel info:
; codeLenInByte = 16340
; NumSgprs: 70
; NumVgprs: 109
; NumAgprs: 0
; TotalNumVgprs: 109
; ScratchSize: 0
; MemoryBound: 0
; FloatMode: 240
; IeeeMode: 1
; LDSByteSize: 15360 bytes/workgroup (compile time only)
; SGPRBlocks: 8
; VGPRBlocks: 13
; NumSGPRsForWavesPerEU: 70
; NumVGPRsForWavesPerEU: 109
; AccumOffset: 112
; Occupancy: 4
; WaveLimiterHint : 1
; COMPUTE_PGM_RSRC2:SCRATCH_EN: 0
; COMPUTE_PGM_RSRC2:USER_SGPR: 6
; COMPUTE_PGM_RSRC2:TRAP_HANDLER: 0
; COMPUTE_PGM_RSRC2:TGID_X_EN: 1
; COMPUTE_PGM_RSRC2:TGID_Y_EN: 0
; COMPUTE_PGM_RSRC2:TGID_Z_EN: 0
; COMPUTE_PGM_RSRC2:TIDIG_COMP_CNT: 0
; COMPUTE_PGM_RSRC3_GFX90A:ACCUM_OFFSET: 27
; COMPUTE_PGM_RSRC3_GFX90A:TG_SPLIT: 0
	.section	.text._ZN7rocprim17ROCPRIM_400000_NS6detail17trampoline_kernelINS0_14default_configENS1_33run_length_encode_config_selectorIN3c108BFloat16EjNS0_4plusIjEEEEZZNS1_33reduce_by_key_impl_wrapped_configILNS1_25lookback_scan_determinismE0ES3_S9_PKS6_NS0_17constant_iteratorIjlEEPS6_PlSH_S8_NS0_8equal_toIS6_EEEE10hipError_tPvRmT2_T3_mT4_T5_T6_T7_T8_P12ihipStream_tbENKUlT_T0_E_clISt17integral_constantIbLb1EES11_EEDaSW_SX_EUlSW_E_NS1_11comp_targetILNS1_3genE3ELNS1_11target_archE908ELNS1_3gpuE7ELNS1_3repE0EEENS1_30default_config_static_selectorELNS0_4arch9wavefront6targetE1EEEvT1_,"axG",@progbits,_ZN7rocprim17ROCPRIM_400000_NS6detail17trampoline_kernelINS0_14default_configENS1_33run_length_encode_config_selectorIN3c108BFloat16EjNS0_4plusIjEEEEZZNS1_33reduce_by_key_impl_wrapped_configILNS1_25lookback_scan_determinismE0ES3_S9_PKS6_NS0_17constant_iteratorIjlEEPS6_PlSH_S8_NS0_8equal_toIS6_EEEE10hipError_tPvRmT2_T3_mT4_T5_T6_T7_T8_P12ihipStream_tbENKUlT_T0_E_clISt17integral_constantIbLb1EES11_EEDaSW_SX_EUlSW_E_NS1_11comp_targetILNS1_3genE3ELNS1_11target_archE908ELNS1_3gpuE7ELNS1_3repE0EEENS1_30default_config_static_selectorELNS0_4arch9wavefront6targetE1EEEvT1_,comdat
	.protected	_ZN7rocprim17ROCPRIM_400000_NS6detail17trampoline_kernelINS0_14default_configENS1_33run_length_encode_config_selectorIN3c108BFloat16EjNS0_4plusIjEEEEZZNS1_33reduce_by_key_impl_wrapped_configILNS1_25lookback_scan_determinismE0ES3_S9_PKS6_NS0_17constant_iteratorIjlEEPS6_PlSH_S8_NS0_8equal_toIS6_EEEE10hipError_tPvRmT2_T3_mT4_T5_T6_T7_T8_P12ihipStream_tbENKUlT_T0_E_clISt17integral_constantIbLb1EES11_EEDaSW_SX_EUlSW_E_NS1_11comp_targetILNS1_3genE3ELNS1_11target_archE908ELNS1_3gpuE7ELNS1_3repE0EEENS1_30default_config_static_selectorELNS0_4arch9wavefront6targetE1EEEvT1_ ; -- Begin function _ZN7rocprim17ROCPRIM_400000_NS6detail17trampoline_kernelINS0_14default_configENS1_33run_length_encode_config_selectorIN3c108BFloat16EjNS0_4plusIjEEEEZZNS1_33reduce_by_key_impl_wrapped_configILNS1_25lookback_scan_determinismE0ES3_S9_PKS6_NS0_17constant_iteratorIjlEEPS6_PlSH_S8_NS0_8equal_toIS6_EEEE10hipError_tPvRmT2_T3_mT4_T5_T6_T7_T8_P12ihipStream_tbENKUlT_T0_E_clISt17integral_constantIbLb1EES11_EEDaSW_SX_EUlSW_E_NS1_11comp_targetILNS1_3genE3ELNS1_11target_archE908ELNS1_3gpuE7ELNS1_3repE0EEENS1_30default_config_static_selectorELNS0_4arch9wavefront6targetE1EEEvT1_
	.globl	_ZN7rocprim17ROCPRIM_400000_NS6detail17trampoline_kernelINS0_14default_configENS1_33run_length_encode_config_selectorIN3c108BFloat16EjNS0_4plusIjEEEEZZNS1_33reduce_by_key_impl_wrapped_configILNS1_25lookback_scan_determinismE0ES3_S9_PKS6_NS0_17constant_iteratorIjlEEPS6_PlSH_S8_NS0_8equal_toIS6_EEEE10hipError_tPvRmT2_T3_mT4_T5_T6_T7_T8_P12ihipStream_tbENKUlT_T0_E_clISt17integral_constantIbLb1EES11_EEDaSW_SX_EUlSW_E_NS1_11comp_targetILNS1_3genE3ELNS1_11target_archE908ELNS1_3gpuE7ELNS1_3repE0EEENS1_30default_config_static_selectorELNS0_4arch9wavefront6targetE1EEEvT1_
	.p2align	8
	.type	_ZN7rocprim17ROCPRIM_400000_NS6detail17trampoline_kernelINS0_14default_configENS1_33run_length_encode_config_selectorIN3c108BFloat16EjNS0_4plusIjEEEEZZNS1_33reduce_by_key_impl_wrapped_configILNS1_25lookback_scan_determinismE0ES3_S9_PKS6_NS0_17constant_iteratorIjlEEPS6_PlSH_S8_NS0_8equal_toIS6_EEEE10hipError_tPvRmT2_T3_mT4_T5_T6_T7_T8_P12ihipStream_tbENKUlT_T0_E_clISt17integral_constantIbLb1EES11_EEDaSW_SX_EUlSW_E_NS1_11comp_targetILNS1_3genE3ELNS1_11target_archE908ELNS1_3gpuE7ELNS1_3repE0EEENS1_30default_config_static_selectorELNS0_4arch9wavefront6targetE1EEEvT1_,@function
_ZN7rocprim17ROCPRIM_400000_NS6detail17trampoline_kernelINS0_14default_configENS1_33run_length_encode_config_selectorIN3c108BFloat16EjNS0_4plusIjEEEEZZNS1_33reduce_by_key_impl_wrapped_configILNS1_25lookback_scan_determinismE0ES3_S9_PKS6_NS0_17constant_iteratorIjlEEPS6_PlSH_S8_NS0_8equal_toIS6_EEEE10hipError_tPvRmT2_T3_mT4_T5_T6_T7_T8_P12ihipStream_tbENKUlT_T0_E_clISt17integral_constantIbLb1EES11_EEDaSW_SX_EUlSW_E_NS1_11comp_targetILNS1_3genE3ELNS1_11target_archE908ELNS1_3gpuE7ELNS1_3repE0EEENS1_30default_config_static_selectorELNS0_4arch9wavefront6targetE1EEEvT1_: ; @_ZN7rocprim17ROCPRIM_400000_NS6detail17trampoline_kernelINS0_14default_configENS1_33run_length_encode_config_selectorIN3c108BFloat16EjNS0_4plusIjEEEEZZNS1_33reduce_by_key_impl_wrapped_configILNS1_25lookback_scan_determinismE0ES3_S9_PKS6_NS0_17constant_iteratorIjlEEPS6_PlSH_S8_NS0_8equal_toIS6_EEEE10hipError_tPvRmT2_T3_mT4_T5_T6_T7_T8_P12ihipStream_tbENKUlT_T0_E_clISt17integral_constantIbLb1EES11_EEDaSW_SX_EUlSW_E_NS1_11comp_targetILNS1_3genE3ELNS1_11target_archE908ELNS1_3gpuE7ELNS1_3repE0EEENS1_30default_config_static_selectorELNS0_4arch9wavefront6targetE1EEEvT1_
; %bb.0:
	.section	.rodata,"a",@progbits
	.p2align	6, 0x0
	.amdhsa_kernel _ZN7rocprim17ROCPRIM_400000_NS6detail17trampoline_kernelINS0_14default_configENS1_33run_length_encode_config_selectorIN3c108BFloat16EjNS0_4plusIjEEEEZZNS1_33reduce_by_key_impl_wrapped_configILNS1_25lookback_scan_determinismE0ES3_S9_PKS6_NS0_17constant_iteratorIjlEEPS6_PlSH_S8_NS0_8equal_toIS6_EEEE10hipError_tPvRmT2_T3_mT4_T5_T6_T7_T8_P12ihipStream_tbENKUlT_T0_E_clISt17integral_constantIbLb1EES11_EEDaSW_SX_EUlSW_E_NS1_11comp_targetILNS1_3genE3ELNS1_11target_archE908ELNS1_3gpuE7ELNS1_3repE0EEENS1_30default_config_static_selectorELNS0_4arch9wavefront6targetE1EEEvT1_
		.amdhsa_group_segment_fixed_size 0
		.amdhsa_private_segment_fixed_size 0
		.amdhsa_kernarg_size 128
		.amdhsa_user_sgpr_count 6
		.amdhsa_user_sgpr_private_segment_buffer 1
		.amdhsa_user_sgpr_dispatch_ptr 0
		.amdhsa_user_sgpr_queue_ptr 0
		.amdhsa_user_sgpr_kernarg_segment_ptr 1
		.amdhsa_user_sgpr_dispatch_id 0
		.amdhsa_user_sgpr_flat_scratch_init 0
		.amdhsa_user_sgpr_kernarg_preload_length 0
		.amdhsa_user_sgpr_kernarg_preload_offset 0
		.amdhsa_user_sgpr_private_segment_size 0
		.amdhsa_uses_dynamic_stack 0
		.amdhsa_system_sgpr_private_segment_wavefront_offset 0
		.amdhsa_system_sgpr_workgroup_id_x 1
		.amdhsa_system_sgpr_workgroup_id_y 0
		.amdhsa_system_sgpr_workgroup_id_z 0
		.amdhsa_system_sgpr_workgroup_info 0
		.amdhsa_system_vgpr_workitem_id 0
		.amdhsa_next_free_vgpr 1
		.amdhsa_next_free_sgpr 0
		.amdhsa_accum_offset 4
		.amdhsa_reserve_vcc 0
		.amdhsa_reserve_flat_scratch 0
		.amdhsa_float_round_mode_32 0
		.amdhsa_float_round_mode_16_64 0
		.amdhsa_float_denorm_mode_32 3
		.amdhsa_float_denorm_mode_16_64 3
		.amdhsa_dx10_clamp 1
		.amdhsa_ieee_mode 1
		.amdhsa_fp16_overflow 0
		.amdhsa_tg_split 0
		.amdhsa_exception_fp_ieee_invalid_op 0
		.amdhsa_exception_fp_denorm_src 0
		.amdhsa_exception_fp_ieee_div_zero 0
		.amdhsa_exception_fp_ieee_overflow 0
		.amdhsa_exception_fp_ieee_underflow 0
		.amdhsa_exception_fp_ieee_inexact 0
		.amdhsa_exception_int_div_zero 0
	.end_amdhsa_kernel
	.section	.text._ZN7rocprim17ROCPRIM_400000_NS6detail17trampoline_kernelINS0_14default_configENS1_33run_length_encode_config_selectorIN3c108BFloat16EjNS0_4plusIjEEEEZZNS1_33reduce_by_key_impl_wrapped_configILNS1_25lookback_scan_determinismE0ES3_S9_PKS6_NS0_17constant_iteratorIjlEEPS6_PlSH_S8_NS0_8equal_toIS6_EEEE10hipError_tPvRmT2_T3_mT4_T5_T6_T7_T8_P12ihipStream_tbENKUlT_T0_E_clISt17integral_constantIbLb1EES11_EEDaSW_SX_EUlSW_E_NS1_11comp_targetILNS1_3genE3ELNS1_11target_archE908ELNS1_3gpuE7ELNS1_3repE0EEENS1_30default_config_static_selectorELNS0_4arch9wavefront6targetE1EEEvT1_,"axG",@progbits,_ZN7rocprim17ROCPRIM_400000_NS6detail17trampoline_kernelINS0_14default_configENS1_33run_length_encode_config_selectorIN3c108BFloat16EjNS0_4plusIjEEEEZZNS1_33reduce_by_key_impl_wrapped_configILNS1_25lookback_scan_determinismE0ES3_S9_PKS6_NS0_17constant_iteratorIjlEEPS6_PlSH_S8_NS0_8equal_toIS6_EEEE10hipError_tPvRmT2_T3_mT4_T5_T6_T7_T8_P12ihipStream_tbENKUlT_T0_E_clISt17integral_constantIbLb1EES11_EEDaSW_SX_EUlSW_E_NS1_11comp_targetILNS1_3genE3ELNS1_11target_archE908ELNS1_3gpuE7ELNS1_3repE0EEENS1_30default_config_static_selectorELNS0_4arch9wavefront6targetE1EEEvT1_,comdat
.Lfunc_end868:
	.size	_ZN7rocprim17ROCPRIM_400000_NS6detail17trampoline_kernelINS0_14default_configENS1_33run_length_encode_config_selectorIN3c108BFloat16EjNS0_4plusIjEEEEZZNS1_33reduce_by_key_impl_wrapped_configILNS1_25lookback_scan_determinismE0ES3_S9_PKS6_NS0_17constant_iteratorIjlEEPS6_PlSH_S8_NS0_8equal_toIS6_EEEE10hipError_tPvRmT2_T3_mT4_T5_T6_T7_T8_P12ihipStream_tbENKUlT_T0_E_clISt17integral_constantIbLb1EES11_EEDaSW_SX_EUlSW_E_NS1_11comp_targetILNS1_3genE3ELNS1_11target_archE908ELNS1_3gpuE7ELNS1_3repE0EEENS1_30default_config_static_selectorELNS0_4arch9wavefront6targetE1EEEvT1_, .Lfunc_end868-_ZN7rocprim17ROCPRIM_400000_NS6detail17trampoline_kernelINS0_14default_configENS1_33run_length_encode_config_selectorIN3c108BFloat16EjNS0_4plusIjEEEEZZNS1_33reduce_by_key_impl_wrapped_configILNS1_25lookback_scan_determinismE0ES3_S9_PKS6_NS0_17constant_iteratorIjlEEPS6_PlSH_S8_NS0_8equal_toIS6_EEEE10hipError_tPvRmT2_T3_mT4_T5_T6_T7_T8_P12ihipStream_tbENKUlT_T0_E_clISt17integral_constantIbLb1EES11_EEDaSW_SX_EUlSW_E_NS1_11comp_targetILNS1_3genE3ELNS1_11target_archE908ELNS1_3gpuE7ELNS1_3repE0EEENS1_30default_config_static_selectorELNS0_4arch9wavefront6targetE1EEEvT1_
                                        ; -- End function
	.section	.AMDGPU.csdata,"",@progbits
; Kernel info:
; codeLenInByte = 0
; NumSgprs: 4
; NumVgprs: 0
; NumAgprs: 0
; TotalNumVgprs: 0
; ScratchSize: 0
; MemoryBound: 0
; FloatMode: 240
; IeeeMode: 1
; LDSByteSize: 0 bytes/workgroup (compile time only)
; SGPRBlocks: 0
; VGPRBlocks: 0
; NumSGPRsForWavesPerEU: 4
; NumVGPRsForWavesPerEU: 1
; AccumOffset: 4
; Occupancy: 8
; WaveLimiterHint : 0
; COMPUTE_PGM_RSRC2:SCRATCH_EN: 0
; COMPUTE_PGM_RSRC2:USER_SGPR: 6
; COMPUTE_PGM_RSRC2:TRAP_HANDLER: 0
; COMPUTE_PGM_RSRC2:TGID_X_EN: 1
; COMPUTE_PGM_RSRC2:TGID_Y_EN: 0
; COMPUTE_PGM_RSRC2:TGID_Z_EN: 0
; COMPUTE_PGM_RSRC2:TIDIG_COMP_CNT: 0
; COMPUTE_PGM_RSRC3_GFX90A:ACCUM_OFFSET: 0
; COMPUTE_PGM_RSRC3_GFX90A:TG_SPLIT: 0
	.section	.text._ZN7rocprim17ROCPRIM_400000_NS6detail17trampoline_kernelINS0_14default_configENS1_33run_length_encode_config_selectorIN3c108BFloat16EjNS0_4plusIjEEEEZZNS1_33reduce_by_key_impl_wrapped_configILNS1_25lookback_scan_determinismE0ES3_S9_PKS6_NS0_17constant_iteratorIjlEEPS6_PlSH_S8_NS0_8equal_toIS6_EEEE10hipError_tPvRmT2_T3_mT4_T5_T6_T7_T8_P12ihipStream_tbENKUlT_T0_E_clISt17integral_constantIbLb1EES11_EEDaSW_SX_EUlSW_E_NS1_11comp_targetILNS1_3genE2ELNS1_11target_archE906ELNS1_3gpuE6ELNS1_3repE0EEENS1_30default_config_static_selectorELNS0_4arch9wavefront6targetE1EEEvT1_,"axG",@progbits,_ZN7rocprim17ROCPRIM_400000_NS6detail17trampoline_kernelINS0_14default_configENS1_33run_length_encode_config_selectorIN3c108BFloat16EjNS0_4plusIjEEEEZZNS1_33reduce_by_key_impl_wrapped_configILNS1_25lookback_scan_determinismE0ES3_S9_PKS6_NS0_17constant_iteratorIjlEEPS6_PlSH_S8_NS0_8equal_toIS6_EEEE10hipError_tPvRmT2_T3_mT4_T5_T6_T7_T8_P12ihipStream_tbENKUlT_T0_E_clISt17integral_constantIbLb1EES11_EEDaSW_SX_EUlSW_E_NS1_11comp_targetILNS1_3genE2ELNS1_11target_archE906ELNS1_3gpuE6ELNS1_3repE0EEENS1_30default_config_static_selectorELNS0_4arch9wavefront6targetE1EEEvT1_,comdat
	.protected	_ZN7rocprim17ROCPRIM_400000_NS6detail17trampoline_kernelINS0_14default_configENS1_33run_length_encode_config_selectorIN3c108BFloat16EjNS0_4plusIjEEEEZZNS1_33reduce_by_key_impl_wrapped_configILNS1_25lookback_scan_determinismE0ES3_S9_PKS6_NS0_17constant_iteratorIjlEEPS6_PlSH_S8_NS0_8equal_toIS6_EEEE10hipError_tPvRmT2_T3_mT4_T5_T6_T7_T8_P12ihipStream_tbENKUlT_T0_E_clISt17integral_constantIbLb1EES11_EEDaSW_SX_EUlSW_E_NS1_11comp_targetILNS1_3genE2ELNS1_11target_archE906ELNS1_3gpuE6ELNS1_3repE0EEENS1_30default_config_static_selectorELNS0_4arch9wavefront6targetE1EEEvT1_ ; -- Begin function _ZN7rocprim17ROCPRIM_400000_NS6detail17trampoline_kernelINS0_14default_configENS1_33run_length_encode_config_selectorIN3c108BFloat16EjNS0_4plusIjEEEEZZNS1_33reduce_by_key_impl_wrapped_configILNS1_25lookback_scan_determinismE0ES3_S9_PKS6_NS0_17constant_iteratorIjlEEPS6_PlSH_S8_NS0_8equal_toIS6_EEEE10hipError_tPvRmT2_T3_mT4_T5_T6_T7_T8_P12ihipStream_tbENKUlT_T0_E_clISt17integral_constantIbLb1EES11_EEDaSW_SX_EUlSW_E_NS1_11comp_targetILNS1_3genE2ELNS1_11target_archE906ELNS1_3gpuE6ELNS1_3repE0EEENS1_30default_config_static_selectorELNS0_4arch9wavefront6targetE1EEEvT1_
	.globl	_ZN7rocprim17ROCPRIM_400000_NS6detail17trampoline_kernelINS0_14default_configENS1_33run_length_encode_config_selectorIN3c108BFloat16EjNS0_4plusIjEEEEZZNS1_33reduce_by_key_impl_wrapped_configILNS1_25lookback_scan_determinismE0ES3_S9_PKS6_NS0_17constant_iteratorIjlEEPS6_PlSH_S8_NS0_8equal_toIS6_EEEE10hipError_tPvRmT2_T3_mT4_T5_T6_T7_T8_P12ihipStream_tbENKUlT_T0_E_clISt17integral_constantIbLb1EES11_EEDaSW_SX_EUlSW_E_NS1_11comp_targetILNS1_3genE2ELNS1_11target_archE906ELNS1_3gpuE6ELNS1_3repE0EEENS1_30default_config_static_selectorELNS0_4arch9wavefront6targetE1EEEvT1_
	.p2align	8
	.type	_ZN7rocprim17ROCPRIM_400000_NS6detail17trampoline_kernelINS0_14default_configENS1_33run_length_encode_config_selectorIN3c108BFloat16EjNS0_4plusIjEEEEZZNS1_33reduce_by_key_impl_wrapped_configILNS1_25lookback_scan_determinismE0ES3_S9_PKS6_NS0_17constant_iteratorIjlEEPS6_PlSH_S8_NS0_8equal_toIS6_EEEE10hipError_tPvRmT2_T3_mT4_T5_T6_T7_T8_P12ihipStream_tbENKUlT_T0_E_clISt17integral_constantIbLb1EES11_EEDaSW_SX_EUlSW_E_NS1_11comp_targetILNS1_3genE2ELNS1_11target_archE906ELNS1_3gpuE6ELNS1_3repE0EEENS1_30default_config_static_selectorELNS0_4arch9wavefront6targetE1EEEvT1_,@function
_ZN7rocprim17ROCPRIM_400000_NS6detail17trampoline_kernelINS0_14default_configENS1_33run_length_encode_config_selectorIN3c108BFloat16EjNS0_4plusIjEEEEZZNS1_33reduce_by_key_impl_wrapped_configILNS1_25lookback_scan_determinismE0ES3_S9_PKS6_NS0_17constant_iteratorIjlEEPS6_PlSH_S8_NS0_8equal_toIS6_EEEE10hipError_tPvRmT2_T3_mT4_T5_T6_T7_T8_P12ihipStream_tbENKUlT_T0_E_clISt17integral_constantIbLb1EES11_EEDaSW_SX_EUlSW_E_NS1_11comp_targetILNS1_3genE2ELNS1_11target_archE906ELNS1_3gpuE6ELNS1_3repE0EEENS1_30default_config_static_selectorELNS0_4arch9wavefront6targetE1EEEvT1_: ; @_ZN7rocprim17ROCPRIM_400000_NS6detail17trampoline_kernelINS0_14default_configENS1_33run_length_encode_config_selectorIN3c108BFloat16EjNS0_4plusIjEEEEZZNS1_33reduce_by_key_impl_wrapped_configILNS1_25lookback_scan_determinismE0ES3_S9_PKS6_NS0_17constant_iteratorIjlEEPS6_PlSH_S8_NS0_8equal_toIS6_EEEE10hipError_tPvRmT2_T3_mT4_T5_T6_T7_T8_P12ihipStream_tbENKUlT_T0_E_clISt17integral_constantIbLb1EES11_EEDaSW_SX_EUlSW_E_NS1_11comp_targetILNS1_3genE2ELNS1_11target_archE906ELNS1_3gpuE6ELNS1_3repE0EEENS1_30default_config_static_selectorELNS0_4arch9wavefront6targetE1EEEvT1_
; %bb.0:
	.section	.rodata,"a",@progbits
	.p2align	6, 0x0
	.amdhsa_kernel _ZN7rocprim17ROCPRIM_400000_NS6detail17trampoline_kernelINS0_14default_configENS1_33run_length_encode_config_selectorIN3c108BFloat16EjNS0_4plusIjEEEEZZNS1_33reduce_by_key_impl_wrapped_configILNS1_25lookback_scan_determinismE0ES3_S9_PKS6_NS0_17constant_iteratorIjlEEPS6_PlSH_S8_NS0_8equal_toIS6_EEEE10hipError_tPvRmT2_T3_mT4_T5_T6_T7_T8_P12ihipStream_tbENKUlT_T0_E_clISt17integral_constantIbLb1EES11_EEDaSW_SX_EUlSW_E_NS1_11comp_targetILNS1_3genE2ELNS1_11target_archE906ELNS1_3gpuE6ELNS1_3repE0EEENS1_30default_config_static_selectorELNS0_4arch9wavefront6targetE1EEEvT1_
		.amdhsa_group_segment_fixed_size 0
		.amdhsa_private_segment_fixed_size 0
		.amdhsa_kernarg_size 128
		.amdhsa_user_sgpr_count 6
		.amdhsa_user_sgpr_private_segment_buffer 1
		.amdhsa_user_sgpr_dispatch_ptr 0
		.amdhsa_user_sgpr_queue_ptr 0
		.amdhsa_user_sgpr_kernarg_segment_ptr 1
		.amdhsa_user_sgpr_dispatch_id 0
		.amdhsa_user_sgpr_flat_scratch_init 0
		.amdhsa_user_sgpr_kernarg_preload_length 0
		.amdhsa_user_sgpr_kernarg_preload_offset 0
		.amdhsa_user_sgpr_private_segment_size 0
		.amdhsa_uses_dynamic_stack 0
		.amdhsa_system_sgpr_private_segment_wavefront_offset 0
		.amdhsa_system_sgpr_workgroup_id_x 1
		.amdhsa_system_sgpr_workgroup_id_y 0
		.amdhsa_system_sgpr_workgroup_id_z 0
		.amdhsa_system_sgpr_workgroup_info 0
		.amdhsa_system_vgpr_workitem_id 0
		.amdhsa_next_free_vgpr 1
		.amdhsa_next_free_sgpr 0
		.amdhsa_accum_offset 4
		.amdhsa_reserve_vcc 0
		.amdhsa_reserve_flat_scratch 0
		.amdhsa_float_round_mode_32 0
		.amdhsa_float_round_mode_16_64 0
		.amdhsa_float_denorm_mode_32 3
		.amdhsa_float_denorm_mode_16_64 3
		.amdhsa_dx10_clamp 1
		.amdhsa_ieee_mode 1
		.amdhsa_fp16_overflow 0
		.amdhsa_tg_split 0
		.amdhsa_exception_fp_ieee_invalid_op 0
		.amdhsa_exception_fp_denorm_src 0
		.amdhsa_exception_fp_ieee_div_zero 0
		.amdhsa_exception_fp_ieee_overflow 0
		.amdhsa_exception_fp_ieee_underflow 0
		.amdhsa_exception_fp_ieee_inexact 0
		.amdhsa_exception_int_div_zero 0
	.end_amdhsa_kernel
	.section	.text._ZN7rocprim17ROCPRIM_400000_NS6detail17trampoline_kernelINS0_14default_configENS1_33run_length_encode_config_selectorIN3c108BFloat16EjNS0_4plusIjEEEEZZNS1_33reduce_by_key_impl_wrapped_configILNS1_25lookback_scan_determinismE0ES3_S9_PKS6_NS0_17constant_iteratorIjlEEPS6_PlSH_S8_NS0_8equal_toIS6_EEEE10hipError_tPvRmT2_T3_mT4_T5_T6_T7_T8_P12ihipStream_tbENKUlT_T0_E_clISt17integral_constantIbLb1EES11_EEDaSW_SX_EUlSW_E_NS1_11comp_targetILNS1_3genE2ELNS1_11target_archE906ELNS1_3gpuE6ELNS1_3repE0EEENS1_30default_config_static_selectorELNS0_4arch9wavefront6targetE1EEEvT1_,"axG",@progbits,_ZN7rocprim17ROCPRIM_400000_NS6detail17trampoline_kernelINS0_14default_configENS1_33run_length_encode_config_selectorIN3c108BFloat16EjNS0_4plusIjEEEEZZNS1_33reduce_by_key_impl_wrapped_configILNS1_25lookback_scan_determinismE0ES3_S9_PKS6_NS0_17constant_iteratorIjlEEPS6_PlSH_S8_NS0_8equal_toIS6_EEEE10hipError_tPvRmT2_T3_mT4_T5_T6_T7_T8_P12ihipStream_tbENKUlT_T0_E_clISt17integral_constantIbLb1EES11_EEDaSW_SX_EUlSW_E_NS1_11comp_targetILNS1_3genE2ELNS1_11target_archE906ELNS1_3gpuE6ELNS1_3repE0EEENS1_30default_config_static_selectorELNS0_4arch9wavefront6targetE1EEEvT1_,comdat
.Lfunc_end869:
	.size	_ZN7rocprim17ROCPRIM_400000_NS6detail17trampoline_kernelINS0_14default_configENS1_33run_length_encode_config_selectorIN3c108BFloat16EjNS0_4plusIjEEEEZZNS1_33reduce_by_key_impl_wrapped_configILNS1_25lookback_scan_determinismE0ES3_S9_PKS6_NS0_17constant_iteratorIjlEEPS6_PlSH_S8_NS0_8equal_toIS6_EEEE10hipError_tPvRmT2_T3_mT4_T5_T6_T7_T8_P12ihipStream_tbENKUlT_T0_E_clISt17integral_constantIbLb1EES11_EEDaSW_SX_EUlSW_E_NS1_11comp_targetILNS1_3genE2ELNS1_11target_archE906ELNS1_3gpuE6ELNS1_3repE0EEENS1_30default_config_static_selectorELNS0_4arch9wavefront6targetE1EEEvT1_, .Lfunc_end869-_ZN7rocprim17ROCPRIM_400000_NS6detail17trampoline_kernelINS0_14default_configENS1_33run_length_encode_config_selectorIN3c108BFloat16EjNS0_4plusIjEEEEZZNS1_33reduce_by_key_impl_wrapped_configILNS1_25lookback_scan_determinismE0ES3_S9_PKS6_NS0_17constant_iteratorIjlEEPS6_PlSH_S8_NS0_8equal_toIS6_EEEE10hipError_tPvRmT2_T3_mT4_T5_T6_T7_T8_P12ihipStream_tbENKUlT_T0_E_clISt17integral_constantIbLb1EES11_EEDaSW_SX_EUlSW_E_NS1_11comp_targetILNS1_3genE2ELNS1_11target_archE906ELNS1_3gpuE6ELNS1_3repE0EEENS1_30default_config_static_selectorELNS0_4arch9wavefront6targetE1EEEvT1_
                                        ; -- End function
	.section	.AMDGPU.csdata,"",@progbits
; Kernel info:
; codeLenInByte = 0
; NumSgprs: 4
; NumVgprs: 0
; NumAgprs: 0
; TotalNumVgprs: 0
; ScratchSize: 0
; MemoryBound: 0
; FloatMode: 240
; IeeeMode: 1
; LDSByteSize: 0 bytes/workgroup (compile time only)
; SGPRBlocks: 0
; VGPRBlocks: 0
; NumSGPRsForWavesPerEU: 4
; NumVGPRsForWavesPerEU: 1
; AccumOffset: 4
; Occupancy: 8
; WaveLimiterHint : 0
; COMPUTE_PGM_RSRC2:SCRATCH_EN: 0
; COMPUTE_PGM_RSRC2:USER_SGPR: 6
; COMPUTE_PGM_RSRC2:TRAP_HANDLER: 0
; COMPUTE_PGM_RSRC2:TGID_X_EN: 1
; COMPUTE_PGM_RSRC2:TGID_Y_EN: 0
; COMPUTE_PGM_RSRC2:TGID_Z_EN: 0
; COMPUTE_PGM_RSRC2:TIDIG_COMP_CNT: 0
; COMPUTE_PGM_RSRC3_GFX90A:ACCUM_OFFSET: 0
; COMPUTE_PGM_RSRC3_GFX90A:TG_SPLIT: 0
	.section	.text._ZN7rocprim17ROCPRIM_400000_NS6detail17trampoline_kernelINS0_14default_configENS1_33run_length_encode_config_selectorIN3c108BFloat16EjNS0_4plusIjEEEEZZNS1_33reduce_by_key_impl_wrapped_configILNS1_25lookback_scan_determinismE0ES3_S9_PKS6_NS0_17constant_iteratorIjlEEPS6_PlSH_S8_NS0_8equal_toIS6_EEEE10hipError_tPvRmT2_T3_mT4_T5_T6_T7_T8_P12ihipStream_tbENKUlT_T0_E_clISt17integral_constantIbLb1EES11_EEDaSW_SX_EUlSW_E_NS1_11comp_targetILNS1_3genE10ELNS1_11target_archE1201ELNS1_3gpuE5ELNS1_3repE0EEENS1_30default_config_static_selectorELNS0_4arch9wavefront6targetE1EEEvT1_,"axG",@progbits,_ZN7rocprim17ROCPRIM_400000_NS6detail17trampoline_kernelINS0_14default_configENS1_33run_length_encode_config_selectorIN3c108BFloat16EjNS0_4plusIjEEEEZZNS1_33reduce_by_key_impl_wrapped_configILNS1_25lookback_scan_determinismE0ES3_S9_PKS6_NS0_17constant_iteratorIjlEEPS6_PlSH_S8_NS0_8equal_toIS6_EEEE10hipError_tPvRmT2_T3_mT4_T5_T6_T7_T8_P12ihipStream_tbENKUlT_T0_E_clISt17integral_constantIbLb1EES11_EEDaSW_SX_EUlSW_E_NS1_11comp_targetILNS1_3genE10ELNS1_11target_archE1201ELNS1_3gpuE5ELNS1_3repE0EEENS1_30default_config_static_selectorELNS0_4arch9wavefront6targetE1EEEvT1_,comdat
	.protected	_ZN7rocprim17ROCPRIM_400000_NS6detail17trampoline_kernelINS0_14default_configENS1_33run_length_encode_config_selectorIN3c108BFloat16EjNS0_4plusIjEEEEZZNS1_33reduce_by_key_impl_wrapped_configILNS1_25lookback_scan_determinismE0ES3_S9_PKS6_NS0_17constant_iteratorIjlEEPS6_PlSH_S8_NS0_8equal_toIS6_EEEE10hipError_tPvRmT2_T3_mT4_T5_T6_T7_T8_P12ihipStream_tbENKUlT_T0_E_clISt17integral_constantIbLb1EES11_EEDaSW_SX_EUlSW_E_NS1_11comp_targetILNS1_3genE10ELNS1_11target_archE1201ELNS1_3gpuE5ELNS1_3repE0EEENS1_30default_config_static_selectorELNS0_4arch9wavefront6targetE1EEEvT1_ ; -- Begin function _ZN7rocprim17ROCPRIM_400000_NS6detail17trampoline_kernelINS0_14default_configENS1_33run_length_encode_config_selectorIN3c108BFloat16EjNS0_4plusIjEEEEZZNS1_33reduce_by_key_impl_wrapped_configILNS1_25lookback_scan_determinismE0ES3_S9_PKS6_NS0_17constant_iteratorIjlEEPS6_PlSH_S8_NS0_8equal_toIS6_EEEE10hipError_tPvRmT2_T3_mT4_T5_T6_T7_T8_P12ihipStream_tbENKUlT_T0_E_clISt17integral_constantIbLb1EES11_EEDaSW_SX_EUlSW_E_NS1_11comp_targetILNS1_3genE10ELNS1_11target_archE1201ELNS1_3gpuE5ELNS1_3repE0EEENS1_30default_config_static_selectorELNS0_4arch9wavefront6targetE1EEEvT1_
	.globl	_ZN7rocprim17ROCPRIM_400000_NS6detail17trampoline_kernelINS0_14default_configENS1_33run_length_encode_config_selectorIN3c108BFloat16EjNS0_4plusIjEEEEZZNS1_33reduce_by_key_impl_wrapped_configILNS1_25lookback_scan_determinismE0ES3_S9_PKS6_NS0_17constant_iteratorIjlEEPS6_PlSH_S8_NS0_8equal_toIS6_EEEE10hipError_tPvRmT2_T3_mT4_T5_T6_T7_T8_P12ihipStream_tbENKUlT_T0_E_clISt17integral_constantIbLb1EES11_EEDaSW_SX_EUlSW_E_NS1_11comp_targetILNS1_3genE10ELNS1_11target_archE1201ELNS1_3gpuE5ELNS1_3repE0EEENS1_30default_config_static_selectorELNS0_4arch9wavefront6targetE1EEEvT1_
	.p2align	8
	.type	_ZN7rocprim17ROCPRIM_400000_NS6detail17trampoline_kernelINS0_14default_configENS1_33run_length_encode_config_selectorIN3c108BFloat16EjNS0_4plusIjEEEEZZNS1_33reduce_by_key_impl_wrapped_configILNS1_25lookback_scan_determinismE0ES3_S9_PKS6_NS0_17constant_iteratorIjlEEPS6_PlSH_S8_NS0_8equal_toIS6_EEEE10hipError_tPvRmT2_T3_mT4_T5_T6_T7_T8_P12ihipStream_tbENKUlT_T0_E_clISt17integral_constantIbLb1EES11_EEDaSW_SX_EUlSW_E_NS1_11comp_targetILNS1_3genE10ELNS1_11target_archE1201ELNS1_3gpuE5ELNS1_3repE0EEENS1_30default_config_static_selectorELNS0_4arch9wavefront6targetE1EEEvT1_,@function
_ZN7rocprim17ROCPRIM_400000_NS6detail17trampoline_kernelINS0_14default_configENS1_33run_length_encode_config_selectorIN3c108BFloat16EjNS0_4plusIjEEEEZZNS1_33reduce_by_key_impl_wrapped_configILNS1_25lookback_scan_determinismE0ES3_S9_PKS6_NS0_17constant_iteratorIjlEEPS6_PlSH_S8_NS0_8equal_toIS6_EEEE10hipError_tPvRmT2_T3_mT4_T5_T6_T7_T8_P12ihipStream_tbENKUlT_T0_E_clISt17integral_constantIbLb1EES11_EEDaSW_SX_EUlSW_E_NS1_11comp_targetILNS1_3genE10ELNS1_11target_archE1201ELNS1_3gpuE5ELNS1_3repE0EEENS1_30default_config_static_selectorELNS0_4arch9wavefront6targetE1EEEvT1_: ; @_ZN7rocprim17ROCPRIM_400000_NS6detail17trampoline_kernelINS0_14default_configENS1_33run_length_encode_config_selectorIN3c108BFloat16EjNS0_4plusIjEEEEZZNS1_33reduce_by_key_impl_wrapped_configILNS1_25lookback_scan_determinismE0ES3_S9_PKS6_NS0_17constant_iteratorIjlEEPS6_PlSH_S8_NS0_8equal_toIS6_EEEE10hipError_tPvRmT2_T3_mT4_T5_T6_T7_T8_P12ihipStream_tbENKUlT_T0_E_clISt17integral_constantIbLb1EES11_EEDaSW_SX_EUlSW_E_NS1_11comp_targetILNS1_3genE10ELNS1_11target_archE1201ELNS1_3gpuE5ELNS1_3repE0EEENS1_30default_config_static_selectorELNS0_4arch9wavefront6targetE1EEEvT1_
; %bb.0:
	.section	.rodata,"a",@progbits
	.p2align	6, 0x0
	.amdhsa_kernel _ZN7rocprim17ROCPRIM_400000_NS6detail17trampoline_kernelINS0_14default_configENS1_33run_length_encode_config_selectorIN3c108BFloat16EjNS0_4plusIjEEEEZZNS1_33reduce_by_key_impl_wrapped_configILNS1_25lookback_scan_determinismE0ES3_S9_PKS6_NS0_17constant_iteratorIjlEEPS6_PlSH_S8_NS0_8equal_toIS6_EEEE10hipError_tPvRmT2_T3_mT4_T5_T6_T7_T8_P12ihipStream_tbENKUlT_T0_E_clISt17integral_constantIbLb1EES11_EEDaSW_SX_EUlSW_E_NS1_11comp_targetILNS1_3genE10ELNS1_11target_archE1201ELNS1_3gpuE5ELNS1_3repE0EEENS1_30default_config_static_selectorELNS0_4arch9wavefront6targetE1EEEvT1_
		.amdhsa_group_segment_fixed_size 0
		.amdhsa_private_segment_fixed_size 0
		.amdhsa_kernarg_size 128
		.amdhsa_user_sgpr_count 6
		.amdhsa_user_sgpr_private_segment_buffer 1
		.amdhsa_user_sgpr_dispatch_ptr 0
		.amdhsa_user_sgpr_queue_ptr 0
		.amdhsa_user_sgpr_kernarg_segment_ptr 1
		.amdhsa_user_sgpr_dispatch_id 0
		.amdhsa_user_sgpr_flat_scratch_init 0
		.amdhsa_user_sgpr_kernarg_preload_length 0
		.amdhsa_user_sgpr_kernarg_preload_offset 0
		.amdhsa_user_sgpr_private_segment_size 0
		.amdhsa_uses_dynamic_stack 0
		.amdhsa_system_sgpr_private_segment_wavefront_offset 0
		.amdhsa_system_sgpr_workgroup_id_x 1
		.amdhsa_system_sgpr_workgroup_id_y 0
		.amdhsa_system_sgpr_workgroup_id_z 0
		.amdhsa_system_sgpr_workgroup_info 0
		.amdhsa_system_vgpr_workitem_id 0
		.amdhsa_next_free_vgpr 1
		.amdhsa_next_free_sgpr 0
		.amdhsa_accum_offset 4
		.amdhsa_reserve_vcc 0
		.amdhsa_reserve_flat_scratch 0
		.amdhsa_float_round_mode_32 0
		.amdhsa_float_round_mode_16_64 0
		.amdhsa_float_denorm_mode_32 3
		.amdhsa_float_denorm_mode_16_64 3
		.amdhsa_dx10_clamp 1
		.amdhsa_ieee_mode 1
		.amdhsa_fp16_overflow 0
		.amdhsa_tg_split 0
		.amdhsa_exception_fp_ieee_invalid_op 0
		.amdhsa_exception_fp_denorm_src 0
		.amdhsa_exception_fp_ieee_div_zero 0
		.amdhsa_exception_fp_ieee_overflow 0
		.amdhsa_exception_fp_ieee_underflow 0
		.amdhsa_exception_fp_ieee_inexact 0
		.amdhsa_exception_int_div_zero 0
	.end_amdhsa_kernel
	.section	.text._ZN7rocprim17ROCPRIM_400000_NS6detail17trampoline_kernelINS0_14default_configENS1_33run_length_encode_config_selectorIN3c108BFloat16EjNS0_4plusIjEEEEZZNS1_33reduce_by_key_impl_wrapped_configILNS1_25lookback_scan_determinismE0ES3_S9_PKS6_NS0_17constant_iteratorIjlEEPS6_PlSH_S8_NS0_8equal_toIS6_EEEE10hipError_tPvRmT2_T3_mT4_T5_T6_T7_T8_P12ihipStream_tbENKUlT_T0_E_clISt17integral_constantIbLb1EES11_EEDaSW_SX_EUlSW_E_NS1_11comp_targetILNS1_3genE10ELNS1_11target_archE1201ELNS1_3gpuE5ELNS1_3repE0EEENS1_30default_config_static_selectorELNS0_4arch9wavefront6targetE1EEEvT1_,"axG",@progbits,_ZN7rocprim17ROCPRIM_400000_NS6detail17trampoline_kernelINS0_14default_configENS1_33run_length_encode_config_selectorIN3c108BFloat16EjNS0_4plusIjEEEEZZNS1_33reduce_by_key_impl_wrapped_configILNS1_25lookback_scan_determinismE0ES3_S9_PKS6_NS0_17constant_iteratorIjlEEPS6_PlSH_S8_NS0_8equal_toIS6_EEEE10hipError_tPvRmT2_T3_mT4_T5_T6_T7_T8_P12ihipStream_tbENKUlT_T0_E_clISt17integral_constantIbLb1EES11_EEDaSW_SX_EUlSW_E_NS1_11comp_targetILNS1_3genE10ELNS1_11target_archE1201ELNS1_3gpuE5ELNS1_3repE0EEENS1_30default_config_static_selectorELNS0_4arch9wavefront6targetE1EEEvT1_,comdat
.Lfunc_end870:
	.size	_ZN7rocprim17ROCPRIM_400000_NS6detail17trampoline_kernelINS0_14default_configENS1_33run_length_encode_config_selectorIN3c108BFloat16EjNS0_4plusIjEEEEZZNS1_33reduce_by_key_impl_wrapped_configILNS1_25lookback_scan_determinismE0ES3_S9_PKS6_NS0_17constant_iteratorIjlEEPS6_PlSH_S8_NS0_8equal_toIS6_EEEE10hipError_tPvRmT2_T3_mT4_T5_T6_T7_T8_P12ihipStream_tbENKUlT_T0_E_clISt17integral_constantIbLb1EES11_EEDaSW_SX_EUlSW_E_NS1_11comp_targetILNS1_3genE10ELNS1_11target_archE1201ELNS1_3gpuE5ELNS1_3repE0EEENS1_30default_config_static_selectorELNS0_4arch9wavefront6targetE1EEEvT1_, .Lfunc_end870-_ZN7rocprim17ROCPRIM_400000_NS6detail17trampoline_kernelINS0_14default_configENS1_33run_length_encode_config_selectorIN3c108BFloat16EjNS0_4plusIjEEEEZZNS1_33reduce_by_key_impl_wrapped_configILNS1_25lookback_scan_determinismE0ES3_S9_PKS6_NS0_17constant_iteratorIjlEEPS6_PlSH_S8_NS0_8equal_toIS6_EEEE10hipError_tPvRmT2_T3_mT4_T5_T6_T7_T8_P12ihipStream_tbENKUlT_T0_E_clISt17integral_constantIbLb1EES11_EEDaSW_SX_EUlSW_E_NS1_11comp_targetILNS1_3genE10ELNS1_11target_archE1201ELNS1_3gpuE5ELNS1_3repE0EEENS1_30default_config_static_selectorELNS0_4arch9wavefront6targetE1EEEvT1_
                                        ; -- End function
	.section	.AMDGPU.csdata,"",@progbits
; Kernel info:
; codeLenInByte = 0
; NumSgprs: 4
; NumVgprs: 0
; NumAgprs: 0
; TotalNumVgprs: 0
; ScratchSize: 0
; MemoryBound: 0
; FloatMode: 240
; IeeeMode: 1
; LDSByteSize: 0 bytes/workgroup (compile time only)
; SGPRBlocks: 0
; VGPRBlocks: 0
; NumSGPRsForWavesPerEU: 4
; NumVGPRsForWavesPerEU: 1
; AccumOffset: 4
; Occupancy: 8
; WaveLimiterHint : 0
; COMPUTE_PGM_RSRC2:SCRATCH_EN: 0
; COMPUTE_PGM_RSRC2:USER_SGPR: 6
; COMPUTE_PGM_RSRC2:TRAP_HANDLER: 0
; COMPUTE_PGM_RSRC2:TGID_X_EN: 1
; COMPUTE_PGM_RSRC2:TGID_Y_EN: 0
; COMPUTE_PGM_RSRC2:TGID_Z_EN: 0
; COMPUTE_PGM_RSRC2:TIDIG_COMP_CNT: 0
; COMPUTE_PGM_RSRC3_GFX90A:ACCUM_OFFSET: 0
; COMPUTE_PGM_RSRC3_GFX90A:TG_SPLIT: 0
	.section	.text._ZN7rocprim17ROCPRIM_400000_NS6detail17trampoline_kernelINS0_14default_configENS1_33run_length_encode_config_selectorIN3c108BFloat16EjNS0_4plusIjEEEEZZNS1_33reduce_by_key_impl_wrapped_configILNS1_25lookback_scan_determinismE0ES3_S9_PKS6_NS0_17constant_iteratorIjlEEPS6_PlSH_S8_NS0_8equal_toIS6_EEEE10hipError_tPvRmT2_T3_mT4_T5_T6_T7_T8_P12ihipStream_tbENKUlT_T0_E_clISt17integral_constantIbLb1EES11_EEDaSW_SX_EUlSW_E_NS1_11comp_targetILNS1_3genE10ELNS1_11target_archE1200ELNS1_3gpuE4ELNS1_3repE0EEENS1_30default_config_static_selectorELNS0_4arch9wavefront6targetE1EEEvT1_,"axG",@progbits,_ZN7rocprim17ROCPRIM_400000_NS6detail17trampoline_kernelINS0_14default_configENS1_33run_length_encode_config_selectorIN3c108BFloat16EjNS0_4plusIjEEEEZZNS1_33reduce_by_key_impl_wrapped_configILNS1_25lookback_scan_determinismE0ES3_S9_PKS6_NS0_17constant_iteratorIjlEEPS6_PlSH_S8_NS0_8equal_toIS6_EEEE10hipError_tPvRmT2_T3_mT4_T5_T6_T7_T8_P12ihipStream_tbENKUlT_T0_E_clISt17integral_constantIbLb1EES11_EEDaSW_SX_EUlSW_E_NS1_11comp_targetILNS1_3genE10ELNS1_11target_archE1200ELNS1_3gpuE4ELNS1_3repE0EEENS1_30default_config_static_selectorELNS0_4arch9wavefront6targetE1EEEvT1_,comdat
	.protected	_ZN7rocprim17ROCPRIM_400000_NS6detail17trampoline_kernelINS0_14default_configENS1_33run_length_encode_config_selectorIN3c108BFloat16EjNS0_4plusIjEEEEZZNS1_33reduce_by_key_impl_wrapped_configILNS1_25lookback_scan_determinismE0ES3_S9_PKS6_NS0_17constant_iteratorIjlEEPS6_PlSH_S8_NS0_8equal_toIS6_EEEE10hipError_tPvRmT2_T3_mT4_T5_T6_T7_T8_P12ihipStream_tbENKUlT_T0_E_clISt17integral_constantIbLb1EES11_EEDaSW_SX_EUlSW_E_NS1_11comp_targetILNS1_3genE10ELNS1_11target_archE1200ELNS1_3gpuE4ELNS1_3repE0EEENS1_30default_config_static_selectorELNS0_4arch9wavefront6targetE1EEEvT1_ ; -- Begin function _ZN7rocprim17ROCPRIM_400000_NS6detail17trampoline_kernelINS0_14default_configENS1_33run_length_encode_config_selectorIN3c108BFloat16EjNS0_4plusIjEEEEZZNS1_33reduce_by_key_impl_wrapped_configILNS1_25lookback_scan_determinismE0ES3_S9_PKS6_NS0_17constant_iteratorIjlEEPS6_PlSH_S8_NS0_8equal_toIS6_EEEE10hipError_tPvRmT2_T3_mT4_T5_T6_T7_T8_P12ihipStream_tbENKUlT_T0_E_clISt17integral_constantIbLb1EES11_EEDaSW_SX_EUlSW_E_NS1_11comp_targetILNS1_3genE10ELNS1_11target_archE1200ELNS1_3gpuE4ELNS1_3repE0EEENS1_30default_config_static_selectorELNS0_4arch9wavefront6targetE1EEEvT1_
	.globl	_ZN7rocprim17ROCPRIM_400000_NS6detail17trampoline_kernelINS0_14default_configENS1_33run_length_encode_config_selectorIN3c108BFloat16EjNS0_4plusIjEEEEZZNS1_33reduce_by_key_impl_wrapped_configILNS1_25lookback_scan_determinismE0ES3_S9_PKS6_NS0_17constant_iteratorIjlEEPS6_PlSH_S8_NS0_8equal_toIS6_EEEE10hipError_tPvRmT2_T3_mT4_T5_T6_T7_T8_P12ihipStream_tbENKUlT_T0_E_clISt17integral_constantIbLb1EES11_EEDaSW_SX_EUlSW_E_NS1_11comp_targetILNS1_3genE10ELNS1_11target_archE1200ELNS1_3gpuE4ELNS1_3repE0EEENS1_30default_config_static_selectorELNS0_4arch9wavefront6targetE1EEEvT1_
	.p2align	8
	.type	_ZN7rocprim17ROCPRIM_400000_NS6detail17trampoline_kernelINS0_14default_configENS1_33run_length_encode_config_selectorIN3c108BFloat16EjNS0_4plusIjEEEEZZNS1_33reduce_by_key_impl_wrapped_configILNS1_25lookback_scan_determinismE0ES3_S9_PKS6_NS0_17constant_iteratorIjlEEPS6_PlSH_S8_NS0_8equal_toIS6_EEEE10hipError_tPvRmT2_T3_mT4_T5_T6_T7_T8_P12ihipStream_tbENKUlT_T0_E_clISt17integral_constantIbLb1EES11_EEDaSW_SX_EUlSW_E_NS1_11comp_targetILNS1_3genE10ELNS1_11target_archE1200ELNS1_3gpuE4ELNS1_3repE0EEENS1_30default_config_static_selectorELNS0_4arch9wavefront6targetE1EEEvT1_,@function
_ZN7rocprim17ROCPRIM_400000_NS6detail17trampoline_kernelINS0_14default_configENS1_33run_length_encode_config_selectorIN3c108BFloat16EjNS0_4plusIjEEEEZZNS1_33reduce_by_key_impl_wrapped_configILNS1_25lookback_scan_determinismE0ES3_S9_PKS6_NS0_17constant_iteratorIjlEEPS6_PlSH_S8_NS0_8equal_toIS6_EEEE10hipError_tPvRmT2_T3_mT4_T5_T6_T7_T8_P12ihipStream_tbENKUlT_T0_E_clISt17integral_constantIbLb1EES11_EEDaSW_SX_EUlSW_E_NS1_11comp_targetILNS1_3genE10ELNS1_11target_archE1200ELNS1_3gpuE4ELNS1_3repE0EEENS1_30default_config_static_selectorELNS0_4arch9wavefront6targetE1EEEvT1_: ; @_ZN7rocprim17ROCPRIM_400000_NS6detail17trampoline_kernelINS0_14default_configENS1_33run_length_encode_config_selectorIN3c108BFloat16EjNS0_4plusIjEEEEZZNS1_33reduce_by_key_impl_wrapped_configILNS1_25lookback_scan_determinismE0ES3_S9_PKS6_NS0_17constant_iteratorIjlEEPS6_PlSH_S8_NS0_8equal_toIS6_EEEE10hipError_tPvRmT2_T3_mT4_T5_T6_T7_T8_P12ihipStream_tbENKUlT_T0_E_clISt17integral_constantIbLb1EES11_EEDaSW_SX_EUlSW_E_NS1_11comp_targetILNS1_3genE10ELNS1_11target_archE1200ELNS1_3gpuE4ELNS1_3repE0EEENS1_30default_config_static_selectorELNS0_4arch9wavefront6targetE1EEEvT1_
; %bb.0:
	.section	.rodata,"a",@progbits
	.p2align	6, 0x0
	.amdhsa_kernel _ZN7rocprim17ROCPRIM_400000_NS6detail17trampoline_kernelINS0_14default_configENS1_33run_length_encode_config_selectorIN3c108BFloat16EjNS0_4plusIjEEEEZZNS1_33reduce_by_key_impl_wrapped_configILNS1_25lookback_scan_determinismE0ES3_S9_PKS6_NS0_17constant_iteratorIjlEEPS6_PlSH_S8_NS0_8equal_toIS6_EEEE10hipError_tPvRmT2_T3_mT4_T5_T6_T7_T8_P12ihipStream_tbENKUlT_T0_E_clISt17integral_constantIbLb1EES11_EEDaSW_SX_EUlSW_E_NS1_11comp_targetILNS1_3genE10ELNS1_11target_archE1200ELNS1_3gpuE4ELNS1_3repE0EEENS1_30default_config_static_selectorELNS0_4arch9wavefront6targetE1EEEvT1_
		.amdhsa_group_segment_fixed_size 0
		.amdhsa_private_segment_fixed_size 0
		.amdhsa_kernarg_size 128
		.amdhsa_user_sgpr_count 6
		.amdhsa_user_sgpr_private_segment_buffer 1
		.amdhsa_user_sgpr_dispatch_ptr 0
		.amdhsa_user_sgpr_queue_ptr 0
		.amdhsa_user_sgpr_kernarg_segment_ptr 1
		.amdhsa_user_sgpr_dispatch_id 0
		.amdhsa_user_sgpr_flat_scratch_init 0
		.amdhsa_user_sgpr_kernarg_preload_length 0
		.amdhsa_user_sgpr_kernarg_preload_offset 0
		.amdhsa_user_sgpr_private_segment_size 0
		.amdhsa_uses_dynamic_stack 0
		.amdhsa_system_sgpr_private_segment_wavefront_offset 0
		.amdhsa_system_sgpr_workgroup_id_x 1
		.amdhsa_system_sgpr_workgroup_id_y 0
		.amdhsa_system_sgpr_workgroup_id_z 0
		.amdhsa_system_sgpr_workgroup_info 0
		.amdhsa_system_vgpr_workitem_id 0
		.amdhsa_next_free_vgpr 1
		.amdhsa_next_free_sgpr 0
		.amdhsa_accum_offset 4
		.amdhsa_reserve_vcc 0
		.amdhsa_reserve_flat_scratch 0
		.amdhsa_float_round_mode_32 0
		.amdhsa_float_round_mode_16_64 0
		.amdhsa_float_denorm_mode_32 3
		.amdhsa_float_denorm_mode_16_64 3
		.amdhsa_dx10_clamp 1
		.amdhsa_ieee_mode 1
		.amdhsa_fp16_overflow 0
		.amdhsa_tg_split 0
		.amdhsa_exception_fp_ieee_invalid_op 0
		.amdhsa_exception_fp_denorm_src 0
		.amdhsa_exception_fp_ieee_div_zero 0
		.amdhsa_exception_fp_ieee_overflow 0
		.amdhsa_exception_fp_ieee_underflow 0
		.amdhsa_exception_fp_ieee_inexact 0
		.amdhsa_exception_int_div_zero 0
	.end_amdhsa_kernel
	.section	.text._ZN7rocprim17ROCPRIM_400000_NS6detail17trampoline_kernelINS0_14default_configENS1_33run_length_encode_config_selectorIN3c108BFloat16EjNS0_4plusIjEEEEZZNS1_33reduce_by_key_impl_wrapped_configILNS1_25lookback_scan_determinismE0ES3_S9_PKS6_NS0_17constant_iteratorIjlEEPS6_PlSH_S8_NS0_8equal_toIS6_EEEE10hipError_tPvRmT2_T3_mT4_T5_T6_T7_T8_P12ihipStream_tbENKUlT_T0_E_clISt17integral_constantIbLb1EES11_EEDaSW_SX_EUlSW_E_NS1_11comp_targetILNS1_3genE10ELNS1_11target_archE1200ELNS1_3gpuE4ELNS1_3repE0EEENS1_30default_config_static_selectorELNS0_4arch9wavefront6targetE1EEEvT1_,"axG",@progbits,_ZN7rocprim17ROCPRIM_400000_NS6detail17trampoline_kernelINS0_14default_configENS1_33run_length_encode_config_selectorIN3c108BFloat16EjNS0_4plusIjEEEEZZNS1_33reduce_by_key_impl_wrapped_configILNS1_25lookback_scan_determinismE0ES3_S9_PKS6_NS0_17constant_iteratorIjlEEPS6_PlSH_S8_NS0_8equal_toIS6_EEEE10hipError_tPvRmT2_T3_mT4_T5_T6_T7_T8_P12ihipStream_tbENKUlT_T0_E_clISt17integral_constantIbLb1EES11_EEDaSW_SX_EUlSW_E_NS1_11comp_targetILNS1_3genE10ELNS1_11target_archE1200ELNS1_3gpuE4ELNS1_3repE0EEENS1_30default_config_static_selectorELNS0_4arch9wavefront6targetE1EEEvT1_,comdat
.Lfunc_end871:
	.size	_ZN7rocprim17ROCPRIM_400000_NS6detail17trampoline_kernelINS0_14default_configENS1_33run_length_encode_config_selectorIN3c108BFloat16EjNS0_4plusIjEEEEZZNS1_33reduce_by_key_impl_wrapped_configILNS1_25lookback_scan_determinismE0ES3_S9_PKS6_NS0_17constant_iteratorIjlEEPS6_PlSH_S8_NS0_8equal_toIS6_EEEE10hipError_tPvRmT2_T3_mT4_T5_T6_T7_T8_P12ihipStream_tbENKUlT_T0_E_clISt17integral_constantIbLb1EES11_EEDaSW_SX_EUlSW_E_NS1_11comp_targetILNS1_3genE10ELNS1_11target_archE1200ELNS1_3gpuE4ELNS1_3repE0EEENS1_30default_config_static_selectorELNS0_4arch9wavefront6targetE1EEEvT1_, .Lfunc_end871-_ZN7rocprim17ROCPRIM_400000_NS6detail17trampoline_kernelINS0_14default_configENS1_33run_length_encode_config_selectorIN3c108BFloat16EjNS0_4plusIjEEEEZZNS1_33reduce_by_key_impl_wrapped_configILNS1_25lookback_scan_determinismE0ES3_S9_PKS6_NS0_17constant_iteratorIjlEEPS6_PlSH_S8_NS0_8equal_toIS6_EEEE10hipError_tPvRmT2_T3_mT4_T5_T6_T7_T8_P12ihipStream_tbENKUlT_T0_E_clISt17integral_constantIbLb1EES11_EEDaSW_SX_EUlSW_E_NS1_11comp_targetILNS1_3genE10ELNS1_11target_archE1200ELNS1_3gpuE4ELNS1_3repE0EEENS1_30default_config_static_selectorELNS0_4arch9wavefront6targetE1EEEvT1_
                                        ; -- End function
	.section	.AMDGPU.csdata,"",@progbits
; Kernel info:
; codeLenInByte = 0
; NumSgprs: 4
; NumVgprs: 0
; NumAgprs: 0
; TotalNumVgprs: 0
; ScratchSize: 0
; MemoryBound: 0
; FloatMode: 240
; IeeeMode: 1
; LDSByteSize: 0 bytes/workgroup (compile time only)
; SGPRBlocks: 0
; VGPRBlocks: 0
; NumSGPRsForWavesPerEU: 4
; NumVGPRsForWavesPerEU: 1
; AccumOffset: 4
; Occupancy: 8
; WaveLimiterHint : 0
; COMPUTE_PGM_RSRC2:SCRATCH_EN: 0
; COMPUTE_PGM_RSRC2:USER_SGPR: 6
; COMPUTE_PGM_RSRC2:TRAP_HANDLER: 0
; COMPUTE_PGM_RSRC2:TGID_X_EN: 1
; COMPUTE_PGM_RSRC2:TGID_Y_EN: 0
; COMPUTE_PGM_RSRC2:TGID_Z_EN: 0
; COMPUTE_PGM_RSRC2:TIDIG_COMP_CNT: 0
; COMPUTE_PGM_RSRC3_GFX90A:ACCUM_OFFSET: 0
; COMPUTE_PGM_RSRC3_GFX90A:TG_SPLIT: 0
	.section	.text._ZN7rocprim17ROCPRIM_400000_NS6detail17trampoline_kernelINS0_14default_configENS1_33run_length_encode_config_selectorIN3c108BFloat16EjNS0_4plusIjEEEEZZNS1_33reduce_by_key_impl_wrapped_configILNS1_25lookback_scan_determinismE0ES3_S9_PKS6_NS0_17constant_iteratorIjlEEPS6_PlSH_S8_NS0_8equal_toIS6_EEEE10hipError_tPvRmT2_T3_mT4_T5_T6_T7_T8_P12ihipStream_tbENKUlT_T0_E_clISt17integral_constantIbLb1EES11_EEDaSW_SX_EUlSW_E_NS1_11comp_targetILNS1_3genE9ELNS1_11target_archE1100ELNS1_3gpuE3ELNS1_3repE0EEENS1_30default_config_static_selectorELNS0_4arch9wavefront6targetE1EEEvT1_,"axG",@progbits,_ZN7rocprim17ROCPRIM_400000_NS6detail17trampoline_kernelINS0_14default_configENS1_33run_length_encode_config_selectorIN3c108BFloat16EjNS0_4plusIjEEEEZZNS1_33reduce_by_key_impl_wrapped_configILNS1_25lookback_scan_determinismE0ES3_S9_PKS6_NS0_17constant_iteratorIjlEEPS6_PlSH_S8_NS0_8equal_toIS6_EEEE10hipError_tPvRmT2_T3_mT4_T5_T6_T7_T8_P12ihipStream_tbENKUlT_T0_E_clISt17integral_constantIbLb1EES11_EEDaSW_SX_EUlSW_E_NS1_11comp_targetILNS1_3genE9ELNS1_11target_archE1100ELNS1_3gpuE3ELNS1_3repE0EEENS1_30default_config_static_selectorELNS0_4arch9wavefront6targetE1EEEvT1_,comdat
	.protected	_ZN7rocprim17ROCPRIM_400000_NS6detail17trampoline_kernelINS0_14default_configENS1_33run_length_encode_config_selectorIN3c108BFloat16EjNS0_4plusIjEEEEZZNS1_33reduce_by_key_impl_wrapped_configILNS1_25lookback_scan_determinismE0ES3_S9_PKS6_NS0_17constant_iteratorIjlEEPS6_PlSH_S8_NS0_8equal_toIS6_EEEE10hipError_tPvRmT2_T3_mT4_T5_T6_T7_T8_P12ihipStream_tbENKUlT_T0_E_clISt17integral_constantIbLb1EES11_EEDaSW_SX_EUlSW_E_NS1_11comp_targetILNS1_3genE9ELNS1_11target_archE1100ELNS1_3gpuE3ELNS1_3repE0EEENS1_30default_config_static_selectorELNS0_4arch9wavefront6targetE1EEEvT1_ ; -- Begin function _ZN7rocprim17ROCPRIM_400000_NS6detail17trampoline_kernelINS0_14default_configENS1_33run_length_encode_config_selectorIN3c108BFloat16EjNS0_4plusIjEEEEZZNS1_33reduce_by_key_impl_wrapped_configILNS1_25lookback_scan_determinismE0ES3_S9_PKS6_NS0_17constant_iteratorIjlEEPS6_PlSH_S8_NS0_8equal_toIS6_EEEE10hipError_tPvRmT2_T3_mT4_T5_T6_T7_T8_P12ihipStream_tbENKUlT_T0_E_clISt17integral_constantIbLb1EES11_EEDaSW_SX_EUlSW_E_NS1_11comp_targetILNS1_3genE9ELNS1_11target_archE1100ELNS1_3gpuE3ELNS1_3repE0EEENS1_30default_config_static_selectorELNS0_4arch9wavefront6targetE1EEEvT1_
	.globl	_ZN7rocprim17ROCPRIM_400000_NS6detail17trampoline_kernelINS0_14default_configENS1_33run_length_encode_config_selectorIN3c108BFloat16EjNS0_4plusIjEEEEZZNS1_33reduce_by_key_impl_wrapped_configILNS1_25lookback_scan_determinismE0ES3_S9_PKS6_NS0_17constant_iteratorIjlEEPS6_PlSH_S8_NS0_8equal_toIS6_EEEE10hipError_tPvRmT2_T3_mT4_T5_T6_T7_T8_P12ihipStream_tbENKUlT_T0_E_clISt17integral_constantIbLb1EES11_EEDaSW_SX_EUlSW_E_NS1_11comp_targetILNS1_3genE9ELNS1_11target_archE1100ELNS1_3gpuE3ELNS1_3repE0EEENS1_30default_config_static_selectorELNS0_4arch9wavefront6targetE1EEEvT1_
	.p2align	8
	.type	_ZN7rocprim17ROCPRIM_400000_NS6detail17trampoline_kernelINS0_14default_configENS1_33run_length_encode_config_selectorIN3c108BFloat16EjNS0_4plusIjEEEEZZNS1_33reduce_by_key_impl_wrapped_configILNS1_25lookback_scan_determinismE0ES3_S9_PKS6_NS0_17constant_iteratorIjlEEPS6_PlSH_S8_NS0_8equal_toIS6_EEEE10hipError_tPvRmT2_T3_mT4_T5_T6_T7_T8_P12ihipStream_tbENKUlT_T0_E_clISt17integral_constantIbLb1EES11_EEDaSW_SX_EUlSW_E_NS1_11comp_targetILNS1_3genE9ELNS1_11target_archE1100ELNS1_3gpuE3ELNS1_3repE0EEENS1_30default_config_static_selectorELNS0_4arch9wavefront6targetE1EEEvT1_,@function
_ZN7rocprim17ROCPRIM_400000_NS6detail17trampoline_kernelINS0_14default_configENS1_33run_length_encode_config_selectorIN3c108BFloat16EjNS0_4plusIjEEEEZZNS1_33reduce_by_key_impl_wrapped_configILNS1_25lookback_scan_determinismE0ES3_S9_PKS6_NS0_17constant_iteratorIjlEEPS6_PlSH_S8_NS0_8equal_toIS6_EEEE10hipError_tPvRmT2_T3_mT4_T5_T6_T7_T8_P12ihipStream_tbENKUlT_T0_E_clISt17integral_constantIbLb1EES11_EEDaSW_SX_EUlSW_E_NS1_11comp_targetILNS1_3genE9ELNS1_11target_archE1100ELNS1_3gpuE3ELNS1_3repE0EEENS1_30default_config_static_selectorELNS0_4arch9wavefront6targetE1EEEvT1_: ; @_ZN7rocprim17ROCPRIM_400000_NS6detail17trampoline_kernelINS0_14default_configENS1_33run_length_encode_config_selectorIN3c108BFloat16EjNS0_4plusIjEEEEZZNS1_33reduce_by_key_impl_wrapped_configILNS1_25lookback_scan_determinismE0ES3_S9_PKS6_NS0_17constant_iteratorIjlEEPS6_PlSH_S8_NS0_8equal_toIS6_EEEE10hipError_tPvRmT2_T3_mT4_T5_T6_T7_T8_P12ihipStream_tbENKUlT_T0_E_clISt17integral_constantIbLb1EES11_EEDaSW_SX_EUlSW_E_NS1_11comp_targetILNS1_3genE9ELNS1_11target_archE1100ELNS1_3gpuE3ELNS1_3repE0EEENS1_30default_config_static_selectorELNS0_4arch9wavefront6targetE1EEEvT1_
; %bb.0:
	.section	.rodata,"a",@progbits
	.p2align	6, 0x0
	.amdhsa_kernel _ZN7rocprim17ROCPRIM_400000_NS6detail17trampoline_kernelINS0_14default_configENS1_33run_length_encode_config_selectorIN3c108BFloat16EjNS0_4plusIjEEEEZZNS1_33reduce_by_key_impl_wrapped_configILNS1_25lookback_scan_determinismE0ES3_S9_PKS6_NS0_17constant_iteratorIjlEEPS6_PlSH_S8_NS0_8equal_toIS6_EEEE10hipError_tPvRmT2_T3_mT4_T5_T6_T7_T8_P12ihipStream_tbENKUlT_T0_E_clISt17integral_constantIbLb1EES11_EEDaSW_SX_EUlSW_E_NS1_11comp_targetILNS1_3genE9ELNS1_11target_archE1100ELNS1_3gpuE3ELNS1_3repE0EEENS1_30default_config_static_selectorELNS0_4arch9wavefront6targetE1EEEvT1_
		.amdhsa_group_segment_fixed_size 0
		.amdhsa_private_segment_fixed_size 0
		.amdhsa_kernarg_size 128
		.amdhsa_user_sgpr_count 6
		.amdhsa_user_sgpr_private_segment_buffer 1
		.amdhsa_user_sgpr_dispatch_ptr 0
		.amdhsa_user_sgpr_queue_ptr 0
		.amdhsa_user_sgpr_kernarg_segment_ptr 1
		.amdhsa_user_sgpr_dispatch_id 0
		.amdhsa_user_sgpr_flat_scratch_init 0
		.amdhsa_user_sgpr_kernarg_preload_length 0
		.amdhsa_user_sgpr_kernarg_preload_offset 0
		.amdhsa_user_sgpr_private_segment_size 0
		.amdhsa_uses_dynamic_stack 0
		.amdhsa_system_sgpr_private_segment_wavefront_offset 0
		.amdhsa_system_sgpr_workgroup_id_x 1
		.amdhsa_system_sgpr_workgroup_id_y 0
		.amdhsa_system_sgpr_workgroup_id_z 0
		.amdhsa_system_sgpr_workgroup_info 0
		.amdhsa_system_vgpr_workitem_id 0
		.amdhsa_next_free_vgpr 1
		.amdhsa_next_free_sgpr 0
		.amdhsa_accum_offset 4
		.amdhsa_reserve_vcc 0
		.amdhsa_reserve_flat_scratch 0
		.amdhsa_float_round_mode_32 0
		.amdhsa_float_round_mode_16_64 0
		.amdhsa_float_denorm_mode_32 3
		.amdhsa_float_denorm_mode_16_64 3
		.amdhsa_dx10_clamp 1
		.amdhsa_ieee_mode 1
		.amdhsa_fp16_overflow 0
		.amdhsa_tg_split 0
		.amdhsa_exception_fp_ieee_invalid_op 0
		.amdhsa_exception_fp_denorm_src 0
		.amdhsa_exception_fp_ieee_div_zero 0
		.amdhsa_exception_fp_ieee_overflow 0
		.amdhsa_exception_fp_ieee_underflow 0
		.amdhsa_exception_fp_ieee_inexact 0
		.amdhsa_exception_int_div_zero 0
	.end_amdhsa_kernel
	.section	.text._ZN7rocprim17ROCPRIM_400000_NS6detail17trampoline_kernelINS0_14default_configENS1_33run_length_encode_config_selectorIN3c108BFloat16EjNS0_4plusIjEEEEZZNS1_33reduce_by_key_impl_wrapped_configILNS1_25lookback_scan_determinismE0ES3_S9_PKS6_NS0_17constant_iteratorIjlEEPS6_PlSH_S8_NS0_8equal_toIS6_EEEE10hipError_tPvRmT2_T3_mT4_T5_T6_T7_T8_P12ihipStream_tbENKUlT_T0_E_clISt17integral_constantIbLb1EES11_EEDaSW_SX_EUlSW_E_NS1_11comp_targetILNS1_3genE9ELNS1_11target_archE1100ELNS1_3gpuE3ELNS1_3repE0EEENS1_30default_config_static_selectorELNS0_4arch9wavefront6targetE1EEEvT1_,"axG",@progbits,_ZN7rocprim17ROCPRIM_400000_NS6detail17trampoline_kernelINS0_14default_configENS1_33run_length_encode_config_selectorIN3c108BFloat16EjNS0_4plusIjEEEEZZNS1_33reduce_by_key_impl_wrapped_configILNS1_25lookback_scan_determinismE0ES3_S9_PKS6_NS0_17constant_iteratorIjlEEPS6_PlSH_S8_NS0_8equal_toIS6_EEEE10hipError_tPvRmT2_T3_mT4_T5_T6_T7_T8_P12ihipStream_tbENKUlT_T0_E_clISt17integral_constantIbLb1EES11_EEDaSW_SX_EUlSW_E_NS1_11comp_targetILNS1_3genE9ELNS1_11target_archE1100ELNS1_3gpuE3ELNS1_3repE0EEENS1_30default_config_static_selectorELNS0_4arch9wavefront6targetE1EEEvT1_,comdat
.Lfunc_end872:
	.size	_ZN7rocprim17ROCPRIM_400000_NS6detail17trampoline_kernelINS0_14default_configENS1_33run_length_encode_config_selectorIN3c108BFloat16EjNS0_4plusIjEEEEZZNS1_33reduce_by_key_impl_wrapped_configILNS1_25lookback_scan_determinismE0ES3_S9_PKS6_NS0_17constant_iteratorIjlEEPS6_PlSH_S8_NS0_8equal_toIS6_EEEE10hipError_tPvRmT2_T3_mT4_T5_T6_T7_T8_P12ihipStream_tbENKUlT_T0_E_clISt17integral_constantIbLb1EES11_EEDaSW_SX_EUlSW_E_NS1_11comp_targetILNS1_3genE9ELNS1_11target_archE1100ELNS1_3gpuE3ELNS1_3repE0EEENS1_30default_config_static_selectorELNS0_4arch9wavefront6targetE1EEEvT1_, .Lfunc_end872-_ZN7rocprim17ROCPRIM_400000_NS6detail17trampoline_kernelINS0_14default_configENS1_33run_length_encode_config_selectorIN3c108BFloat16EjNS0_4plusIjEEEEZZNS1_33reduce_by_key_impl_wrapped_configILNS1_25lookback_scan_determinismE0ES3_S9_PKS6_NS0_17constant_iteratorIjlEEPS6_PlSH_S8_NS0_8equal_toIS6_EEEE10hipError_tPvRmT2_T3_mT4_T5_T6_T7_T8_P12ihipStream_tbENKUlT_T0_E_clISt17integral_constantIbLb1EES11_EEDaSW_SX_EUlSW_E_NS1_11comp_targetILNS1_3genE9ELNS1_11target_archE1100ELNS1_3gpuE3ELNS1_3repE0EEENS1_30default_config_static_selectorELNS0_4arch9wavefront6targetE1EEEvT1_
                                        ; -- End function
	.section	.AMDGPU.csdata,"",@progbits
; Kernel info:
; codeLenInByte = 0
; NumSgprs: 4
; NumVgprs: 0
; NumAgprs: 0
; TotalNumVgprs: 0
; ScratchSize: 0
; MemoryBound: 0
; FloatMode: 240
; IeeeMode: 1
; LDSByteSize: 0 bytes/workgroup (compile time only)
; SGPRBlocks: 0
; VGPRBlocks: 0
; NumSGPRsForWavesPerEU: 4
; NumVGPRsForWavesPerEU: 1
; AccumOffset: 4
; Occupancy: 8
; WaveLimiterHint : 0
; COMPUTE_PGM_RSRC2:SCRATCH_EN: 0
; COMPUTE_PGM_RSRC2:USER_SGPR: 6
; COMPUTE_PGM_RSRC2:TRAP_HANDLER: 0
; COMPUTE_PGM_RSRC2:TGID_X_EN: 1
; COMPUTE_PGM_RSRC2:TGID_Y_EN: 0
; COMPUTE_PGM_RSRC2:TGID_Z_EN: 0
; COMPUTE_PGM_RSRC2:TIDIG_COMP_CNT: 0
; COMPUTE_PGM_RSRC3_GFX90A:ACCUM_OFFSET: 0
; COMPUTE_PGM_RSRC3_GFX90A:TG_SPLIT: 0
	.section	.text._ZN7rocprim17ROCPRIM_400000_NS6detail17trampoline_kernelINS0_14default_configENS1_33run_length_encode_config_selectorIN3c108BFloat16EjNS0_4plusIjEEEEZZNS1_33reduce_by_key_impl_wrapped_configILNS1_25lookback_scan_determinismE0ES3_S9_PKS6_NS0_17constant_iteratorIjlEEPS6_PlSH_S8_NS0_8equal_toIS6_EEEE10hipError_tPvRmT2_T3_mT4_T5_T6_T7_T8_P12ihipStream_tbENKUlT_T0_E_clISt17integral_constantIbLb1EES11_EEDaSW_SX_EUlSW_E_NS1_11comp_targetILNS1_3genE8ELNS1_11target_archE1030ELNS1_3gpuE2ELNS1_3repE0EEENS1_30default_config_static_selectorELNS0_4arch9wavefront6targetE1EEEvT1_,"axG",@progbits,_ZN7rocprim17ROCPRIM_400000_NS6detail17trampoline_kernelINS0_14default_configENS1_33run_length_encode_config_selectorIN3c108BFloat16EjNS0_4plusIjEEEEZZNS1_33reduce_by_key_impl_wrapped_configILNS1_25lookback_scan_determinismE0ES3_S9_PKS6_NS0_17constant_iteratorIjlEEPS6_PlSH_S8_NS0_8equal_toIS6_EEEE10hipError_tPvRmT2_T3_mT4_T5_T6_T7_T8_P12ihipStream_tbENKUlT_T0_E_clISt17integral_constantIbLb1EES11_EEDaSW_SX_EUlSW_E_NS1_11comp_targetILNS1_3genE8ELNS1_11target_archE1030ELNS1_3gpuE2ELNS1_3repE0EEENS1_30default_config_static_selectorELNS0_4arch9wavefront6targetE1EEEvT1_,comdat
	.protected	_ZN7rocprim17ROCPRIM_400000_NS6detail17trampoline_kernelINS0_14default_configENS1_33run_length_encode_config_selectorIN3c108BFloat16EjNS0_4plusIjEEEEZZNS1_33reduce_by_key_impl_wrapped_configILNS1_25lookback_scan_determinismE0ES3_S9_PKS6_NS0_17constant_iteratorIjlEEPS6_PlSH_S8_NS0_8equal_toIS6_EEEE10hipError_tPvRmT2_T3_mT4_T5_T6_T7_T8_P12ihipStream_tbENKUlT_T0_E_clISt17integral_constantIbLb1EES11_EEDaSW_SX_EUlSW_E_NS1_11comp_targetILNS1_3genE8ELNS1_11target_archE1030ELNS1_3gpuE2ELNS1_3repE0EEENS1_30default_config_static_selectorELNS0_4arch9wavefront6targetE1EEEvT1_ ; -- Begin function _ZN7rocprim17ROCPRIM_400000_NS6detail17trampoline_kernelINS0_14default_configENS1_33run_length_encode_config_selectorIN3c108BFloat16EjNS0_4plusIjEEEEZZNS1_33reduce_by_key_impl_wrapped_configILNS1_25lookback_scan_determinismE0ES3_S9_PKS6_NS0_17constant_iteratorIjlEEPS6_PlSH_S8_NS0_8equal_toIS6_EEEE10hipError_tPvRmT2_T3_mT4_T5_T6_T7_T8_P12ihipStream_tbENKUlT_T0_E_clISt17integral_constantIbLb1EES11_EEDaSW_SX_EUlSW_E_NS1_11comp_targetILNS1_3genE8ELNS1_11target_archE1030ELNS1_3gpuE2ELNS1_3repE0EEENS1_30default_config_static_selectorELNS0_4arch9wavefront6targetE1EEEvT1_
	.globl	_ZN7rocprim17ROCPRIM_400000_NS6detail17trampoline_kernelINS0_14default_configENS1_33run_length_encode_config_selectorIN3c108BFloat16EjNS0_4plusIjEEEEZZNS1_33reduce_by_key_impl_wrapped_configILNS1_25lookback_scan_determinismE0ES3_S9_PKS6_NS0_17constant_iteratorIjlEEPS6_PlSH_S8_NS0_8equal_toIS6_EEEE10hipError_tPvRmT2_T3_mT4_T5_T6_T7_T8_P12ihipStream_tbENKUlT_T0_E_clISt17integral_constantIbLb1EES11_EEDaSW_SX_EUlSW_E_NS1_11comp_targetILNS1_3genE8ELNS1_11target_archE1030ELNS1_3gpuE2ELNS1_3repE0EEENS1_30default_config_static_selectorELNS0_4arch9wavefront6targetE1EEEvT1_
	.p2align	8
	.type	_ZN7rocprim17ROCPRIM_400000_NS6detail17trampoline_kernelINS0_14default_configENS1_33run_length_encode_config_selectorIN3c108BFloat16EjNS0_4plusIjEEEEZZNS1_33reduce_by_key_impl_wrapped_configILNS1_25lookback_scan_determinismE0ES3_S9_PKS6_NS0_17constant_iteratorIjlEEPS6_PlSH_S8_NS0_8equal_toIS6_EEEE10hipError_tPvRmT2_T3_mT4_T5_T6_T7_T8_P12ihipStream_tbENKUlT_T0_E_clISt17integral_constantIbLb1EES11_EEDaSW_SX_EUlSW_E_NS1_11comp_targetILNS1_3genE8ELNS1_11target_archE1030ELNS1_3gpuE2ELNS1_3repE0EEENS1_30default_config_static_selectorELNS0_4arch9wavefront6targetE1EEEvT1_,@function
_ZN7rocprim17ROCPRIM_400000_NS6detail17trampoline_kernelINS0_14default_configENS1_33run_length_encode_config_selectorIN3c108BFloat16EjNS0_4plusIjEEEEZZNS1_33reduce_by_key_impl_wrapped_configILNS1_25lookback_scan_determinismE0ES3_S9_PKS6_NS0_17constant_iteratorIjlEEPS6_PlSH_S8_NS0_8equal_toIS6_EEEE10hipError_tPvRmT2_T3_mT4_T5_T6_T7_T8_P12ihipStream_tbENKUlT_T0_E_clISt17integral_constantIbLb1EES11_EEDaSW_SX_EUlSW_E_NS1_11comp_targetILNS1_3genE8ELNS1_11target_archE1030ELNS1_3gpuE2ELNS1_3repE0EEENS1_30default_config_static_selectorELNS0_4arch9wavefront6targetE1EEEvT1_: ; @_ZN7rocprim17ROCPRIM_400000_NS6detail17trampoline_kernelINS0_14default_configENS1_33run_length_encode_config_selectorIN3c108BFloat16EjNS0_4plusIjEEEEZZNS1_33reduce_by_key_impl_wrapped_configILNS1_25lookback_scan_determinismE0ES3_S9_PKS6_NS0_17constant_iteratorIjlEEPS6_PlSH_S8_NS0_8equal_toIS6_EEEE10hipError_tPvRmT2_T3_mT4_T5_T6_T7_T8_P12ihipStream_tbENKUlT_T0_E_clISt17integral_constantIbLb1EES11_EEDaSW_SX_EUlSW_E_NS1_11comp_targetILNS1_3genE8ELNS1_11target_archE1030ELNS1_3gpuE2ELNS1_3repE0EEENS1_30default_config_static_selectorELNS0_4arch9wavefront6targetE1EEEvT1_
; %bb.0:
	.section	.rodata,"a",@progbits
	.p2align	6, 0x0
	.amdhsa_kernel _ZN7rocprim17ROCPRIM_400000_NS6detail17trampoline_kernelINS0_14default_configENS1_33run_length_encode_config_selectorIN3c108BFloat16EjNS0_4plusIjEEEEZZNS1_33reduce_by_key_impl_wrapped_configILNS1_25lookback_scan_determinismE0ES3_S9_PKS6_NS0_17constant_iteratorIjlEEPS6_PlSH_S8_NS0_8equal_toIS6_EEEE10hipError_tPvRmT2_T3_mT4_T5_T6_T7_T8_P12ihipStream_tbENKUlT_T0_E_clISt17integral_constantIbLb1EES11_EEDaSW_SX_EUlSW_E_NS1_11comp_targetILNS1_3genE8ELNS1_11target_archE1030ELNS1_3gpuE2ELNS1_3repE0EEENS1_30default_config_static_selectorELNS0_4arch9wavefront6targetE1EEEvT1_
		.amdhsa_group_segment_fixed_size 0
		.amdhsa_private_segment_fixed_size 0
		.amdhsa_kernarg_size 128
		.amdhsa_user_sgpr_count 6
		.amdhsa_user_sgpr_private_segment_buffer 1
		.amdhsa_user_sgpr_dispatch_ptr 0
		.amdhsa_user_sgpr_queue_ptr 0
		.amdhsa_user_sgpr_kernarg_segment_ptr 1
		.amdhsa_user_sgpr_dispatch_id 0
		.amdhsa_user_sgpr_flat_scratch_init 0
		.amdhsa_user_sgpr_kernarg_preload_length 0
		.amdhsa_user_sgpr_kernarg_preload_offset 0
		.amdhsa_user_sgpr_private_segment_size 0
		.amdhsa_uses_dynamic_stack 0
		.amdhsa_system_sgpr_private_segment_wavefront_offset 0
		.amdhsa_system_sgpr_workgroup_id_x 1
		.amdhsa_system_sgpr_workgroup_id_y 0
		.amdhsa_system_sgpr_workgroup_id_z 0
		.amdhsa_system_sgpr_workgroup_info 0
		.amdhsa_system_vgpr_workitem_id 0
		.amdhsa_next_free_vgpr 1
		.amdhsa_next_free_sgpr 0
		.amdhsa_accum_offset 4
		.amdhsa_reserve_vcc 0
		.amdhsa_reserve_flat_scratch 0
		.amdhsa_float_round_mode_32 0
		.amdhsa_float_round_mode_16_64 0
		.amdhsa_float_denorm_mode_32 3
		.amdhsa_float_denorm_mode_16_64 3
		.amdhsa_dx10_clamp 1
		.amdhsa_ieee_mode 1
		.amdhsa_fp16_overflow 0
		.amdhsa_tg_split 0
		.amdhsa_exception_fp_ieee_invalid_op 0
		.amdhsa_exception_fp_denorm_src 0
		.amdhsa_exception_fp_ieee_div_zero 0
		.amdhsa_exception_fp_ieee_overflow 0
		.amdhsa_exception_fp_ieee_underflow 0
		.amdhsa_exception_fp_ieee_inexact 0
		.amdhsa_exception_int_div_zero 0
	.end_amdhsa_kernel
	.section	.text._ZN7rocprim17ROCPRIM_400000_NS6detail17trampoline_kernelINS0_14default_configENS1_33run_length_encode_config_selectorIN3c108BFloat16EjNS0_4plusIjEEEEZZNS1_33reduce_by_key_impl_wrapped_configILNS1_25lookback_scan_determinismE0ES3_S9_PKS6_NS0_17constant_iteratorIjlEEPS6_PlSH_S8_NS0_8equal_toIS6_EEEE10hipError_tPvRmT2_T3_mT4_T5_T6_T7_T8_P12ihipStream_tbENKUlT_T0_E_clISt17integral_constantIbLb1EES11_EEDaSW_SX_EUlSW_E_NS1_11comp_targetILNS1_3genE8ELNS1_11target_archE1030ELNS1_3gpuE2ELNS1_3repE0EEENS1_30default_config_static_selectorELNS0_4arch9wavefront6targetE1EEEvT1_,"axG",@progbits,_ZN7rocprim17ROCPRIM_400000_NS6detail17trampoline_kernelINS0_14default_configENS1_33run_length_encode_config_selectorIN3c108BFloat16EjNS0_4plusIjEEEEZZNS1_33reduce_by_key_impl_wrapped_configILNS1_25lookback_scan_determinismE0ES3_S9_PKS6_NS0_17constant_iteratorIjlEEPS6_PlSH_S8_NS0_8equal_toIS6_EEEE10hipError_tPvRmT2_T3_mT4_T5_T6_T7_T8_P12ihipStream_tbENKUlT_T0_E_clISt17integral_constantIbLb1EES11_EEDaSW_SX_EUlSW_E_NS1_11comp_targetILNS1_3genE8ELNS1_11target_archE1030ELNS1_3gpuE2ELNS1_3repE0EEENS1_30default_config_static_selectorELNS0_4arch9wavefront6targetE1EEEvT1_,comdat
.Lfunc_end873:
	.size	_ZN7rocprim17ROCPRIM_400000_NS6detail17trampoline_kernelINS0_14default_configENS1_33run_length_encode_config_selectorIN3c108BFloat16EjNS0_4plusIjEEEEZZNS1_33reduce_by_key_impl_wrapped_configILNS1_25lookback_scan_determinismE0ES3_S9_PKS6_NS0_17constant_iteratorIjlEEPS6_PlSH_S8_NS0_8equal_toIS6_EEEE10hipError_tPvRmT2_T3_mT4_T5_T6_T7_T8_P12ihipStream_tbENKUlT_T0_E_clISt17integral_constantIbLb1EES11_EEDaSW_SX_EUlSW_E_NS1_11comp_targetILNS1_3genE8ELNS1_11target_archE1030ELNS1_3gpuE2ELNS1_3repE0EEENS1_30default_config_static_selectorELNS0_4arch9wavefront6targetE1EEEvT1_, .Lfunc_end873-_ZN7rocprim17ROCPRIM_400000_NS6detail17trampoline_kernelINS0_14default_configENS1_33run_length_encode_config_selectorIN3c108BFloat16EjNS0_4plusIjEEEEZZNS1_33reduce_by_key_impl_wrapped_configILNS1_25lookback_scan_determinismE0ES3_S9_PKS6_NS0_17constant_iteratorIjlEEPS6_PlSH_S8_NS0_8equal_toIS6_EEEE10hipError_tPvRmT2_T3_mT4_T5_T6_T7_T8_P12ihipStream_tbENKUlT_T0_E_clISt17integral_constantIbLb1EES11_EEDaSW_SX_EUlSW_E_NS1_11comp_targetILNS1_3genE8ELNS1_11target_archE1030ELNS1_3gpuE2ELNS1_3repE0EEENS1_30default_config_static_selectorELNS0_4arch9wavefront6targetE1EEEvT1_
                                        ; -- End function
	.section	.AMDGPU.csdata,"",@progbits
; Kernel info:
; codeLenInByte = 0
; NumSgprs: 4
; NumVgprs: 0
; NumAgprs: 0
; TotalNumVgprs: 0
; ScratchSize: 0
; MemoryBound: 0
; FloatMode: 240
; IeeeMode: 1
; LDSByteSize: 0 bytes/workgroup (compile time only)
; SGPRBlocks: 0
; VGPRBlocks: 0
; NumSGPRsForWavesPerEU: 4
; NumVGPRsForWavesPerEU: 1
; AccumOffset: 4
; Occupancy: 8
; WaveLimiterHint : 0
; COMPUTE_PGM_RSRC2:SCRATCH_EN: 0
; COMPUTE_PGM_RSRC2:USER_SGPR: 6
; COMPUTE_PGM_RSRC2:TRAP_HANDLER: 0
; COMPUTE_PGM_RSRC2:TGID_X_EN: 1
; COMPUTE_PGM_RSRC2:TGID_Y_EN: 0
; COMPUTE_PGM_RSRC2:TGID_Z_EN: 0
; COMPUTE_PGM_RSRC2:TIDIG_COMP_CNT: 0
; COMPUTE_PGM_RSRC3_GFX90A:ACCUM_OFFSET: 0
; COMPUTE_PGM_RSRC3_GFX90A:TG_SPLIT: 0
	.section	.text._ZN7rocprim17ROCPRIM_400000_NS6detail17trampoline_kernelINS0_14default_configENS1_33run_length_encode_config_selectorIN3c108BFloat16EjNS0_4plusIjEEEEZZNS1_33reduce_by_key_impl_wrapped_configILNS1_25lookback_scan_determinismE0ES3_S9_PKS6_NS0_17constant_iteratorIjlEEPS6_PlSH_S8_NS0_8equal_toIS6_EEEE10hipError_tPvRmT2_T3_mT4_T5_T6_T7_T8_P12ihipStream_tbENKUlT_T0_E_clISt17integral_constantIbLb1EES10_IbLb0EEEEDaSW_SX_EUlSW_E_NS1_11comp_targetILNS1_3genE0ELNS1_11target_archE4294967295ELNS1_3gpuE0ELNS1_3repE0EEENS1_30default_config_static_selectorELNS0_4arch9wavefront6targetE1EEEvT1_,"axG",@progbits,_ZN7rocprim17ROCPRIM_400000_NS6detail17trampoline_kernelINS0_14default_configENS1_33run_length_encode_config_selectorIN3c108BFloat16EjNS0_4plusIjEEEEZZNS1_33reduce_by_key_impl_wrapped_configILNS1_25lookback_scan_determinismE0ES3_S9_PKS6_NS0_17constant_iteratorIjlEEPS6_PlSH_S8_NS0_8equal_toIS6_EEEE10hipError_tPvRmT2_T3_mT4_T5_T6_T7_T8_P12ihipStream_tbENKUlT_T0_E_clISt17integral_constantIbLb1EES10_IbLb0EEEEDaSW_SX_EUlSW_E_NS1_11comp_targetILNS1_3genE0ELNS1_11target_archE4294967295ELNS1_3gpuE0ELNS1_3repE0EEENS1_30default_config_static_selectorELNS0_4arch9wavefront6targetE1EEEvT1_,comdat
	.protected	_ZN7rocprim17ROCPRIM_400000_NS6detail17trampoline_kernelINS0_14default_configENS1_33run_length_encode_config_selectorIN3c108BFloat16EjNS0_4plusIjEEEEZZNS1_33reduce_by_key_impl_wrapped_configILNS1_25lookback_scan_determinismE0ES3_S9_PKS6_NS0_17constant_iteratorIjlEEPS6_PlSH_S8_NS0_8equal_toIS6_EEEE10hipError_tPvRmT2_T3_mT4_T5_T6_T7_T8_P12ihipStream_tbENKUlT_T0_E_clISt17integral_constantIbLb1EES10_IbLb0EEEEDaSW_SX_EUlSW_E_NS1_11comp_targetILNS1_3genE0ELNS1_11target_archE4294967295ELNS1_3gpuE0ELNS1_3repE0EEENS1_30default_config_static_selectorELNS0_4arch9wavefront6targetE1EEEvT1_ ; -- Begin function _ZN7rocprim17ROCPRIM_400000_NS6detail17trampoline_kernelINS0_14default_configENS1_33run_length_encode_config_selectorIN3c108BFloat16EjNS0_4plusIjEEEEZZNS1_33reduce_by_key_impl_wrapped_configILNS1_25lookback_scan_determinismE0ES3_S9_PKS6_NS0_17constant_iteratorIjlEEPS6_PlSH_S8_NS0_8equal_toIS6_EEEE10hipError_tPvRmT2_T3_mT4_T5_T6_T7_T8_P12ihipStream_tbENKUlT_T0_E_clISt17integral_constantIbLb1EES10_IbLb0EEEEDaSW_SX_EUlSW_E_NS1_11comp_targetILNS1_3genE0ELNS1_11target_archE4294967295ELNS1_3gpuE0ELNS1_3repE0EEENS1_30default_config_static_selectorELNS0_4arch9wavefront6targetE1EEEvT1_
	.globl	_ZN7rocprim17ROCPRIM_400000_NS6detail17trampoline_kernelINS0_14default_configENS1_33run_length_encode_config_selectorIN3c108BFloat16EjNS0_4plusIjEEEEZZNS1_33reduce_by_key_impl_wrapped_configILNS1_25lookback_scan_determinismE0ES3_S9_PKS6_NS0_17constant_iteratorIjlEEPS6_PlSH_S8_NS0_8equal_toIS6_EEEE10hipError_tPvRmT2_T3_mT4_T5_T6_T7_T8_P12ihipStream_tbENKUlT_T0_E_clISt17integral_constantIbLb1EES10_IbLb0EEEEDaSW_SX_EUlSW_E_NS1_11comp_targetILNS1_3genE0ELNS1_11target_archE4294967295ELNS1_3gpuE0ELNS1_3repE0EEENS1_30default_config_static_selectorELNS0_4arch9wavefront6targetE1EEEvT1_
	.p2align	8
	.type	_ZN7rocprim17ROCPRIM_400000_NS6detail17trampoline_kernelINS0_14default_configENS1_33run_length_encode_config_selectorIN3c108BFloat16EjNS0_4plusIjEEEEZZNS1_33reduce_by_key_impl_wrapped_configILNS1_25lookback_scan_determinismE0ES3_S9_PKS6_NS0_17constant_iteratorIjlEEPS6_PlSH_S8_NS0_8equal_toIS6_EEEE10hipError_tPvRmT2_T3_mT4_T5_T6_T7_T8_P12ihipStream_tbENKUlT_T0_E_clISt17integral_constantIbLb1EES10_IbLb0EEEEDaSW_SX_EUlSW_E_NS1_11comp_targetILNS1_3genE0ELNS1_11target_archE4294967295ELNS1_3gpuE0ELNS1_3repE0EEENS1_30default_config_static_selectorELNS0_4arch9wavefront6targetE1EEEvT1_,@function
_ZN7rocprim17ROCPRIM_400000_NS6detail17trampoline_kernelINS0_14default_configENS1_33run_length_encode_config_selectorIN3c108BFloat16EjNS0_4plusIjEEEEZZNS1_33reduce_by_key_impl_wrapped_configILNS1_25lookback_scan_determinismE0ES3_S9_PKS6_NS0_17constant_iteratorIjlEEPS6_PlSH_S8_NS0_8equal_toIS6_EEEE10hipError_tPvRmT2_T3_mT4_T5_T6_T7_T8_P12ihipStream_tbENKUlT_T0_E_clISt17integral_constantIbLb1EES10_IbLb0EEEEDaSW_SX_EUlSW_E_NS1_11comp_targetILNS1_3genE0ELNS1_11target_archE4294967295ELNS1_3gpuE0ELNS1_3repE0EEENS1_30default_config_static_selectorELNS0_4arch9wavefront6targetE1EEEvT1_: ; @_ZN7rocprim17ROCPRIM_400000_NS6detail17trampoline_kernelINS0_14default_configENS1_33run_length_encode_config_selectorIN3c108BFloat16EjNS0_4plusIjEEEEZZNS1_33reduce_by_key_impl_wrapped_configILNS1_25lookback_scan_determinismE0ES3_S9_PKS6_NS0_17constant_iteratorIjlEEPS6_PlSH_S8_NS0_8equal_toIS6_EEEE10hipError_tPvRmT2_T3_mT4_T5_T6_T7_T8_P12ihipStream_tbENKUlT_T0_E_clISt17integral_constantIbLb1EES10_IbLb0EEEEDaSW_SX_EUlSW_E_NS1_11comp_targetILNS1_3genE0ELNS1_11target_archE4294967295ELNS1_3gpuE0ELNS1_3repE0EEENS1_30default_config_static_selectorELNS0_4arch9wavefront6targetE1EEEvT1_
; %bb.0:
	.section	.rodata,"a",@progbits
	.p2align	6, 0x0
	.amdhsa_kernel _ZN7rocprim17ROCPRIM_400000_NS6detail17trampoline_kernelINS0_14default_configENS1_33run_length_encode_config_selectorIN3c108BFloat16EjNS0_4plusIjEEEEZZNS1_33reduce_by_key_impl_wrapped_configILNS1_25lookback_scan_determinismE0ES3_S9_PKS6_NS0_17constant_iteratorIjlEEPS6_PlSH_S8_NS0_8equal_toIS6_EEEE10hipError_tPvRmT2_T3_mT4_T5_T6_T7_T8_P12ihipStream_tbENKUlT_T0_E_clISt17integral_constantIbLb1EES10_IbLb0EEEEDaSW_SX_EUlSW_E_NS1_11comp_targetILNS1_3genE0ELNS1_11target_archE4294967295ELNS1_3gpuE0ELNS1_3repE0EEENS1_30default_config_static_selectorELNS0_4arch9wavefront6targetE1EEEvT1_
		.amdhsa_group_segment_fixed_size 0
		.amdhsa_private_segment_fixed_size 0
		.amdhsa_kernarg_size 128
		.amdhsa_user_sgpr_count 6
		.amdhsa_user_sgpr_private_segment_buffer 1
		.amdhsa_user_sgpr_dispatch_ptr 0
		.amdhsa_user_sgpr_queue_ptr 0
		.amdhsa_user_sgpr_kernarg_segment_ptr 1
		.amdhsa_user_sgpr_dispatch_id 0
		.amdhsa_user_sgpr_flat_scratch_init 0
		.amdhsa_user_sgpr_kernarg_preload_length 0
		.amdhsa_user_sgpr_kernarg_preload_offset 0
		.amdhsa_user_sgpr_private_segment_size 0
		.amdhsa_uses_dynamic_stack 0
		.amdhsa_system_sgpr_private_segment_wavefront_offset 0
		.amdhsa_system_sgpr_workgroup_id_x 1
		.amdhsa_system_sgpr_workgroup_id_y 0
		.amdhsa_system_sgpr_workgroup_id_z 0
		.amdhsa_system_sgpr_workgroup_info 0
		.amdhsa_system_vgpr_workitem_id 0
		.amdhsa_next_free_vgpr 1
		.amdhsa_next_free_sgpr 0
		.amdhsa_accum_offset 4
		.amdhsa_reserve_vcc 0
		.amdhsa_reserve_flat_scratch 0
		.amdhsa_float_round_mode_32 0
		.amdhsa_float_round_mode_16_64 0
		.amdhsa_float_denorm_mode_32 3
		.amdhsa_float_denorm_mode_16_64 3
		.amdhsa_dx10_clamp 1
		.amdhsa_ieee_mode 1
		.amdhsa_fp16_overflow 0
		.amdhsa_tg_split 0
		.amdhsa_exception_fp_ieee_invalid_op 0
		.amdhsa_exception_fp_denorm_src 0
		.amdhsa_exception_fp_ieee_div_zero 0
		.amdhsa_exception_fp_ieee_overflow 0
		.amdhsa_exception_fp_ieee_underflow 0
		.amdhsa_exception_fp_ieee_inexact 0
		.amdhsa_exception_int_div_zero 0
	.end_amdhsa_kernel
	.section	.text._ZN7rocprim17ROCPRIM_400000_NS6detail17trampoline_kernelINS0_14default_configENS1_33run_length_encode_config_selectorIN3c108BFloat16EjNS0_4plusIjEEEEZZNS1_33reduce_by_key_impl_wrapped_configILNS1_25lookback_scan_determinismE0ES3_S9_PKS6_NS0_17constant_iteratorIjlEEPS6_PlSH_S8_NS0_8equal_toIS6_EEEE10hipError_tPvRmT2_T3_mT4_T5_T6_T7_T8_P12ihipStream_tbENKUlT_T0_E_clISt17integral_constantIbLb1EES10_IbLb0EEEEDaSW_SX_EUlSW_E_NS1_11comp_targetILNS1_3genE0ELNS1_11target_archE4294967295ELNS1_3gpuE0ELNS1_3repE0EEENS1_30default_config_static_selectorELNS0_4arch9wavefront6targetE1EEEvT1_,"axG",@progbits,_ZN7rocprim17ROCPRIM_400000_NS6detail17trampoline_kernelINS0_14default_configENS1_33run_length_encode_config_selectorIN3c108BFloat16EjNS0_4plusIjEEEEZZNS1_33reduce_by_key_impl_wrapped_configILNS1_25lookback_scan_determinismE0ES3_S9_PKS6_NS0_17constant_iteratorIjlEEPS6_PlSH_S8_NS0_8equal_toIS6_EEEE10hipError_tPvRmT2_T3_mT4_T5_T6_T7_T8_P12ihipStream_tbENKUlT_T0_E_clISt17integral_constantIbLb1EES10_IbLb0EEEEDaSW_SX_EUlSW_E_NS1_11comp_targetILNS1_3genE0ELNS1_11target_archE4294967295ELNS1_3gpuE0ELNS1_3repE0EEENS1_30default_config_static_selectorELNS0_4arch9wavefront6targetE1EEEvT1_,comdat
.Lfunc_end874:
	.size	_ZN7rocprim17ROCPRIM_400000_NS6detail17trampoline_kernelINS0_14default_configENS1_33run_length_encode_config_selectorIN3c108BFloat16EjNS0_4plusIjEEEEZZNS1_33reduce_by_key_impl_wrapped_configILNS1_25lookback_scan_determinismE0ES3_S9_PKS6_NS0_17constant_iteratorIjlEEPS6_PlSH_S8_NS0_8equal_toIS6_EEEE10hipError_tPvRmT2_T3_mT4_T5_T6_T7_T8_P12ihipStream_tbENKUlT_T0_E_clISt17integral_constantIbLb1EES10_IbLb0EEEEDaSW_SX_EUlSW_E_NS1_11comp_targetILNS1_3genE0ELNS1_11target_archE4294967295ELNS1_3gpuE0ELNS1_3repE0EEENS1_30default_config_static_selectorELNS0_4arch9wavefront6targetE1EEEvT1_, .Lfunc_end874-_ZN7rocprim17ROCPRIM_400000_NS6detail17trampoline_kernelINS0_14default_configENS1_33run_length_encode_config_selectorIN3c108BFloat16EjNS0_4plusIjEEEEZZNS1_33reduce_by_key_impl_wrapped_configILNS1_25lookback_scan_determinismE0ES3_S9_PKS6_NS0_17constant_iteratorIjlEEPS6_PlSH_S8_NS0_8equal_toIS6_EEEE10hipError_tPvRmT2_T3_mT4_T5_T6_T7_T8_P12ihipStream_tbENKUlT_T0_E_clISt17integral_constantIbLb1EES10_IbLb0EEEEDaSW_SX_EUlSW_E_NS1_11comp_targetILNS1_3genE0ELNS1_11target_archE4294967295ELNS1_3gpuE0ELNS1_3repE0EEENS1_30default_config_static_selectorELNS0_4arch9wavefront6targetE1EEEvT1_
                                        ; -- End function
	.section	.AMDGPU.csdata,"",@progbits
; Kernel info:
; codeLenInByte = 0
; NumSgprs: 4
; NumVgprs: 0
; NumAgprs: 0
; TotalNumVgprs: 0
; ScratchSize: 0
; MemoryBound: 0
; FloatMode: 240
; IeeeMode: 1
; LDSByteSize: 0 bytes/workgroup (compile time only)
; SGPRBlocks: 0
; VGPRBlocks: 0
; NumSGPRsForWavesPerEU: 4
; NumVGPRsForWavesPerEU: 1
; AccumOffset: 4
; Occupancy: 8
; WaveLimiterHint : 0
; COMPUTE_PGM_RSRC2:SCRATCH_EN: 0
; COMPUTE_PGM_RSRC2:USER_SGPR: 6
; COMPUTE_PGM_RSRC2:TRAP_HANDLER: 0
; COMPUTE_PGM_RSRC2:TGID_X_EN: 1
; COMPUTE_PGM_RSRC2:TGID_Y_EN: 0
; COMPUTE_PGM_RSRC2:TGID_Z_EN: 0
; COMPUTE_PGM_RSRC2:TIDIG_COMP_CNT: 0
; COMPUTE_PGM_RSRC3_GFX90A:ACCUM_OFFSET: 0
; COMPUTE_PGM_RSRC3_GFX90A:TG_SPLIT: 0
	.section	.text._ZN7rocprim17ROCPRIM_400000_NS6detail17trampoline_kernelINS0_14default_configENS1_33run_length_encode_config_selectorIN3c108BFloat16EjNS0_4plusIjEEEEZZNS1_33reduce_by_key_impl_wrapped_configILNS1_25lookback_scan_determinismE0ES3_S9_PKS6_NS0_17constant_iteratorIjlEEPS6_PlSH_S8_NS0_8equal_toIS6_EEEE10hipError_tPvRmT2_T3_mT4_T5_T6_T7_T8_P12ihipStream_tbENKUlT_T0_E_clISt17integral_constantIbLb1EES10_IbLb0EEEEDaSW_SX_EUlSW_E_NS1_11comp_targetILNS1_3genE5ELNS1_11target_archE942ELNS1_3gpuE9ELNS1_3repE0EEENS1_30default_config_static_selectorELNS0_4arch9wavefront6targetE1EEEvT1_,"axG",@progbits,_ZN7rocprim17ROCPRIM_400000_NS6detail17trampoline_kernelINS0_14default_configENS1_33run_length_encode_config_selectorIN3c108BFloat16EjNS0_4plusIjEEEEZZNS1_33reduce_by_key_impl_wrapped_configILNS1_25lookback_scan_determinismE0ES3_S9_PKS6_NS0_17constant_iteratorIjlEEPS6_PlSH_S8_NS0_8equal_toIS6_EEEE10hipError_tPvRmT2_T3_mT4_T5_T6_T7_T8_P12ihipStream_tbENKUlT_T0_E_clISt17integral_constantIbLb1EES10_IbLb0EEEEDaSW_SX_EUlSW_E_NS1_11comp_targetILNS1_3genE5ELNS1_11target_archE942ELNS1_3gpuE9ELNS1_3repE0EEENS1_30default_config_static_selectorELNS0_4arch9wavefront6targetE1EEEvT1_,comdat
	.protected	_ZN7rocprim17ROCPRIM_400000_NS6detail17trampoline_kernelINS0_14default_configENS1_33run_length_encode_config_selectorIN3c108BFloat16EjNS0_4plusIjEEEEZZNS1_33reduce_by_key_impl_wrapped_configILNS1_25lookback_scan_determinismE0ES3_S9_PKS6_NS0_17constant_iteratorIjlEEPS6_PlSH_S8_NS0_8equal_toIS6_EEEE10hipError_tPvRmT2_T3_mT4_T5_T6_T7_T8_P12ihipStream_tbENKUlT_T0_E_clISt17integral_constantIbLb1EES10_IbLb0EEEEDaSW_SX_EUlSW_E_NS1_11comp_targetILNS1_3genE5ELNS1_11target_archE942ELNS1_3gpuE9ELNS1_3repE0EEENS1_30default_config_static_selectorELNS0_4arch9wavefront6targetE1EEEvT1_ ; -- Begin function _ZN7rocprim17ROCPRIM_400000_NS6detail17trampoline_kernelINS0_14default_configENS1_33run_length_encode_config_selectorIN3c108BFloat16EjNS0_4plusIjEEEEZZNS1_33reduce_by_key_impl_wrapped_configILNS1_25lookback_scan_determinismE0ES3_S9_PKS6_NS0_17constant_iteratorIjlEEPS6_PlSH_S8_NS0_8equal_toIS6_EEEE10hipError_tPvRmT2_T3_mT4_T5_T6_T7_T8_P12ihipStream_tbENKUlT_T0_E_clISt17integral_constantIbLb1EES10_IbLb0EEEEDaSW_SX_EUlSW_E_NS1_11comp_targetILNS1_3genE5ELNS1_11target_archE942ELNS1_3gpuE9ELNS1_3repE0EEENS1_30default_config_static_selectorELNS0_4arch9wavefront6targetE1EEEvT1_
	.globl	_ZN7rocprim17ROCPRIM_400000_NS6detail17trampoline_kernelINS0_14default_configENS1_33run_length_encode_config_selectorIN3c108BFloat16EjNS0_4plusIjEEEEZZNS1_33reduce_by_key_impl_wrapped_configILNS1_25lookback_scan_determinismE0ES3_S9_PKS6_NS0_17constant_iteratorIjlEEPS6_PlSH_S8_NS0_8equal_toIS6_EEEE10hipError_tPvRmT2_T3_mT4_T5_T6_T7_T8_P12ihipStream_tbENKUlT_T0_E_clISt17integral_constantIbLb1EES10_IbLb0EEEEDaSW_SX_EUlSW_E_NS1_11comp_targetILNS1_3genE5ELNS1_11target_archE942ELNS1_3gpuE9ELNS1_3repE0EEENS1_30default_config_static_selectorELNS0_4arch9wavefront6targetE1EEEvT1_
	.p2align	8
	.type	_ZN7rocprim17ROCPRIM_400000_NS6detail17trampoline_kernelINS0_14default_configENS1_33run_length_encode_config_selectorIN3c108BFloat16EjNS0_4plusIjEEEEZZNS1_33reduce_by_key_impl_wrapped_configILNS1_25lookback_scan_determinismE0ES3_S9_PKS6_NS0_17constant_iteratorIjlEEPS6_PlSH_S8_NS0_8equal_toIS6_EEEE10hipError_tPvRmT2_T3_mT4_T5_T6_T7_T8_P12ihipStream_tbENKUlT_T0_E_clISt17integral_constantIbLb1EES10_IbLb0EEEEDaSW_SX_EUlSW_E_NS1_11comp_targetILNS1_3genE5ELNS1_11target_archE942ELNS1_3gpuE9ELNS1_3repE0EEENS1_30default_config_static_selectorELNS0_4arch9wavefront6targetE1EEEvT1_,@function
_ZN7rocprim17ROCPRIM_400000_NS6detail17trampoline_kernelINS0_14default_configENS1_33run_length_encode_config_selectorIN3c108BFloat16EjNS0_4plusIjEEEEZZNS1_33reduce_by_key_impl_wrapped_configILNS1_25lookback_scan_determinismE0ES3_S9_PKS6_NS0_17constant_iteratorIjlEEPS6_PlSH_S8_NS0_8equal_toIS6_EEEE10hipError_tPvRmT2_T3_mT4_T5_T6_T7_T8_P12ihipStream_tbENKUlT_T0_E_clISt17integral_constantIbLb1EES10_IbLb0EEEEDaSW_SX_EUlSW_E_NS1_11comp_targetILNS1_3genE5ELNS1_11target_archE942ELNS1_3gpuE9ELNS1_3repE0EEENS1_30default_config_static_selectorELNS0_4arch9wavefront6targetE1EEEvT1_: ; @_ZN7rocprim17ROCPRIM_400000_NS6detail17trampoline_kernelINS0_14default_configENS1_33run_length_encode_config_selectorIN3c108BFloat16EjNS0_4plusIjEEEEZZNS1_33reduce_by_key_impl_wrapped_configILNS1_25lookback_scan_determinismE0ES3_S9_PKS6_NS0_17constant_iteratorIjlEEPS6_PlSH_S8_NS0_8equal_toIS6_EEEE10hipError_tPvRmT2_T3_mT4_T5_T6_T7_T8_P12ihipStream_tbENKUlT_T0_E_clISt17integral_constantIbLb1EES10_IbLb0EEEEDaSW_SX_EUlSW_E_NS1_11comp_targetILNS1_3genE5ELNS1_11target_archE942ELNS1_3gpuE9ELNS1_3repE0EEENS1_30default_config_static_selectorELNS0_4arch9wavefront6targetE1EEEvT1_
; %bb.0:
	.section	.rodata,"a",@progbits
	.p2align	6, 0x0
	.amdhsa_kernel _ZN7rocprim17ROCPRIM_400000_NS6detail17trampoline_kernelINS0_14default_configENS1_33run_length_encode_config_selectorIN3c108BFloat16EjNS0_4plusIjEEEEZZNS1_33reduce_by_key_impl_wrapped_configILNS1_25lookback_scan_determinismE0ES3_S9_PKS6_NS0_17constant_iteratorIjlEEPS6_PlSH_S8_NS0_8equal_toIS6_EEEE10hipError_tPvRmT2_T3_mT4_T5_T6_T7_T8_P12ihipStream_tbENKUlT_T0_E_clISt17integral_constantIbLb1EES10_IbLb0EEEEDaSW_SX_EUlSW_E_NS1_11comp_targetILNS1_3genE5ELNS1_11target_archE942ELNS1_3gpuE9ELNS1_3repE0EEENS1_30default_config_static_selectorELNS0_4arch9wavefront6targetE1EEEvT1_
		.amdhsa_group_segment_fixed_size 0
		.amdhsa_private_segment_fixed_size 0
		.amdhsa_kernarg_size 128
		.amdhsa_user_sgpr_count 6
		.amdhsa_user_sgpr_private_segment_buffer 1
		.amdhsa_user_sgpr_dispatch_ptr 0
		.amdhsa_user_sgpr_queue_ptr 0
		.amdhsa_user_sgpr_kernarg_segment_ptr 1
		.amdhsa_user_sgpr_dispatch_id 0
		.amdhsa_user_sgpr_flat_scratch_init 0
		.amdhsa_user_sgpr_kernarg_preload_length 0
		.amdhsa_user_sgpr_kernarg_preload_offset 0
		.amdhsa_user_sgpr_private_segment_size 0
		.amdhsa_uses_dynamic_stack 0
		.amdhsa_system_sgpr_private_segment_wavefront_offset 0
		.amdhsa_system_sgpr_workgroup_id_x 1
		.amdhsa_system_sgpr_workgroup_id_y 0
		.amdhsa_system_sgpr_workgroup_id_z 0
		.amdhsa_system_sgpr_workgroup_info 0
		.amdhsa_system_vgpr_workitem_id 0
		.amdhsa_next_free_vgpr 1
		.amdhsa_next_free_sgpr 0
		.amdhsa_accum_offset 4
		.amdhsa_reserve_vcc 0
		.amdhsa_reserve_flat_scratch 0
		.amdhsa_float_round_mode_32 0
		.amdhsa_float_round_mode_16_64 0
		.amdhsa_float_denorm_mode_32 3
		.amdhsa_float_denorm_mode_16_64 3
		.amdhsa_dx10_clamp 1
		.amdhsa_ieee_mode 1
		.amdhsa_fp16_overflow 0
		.amdhsa_tg_split 0
		.amdhsa_exception_fp_ieee_invalid_op 0
		.amdhsa_exception_fp_denorm_src 0
		.amdhsa_exception_fp_ieee_div_zero 0
		.amdhsa_exception_fp_ieee_overflow 0
		.amdhsa_exception_fp_ieee_underflow 0
		.amdhsa_exception_fp_ieee_inexact 0
		.amdhsa_exception_int_div_zero 0
	.end_amdhsa_kernel
	.section	.text._ZN7rocprim17ROCPRIM_400000_NS6detail17trampoline_kernelINS0_14default_configENS1_33run_length_encode_config_selectorIN3c108BFloat16EjNS0_4plusIjEEEEZZNS1_33reduce_by_key_impl_wrapped_configILNS1_25lookback_scan_determinismE0ES3_S9_PKS6_NS0_17constant_iteratorIjlEEPS6_PlSH_S8_NS0_8equal_toIS6_EEEE10hipError_tPvRmT2_T3_mT4_T5_T6_T7_T8_P12ihipStream_tbENKUlT_T0_E_clISt17integral_constantIbLb1EES10_IbLb0EEEEDaSW_SX_EUlSW_E_NS1_11comp_targetILNS1_3genE5ELNS1_11target_archE942ELNS1_3gpuE9ELNS1_3repE0EEENS1_30default_config_static_selectorELNS0_4arch9wavefront6targetE1EEEvT1_,"axG",@progbits,_ZN7rocprim17ROCPRIM_400000_NS6detail17trampoline_kernelINS0_14default_configENS1_33run_length_encode_config_selectorIN3c108BFloat16EjNS0_4plusIjEEEEZZNS1_33reduce_by_key_impl_wrapped_configILNS1_25lookback_scan_determinismE0ES3_S9_PKS6_NS0_17constant_iteratorIjlEEPS6_PlSH_S8_NS0_8equal_toIS6_EEEE10hipError_tPvRmT2_T3_mT4_T5_T6_T7_T8_P12ihipStream_tbENKUlT_T0_E_clISt17integral_constantIbLb1EES10_IbLb0EEEEDaSW_SX_EUlSW_E_NS1_11comp_targetILNS1_3genE5ELNS1_11target_archE942ELNS1_3gpuE9ELNS1_3repE0EEENS1_30default_config_static_selectorELNS0_4arch9wavefront6targetE1EEEvT1_,comdat
.Lfunc_end875:
	.size	_ZN7rocprim17ROCPRIM_400000_NS6detail17trampoline_kernelINS0_14default_configENS1_33run_length_encode_config_selectorIN3c108BFloat16EjNS0_4plusIjEEEEZZNS1_33reduce_by_key_impl_wrapped_configILNS1_25lookback_scan_determinismE0ES3_S9_PKS6_NS0_17constant_iteratorIjlEEPS6_PlSH_S8_NS0_8equal_toIS6_EEEE10hipError_tPvRmT2_T3_mT4_T5_T6_T7_T8_P12ihipStream_tbENKUlT_T0_E_clISt17integral_constantIbLb1EES10_IbLb0EEEEDaSW_SX_EUlSW_E_NS1_11comp_targetILNS1_3genE5ELNS1_11target_archE942ELNS1_3gpuE9ELNS1_3repE0EEENS1_30default_config_static_selectorELNS0_4arch9wavefront6targetE1EEEvT1_, .Lfunc_end875-_ZN7rocprim17ROCPRIM_400000_NS6detail17trampoline_kernelINS0_14default_configENS1_33run_length_encode_config_selectorIN3c108BFloat16EjNS0_4plusIjEEEEZZNS1_33reduce_by_key_impl_wrapped_configILNS1_25lookback_scan_determinismE0ES3_S9_PKS6_NS0_17constant_iteratorIjlEEPS6_PlSH_S8_NS0_8equal_toIS6_EEEE10hipError_tPvRmT2_T3_mT4_T5_T6_T7_T8_P12ihipStream_tbENKUlT_T0_E_clISt17integral_constantIbLb1EES10_IbLb0EEEEDaSW_SX_EUlSW_E_NS1_11comp_targetILNS1_3genE5ELNS1_11target_archE942ELNS1_3gpuE9ELNS1_3repE0EEENS1_30default_config_static_selectorELNS0_4arch9wavefront6targetE1EEEvT1_
                                        ; -- End function
	.section	.AMDGPU.csdata,"",@progbits
; Kernel info:
; codeLenInByte = 0
; NumSgprs: 4
; NumVgprs: 0
; NumAgprs: 0
; TotalNumVgprs: 0
; ScratchSize: 0
; MemoryBound: 0
; FloatMode: 240
; IeeeMode: 1
; LDSByteSize: 0 bytes/workgroup (compile time only)
; SGPRBlocks: 0
; VGPRBlocks: 0
; NumSGPRsForWavesPerEU: 4
; NumVGPRsForWavesPerEU: 1
; AccumOffset: 4
; Occupancy: 8
; WaveLimiterHint : 0
; COMPUTE_PGM_RSRC2:SCRATCH_EN: 0
; COMPUTE_PGM_RSRC2:USER_SGPR: 6
; COMPUTE_PGM_RSRC2:TRAP_HANDLER: 0
; COMPUTE_PGM_RSRC2:TGID_X_EN: 1
; COMPUTE_PGM_RSRC2:TGID_Y_EN: 0
; COMPUTE_PGM_RSRC2:TGID_Z_EN: 0
; COMPUTE_PGM_RSRC2:TIDIG_COMP_CNT: 0
; COMPUTE_PGM_RSRC3_GFX90A:ACCUM_OFFSET: 0
; COMPUTE_PGM_RSRC3_GFX90A:TG_SPLIT: 0
	.section	.text._ZN7rocprim17ROCPRIM_400000_NS6detail17trampoline_kernelINS0_14default_configENS1_33run_length_encode_config_selectorIN3c108BFloat16EjNS0_4plusIjEEEEZZNS1_33reduce_by_key_impl_wrapped_configILNS1_25lookback_scan_determinismE0ES3_S9_PKS6_NS0_17constant_iteratorIjlEEPS6_PlSH_S8_NS0_8equal_toIS6_EEEE10hipError_tPvRmT2_T3_mT4_T5_T6_T7_T8_P12ihipStream_tbENKUlT_T0_E_clISt17integral_constantIbLb1EES10_IbLb0EEEEDaSW_SX_EUlSW_E_NS1_11comp_targetILNS1_3genE4ELNS1_11target_archE910ELNS1_3gpuE8ELNS1_3repE0EEENS1_30default_config_static_selectorELNS0_4arch9wavefront6targetE1EEEvT1_,"axG",@progbits,_ZN7rocprim17ROCPRIM_400000_NS6detail17trampoline_kernelINS0_14default_configENS1_33run_length_encode_config_selectorIN3c108BFloat16EjNS0_4plusIjEEEEZZNS1_33reduce_by_key_impl_wrapped_configILNS1_25lookback_scan_determinismE0ES3_S9_PKS6_NS0_17constant_iteratorIjlEEPS6_PlSH_S8_NS0_8equal_toIS6_EEEE10hipError_tPvRmT2_T3_mT4_T5_T6_T7_T8_P12ihipStream_tbENKUlT_T0_E_clISt17integral_constantIbLb1EES10_IbLb0EEEEDaSW_SX_EUlSW_E_NS1_11comp_targetILNS1_3genE4ELNS1_11target_archE910ELNS1_3gpuE8ELNS1_3repE0EEENS1_30default_config_static_selectorELNS0_4arch9wavefront6targetE1EEEvT1_,comdat
	.protected	_ZN7rocprim17ROCPRIM_400000_NS6detail17trampoline_kernelINS0_14default_configENS1_33run_length_encode_config_selectorIN3c108BFloat16EjNS0_4plusIjEEEEZZNS1_33reduce_by_key_impl_wrapped_configILNS1_25lookback_scan_determinismE0ES3_S9_PKS6_NS0_17constant_iteratorIjlEEPS6_PlSH_S8_NS0_8equal_toIS6_EEEE10hipError_tPvRmT2_T3_mT4_T5_T6_T7_T8_P12ihipStream_tbENKUlT_T0_E_clISt17integral_constantIbLb1EES10_IbLb0EEEEDaSW_SX_EUlSW_E_NS1_11comp_targetILNS1_3genE4ELNS1_11target_archE910ELNS1_3gpuE8ELNS1_3repE0EEENS1_30default_config_static_selectorELNS0_4arch9wavefront6targetE1EEEvT1_ ; -- Begin function _ZN7rocprim17ROCPRIM_400000_NS6detail17trampoline_kernelINS0_14default_configENS1_33run_length_encode_config_selectorIN3c108BFloat16EjNS0_4plusIjEEEEZZNS1_33reduce_by_key_impl_wrapped_configILNS1_25lookback_scan_determinismE0ES3_S9_PKS6_NS0_17constant_iteratorIjlEEPS6_PlSH_S8_NS0_8equal_toIS6_EEEE10hipError_tPvRmT2_T3_mT4_T5_T6_T7_T8_P12ihipStream_tbENKUlT_T0_E_clISt17integral_constantIbLb1EES10_IbLb0EEEEDaSW_SX_EUlSW_E_NS1_11comp_targetILNS1_3genE4ELNS1_11target_archE910ELNS1_3gpuE8ELNS1_3repE0EEENS1_30default_config_static_selectorELNS0_4arch9wavefront6targetE1EEEvT1_
	.globl	_ZN7rocprim17ROCPRIM_400000_NS6detail17trampoline_kernelINS0_14default_configENS1_33run_length_encode_config_selectorIN3c108BFloat16EjNS0_4plusIjEEEEZZNS1_33reduce_by_key_impl_wrapped_configILNS1_25lookback_scan_determinismE0ES3_S9_PKS6_NS0_17constant_iteratorIjlEEPS6_PlSH_S8_NS0_8equal_toIS6_EEEE10hipError_tPvRmT2_T3_mT4_T5_T6_T7_T8_P12ihipStream_tbENKUlT_T0_E_clISt17integral_constantIbLb1EES10_IbLb0EEEEDaSW_SX_EUlSW_E_NS1_11comp_targetILNS1_3genE4ELNS1_11target_archE910ELNS1_3gpuE8ELNS1_3repE0EEENS1_30default_config_static_selectorELNS0_4arch9wavefront6targetE1EEEvT1_
	.p2align	8
	.type	_ZN7rocprim17ROCPRIM_400000_NS6detail17trampoline_kernelINS0_14default_configENS1_33run_length_encode_config_selectorIN3c108BFloat16EjNS0_4plusIjEEEEZZNS1_33reduce_by_key_impl_wrapped_configILNS1_25lookback_scan_determinismE0ES3_S9_PKS6_NS0_17constant_iteratorIjlEEPS6_PlSH_S8_NS0_8equal_toIS6_EEEE10hipError_tPvRmT2_T3_mT4_T5_T6_T7_T8_P12ihipStream_tbENKUlT_T0_E_clISt17integral_constantIbLb1EES10_IbLb0EEEEDaSW_SX_EUlSW_E_NS1_11comp_targetILNS1_3genE4ELNS1_11target_archE910ELNS1_3gpuE8ELNS1_3repE0EEENS1_30default_config_static_selectorELNS0_4arch9wavefront6targetE1EEEvT1_,@function
_ZN7rocprim17ROCPRIM_400000_NS6detail17trampoline_kernelINS0_14default_configENS1_33run_length_encode_config_selectorIN3c108BFloat16EjNS0_4plusIjEEEEZZNS1_33reduce_by_key_impl_wrapped_configILNS1_25lookback_scan_determinismE0ES3_S9_PKS6_NS0_17constant_iteratorIjlEEPS6_PlSH_S8_NS0_8equal_toIS6_EEEE10hipError_tPvRmT2_T3_mT4_T5_T6_T7_T8_P12ihipStream_tbENKUlT_T0_E_clISt17integral_constantIbLb1EES10_IbLb0EEEEDaSW_SX_EUlSW_E_NS1_11comp_targetILNS1_3genE4ELNS1_11target_archE910ELNS1_3gpuE8ELNS1_3repE0EEENS1_30default_config_static_selectorELNS0_4arch9wavefront6targetE1EEEvT1_: ; @_ZN7rocprim17ROCPRIM_400000_NS6detail17trampoline_kernelINS0_14default_configENS1_33run_length_encode_config_selectorIN3c108BFloat16EjNS0_4plusIjEEEEZZNS1_33reduce_by_key_impl_wrapped_configILNS1_25lookback_scan_determinismE0ES3_S9_PKS6_NS0_17constant_iteratorIjlEEPS6_PlSH_S8_NS0_8equal_toIS6_EEEE10hipError_tPvRmT2_T3_mT4_T5_T6_T7_T8_P12ihipStream_tbENKUlT_T0_E_clISt17integral_constantIbLb1EES10_IbLb0EEEEDaSW_SX_EUlSW_E_NS1_11comp_targetILNS1_3genE4ELNS1_11target_archE910ELNS1_3gpuE8ELNS1_3repE0EEENS1_30default_config_static_selectorELNS0_4arch9wavefront6targetE1EEEvT1_
; %bb.0:
	s_load_dwordx4 s[0:3], s[4:5], 0x0
	s_load_dword s7, s[4:5], 0x10
	s_load_dwordx8 s[40:47], s[4:5], 0x40
	s_load_dwordx4 s[48:51], s[4:5], 0x20
	s_load_dwordx2 s[52:53], s[4:5], 0x30
	s_load_dwordx2 s[54:55], s[4:5], 0x70
	s_load_dwordx4 s[36:39], s[4:5], 0x60
	s_waitcnt lgkmcnt(0)
	s_mul_i32 s4, s44, s43
	s_mul_hi_u32 s5, s44, s42
	s_add_i32 s4, s5, s4
	s_mul_i32 s5, s45, s42
	s_add_i32 s4, s4, s5
	s_lshl_b64 s[2:3], s[2:3], 1
	s_add_u32 s2, s0, s2
	s_addc_u32 s3, s1, s3
	s_mul_i32 s0, s6, 0xf00
	s_mov_b32 s1, 0
	s_lshl_b64 s[0:1], s[0:1], 1
	s_add_u32 s0, s2, s0
	s_mul_i32 s5, s44, s42
	s_addc_u32 s1, s3, s1
	s_add_u32 s2, s5, s6
	s_addc_u32 s3, s4, 0
	s_add_u32 s10, s46, -1
	s_addc_u32 s11, s47, -1
	s_cmp_eq_u64 s[2:3], s[10:11]
	s_cselect_b64 s[44:45], -1, 0
	s_cmp_lg_u64 s[2:3], s[10:11]
	s_mov_b64 s[4:5], -1
	s_cselect_b64 s[8:9], -1, 0
	s_mul_i32 s33, s10, 0xfffff100
	s_and_b64 vcc, exec, s[44:45]
	s_cbranch_vccnz .LBB876_2
; %bb.1:
	v_lshlrev_b32_e32 v1, 1, v0
	v_mov_b32_e32 v2, s1
	v_add_co_u32_e32 v3, vcc, s0, v1
	v_addc_co_u32_e32 v4, vcc, 0, v2, vcc
	v_add_co_u32_e32 v2, vcc, 0x1000, v3
	v_addc_co_u32_e32 v3, vcc, 0, v4, vcc
	global_load_ushort v5, v1, s[0:1]
	global_load_ushort v12, v1, s[0:1] offset:512
	global_load_ushort v13, v1, s[0:1] offset:1024
	;; [unrolled: 1-line block ×7, first 2 shown]
	global_load_ushort v4, v[2:3], off
	global_load_ushort v21, v[2:3], off offset:512
	global_load_ushort v22, v[2:3], off offset:1024
	;; [unrolled: 1-line block ×6, first 2 shown]
	v_mad_u32_u24 v28, v0, 28, v1
	s_movk_i32 s4, 0xffe6
	v_mul_u32_u24_e32 v6, 15, v0
	v_mad_u32_u24 v16, v0, 15, 2
	v_mad_u32_u24 v9, v0, 15, 4
	;; [unrolled: 1-line block ×7, first 2 shown]
	v_mov_b32_e32 v27, s7
	v_mad_i32_i24 v29, v0, s4, v28
	s_waitcnt vmcnt(14)
	ds_write_b16 v1, v5
	s_waitcnt vmcnt(13)
	ds_write_b16 v1, v12 offset:512
	s_waitcnt vmcnt(12)
	ds_write_b16 v1, v13 offset:1024
	;; [unrolled: 2-line block ×14, first 2 shown]
	s_waitcnt lgkmcnt(0)
	s_barrier
	ds_read_b128 v[2:5], v28
	ds_read_b96 v[12:14], v28 offset:16
	ds_read_u16 v1, v28 offset:28
	s_waitcnt lgkmcnt(0)
	s_barrier
	ds_write2st64_b32 v29, v27, v27 offset1:4
	ds_write2st64_b32 v29, v27, v27 offset0:8 offset1:12
	ds_write2st64_b32 v29, v27, v27 offset0:16 offset1:20
	;; [unrolled: 1-line block ×6, first 2 shown]
	ds_write_b32 v29, v27 offset:14336
	s_waitcnt lgkmcnt(0)
	s_barrier
	s_add_i32 s33, s33, s36
	s_cbranch_execz .LBB876_3
	s_branch .LBB876_34
.LBB876_2:
                                        ; implicit-def: $vgpr14
                                        ; implicit-def: $vgpr5
                                        ; implicit-def: $vgpr10
                                        ; implicit-def: $vgpr11
                                        ; implicit-def: $vgpr15
                                        ; implicit-def: $vgpr7
                                        ; implicit-def: $vgpr8
                                        ; implicit-def: $vgpr9
                                        ; implicit-def: $vgpr16
                                        ; implicit-def: $vgpr6
                                        ; implicit-def: $vgpr1
	s_andn2_b64 vcc, exec, s[4:5]
	s_add_i32 s33, s33, s36
	s_cbranch_vccnz .LBB876_34
.LBB876_3:
	v_cmp_gt_u32_e32 vcc, s33, v0
                                        ; implicit-def: $vgpr1
	s_and_saveexec_b64 s[4:5], vcc
	s_cbranch_execz .LBB876_5
; %bb.4:
	v_lshlrev_b32_e32 v1, 1, v0
	global_load_ushort v1, v1, s[0:1]
.LBB876_5:
	s_or_b64 exec, exec, s[4:5]
	v_or_b32_e32 v2, 0x100, v0
	v_cmp_gt_u32_e32 vcc, s33, v2
                                        ; implicit-def: $vgpr2
	s_and_saveexec_b64 s[4:5], vcc
	s_cbranch_execz .LBB876_7
; %bb.6:
	v_lshlrev_b32_e32 v2, 1, v0
	global_load_ushort v2, v2, s[0:1] offset:512
.LBB876_7:
	s_or_b64 exec, exec, s[4:5]
	v_or_b32_e32 v3, 0x200, v0
	v_cmp_gt_u32_e32 vcc, s33, v3
                                        ; implicit-def: $vgpr3
	s_and_saveexec_b64 s[4:5], vcc
	s_cbranch_execz .LBB876_9
; %bb.8:
	v_lshlrev_b32_e32 v3, 1, v0
	global_load_ushort v3, v3, s[0:1] offset:1024
.LBB876_9:
	s_or_b64 exec, exec, s[4:5]
	v_or_b32_e32 v4, 0x300, v0
	v_cmp_gt_u32_e32 vcc, s33, v4
                                        ; implicit-def: $vgpr4
	s_and_saveexec_b64 s[4:5], vcc
	s_cbranch_execz .LBB876_11
; %bb.10:
	v_lshlrev_b32_e32 v4, 1, v0
	global_load_ushort v4, v4, s[0:1] offset:1536
.LBB876_11:
	s_or_b64 exec, exec, s[4:5]
	v_or_b32_e32 v5, 0x400, v0
	v_cmp_gt_u32_e32 vcc, s33, v5
                                        ; implicit-def: $vgpr5
	s_and_saveexec_b64 s[4:5], vcc
	s_cbranch_execz .LBB876_13
; %bb.12:
	v_lshlrev_b32_e32 v5, 1, v0
	global_load_ushort v5, v5, s[0:1] offset:2048
.LBB876_13:
	s_or_b64 exec, exec, s[4:5]
	v_or_b32_e32 v6, 0x500, v0
	v_cmp_gt_u32_e32 vcc, s33, v6
                                        ; implicit-def: $vgpr6
	s_and_saveexec_b64 s[4:5], vcc
	s_cbranch_execz .LBB876_15
; %bb.14:
	v_lshlrev_b32_e32 v6, 1, v0
	global_load_ushort v6, v6, s[0:1] offset:2560
.LBB876_15:
	s_or_b64 exec, exec, s[4:5]
	v_or_b32_e32 v7, 0x600, v0
	v_cmp_gt_u32_e32 vcc, s33, v7
                                        ; implicit-def: $vgpr7
	s_and_saveexec_b64 s[4:5], vcc
	s_cbranch_execz .LBB876_17
; %bb.16:
	v_lshlrev_b32_e32 v7, 1, v0
	global_load_ushort v7, v7, s[0:1] offset:3072
.LBB876_17:
	s_or_b64 exec, exec, s[4:5]
	v_or_b32_e32 v8, 0x700, v0
	v_cmp_gt_u32_e32 vcc, s33, v8
                                        ; implicit-def: $vgpr8
	s_and_saveexec_b64 s[4:5], vcc
	s_cbranch_execz .LBB876_19
; %bb.18:
	v_lshlrev_b32_e32 v8, 1, v0
	global_load_ushort v8, v8, s[0:1] offset:3584
.LBB876_19:
	s_or_b64 exec, exec, s[4:5]
	v_or_b32_e32 v10, 0x800, v0
	v_cmp_gt_u32_e32 vcc, s33, v10
                                        ; implicit-def: $vgpr9
	s_and_saveexec_b64 s[4:5], vcc
	s_cbranch_execz .LBB876_21
; %bb.20:
	v_lshlrev_b32_e32 v9, 1, v10
	global_load_ushort v9, v9, s[0:1]
.LBB876_21:
	s_or_b64 exec, exec, s[4:5]
	v_or_b32_e32 v11, 0x900, v0
	v_cmp_gt_u32_e32 vcc, s33, v11
                                        ; implicit-def: $vgpr10
	s_and_saveexec_b64 s[4:5], vcc
	s_cbranch_execz .LBB876_23
; %bb.22:
	v_lshlrev_b32_e32 v10, 1, v11
	global_load_ushort v10, v10, s[0:1]
.LBB876_23:
	s_or_b64 exec, exec, s[4:5]
	v_or_b32_e32 v12, 0xa00, v0
	v_cmp_gt_u32_e32 vcc, s33, v12
                                        ; implicit-def: $vgpr11
	s_and_saveexec_b64 s[4:5], vcc
	s_cbranch_execz .LBB876_25
; %bb.24:
	v_lshlrev_b32_e32 v11, 1, v12
	global_load_ushort v11, v11, s[0:1]
.LBB876_25:
	s_or_b64 exec, exec, s[4:5]
	v_or_b32_e32 v13, 0xb00, v0
	v_cmp_gt_u32_e32 vcc, s33, v13
                                        ; implicit-def: $vgpr12
	s_and_saveexec_b64 s[4:5], vcc
	s_cbranch_execz .LBB876_27
; %bb.26:
	v_lshlrev_b32_e32 v12, 1, v13
	global_load_ushort v12, v12, s[0:1]
.LBB876_27:
	s_or_b64 exec, exec, s[4:5]
	v_or_b32_e32 v14, 0xc00, v0
	v_cmp_gt_u32_e32 vcc, s33, v14
                                        ; implicit-def: $vgpr13
	s_and_saveexec_b64 s[4:5], vcc
	s_cbranch_execz .LBB876_29
; %bb.28:
	v_lshlrev_b32_e32 v13, 1, v14
	global_load_ushort v13, v13, s[0:1]
.LBB876_29:
	s_or_b64 exec, exec, s[4:5]
	v_or_b32_e32 v15, 0xd00, v0
	v_cmp_gt_u32_e32 vcc, s33, v15
                                        ; implicit-def: $vgpr14
	s_and_saveexec_b64 s[4:5], vcc
	s_cbranch_execz .LBB876_31
; %bb.30:
	v_lshlrev_b32_e32 v14, 1, v15
	global_load_ushort v14, v14, s[0:1]
.LBB876_31:
	s_or_b64 exec, exec, s[4:5]
	v_or_b32_e32 v16, 0xe00, v0
	v_cmp_gt_u32_e32 vcc, s33, v16
                                        ; implicit-def: $vgpr15
	s_and_saveexec_b64 s[4:5], vcc
	s_cbranch_execz .LBB876_33
; %bb.32:
	v_lshlrev_b32_e32 v15, 1, v16
	global_load_ushort v15, v15, s[0:1]
.LBB876_33:
	s_or_b64 exec, exec, s[4:5]
	v_lshlrev_b32_e32 v16, 1, v0
	v_mad_u32_u24 v17, v0, 28, v16
	s_waitcnt vmcnt(0)
	ds_write_b16 v16, v1
	ds_write_b16 v16, v2 offset:512
	ds_write_b16 v16, v3 offset:1024
	;; [unrolled: 1-line block ×14, first 2 shown]
	s_waitcnt lgkmcnt(0)
	s_barrier
	ds_read_b128 v[2:5], v17
	ds_read_b96 v[12:14], v17 offset:16
	ds_read_u16 v1, v17 offset:28
	s_movk_i32 s4, 0xffe6
	v_mul_u32_u24_e32 v6, 15, v0
	v_mad_u32_u24 v16, v0, 15, 2
	v_mad_u32_u24 v9, v0, 15, 4
	;; [unrolled: 1-line block ×7, first 2 shown]
	v_mad_i32_i24 v17, v0, s4, v17
	v_mov_b32_e32 v18, s7
	s_waitcnt lgkmcnt(0)
	s_barrier
	ds_write2st64_b32 v17, v18, v18 offset1:4
	ds_write2st64_b32 v17, v18, v18 offset0:8 offset1:12
	ds_write2st64_b32 v17, v18, v18 offset0:16 offset1:20
	;; [unrolled: 1-line block ×6, first 2 shown]
	ds_write_b32 v17, v18 offset:14336
	s_waitcnt lgkmcnt(0)
	s_barrier
.LBB876_34:
	v_lshlrev_b32_e32 v6, 2, v6
	v_lshlrev_b32_e32 v16, 2, v16
	ds_read2_b32 v[22:23], v6 offset0:3 offset1:5
	ds_read2_b32 v[20:21], v6 offset0:7 offset1:9
	;; [unrolled: 1-line block ×3, first 2 shown]
	v_lshlrev_b32_e32 v9, 2, v9
	v_lshlrev_b32_e32 v8, 2, v8
	;; [unrolled: 1-line block ×6, first 2 shown]
	ds_read2_b32 v[24:25], v6 offset1:1
	ds_read_b32 v75, v16
	ds_read_b32 v74, v9
	;; [unrolled: 1-line block ×7, first 2 shown]
	s_cmp_eq_u64 s[2:3], 0
	s_cselect_b64 s[46:47], -1, 0
	s_cmp_lg_u64 s[2:3], 0
	s_mov_b64 s[4:5], 0
	s_cselect_b64 s[10:11], -1, 0
	s_and_b64 vcc, exec, s[8:9]
	s_waitcnt lgkmcnt(0)
	s_barrier
	s_cbranch_vccz .LBB876_40
; %bb.35:
	s_and_b64 vcc, exec, s[10:11]
	s_cbranch_vccz .LBB876_41
; %bb.36:
	v_mov_b32_e32 v6, 0
	global_load_ushort v6, v6, s[0:1] offset:-2
	v_lshlrev_b32_e32 v7, 1, v0
	v_cmp_ne_u32_e32 vcc, 0, v0
	ds_write_b16 v7, v1
	s_waitcnt lgkmcnt(0)
	s_barrier
	s_and_saveexec_b64 s[4:5], vcc
	s_cbranch_execz .LBB876_38
; %bb.37:
	s_waitcnt vmcnt(0)
	v_add_u32_e32 v6, -2, v7
	ds_read_u16 v6, v6
.LBB876_38:
	s_or_b64 exec, exec, s[4:5]
	v_and_b32_e32 v30, 0xffff0000, v2
	v_lshlrev_b32_e32 v31, 16, v2
	v_lshlrev_b32_e32 v32, 16, v3
	v_cmp_neq_f32_e32 vcc, v30, v31
	v_and_b32_e32 v29, 0xffff0000, v3
	v_cndmask_b32_e64 v67, 0, 1, vcc
	v_cmp_neq_f32_e32 vcc, v30, v32
	v_lshlrev_b32_e32 v27, 16, v4
	v_cndmask_b32_e64 v68, 0, 1, vcc
	v_cmp_neq_f32_e32 vcc, v32, v29
	v_and_b32_e32 v26, 0xffff0000, v4
	v_cndmask_b32_e64 v66, 0, 1, vcc
	v_cmp_neq_f32_e32 vcc, v27, v29
	v_lshlrev_b32_e32 v28, 16, v5
	v_cndmask_b32_e64 v63, 0, 1, vcc
	v_cmp_neq_f32_e32 vcc, v26, v27
	v_and_b32_e32 v17, 0xffff0000, v5
	v_cndmask_b32_e64 v60, 0, 1, vcc
	v_cmp_neq_f32_e32 vcc, v26, v28
	v_lshlrev_b32_e32 v15, 16, v12
	v_cndmask_b32_e64 v65, 0, 1, vcc
	v_cmp_neq_f32_e32 vcc, v28, v17
	v_and_b32_e32 v11, 0xffff0000, v12
	v_cndmask_b32_e64 v64, 0, 1, vcc
	v_cmp_neq_f32_e32 vcc, v15, v17
	v_lshlrev_b32_e32 v16, 16, v13
	v_cndmask_b32_e64 v57, 0, 1, vcc
	v_cmp_neq_f32_e32 vcc, v11, v15
	v_and_b32_e32 v10, 0xffff0000, v13
	v_cndmask_b32_e64 v56, 0, 1, vcc
	v_cmp_neq_f32_e32 vcc, v11, v16
	v_lshlrev_b32_e32 v8, 16, v14
	v_cndmask_b32_e64 v62, 0, 1, vcc
	v_cmp_neq_f32_e32 vcc, v16, v10
	v_and_b32_e32 v7, 0xffff0000, v14
	v_cndmask_b32_e64 v61, 0, 1, vcc
	v_cmp_neq_f32_e32 vcc, v8, v10
	v_lshlrev_b32_e32 v9, 16, v1
	v_cndmask_b32_e64 v15, 0, 1, vcc
	v_cmp_neq_f32_e32 vcc, v7, v8
	v_cndmask_b32_e64 v58, 0, 1, vcc
	v_cmp_neq_f32_e32 vcc, v7, v9
	s_waitcnt vmcnt(0) lgkmcnt(0)
	v_lshlrev_b32_e32 v6, 16, v6
	v_cndmask_b32_e64 v59, 0, 1, vcc
	v_cmp_neq_f32_e64 s[8:9], v31, v6
	s_mov_b64 s[4:5], -1
.LBB876_39:
                                        ; implicit-def: $sgpr7
	s_branch .LBB876_53
.LBB876_40:
                                        ; implicit-def: $sgpr8_sgpr9
                                        ; implicit-def: $vgpr59
                                        ; implicit-def: $vgpr58
                                        ; implicit-def: $vgpr15
                                        ; implicit-def: $vgpr61
                                        ; implicit-def: $vgpr62
                                        ; implicit-def: $vgpr56
                                        ; implicit-def: $vgpr57
                                        ; implicit-def: $vgpr64
                                        ; implicit-def: $vgpr65
                                        ; implicit-def: $vgpr60
                                        ; implicit-def: $vgpr63
                                        ; implicit-def: $vgpr66
                                        ; implicit-def: $vgpr68
                                        ; implicit-def: $vgpr67
                                        ; implicit-def: $sgpr7
	s_cbranch_execnz .LBB876_45
	s_branch .LBB876_53
.LBB876_41:
                                        ; implicit-def: $sgpr8_sgpr9
                                        ; implicit-def: $vgpr59
                                        ; implicit-def: $vgpr58
                                        ; implicit-def: $vgpr15
                                        ; implicit-def: $vgpr61
                                        ; implicit-def: $vgpr62
                                        ; implicit-def: $vgpr56
                                        ; implicit-def: $vgpr57
                                        ; implicit-def: $vgpr64
                                        ; implicit-def: $vgpr65
                                        ; implicit-def: $vgpr60
                                        ; implicit-def: $vgpr63
                                        ; implicit-def: $vgpr66
                                        ; implicit-def: $vgpr68
                                        ; implicit-def: $vgpr67
	s_cbranch_execz .LBB876_39
; %bb.42:
	v_and_b32_e32 v31, 0xffff0000, v2
	v_lshlrev_b32_e32 v7, 16, v2
	v_lshlrev_b32_e32 v32, 16, v3
	v_cmp_neq_f32_e32 vcc, v31, v7
	v_and_b32_e32 v30, 0xffff0000, v3
	v_cndmask_b32_e64 v67, 0, 1, vcc
	v_cmp_neq_f32_e32 vcc, v31, v32
	v_lshlrev_b32_e32 v28, 16, v4
	v_cndmask_b32_e64 v68, 0, 1, vcc
	v_cmp_neq_f32_e32 vcc, v32, v30
	v_and_b32_e32 v27, 0xffff0000, v4
	v_cndmask_b32_e64 v66, 0, 1, vcc
	v_cmp_neq_f32_e32 vcc, v28, v30
	v_lshlrev_b32_e32 v29, 16, v5
	v_cndmask_b32_e64 v63, 0, 1, vcc
	;; [unrolled: 6-line block ×6, first 2 shown]
	v_cmp_neq_f32_e32 vcc, v8, v9
	v_cndmask_b32_e64 v58, 0, 1, vcc
	v_cmp_neq_f32_e32 vcc, v8, v10
	s_mov_b32 s7, 1
	v_lshlrev_b32_e32 v6, 1, v0
	v_cndmask_b32_e64 v59, 0, 1, vcc
	v_cmp_ne_u32_e32 vcc, 0, v0
	ds_write_b16 v6, v1
	s_waitcnt lgkmcnt(0)
	s_barrier
	s_waitcnt lgkmcnt(0)
                                        ; implicit-def: $sgpr8_sgpr9
	s_and_saveexec_b64 s[12:13], vcc
	s_xor_b64 s[12:13], exec, s[12:13]
	s_cbranch_execz .LBB876_44
; %bb.43:
	v_add_u32_e32 v6, -2, v6
	ds_read_u16 v6, v6
	s_or_b64 s[4:5], s[4:5], exec
	s_waitcnt lgkmcnt(0)
	v_lshlrev_b32_e32 v6, 16, v6
	v_cmp_neq_f32_e32 vcc, v7, v6
	s_and_b64 s[8:9], vcc, exec
.LBB876_44:
	s_or_b64 exec, exec, s[12:13]
	s_branch .LBB876_53
.LBB876_45:
	s_mul_hi_u32 s7, s2, 0xfffff100
	s_mulk_i32 s3, 0xf100
	s_sub_i32 s7, s7, s2
	s_add_i32 s7, s7, s3
	s_mulk_i32 s2, 0xf100
	s_add_u32 s56, s2, s36
	s_addc_u32 s57, s7, s37
	s_and_b64 vcc, exec, s[10:11]
	s_cbranch_vccz .LBB876_50
; %bb.46:
	v_mov_b32_e32 v7, 0
	global_load_ushort v10, v7, s[0:1] offset:-2
	v_lshlrev_b32_e32 v6, 1, v0
	v_mul_u32_u24_e32 v8, 15, v0
	v_cmp_ne_u32_e32 vcc, 0, v0
	ds_write_b16 v6, v1
	s_waitcnt lgkmcnt(0)
	s_barrier
	s_and_saveexec_b64 s[0:1], vcc
	s_cbranch_execz .LBB876_48
; %bb.47:
	v_add_u32_e32 v6, -2, v6
	s_waitcnt vmcnt(0)
	ds_read_u16 v10, v6
.LBB876_48:
	s_or_b64 exec, exec, s[0:1]
	s_mov_b32 s0, 0xe000d
	v_pk_add_u16 v6, v8, s0 op_sel_hi:[0,1]
	v_alignbit_b32 v16, 0, v6, 16
	v_and_b32_e32 v6, 0xffff, v6
	v_and_b32_e32 v9, 0xffff0000, v14
	v_cmp_gt_u64_e32 vcc, s[56:57], v[6:7]
	v_lshlrev_b32_e32 v6, 16, v1
	v_lshlrev_b32_e32 v11, 16, v14
	v_cmp_neq_f32_e64 s[2:3], v9, v6
	v_add_u32_e32 v6, 12, v8
	v_and_b32_e32 v27, 0xffff0000, v13
	s_mov_b32 s7, 0xb000a
	v_mov_b32_e32 v17, v7
	v_cmp_gt_u64_e64 s[8:9], s[56:57], v[6:7]
	v_cmp_neq_f32_e64 s[10:11], v27, v11
	v_pk_add_u16 v6, v8, s7 op_sel_hi:[0,1]
	v_cmp_gt_u64_e64 s[0:1], s[56:57], v[16:17]
	v_cmp_neq_f32_e64 s[4:5], v9, v11
	v_lshlrev_b32_e32 v9, 16, v13
	v_and_b32_e32 v26, 0xffff0000, v12
	s_and_b64 s[8:9], s[8:9], s[10:11]
	v_alignbit_b32 v16, 0, v6, 16
	v_and_b32_e32 v6, 0xffff, v6
	v_cndmask_b32_e64 v15, 0, 1, s[8:9]
	v_cmp_gt_u64_e64 s[8:9], s[56:57], v[6:7]
	v_cmp_neq_f32_e64 s[12:13], v9, v26
	v_cmp_neq_f32_e64 s[14:15], v9, v27
	v_add_u32_e32 v6, 9, v8
	v_lshlrev_b32_e32 v9, 16, v12
	v_cmp_gt_u64_e64 s[16:17], s[56:57], v[6:7]
	v_cmp_neq_f32_e64 s[18:19], v26, v9
	s_and_b64 s[16:17], s[16:17], s[18:19]
	v_add_u32_e32 v6, 8, v8
	v_and_b32_e32 v27, 0xffff0000, v5
	s_mov_b32 s7, 0x70006
	v_cndmask_b32_e64 v56, 0, 1, s[16:17]
	v_cmp_gt_u64_e64 s[16:17], s[56:57], v[6:7]
	v_cmp_neq_f32_e64 s[18:19], v27, v9
	v_pk_add_u16 v6, v8, s7 op_sel_hi:[0,1]
	v_cmp_gt_u64_e64 s[10:11], s[56:57], v[16:17]
	s_and_b64 s[16:17], s[16:17], s[18:19]
	v_alignbit_b32 v16, 0, v6, 16
	v_and_b32_e32 v6, 0xffff, v6
	v_and_b32_e32 v26, 0xffff0000, v4
	v_cndmask_b32_e64 v57, 0, 1, s[16:17]
	v_cmp_gt_u64_e64 s[16:17], s[56:57], v[6:7]
	v_add_u32_e32 v6, 5, v8
	v_lshlrev_b32_e32 v9, 16, v4
	v_lshlrev_b32_e32 v11, 16, v5
	v_cmp_gt_u64_e64 s[24:25], s[56:57], v[6:7]
	v_cmp_neq_f32_e64 s[26:27], v26, v9
	v_cmp_neq_f32_e64 s[22:23], v11, v27
	s_and_b64 s[24:25], s[24:25], s[26:27]
	v_add_u32_e32 v6, 4, v8
	v_and_b32_e32 v27, 0xffff0000, v3
	s_mov_b32 s7, 0x30002
	v_cndmask_b32_e64 v60, 0, 1, s[24:25]
	v_cmp_gt_u64_e64 s[24:25], s[56:57], v[6:7]
	v_cmp_neq_f32_e64 s[26:27], v27, v9
	v_pk_add_u16 v6, v8, s7 op_sel_hi:[0,1]
	v_cmp_gt_u64_e64 s[18:19], s[56:57], v[16:17]
	s_and_b64 s[24:25], s[24:25], s[26:27]
	v_alignbit_b32 v16, 0, v6, 16
	v_and_b32_e32 v6, 0xffff, v6
	v_cmp_neq_f32_e64 s[20:21], v11, v26
	v_lshlrev_b32_e32 v11, 16, v3
	v_and_b32_e32 v26, 0xffff0000, v2
	v_cndmask_b32_e64 v63, 0, 1, s[24:25]
	v_cmp_gt_u64_e64 s[24:25], s[56:57], v[6:7]
	v_add_u32_e32 v6, 1, v8
	v_cmp_neq_f32_e64 s[28:29], v11, v26
	v_cmp_gt_u64_e64 s[34:35], s[56:57], v[6:7]
	v_lshlrev_b32_e32 v6, 16, v2
	v_cmp_gt_u64_e64 s[26:27], s[56:57], v[16:17]
	v_cmp_neq_f32_e64 s[30:31], v11, v27
	v_cmp_neq_f32_e64 s[36:37], v26, v6
	s_and_b64 s[24:25], s[24:25], s[28:29]
	s_and_b64 s[16:17], s[16:17], s[20:21]
	;; [unrolled: 1-line block ×4, first 2 shown]
	v_mov_b32_e32 v9, v7
	s_waitcnt vmcnt(0) lgkmcnt(0)
	v_lshlrev_b32_e32 v7, 16, v10
	s_and_b64 s[34:35], s[34:35], s[36:37]
	v_cndmask_b32_e64 v68, 0, 1, s[24:25]
	s_and_b64 s[24:25], s[26:27], s[30:31]
	v_cndmask_b32_e64 v65, 0, 1, s[16:17]
	;; [unrolled: 2-line block ×3, first 2 shown]
	s_and_b64 s[8:9], s[10:11], s[14:15]
	s_and_b64 s[4:5], vcc, s[4:5]
	v_cndmask_b32_e64 v59, 0, 1, s[0:1]
	v_cmp_gt_u64_e32 vcc, s[56:57], v[8:9]
	v_cmp_neq_f32_e64 s[0:1], v7, v6
	v_cndmask_b32_e64 v67, 0, 1, s[34:35]
	v_cndmask_b32_e64 v66, 0, 1, s[24:25]
	;; [unrolled: 1-line block ×5, first 2 shown]
	s_and_b64 s[8:9], vcc, s[0:1]
	s_mov_b64 s[4:5], -1
.LBB876_49:
                                        ; implicit-def: $sgpr7
	v_mov_b32_e32 v69, s7
	s_and_saveexec_b64 s[0:1], s[4:5]
	s_cbranch_execnz .LBB876_54
	s_branch .LBB876_55
.LBB876_50:
                                        ; implicit-def: $sgpr8_sgpr9
                                        ; implicit-def: $vgpr59
                                        ; implicit-def: $vgpr58
                                        ; implicit-def: $vgpr15
                                        ; implicit-def: $vgpr61
                                        ; implicit-def: $vgpr62
                                        ; implicit-def: $vgpr56
                                        ; implicit-def: $vgpr57
                                        ; implicit-def: $vgpr64
                                        ; implicit-def: $vgpr65
                                        ; implicit-def: $vgpr60
                                        ; implicit-def: $vgpr63
                                        ; implicit-def: $vgpr66
                                        ; implicit-def: $vgpr68
                                        ; implicit-def: $vgpr67
	s_cbranch_execz .LBB876_49
; %bb.51:
	v_mad_u32_u24 v6, v0, 15, 14
	v_mov_b32_e32 v7, 0
	v_cmp_gt_u64_e32 vcc, s[56:57], v[6:7]
	v_mad_u32_u24 v6, v0, 15, 13
	v_lshlrev_b32_e32 v9, 16, v1
	v_cmp_gt_u64_e64 s[0:1], s[56:57], v[6:7]
	v_and_b32_e32 v6, 0xffff0000, v14
	v_lshlrev_b32_e32 v10, 16, v14
	v_cmp_neq_f32_e64 s[2:3], v6, v9
	s_and_b64 s[2:3], vcc, s[2:3]
	v_cmp_neq_f32_e32 vcc, v10, v6
	v_mad_u32_u24 v6, v0, 15, 12
	s_and_b64 s[0:1], s[0:1], vcc
	v_cmp_gt_u64_e32 vcc, s[56:57], v[6:7]
	v_mad_u32_u24 v6, v0, 15, 11
	v_cndmask_b32_e64 v58, 0, 1, s[0:1]
	v_cmp_gt_u64_e64 s[0:1], s[56:57], v[6:7]
	v_and_b32_e32 v6, 0xffff0000, v13
	v_cndmask_b32_e64 v59, 0, 1, s[2:3]
	v_lshlrev_b32_e32 v9, 16, v13
	v_cmp_neq_f32_e64 s[2:3], v6, v10
	s_and_b64 s[2:3], vcc, s[2:3]
	v_cmp_neq_f32_e32 vcc, v9, v6
	v_mad_u32_u24 v6, v0, 15, 10
	s_and_b64 s[0:1], s[0:1], vcc
	v_cmp_gt_u64_e32 vcc, s[56:57], v[6:7]
	v_mad_u32_u24 v6, v0, 15, 9
	v_cndmask_b32_e64 v61, 0, 1, s[0:1]
	v_cmp_gt_u64_e64 s[0:1], s[56:57], v[6:7]
	v_and_b32_e32 v6, 0xffff0000, v12
	v_cndmask_b32_e64 v15, 0, 1, s[2:3]
	;; [unrolled: 12-line block ×6, first 2 shown]
	v_lshlrev_b32_e32 v9, 16, v2
	v_cmp_neq_f32_e64 s[2:3], v6, v11
	s_and_b64 s[2:3], vcc, s[2:3]
	v_cmp_neq_f32_e32 vcc, v9, v6
	s_and_b64 s[0:1], s[0:1], vcc
	s_mov_b32 s7, 1
	v_lshlrev_b32_e32 v8, 1, v0
	v_cndmask_b32_e64 v68, 0, 1, s[2:3]
	v_cndmask_b32_e64 v67, 0, 1, s[0:1]
	v_cmp_ne_u32_e32 vcc, 0, v0
	ds_write_b16 v8, v1
	s_waitcnt lgkmcnt(0)
	s_barrier
	s_waitcnt lgkmcnt(0)
                                        ; implicit-def: $sgpr8_sgpr9
	s_and_saveexec_b64 s[2:3], vcc
	s_cbranch_execz .LBB876_150
; %bb.52:
	v_add_u32_e32 v6, -2, v8
	ds_read_u16 v8, v6
	v_mul_u32_u24_e32 v6, 15, v0
	v_cmp_gt_u64_e32 vcc, s[56:57], v[6:7]
	s_or_b64 s[4:5], s[4:5], exec
	s_waitcnt lgkmcnt(0)
	v_lshlrev_b32_e32 v6, 16, v8
	v_cmp_neq_f32_e64 s[0:1], v9, v6
	s_and_b64 s[0:1], vcc, s[0:1]
	s_and_b64 s[8:9], s[0:1], exec
	s_or_b64 exec, exec, s[2:3]
.LBB876_53:
	v_mov_b32_e32 v69, s7
	s_and_saveexec_b64 s[0:1], s[4:5]
.LBB876_54:
	v_cndmask_b32_e64 v69, 0, 1, s[8:9]
.LBB876_55:
	s_or_b64 exec, exec, s[0:1]
	s_cmp_eq_u64 s[42:43], 0
	v_add3_u32 v6, v67, v69, v68
	s_cselect_b64 s[34:35], -1, 0
	s_cmp_lg_u32 s6, 0
	v_cmp_eq_u32_e64 s[24:25], 0, v67
	v_cmp_eq_u32_e64 s[22:23], 0, v68
	;; [unrolled: 1-line block ×3, first 2 shown]
	v_add3_u32 v80, v6, v66, v63
	v_cmp_eq_u32_e64 s[18:19], 0, v63
	v_cmp_eq_u32_e64 s[16:17], 0, v60
	;; [unrolled: 1-line block ×10, first 2 shown]
	v_cmp_eq_u32_e32 vcc, 0, v59
	v_mbcnt_lo_u32_b32 v79, -1, 0
	v_lshrrev_b32_e32 v77, 6, v0
	v_or_b32_e32 v78, 63, v0
	s_cbranch_scc0 .LBB876_86
; %bb.56:
	v_cndmask_b32_e64 v6, 0, v24, s[24:25]
	v_add_u32_e32 v6, v6, v25
	v_cndmask_b32_e64 v6, 0, v6, s[22:23]
	v_add_u32_e32 v6, v6, v75
	;; [unrolled: 2-line block ×11, first 2 shown]
	v_cndmask_b32_e64 v6, 0, v6, s[2:3]
	v_add3_u32 v7, v80, v60, v65
	v_add_u32_e32 v6, v6, v70
	v_add3_u32 v7, v7, v64, v57
	v_cndmask_b32_e64 v6, 0, v6, s[0:1]
	v_add3_u32 v7, v7, v56, v62
	v_add_u32_e32 v6, v6, v19
	v_add3_u32 v7, v7, v61, v15
	v_cndmask_b32_e32 v6, 0, v6, vcc
	v_add3_u32 v7, v7, v58, v59
	v_add_u32_e32 v6, v6, v76
	v_mbcnt_hi_u32_b32 v27, -1, v79
	v_and_b32_e32 v8, 15, v27
	v_mov_b32_dpp v10, v6 row_shr:1 row_mask:0xf bank_mask:0xf
	v_cmp_eq_u32_e32 vcc, 0, v7
	v_mov_b32_dpp v9, v7 row_shr:1 row_mask:0xf bank_mask:0xf
	v_cndmask_b32_e32 v10, 0, v10, vcc
	v_cmp_eq_u32_e32 vcc, 0, v8
	v_cndmask_b32_e64 v9, v9, 0, vcc
	v_add_u32_e32 v7, v9, v7
	v_cndmask_b32_e64 v9, v10, 0, vcc
	v_add_u32_e32 v6, v9, v6
	v_cmp_eq_u32_e32 vcc, 0, v7
	v_mov_b32_dpp v9, v7 row_shr:2 row_mask:0xf bank_mask:0xf
	v_cmp_lt_u32_e64 s[26:27], 1, v8
	v_mov_b32_dpp v10, v6 row_shr:2 row_mask:0xf bank_mask:0xf
	v_cndmask_b32_e64 v9, 0, v9, s[26:27]
	s_and_b64 vcc, s[26:27], vcc
	v_cndmask_b32_e32 v10, 0, v10, vcc
	v_add_u32_e32 v7, v7, v9
	v_add_u32_e32 v6, v10, v6
	v_cmp_eq_u32_e32 vcc, 0, v7
	v_mov_b32_dpp v9, v7 row_shr:4 row_mask:0xf bank_mask:0xf
	v_cmp_lt_u32_e64 s[26:27], 3, v8
	v_mov_b32_dpp v10, v6 row_shr:4 row_mask:0xf bank_mask:0xf
	v_cndmask_b32_e64 v9, 0, v9, s[26:27]
	s_and_b64 vcc, s[26:27], vcc
	v_cndmask_b32_e32 v10, 0, v10, vcc
	v_add_u32_e32 v7, v9, v7
	v_add_u32_e32 v6, v6, v10
	v_cmp_eq_u32_e32 vcc, 0, v7
	v_cmp_lt_u32_e64 s[26:27], 7, v8
	v_mov_b32_dpp v9, v7 row_shr:8 row_mask:0xf bank_mask:0xf
	v_mov_b32_dpp v10, v6 row_shr:8 row_mask:0xf bank_mask:0xf
	s_and_b64 vcc, s[26:27], vcc
	v_cndmask_b32_e64 v8, 0, v9, s[26:27]
	v_cndmask_b32_e32 v9, 0, v10, vcc
	v_add_u32_e32 v6, v9, v6
	v_add_u32_e32 v7, v8, v7
	v_bfe_i32 v10, v27, 4, 1
	v_mov_b32_dpp v9, v6 row_bcast:15 row_mask:0xf bank_mask:0xf
	v_mov_b32_dpp v8, v7 row_bcast:15 row_mask:0xf bank_mask:0xf
	v_cmp_eq_u32_e32 vcc, 0, v7
	v_cndmask_b32_e32 v9, 0, v9, vcc
	v_and_b32_e32 v8, v10, v8
	v_add_u32_e32 v7, v8, v7
	v_and_b32_e32 v8, v10, v9
	v_add_u32_e32 v8, v8, v6
	v_mov_b32_dpp v6, v7 row_bcast:31 row_mask:0xf bank_mask:0xf
	v_cmp_eq_u32_e32 vcc, 0, v7
	v_cmp_lt_u32_e64 s[26:27], 31, v27
	v_mov_b32_dpp v9, v8 row_bcast:31 row_mask:0xf bank_mask:0xf
	v_cndmask_b32_e64 v6, 0, v6, s[26:27]
	s_and_b64 vcc, s[26:27], vcc
	v_add_u32_e32 v6, v6, v7
	v_cndmask_b32_e32 v7, 0, v9, vcc
	v_add_u32_e32 v7, v7, v8
	v_cmp_eq_u32_e32 vcc, v78, v0
	v_lshlrev_b32_e32 v8, 3, v77
	s_and_saveexec_b64 s[26:27], vcc
	s_cbranch_execz .LBB876_58
; %bb.57:
	ds_write_b64 v8, v[6:7] offset:1040
.LBB876_58:
	s_or_b64 exec, exec, s[26:27]
	v_cmp_gt_u32_e32 vcc, 4, v0
	s_waitcnt lgkmcnt(0)
	s_barrier
	s_and_saveexec_b64 s[30:31], vcc
	s_cbranch_execz .LBB876_60
; %bb.59:
	v_lshlrev_b32_e32 v9, 3, v0
	ds_read_b64 v[10:11], v9 offset:1040
	v_and_b32_e32 v16, 3, v27
	v_cmp_lt_u32_e64 s[26:27], 1, v16
	s_waitcnt lgkmcnt(0)
	v_mov_b32_dpp v26, v11 row_shr:1 row_mask:0xf bank_mask:0xf
	v_cmp_eq_u32_e32 vcc, 0, v10
	v_mov_b32_dpp v17, v10 row_shr:1 row_mask:0xf bank_mask:0xf
	v_cndmask_b32_e32 v26, 0, v26, vcc
	v_cmp_eq_u32_e32 vcc, 0, v16
	v_cndmask_b32_e64 v17, v17, 0, vcc
	v_add_u32_e32 v10, v17, v10
	v_cndmask_b32_e64 v17, v26, 0, vcc
	v_add_u32_e32 v11, v17, v11
	v_cmp_eq_u32_e32 vcc, 0, v10
	v_mov_b32_dpp v17, v10 row_shr:2 row_mask:0xf bank_mask:0xf
	v_mov_b32_dpp v26, v11 row_shr:2 row_mask:0xf bank_mask:0xf
	v_cndmask_b32_e64 v16, 0, v17, s[26:27]
	s_and_b64 vcc, s[26:27], vcc
	v_add_u32_e32 v10, v16, v10
	v_cndmask_b32_e32 v16, 0, v26, vcc
	v_add_u32_e32 v11, v16, v11
	ds_write_b64 v9, v[10:11] offset:1040
.LBB876_60:
	s_or_b64 exec, exec, s[30:31]
	v_cmp_gt_u32_e32 vcc, 64, v0
	v_cmp_lt_u32_e64 s[26:27], 63, v0
	v_mov_b32_e32 v16, 0
	v_mov_b32_e32 v17, 0
	s_waitcnt lgkmcnt(0)
	s_barrier
	s_and_saveexec_b64 s[30:31], s[26:27]
	s_cbranch_execz .LBB876_62
; %bb.61:
	ds_read_b64 v[16:17], v8 offset:1032
	v_cmp_eq_u32_e64 s[26:27], 0, v6
	s_waitcnt lgkmcnt(0)
	v_add_u32_e32 v8, v16, v6
	v_cndmask_b32_e64 v6, 0, v17, s[26:27]
	v_add_u32_e32 v7, v6, v7
	v_mov_b32_e32 v6, v8
.LBB876_62:
	s_or_b64 exec, exec, s[30:31]
	v_add_u32_e32 v8, -1, v27
	v_and_b32_e32 v9, 64, v27
	v_cmp_lt_i32_e64 s[26:27], v8, v9
	v_cndmask_b32_e64 v8, v8, v27, s[26:27]
	v_lshlrev_b32_e32 v8, 2, v8
	ds_bpermute_b32 v32, v8, v6
	ds_bpermute_b32 v33, v8, v7
	v_cmp_eq_u32_e64 s[26:27], 0, v27
	s_and_saveexec_b64 s[36:37], vcc
	s_cbranch_execz .LBB876_85
; %bb.63:
	v_mov_b32_e32 v11, 0
	ds_read_b64 v[6:7], v11 offset:1064
	s_waitcnt lgkmcnt(0)
	v_readfirstlane_b32 s7, v6
	v_readfirstlane_b32 s56, v7
	s_and_saveexec_b64 s[30:31], s[26:27]
	s_cbranch_execz .LBB876_65
; %bb.64:
	s_add_i32 s42, s6, 64
	s_mov_b32 s43, 0
	s_lshl_b64 s[58:59], s[42:43], 4
	s_add_u32 s58, s40, s58
	s_addc_u32 s59, s41, s59
	s_and_b32 s61, s56, 0xff000000
	s_mov_b32 s60, s43
	s_and_b32 s63, s56, 0xff0000
	s_mov_b32 s62, s43
	s_or_b64 s[60:61], s[62:63], s[60:61]
	s_and_b32 s63, s56, 0xff00
	s_or_b64 s[60:61], s[60:61], s[62:63]
	s_and_b32 s63, s56, 0xff
	s_or_b64 s[42:43], s[60:61], s[62:63]
	v_mov_b32_e32 v8, s7
	v_mov_b32_e32 v9, s43
	;; [unrolled: 1-line block ×3, first 2 shown]
	v_pk_mov_b32 v[6:7], s[58:59], s[58:59] op_sel:[0,1]
	;;#ASMSTART
	global_store_dwordx4 v[6:7], v[8:11] off	
s_waitcnt vmcnt(0)
	;;#ASMEND
.LBB876_65:
	s_or_b64 exec, exec, s[30:31]
	v_xad_u32 v26, v27, -1, s6
	v_add_u32_e32 v10, 64, v26
	v_lshlrev_b64 v[6:7], 4, v[10:11]
	v_mov_b32_e32 v8, s41
	v_add_co_u32_e32 v28, vcc, s40, v6
	v_addc_co_u32_e32 v29, vcc, v8, v7, vcc
	;;#ASMSTART
	global_load_dwordx4 v[6:9], v[28:29] off glc	
s_waitcnt vmcnt(0)
	;;#ASMEND
	v_and_b32_e32 v9, 0xff, v7
	v_and_b32_e32 v10, 0xff00, v7
	v_or3_b32 v9, 0, v9, v10
	v_or3_b32 v6, v6, 0, 0
	v_and_b32_e32 v10, 0xff000000, v7
	v_and_b32_e32 v7, 0xff0000, v7
	v_or3_b32 v7, v9, v7, v10
	v_or3_b32 v6, v6, 0, 0
	v_cmp_eq_u16_sdwa s[42:43], v8, v11 src0_sel:BYTE_0 src1_sel:DWORD
	s_and_saveexec_b64 s[30:31], s[42:43]
	s_cbranch_execz .LBB876_71
; %bb.66:
	s_mov_b32 s57, 1
	s_mov_b64 s[42:43], 0
	v_mov_b32_e32 v10, 0
.LBB876_67:                             ; =>This Loop Header: Depth=1
                                        ;     Child Loop BB876_68 Depth 2
	s_max_u32 s58, s57, 1
.LBB876_68:                             ;   Parent Loop BB876_67 Depth=1
                                        ; =>  This Inner Loop Header: Depth=2
	s_add_i32 s58, s58, -1
	s_cmp_eq_u32 s58, 0
	s_sleep 1
	s_cbranch_scc0 .LBB876_68
; %bb.69:                               ;   in Loop: Header=BB876_67 Depth=1
	s_cmp_lt_u32 s57, 32
	s_cselect_b64 s[58:59], -1, 0
	s_cmp_lg_u64 s[58:59], 0
	s_addc_u32 s57, s57, 0
	;;#ASMSTART
	global_load_dwordx4 v[6:9], v[28:29] off glc	
s_waitcnt vmcnt(0)
	;;#ASMEND
	v_cmp_ne_u16_sdwa s[58:59], v8, v10 src0_sel:BYTE_0 src1_sel:DWORD
	s_or_b64 s[42:43], s[58:59], s[42:43]
	s_andn2_b64 exec, exec, s[42:43]
	s_cbranch_execnz .LBB876_67
; %bb.70:
	s_or_b64 exec, exec, s[42:43]
.LBB876_71:
	s_or_b64 exec, exec, s[30:31]
	v_mov_b32_e32 v34, 2
	v_cmp_eq_u16_sdwa s[30:31], v8, v34 src0_sel:BYTE_0 src1_sel:DWORD
	v_lshlrev_b64 v[28:29], v27, -1
	v_and_b32_e32 v9, s31, v29
	v_and_b32_e32 v35, 63, v27
	v_or_b32_e32 v9, 0x80000000, v9
	v_cmp_ne_u32_e32 vcc, 63, v35
	v_and_b32_e32 v10, s30, v28
	v_ffbl_b32_e32 v9, v9
	v_addc_co_u32_e32 v11, vcc, 0, v27, vcc
	v_add_u32_e32 v9, 32, v9
	v_ffbl_b32_e32 v10, v10
	v_lshlrev_b32_e32 v36, 2, v11
	v_min_u32_e32 v9, v10, v9
	ds_bpermute_b32 v10, v36, v7
	v_cmp_eq_u32_e32 vcc, 0, v6
	v_cmp_lt_u32_e64 s[30:31], v35, v9
	ds_bpermute_b32 v11, v36, v6
	s_and_b64 vcc, s[30:31], vcc
	s_waitcnt lgkmcnt(1)
	v_cndmask_b32_e32 v10, 0, v10, vcc
	v_cmp_gt_u32_e32 vcc, 62, v35
	v_add_u32_e32 v7, v10, v7
	v_cndmask_b32_e64 v10, 0, 1, vcc
	v_lshlrev_b32_e32 v10, 1, v10
	v_add_lshl_u32 v37, v10, v27, 2
	s_waitcnt lgkmcnt(0)
	v_cndmask_b32_e64 v11, 0, v11, s[30:31]
	ds_bpermute_b32 v10, v37, v7
	v_add_u32_e32 v6, v11, v6
	ds_bpermute_b32 v11, v37, v6
	v_add_u32_e32 v38, 2, v35
	v_cmp_eq_u32_e32 vcc, 0, v6
	s_waitcnt lgkmcnt(1)
	v_cndmask_b32_e32 v10, 0, v10, vcc
	v_cmp_gt_u32_e32 vcc, v38, v9
	v_cndmask_b32_e64 v10, v10, 0, vcc
	v_add_u32_e32 v7, v10, v7
	s_waitcnt lgkmcnt(0)
	v_cndmask_b32_e64 v10, v11, 0, vcc
	v_cmp_gt_u32_e32 vcc, 60, v35
	v_cndmask_b32_e64 v11, 0, 1, vcc
	v_lshlrev_b32_e32 v11, 2, v11
	v_add_lshl_u32 v39, v11, v27, 2
	ds_bpermute_b32 v11, v39, v7
	v_add_u32_e32 v6, v6, v10
	ds_bpermute_b32 v10, v39, v6
	v_add_u32_e32 v40, 4, v35
	v_cmp_eq_u32_e32 vcc, 0, v6
	s_waitcnt lgkmcnt(1)
	v_cndmask_b32_e32 v11, 0, v11, vcc
	v_cmp_gt_u32_e32 vcc, v40, v9
	v_cndmask_b32_e64 v11, v11, 0, vcc
	s_waitcnt lgkmcnt(0)
	v_cndmask_b32_e64 v10, v10, 0, vcc
	v_cmp_gt_u32_e32 vcc, 56, v35
	v_add_u32_e32 v7, v7, v11
	v_cndmask_b32_e64 v11, 0, 1, vcc
	v_lshlrev_b32_e32 v11, 3, v11
	v_add_lshl_u32 v41, v11, v27, 2
	ds_bpermute_b32 v11, v41, v7
	v_add_u32_e32 v6, v6, v10
	ds_bpermute_b32 v10, v41, v6
	v_add_u32_e32 v42, 8, v35
	v_cmp_eq_u32_e32 vcc, 0, v6
	s_waitcnt lgkmcnt(1)
	v_cndmask_b32_e32 v11, 0, v11, vcc
	v_cmp_gt_u32_e32 vcc, v42, v9
	v_cndmask_b32_e64 v11, v11, 0, vcc
	s_waitcnt lgkmcnt(0)
	v_cndmask_b32_e64 v10, v10, 0, vcc
	v_cmp_gt_u32_e32 vcc, 48, v35
	v_add_u32_e32 v7, v7, v11
	;; [unrolled: 16-line block ×3, first 2 shown]
	v_cndmask_b32_e64 v11, 0, 1, vcc
	v_lshlrev_b32_e32 v11, 5, v11
	v_add_lshl_u32 v45, v11, v27, 2
	ds_bpermute_b32 v11, v45, v7
	v_add_u32_e32 v6, v6, v10
	ds_bpermute_b32 v10, v45, v6
	v_add_u32_e32 v46, 32, v35
	v_cmp_eq_u32_e32 vcc, 0, v6
	s_waitcnt lgkmcnt(1)
	v_cndmask_b32_e32 v11, 0, v11, vcc
	v_cmp_gt_u32_e32 vcc, v46, v9
	v_cndmask_b32_e64 v9, v11, 0, vcc
	v_add_u32_e32 v7, v9, v7
	s_waitcnt lgkmcnt(0)
	v_cndmask_b32_e64 v9, v10, 0, vcc
	v_add_u32_e32 v6, v9, v6
	v_mov_b32_e32 v27, 0
	s_branch .LBB876_73
.LBB876_72:                             ;   in Loop: Header=BB876_73 Depth=1
	s_or_b64 exec, exec, s[30:31]
	v_cmp_eq_u16_sdwa s[30:31], v8, v34 src0_sel:BYTE_0 src1_sel:DWORD
	v_and_b32_e32 v9, s31, v29
	v_or_b32_e32 v9, 0x80000000, v9
	v_and_b32_e32 v30, s30, v28
	v_ffbl_b32_e32 v9, v9
	v_add_u32_e32 v9, 32, v9
	v_ffbl_b32_e32 v30, v30
	v_min_u32_e32 v9, v30, v9
	ds_bpermute_b32 v30, v36, v7
	v_cmp_eq_u32_e32 vcc, 0, v6
	v_cmp_lt_u32_e64 s[30:31], v35, v9
	ds_bpermute_b32 v31, v36, v6
	s_and_b64 vcc, s[30:31], vcc
	s_waitcnt lgkmcnt(1)
	v_cndmask_b32_e32 v30, 0, v30, vcc
	v_add_u32_e32 v7, v30, v7
	ds_bpermute_b32 v30, v37, v7
	s_waitcnt lgkmcnt(1)
	v_cndmask_b32_e64 v31, 0, v31, s[30:31]
	v_add_u32_e32 v6, v31, v6
	v_cmp_eq_u32_e32 vcc, 0, v6
	ds_bpermute_b32 v31, v37, v6
	s_waitcnt lgkmcnt(1)
	v_cndmask_b32_e32 v30, 0, v30, vcc
	v_cmp_gt_u32_e32 vcc, v38, v9
	v_cndmask_b32_e64 v30, v30, 0, vcc
	v_add_u32_e32 v7, v30, v7
	ds_bpermute_b32 v30, v39, v7
	s_waitcnt lgkmcnt(1)
	v_cndmask_b32_e64 v31, v31, 0, vcc
	v_add_u32_e32 v6, v6, v31
	v_cmp_eq_u32_e32 vcc, 0, v6
	ds_bpermute_b32 v31, v39, v6
	s_waitcnt lgkmcnt(1)
	v_cndmask_b32_e32 v30, 0, v30, vcc
	v_cmp_gt_u32_e32 vcc, v40, v9
	v_cndmask_b32_e64 v30, v30, 0, vcc
	v_add_u32_e32 v7, v7, v30
	ds_bpermute_b32 v30, v41, v7
	s_waitcnt lgkmcnt(1)
	v_cndmask_b32_e64 v31, v31, 0, vcc
	v_add_u32_e32 v6, v6, v31
	ds_bpermute_b32 v31, v41, v6
	v_cmp_eq_u32_e32 vcc, 0, v6
	s_waitcnt lgkmcnt(1)
	v_cndmask_b32_e32 v30, 0, v30, vcc
	v_cmp_gt_u32_e32 vcc, v42, v9
	v_cndmask_b32_e64 v30, v30, 0, vcc
	v_add_u32_e32 v7, v7, v30
	ds_bpermute_b32 v30, v43, v7
	s_waitcnt lgkmcnt(1)
	v_cndmask_b32_e64 v31, v31, 0, vcc
	v_add_u32_e32 v6, v6, v31
	ds_bpermute_b32 v31, v43, v6
	v_cmp_eq_u32_e32 vcc, 0, v6
	;; [unrolled: 11-line block ×3, first 2 shown]
	s_waitcnt lgkmcnt(1)
	v_cndmask_b32_e32 v30, 0, v30, vcc
	v_cmp_gt_u32_e32 vcc, v46, v9
	v_cndmask_b32_e64 v9, v30, 0, vcc
	v_add_u32_e32 v7, v9, v7
	s_waitcnt lgkmcnt(0)
	v_cndmask_b32_e64 v9, v31, 0, vcc
	v_cmp_eq_u32_e32 vcc, 0, v10
	v_cndmask_b32_e32 v7, 0, v7, vcc
	v_subrev_u32_e32 v26, 64, v26
	v_add3_u32 v6, v6, v10, v9
	v_add_u32_e32 v7, v7, v11
.LBB876_73:                             ; =>This Loop Header: Depth=1
                                        ;     Child Loop BB876_76 Depth 2
                                        ;       Child Loop BB876_77 Depth 3
	v_cmp_ne_u16_sdwa s[30:31], v8, v34 src0_sel:BYTE_0 src1_sel:DWORD
	v_mov_b32_e32 v11, v7
	v_cndmask_b32_e64 v7, 0, 1, s[30:31]
	;;#ASMSTART
	;;#ASMEND
	v_cmp_ne_u32_e32 vcc, 0, v7
	s_cmp_lg_u64 vcc, exec
	v_mov_b32_e32 v10, v6
	s_cbranch_scc1 .LBB876_80
; %bb.74:                               ;   in Loop: Header=BB876_73 Depth=1
	v_lshlrev_b64 v[6:7], 4, v[26:27]
	v_mov_b32_e32 v8, s41
	v_add_co_u32_e32 v30, vcc, s40, v6
	v_addc_co_u32_e32 v31, vcc, v8, v7, vcc
	;;#ASMSTART
	global_load_dwordx4 v[6:9], v[30:31] off glc	
s_waitcnt vmcnt(0)
	;;#ASMEND
	v_and_b32_e32 v9, 0xff, v7
	v_and_b32_e32 v47, 0xff00, v7
	v_or3_b32 v9, 0, v9, v47
	v_or3_b32 v6, v6, 0, 0
	v_and_b32_e32 v47, 0xff000000, v7
	v_and_b32_e32 v7, 0xff0000, v7
	v_or3_b32 v7, v9, v7, v47
	v_or3_b32 v6, v6, 0, 0
	v_cmp_eq_u16_sdwa s[42:43], v8, v27 src0_sel:BYTE_0 src1_sel:DWORD
	s_and_saveexec_b64 s[30:31], s[42:43]
	s_cbranch_execz .LBB876_72
; %bb.75:                               ;   in Loop: Header=BB876_73 Depth=1
	s_mov_b32 s57, 1
	s_mov_b64 s[42:43], 0
.LBB876_76:                             ;   Parent Loop BB876_73 Depth=1
                                        ; =>  This Loop Header: Depth=2
                                        ;       Child Loop BB876_77 Depth 3
	s_max_u32 s58, s57, 1
.LBB876_77:                             ;   Parent Loop BB876_73 Depth=1
                                        ;     Parent Loop BB876_76 Depth=2
                                        ; =>    This Inner Loop Header: Depth=3
	s_add_i32 s58, s58, -1
	s_cmp_eq_u32 s58, 0
	s_sleep 1
	s_cbranch_scc0 .LBB876_77
; %bb.78:                               ;   in Loop: Header=BB876_76 Depth=2
	s_cmp_lt_u32 s57, 32
	s_cselect_b64 s[58:59], -1, 0
	s_cmp_lg_u64 s[58:59], 0
	s_addc_u32 s57, s57, 0
	;;#ASMSTART
	global_load_dwordx4 v[6:9], v[30:31] off glc	
s_waitcnt vmcnt(0)
	;;#ASMEND
	v_cmp_ne_u16_sdwa s[58:59], v8, v27 src0_sel:BYTE_0 src1_sel:DWORD
	s_or_b64 s[42:43], s[58:59], s[42:43]
	s_andn2_b64 exec, exec, s[42:43]
	s_cbranch_execnz .LBB876_76
; %bb.79:                               ;   in Loop: Header=BB876_73 Depth=1
	s_or_b64 exec, exec, s[42:43]
	s_branch .LBB876_72
.LBB876_80:                             ;   in Loop: Header=BB876_73 Depth=1
                                        ; implicit-def: $vgpr7
                                        ; implicit-def: $vgpr6
                                        ; implicit-def: $vgpr8
	s_cbranch_execz .LBB876_73
; %bb.81:
	s_and_saveexec_b64 s[30:31], s[26:27]
	s_cbranch_execz .LBB876_83
; %bb.82:
	s_cmp_eq_u32 s7, 0
	s_cselect_b64 vcc, -1, 0
	s_mov_b32 s43, 0
	v_cndmask_b32_e32 v6, 0, v11, vcc
	s_add_i32 s42, s6, 64
	v_add_u32_e32 v6, s56, v6
	s_lshl_b64 s[42:43], s[42:43], 4
	s_add_u32 s42, s40, s42
	v_and_b32_e32 v7, 0xff000000, v6
	v_and_b32_e32 v8, 0xff0000, v6
	s_addc_u32 s43, s41, s43
	v_or_b32_e32 v7, v8, v7
	v_and_b32_e32 v8, 0xff00, v6
	v_and_b32_e32 v6, 0xff, v6
	v_add_u32_e32 v26, s7, v10
	v_mov_b32_e32 v29, 0
	v_or3_b32 v27, v7, v8, v6
	v_mov_b32_e32 v28, 2
	v_pk_mov_b32 v[6:7], s[42:43], s[42:43] op_sel:[0,1]
	;;#ASMSTART
	global_store_dwordx4 v[6:7], v[26:29] off	
s_waitcnt vmcnt(0)
	;;#ASMEND
	v_mov_b32_e32 v8, s7
	v_mov_b32_e32 v9, s56
	ds_write_b128 v29, v[8:11] offset:1024
.LBB876_83:
	s_or_b64 exec, exec, s[30:31]
	v_cmp_eq_u32_e32 vcc, 0, v0
	s_and_b64 exec, exec, vcc
	s_cbranch_execz .LBB876_85
; %bb.84:
	v_mov_b32_e32 v6, 0
	ds_write_b64 v6, v[10:11] offset:1064
.LBB876_85:
	s_or_b64 exec, exec, s[36:37]
	v_mov_b32_e32 v8, 0
	s_waitcnt lgkmcnt(0)
	s_barrier
	ds_read_b64 v[6:7], v8 offset:1064
	v_cndmask_b32_e64 v10, v32, v16, s[26:27]
	v_cmp_eq_u32_e32 vcc, 0, v10
	v_cndmask_b32_e64 v9, v33, v17, s[26:27]
	s_waitcnt lgkmcnt(0)
	v_cndmask_b32_e32 v11, 0, v7, vcc
	v_add_u32_e32 v9, v11, v9
	v_cmp_eq_u32_e32 vcc, 0, v0
	v_cndmask_b32_e32 v55, v9, v7, vcc
	v_cndmask_b32_e64 v7, v10, 0, vcc
	v_cmp_eq_u32_e32 vcc, 0, v69
	v_add_u32_e32 v54, v6, v7
	v_cndmask_b32_e32 v6, 0, v55, vcc
	v_add_u32_e32 v53, v6, v24
	v_cndmask_b32_e64 v6, 0, v53, s[24:25]
	v_add_u32_e32 v51, v6, v25
	v_cndmask_b32_e64 v6, 0, v51, s[22:23]
	;; [unrolled: 2-line block ×8, first 2 shown]
	v_add_u32_e32 v52, v54, v69
	v_add_u32_e32 v37, v6, v72
	v_add_u32_e32 v50, v52, v67
	v_cndmask_b32_e64 v6, 0, v37, s[8:9]
	v_add_u32_e32 v48, v50, v68
	v_add_u32_e32 v35, v6, v21
	v_add_u32_e32 v46, v48, v66
	v_cndmask_b32_e64 v6, 0, v35, s[28:29]
	;; [unrolled: 4-line block ×3, first 2 shown]
	v_add_u32_e32 v40, v42, v65
	v_add_u32_e32 v31, v6, v18
	s_barrier
	ds_read_b128 v[6:9], v8 offset:1024
	v_add_u32_e32 v38, v40, v64
	v_add_u32_e32 v36, v38, v57
	;; [unrolled: 1-line block ×4, first 2 shown]
	v_cndmask_b32_e64 v10, 0, v31, s[2:3]
	v_add_u32_e32 v30, v32, v61
	v_add_u32_e32 v29, v10, v70
	s_waitcnt lgkmcnt(0)
	v_cmp_eq_u32_e32 vcc, 0, v6
	v_add_u32_e32 v28, v30, v15
	v_cndmask_b32_e64 v10, 0, v29, s[0:1]
	v_cndmask_b32_e32 v9, 0, v9, vcc
	v_add_u32_e32 v26, v28, v58
	v_add_u32_e32 v27, v10, v19
	;; [unrolled: 1-line block ×3, first 2 shown]
	s_branch .LBB876_98
.LBB876_86:
                                        ; implicit-def: $vgpr6
                                        ; implicit-def: $vgpr16
                                        ; implicit-def: $vgpr54_vgpr55
                                        ; implicit-def: $vgpr52_vgpr53
                                        ; implicit-def: $vgpr50_vgpr51
                                        ; implicit-def: $vgpr48_vgpr49
                                        ; implicit-def: $vgpr46_vgpr47
                                        ; implicit-def: $vgpr44_vgpr45
                                        ; implicit-def: $vgpr42_vgpr43
                                        ; implicit-def: $vgpr40_vgpr41
                                        ; implicit-def: $vgpr38_vgpr39
                                        ; implicit-def: $vgpr36_vgpr37
                                        ; implicit-def: $vgpr34_vgpr35
                                        ; implicit-def: $vgpr32_vgpr33
                                        ; implicit-def: $vgpr30_vgpr31
                                        ; implicit-def: $vgpr28_vgpr29
                                        ; implicit-def: $vgpr26_vgpr27
	s_cbranch_execz .LBB876_98
; %bb.87:
	s_and_b64 s[0:1], s[34:35], exec
	s_cselect_b32 s1, 0, s55
	s_cselect_b32 s0, 0, s54
	s_cmp_eq_u64 s[0:1], 0
	v_mov_b32_e32 v10, v24
	s_cbranch_scc1 .LBB876_89
; %bb.88:
	v_mov_b32_e32 v6, 0
	global_load_dword v10, v6, s[0:1]
.LBB876_89:
	v_cmp_eq_u32_e64 s[0:1], 0, v67
	v_cndmask_b32_e64 v6, 0, v24, s[0:1]
	v_add_u32_e32 v6, v6, v25
	v_cmp_eq_u32_e64 s[2:3], 0, v68
	v_cndmask_b32_e64 v6, 0, v6, s[2:3]
	v_add_u32_e32 v6, v6, v75
	;; [unrolled: 3-line block ×11, first 2 shown]
	v_cmp_eq_u32_e64 s[22:23], 0, v15
	v_cndmask_b32_e64 v6, 0, v6, s[22:23]
	v_add3_u32 v7, v80, v60, v65
	v_add_u32_e32 v6, v6, v70
	v_cmp_eq_u32_e32 vcc, 0, v58
	v_add3_u32 v7, v7, v64, v57
	v_cndmask_b32_e32 v6, 0, v6, vcc
	v_add3_u32 v7, v7, v56, v62
	v_add_u32_e32 v6, v6, v19
	v_cmp_eq_u32_e64 s[24:25], 0, v59
	v_add3_u32 v7, v7, v61, v15
	v_cndmask_b32_e64 v6, 0, v6, s[24:25]
	v_add3_u32 v7, v7, v58, v59
	v_add_u32_e32 v6, v6, v76
	v_mbcnt_hi_u32_b32 v11, -1, v79
	v_and_b32_e32 v8, 15, v11
	v_mov_b32_dpp v16, v6 row_shr:1 row_mask:0xf bank_mask:0xf
	v_cmp_eq_u32_e64 s[24:25], 0, v7
	v_mov_b32_dpp v9, v7 row_shr:1 row_mask:0xf bank_mask:0xf
	v_cndmask_b32_e64 v16, 0, v16, s[24:25]
	v_cmp_eq_u32_e64 s[24:25], 0, v8
	v_cndmask_b32_e64 v9, v9, 0, s[24:25]
	v_add_u32_e32 v7, v9, v7
	v_cndmask_b32_e64 v9, v16, 0, s[24:25]
	v_add_u32_e32 v6, v9, v6
	v_cmp_eq_u32_e64 s[24:25], 0, v7
	v_mov_b32_dpp v9, v7 row_shr:2 row_mask:0xf bank_mask:0xf
	v_cmp_lt_u32_e64 s[26:27], 1, v8
	v_mov_b32_dpp v16, v6 row_shr:2 row_mask:0xf bank_mask:0xf
	v_cndmask_b32_e64 v9, 0, v9, s[26:27]
	s_and_b64 s[24:25], s[26:27], s[24:25]
	v_cndmask_b32_e64 v16, 0, v16, s[24:25]
	v_add_u32_e32 v7, v7, v9
	v_add_u32_e32 v6, v16, v6
	v_cmp_eq_u32_e64 s[24:25], 0, v7
	v_mov_b32_dpp v9, v7 row_shr:4 row_mask:0xf bank_mask:0xf
	v_cmp_lt_u32_e64 s[26:27], 3, v8
	v_mov_b32_dpp v16, v6 row_shr:4 row_mask:0xf bank_mask:0xf
	v_cndmask_b32_e64 v9, 0, v9, s[26:27]
	s_and_b64 s[24:25], s[26:27], s[24:25]
	v_cndmask_b32_e64 v16, 0, v16, s[24:25]
	v_add_u32_e32 v7, v9, v7
	v_add_u32_e32 v6, v6, v16
	v_cmp_eq_u32_e64 s[24:25], 0, v7
	v_cmp_lt_u32_e64 s[26:27], 7, v8
	v_mov_b32_dpp v9, v7 row_shr:8 row_mask:0xf bank_mask:0xf
	v_mov_b32_dpp v16, v6 row_shr:8 row_mask:0xf bank_mask:0xf
	s_and_b64 s[24:25], s[26:27], s[24:25]
	v_cndmask_b32_e64 v8, 0, v9, s[26:27]
	v_cndmask_b32_e64 v9, 0, v16, s[24:25]
	v_add_u32_e32 v6, v9, v6
	v_add_u32_e32 v7, v8, v7
	v_bfe_i32 v16, v11, 4, 1
	v_mov_b32_dpp v9, v6 row_bcast:15 row_mask:0xf bank_mask:0xf
	v_mov_b32_dpp v8, v7 row_bcast:15 row_mask:0xf bank_mask:0xf
	v_cmp_eq_u32_e64 s[24:25], 0, v7
	v_cndmask_b32_e64 v9, 0, v9, s[24:25]
	v_and_b32_e32 v8, v16, v8
	v_add_u32_e32 v7, v8, v7
	v_and_b32_e32 v8, v16, v9
	v_add_u32_e32 v8, v8, v6
	v_mov_b32_dpp v6, v7 row_bcast:31 row_mask:0xf bank_mask:0xf
	v_cmp_eq_u32_e64 s[24:25], 0, v7
	v_cmp_lt_u32_e64 s[26:27], 31, v11
	v_mov_b32_dpp v9, v8 row_bcast:31 row_mask:0xf bank_mask:0xf
	v_cndmask_b32_e64 v6, 0, v6, s[26:27]
	s_and_b64 s[24:25], s[26:27], s[24:25]
	v_add_u32_e32 v6, v6, v7
	v_cndmask_b32_e64 v7, 0, v9, s[24:25]
	v_add_u32_e32 v7, v7, v8
	v_cmp_eq_u32_e64 s[24:25], v78, v0
	s_and_saveexec_b64 s[26:27], s[24:25]
	s_cbranch_execz .LBB876_91
; %bb.90:
	v_lshlrev_b32_e32 v8, 3, v77
	ds_write_b64 v8, v[6:7] offset:1040
.LBB876_91:
	s_or_b64 exec, exec, s[26:27]
	v_cmp_gt_u32_e64 s[24:25], 4, v0
	s_waitcnt lgkmcnt(0)
	s_barrier
	s_and_saveexec_b64 s[28:29], s[24:25]
	s_cbranch_execz .LBB876_93
; %bb.92:
	v_lshlrev_b32_e32 v16, 3, v0
	ds_read_b64 v[8:9], v16 offset:1040
	v_and_b32_e32 v17, 3, v11
	v_cmp_lt_u32_e64 s[26:27], 1, v17
	s_waitcnt lgkmcnt(0)
	v_mov_b32_dpp v27, v9 row_shr:1 row_mask:0xf bank_mask:0xf
	v_cmp_eq_u32_e64 s[24:25], 0, v8
	v_mov_b32_dpp v26, v8 row_shr:1 row_mask:0xf bank_mask:0xf
	v_cndmask_b32_e64 v27, 0, v27, s[24:25]
	v_cmp_eq_u32_e64 s[24:25], 0, v17
	v_cndmask_b32_e64 v26, v26, 0, s[24:25]
	v_add_u32_e32 v8, v26, v8
	v_cndmask_b32_e64 v26, v27, 0, s[24:25]
	v_add_u32_e32 v9, v26, v9
	v_cmp_eq_u32_e64 s[24:25], 0, v8
	v_mov_b32_dpp v26, v8 row_shr:2 row_mask:0xf bank_mask:0xf
	v_mov_b32_dpp v27, v9 row_shr:2 row_mask:0xf bank_mask:0xf
	v_cndmask_b32_e64 v17, 0, v26, s[26:27]
	s_and_b64 s[24:25], s[26:27], s[24:25]
	v_add_u32_e32 v8, v17, v8
	v_cndmask_b32_e64 v17, 0, v27, s[24:25]
	v_add_u32_e32 v9, v17, v9
	ds_write_b64 v16, v[8:9] offset:1040
.LBB876_93:
	s_or_b64 exec, exec, s[28:29]
	v_cmp_lt_u32_e64 s[24:25], 63, v0
	v_mov_b32_e32 v16, 0
	v_mov_b32_e32 v8, 0
	s_waitcnt vmcnt(0)
	v_mov_b32_e32 v9, v10
	s_waitcnt lgkmcnt(0)
	s_barrier
	s_and_saveexec_b64 s[26:27], s[24:25]
	s_cbranch_execz .LBB876_95
; %bb.94:
	v_lshlrev_b32_e32 v8, 3, v77
	ds_read_b64 v[8:9], v8 offset:1032
	s_waitcnt lgkmcnt(0)
	v_cmp_eq_u32_e64 s[24:25], 0, v8
	v_cndmask_b32_e64 v17, 0, v10, s[24:25]
	v_add_u32_e32 v9, v17, v9
.LBB876_95:
	s_or_b64 exec, exec, s[26:27]
	v_cmp_eq_u32_e64 s[24:25], 0, v6
	v_add_u32_e32 v17, v8, v6
	v_cndmask_b32_e64 v6, 0, v9, s[24:25]
	v_add_u32_e32 v6, v6, v7
	v_add_u32_e32 v7, -1, v11
	v_and_b32_e32 v26, 64, v11
	v_cmp_lt_i32_e64 s[24:25], v7, v26
	v_cndmask_b32_e64 v7, v7, v11, s[24:25]
	v_lshlrev_b32_e32 v7, 2, v7
	ds_bpermute_b32 v17, v7, v17
	ds_bpermute_b32 v6, v7, v6
	v_cmp_eq_u32_e64 s[24:25], 0, v11
	v_cmp_eq_u32_e64 s[26:27], 0, v69
	s_waitcnt lgkmcnt(1)
	v_cndmask_b32_e64 v7, v17, v8, s[24:25]
	s_waitcnt lgkmcnt(0)
	v_cndmask_b32_e64 v6, v6, v9, s[24:25]
	v_cmp_eq_u32_e64 s[24:25], 0, v0
	v_cndmask_b32_e64 v55, v6, v10, s[24:25]
	v_cndmask_b32_e64 v6, 0, v55, s[26:27]
	v_add_u32_e32 v53, v6, v24
	v_cndmask_b32_e64 v6, 0, v53, s[0:1]
	v_add_u32_e32 v51, v6, v25
	;; [unrolled: 2-line block ×8, first 2 shown]
	v_cndmask_b32_e64 v54, v7, 0, s[24:25]
	v_cndmask_b32_e64 v6, 0, v39, s[14:15]
	v_add_u32_e32 v52, v54, v69
	v_add_u32_e32 v37, v6, v72
	v_add_u32_e32 v50, v52, v67
	v_cndmask_b32_e64 v6, 0, v37, s[16:17]
	v_add_u32_e32 v48, v50, v68
	v_add_u32_e32 v35, v6, v21
	v_add_u32_e32 v46, v48, v66
	;; [unrolled: 4-line block ×3, first 2 shown]
	v_cndmask_b32_e64 v6, 0, v33, s[20:21]
	v_add_u32_e32 v40, v42, v65
	v_add_u32_e32 v31, v6, v18
	ds_read_b64 v[6:7], v16 offset:1064
	v_add_u32_e32 v38, v40, v64
	v_add_u32_e32 v36, v38, v57
	;; [unrolled: 1-line block ×3, first 2 shown]
	v_cndmask_b32_e64 v8, 0, v31, s[22:23]
	v_add_u32_e32 v32, v34, v62
	v_add_u32_e32 v29, v8, v70
	;; [unrolled: 1-line block ×3, first 2 shown]
	v_cndmask_b32_e32 v8, 0, v29, vcc
	s_waitcnt lgkmcnt(0)
	v_cmp_eq_u32_e32 vcc, 0, v6
	v_add_u32_e32 v28, v30, v15
	v_add_u32_e32 v27, v8, v19
	v_cndmask_b32_e32 v8, 0, v10, vcc
	v_add_u32_e32 v26, v28, v58
	v_add_u32_e32 v16, v8, v7
	s_and_saveexec_b64 s[0:1], s[24:25]
	s_cbranch_execz .LBB876_97
; %bb.96:
	s_add_u32 s2, s40, 0x400
	v_and_b32_e32 v7, 0xff000000, v16
	v_and_b32_e32 v8, 0xff0000, v16
	s_addc_u32 s3, s41, 0
	v_or_b32_e32 v7, v8, v7
	v_and_b32_e32 v8, 0xff00, v16
	v_and_b32_e32 v10, 0xff, v16
	v_mov_b32_e32 v9, 0
	v_or3_b32 v7, v7, v8, v10
	v_mov_b32_e32 v8, 2
	v_pk_mov_b32 v[10:11], s[2:3], s[2:3] op_sel:[0,1]
	;;#ASMSTART
	global_store_dwordx4 v[10:11], v[6:9] off	
s_waitcnt vmcnt(0)
	;;#ASMEND
.LBB876_97:
	s_or_b64 exec, exec, s[0:1]
	v_mov_b32_e32 v8, 0
.LBB876_98:
	s_and_b64 s[0:1], s[34:35], exec
	s_cselect_b32 s1, 0, s39
	s_cselect_b32 s0, 0, s38
	s_cmp_eq_u64 s[0:1], 0
	v_pk_mov_b32 v[18:19], 0, 0
	s_barrier
	s_cbranch_scc1 .LBB876_100
; %bb.99:
	v_mov_b32_e32 v7, 0
	global_load_dwordx2 v[18:19], v7, s[0:1]
.LBB876_100:
	s_waitcnt vmcnt(0)
	v_lshlrev_b64 v[10:11], 1, v[18:19]
	v_mov_b32_e32 v7, s49
	v_add_co_u32_e32 v17, vcc, s48, v10
	v_mov_b32_e32 v9, 0
	v_addc_co_u32_e32 v20, vcc, v7, v11, vcc
	v_lshlrev_b64 v[10:11], 1, v[8:9]
	v_add_co_u32_e32 v7, vcc, v17, v10
	v_addc_co_u32_e32 v17, vcc, v20, v11, vcc
	v_cmp_eq_u32_e32 vcc, 0, v69
	v_cndmask_b32_e64 v10, 1, 2, vcc
	v_cmp_eq_u32_e32 vcc, 0, v67
	v_cndmask_b32_e64 v11, 1, 2, vcc
	v_cmp_eq_u32_e32 vcc, 0, v68
	v_and_b32_e32 v10, v11, v10
	v_cndmask_b32_e64 v11, 1, 2, vcc
	v_cmp_eq_u32_e32 vcc, 0, v66
	v_and_b32_e32 v10, v10, v11
	;; [unrolled: 3-line block ×13, first 2 shown]
	v_cndmask_b32_e64 v11, 1, 2, vcc
	s_movk_i32 s30, 0x100
	v_and_b32_e32 v10, v10, v11
	v_cmp_gt_u32_e32 vcc, s30, v6
	v_cmp_ne_u32_e64 s[28:29], 0, v69
	v_cmp_ne_u32_e64 s[26:27], 0, v67
	v_cmp_ne_u32_e64 s[24:25], 0, v68
	v_cmp_ne_u32_e64 s[22:23], 0, v66
	v_cmp_ne_u32_e64 s[20:21], 0, v63
	v_cmp_ne_u32_e64 s[18:19], 0, v60
	v_cmp_ne_u32_e64 s[16:17], 0, v65
	v_cmp_ne_u32_e64 s[14:15], 0, v64
	v_cmp_ne_u32_e64 s[12:13], 0, v57
	v_cmp_ne_u32_e64 s[10:11], 0, v56
	v_cmp_ne_u32_e64 s[8:9], 0, v62
	v_cmp_ne_u32_e64 s[6:7], 0, v61
	v_cmp_ne_u32_e64 s[4:5], 0, v15
	v_cmp_ne_u32_e64 s[2:3], 0, v58
	v_cmp_ne_u32_e64 s[0:1], 0, v59
	s_mov_b64 s[34:35], -1
	v_cmp_gt_i16_e64 s[30:31], 2, v10
	s_cbranch_vccz .LBB876_107
; %bb.101:
	s_and_saveexec_b64 s[34:35], s[30:31]
	s_cbranch_execz .LBB876_106
; %bb.102:
	v_cmp_ne_u16_e32 vcc, 1, v10
	s_mov_b64 s[36:37], 0
	s_and_saveexec_b64 s[30:31], vcc
	s_xor_b64 s[30:31], exec, s[30:31]
	s_cbranch_execnz .LBB876_151
; %bb.103:
	s_andn2_saveexec_b64 s[30:31], s[30:31]
	s_cbranch_execnz .LBB876_167
.LBB876_104:
	s_or_b64 exec, exec, s[30:31]
	s_and_b64 exec, exec, s[36:37]
	s_cbranch_execz .LBB876_106
.LBB876_105:
	v_sub_u32_e32 v20, v26, v8
	v_mov_b32_e32 v21, 0
	v_lshlrev_b64 v[20:21], 1, v[20:21]
	v_add_co_u32_e32 v20, vcc, v7, v20
	v_addc_co_u32_e32 v21, vcc, v17, v21, vcc
	global_store_short v[20:21], v1, off
.LBB876_106:
	s_or_b64 exec, exec, s[34:35]
	s_mov_b64 s[34:35], 0
.LBB876_107:
	s_and_b64 vcc, exec, s[34:35]
	s_cbranch_vccz .LBB876_129
; %bb.108:
	v_cmp_gt_i16_e32 vcc, 2, v10
	s_and_saveexec_b64 s[30:31], vcc
	s_cbranch_execz .LBB876_113
; %bb.109:
	v_cmp_ne_u16_e32 vcc, 1, v10
	s_mov_b64 s[36:37], 0
	s_and_saveexec_b64 s[34:35], vcc
	s_xor_b64 s[34:35], exec, s[34:35]
	s_cbranch_execnz .LBB876_168
; %bb.110:
	s_andn2_saveexec_b64 s[0:1], s[34:35]
	s_cbranch_execnz .LBB876_184
.LBB876_111:
	s_or_b64 exec, exec, s[0:1]
	s_and_b64 exec, exec, s[36:37]
	s_cbranch_execz .LBB876_113
.LBB876_112:
	v_sub_u32_e32 v2, v26, v8
	v_lshlrev_b32_e32 v2, 1, v2
	ds_write_b16 v2, v1
.LBB876_113:
	s_or_b64 exec, exec, s[30:31]
	v_cmp_lt_u32_e32 vcc, v0, v6
	s_waitcnt lgkmcnt(0)
	s_barrier
	s_and_saveexec_b64 s[2:3], vcc
	s_cbranch_execz .LBB876_128
; %bb.114:
	v_xad_u32 v1, v0, -1, v6
	s_movk_i32 s0, 0x1700
	v_cmp_gt_u32_e64 s[4:5], s0, v1
	s_movk_i32 s0, 0x16ff
	v_cmp_lt_u32_e32 vcc, s0, v1
	v_mov_b32_e32 v2, v0
	s_and_saveexec_b64 s[6:7], vcc
	s_cbranch_execz .LBB876_125
; %bb.115:
	v_sub_u32_e32 v2, v0, v6
	v_or_b32_e32 v2, 0xff, v2
	v_cmp_ge_u32_e32 vcc, v2, v0
	s_mov_b64 s[0:1], -1
	v_mov_b32_e32 v2, v0
	s_and_saveexec_b64 s[8:9], vcc
	s_cbranch_execz .LBB876_124
; %bb.116:
	v_lshrrev_b32_e32 v14, 8, v1
	v_or_b32_e32 v3, 0x300, v0
	v_or_b32_e32 v2, 0x200, v0
	v_add_u32_e32 v4, -3, v14
	v_or_b32_e32 v1, 0x100, v0
	v_lshrrev_b32_e32 v5, 2, v4
	v_pk_mov_b32 v[12:13], v[2:3], v[2:3] op_sel:[0,1]
	v_add_u32_e32 v21, 1, v5
	v_cmp_lt_u32_e32 vcc, 11, v4
	v_mov_b32_e32 v24, 0
	v_lshlrev_b32_e32 v20, 1, v0
	v_pk_mov_b32 v[10:11], v[0:1], v[0:1] op_sel:[0,1]
	s_and_saveexec_b64 s[10:11], vcc
	s_cbranch_execz .LBB876_120
; %bb.117:
	v_pk_mov_b32 v[12:13], v[2:3], v[2:3] op_sel:[0,1]
	v_and_b32_e32 v22, 0x7ffffffc, v21
	s_mov_b32 s14, 0
	s_mov_b64 s[12:13], 0
	v_mov_b32_e32 v5, 0
	v_mov_b32_e32 v23, v20
	v_pk_mov_b32 v[10:11], v[0:1], v[0:1] op_sel:[0,1]
.LBB876_118:                            ; =>This Inner Loop Header: Depth=1
	v_mov_b32_e32 v4, v10
	v_lshlrev_b64 v[84:85], 1, v[4:5]
	v_add_u32_e32 v70, 0x400, v11
	v_mov_b32_e32 v71, v5
	v_add_co_u32_e64 v84, s[0:1], v7, v84
	v_lshlrev_b64 v[70:71], 1, v[70:71]
	v_addc_co_u32_e64 v85, s[0:1], v17, v85, s[0:1]
	v_add_u32_e32 v24, 0x400, v12
	v_mov_b32_e32 v25, v5
	v_add_co_u32_e64 v70, s[0:1], v7, v70
	v_lshlrev_b64 v[86:87], 1, v[24:25]
	v_addc_co_u32_e64 v71, s[0:1], v17, v71, s[0:1]
	v_add_u32_e32 v2, 0x400, v13
	v_mov_b32_e32 v3, v5
	v_add_co_u32_e64 v86, s[0:1], v7, v86
	v_add_u32_e32 v22, -4, v22
	v_mov_b32_e32 v4, v11
	v_lshlrev_b64 v[2:3], 1, v[2:3]
	v_addc_co_u32_e64 v87, s[0:1], v17, v87, s[0:1]
	v_add_u32_e32 v76, 0x800, v11
	v_mov_b32_e32 v77, v5
	s_add_i32 s14, s14, 16
	v_cmp_eq_u32_e32 vcc, 0, v22
	v_lshlrev_b64 v[88:89], 1, v[4:5]
	v_add_co_u32_e64 v2, s[0:1], v7, v2
	v_lshlrev_b64 v[76:77], 1, v[76:77]
	v_mov_b32_e32 v4, v12
	v_addc_co_u32_e64 v3, s[0:1], v17, v3, s[0:1]
	s_or_b64 s[12:13], vcc, s[12:13]
	v_add_co_u32_e32 v88, vcc, v7, v88
	v_add_u32_e32 v74, 0x800, v12
	v_mov_b32_e32 v75, v5
	v_add_co_u32_e64 v76, s[0:1], v7, v76
	v_addc_co_u32_e32 v89, vcc, v17, v89, vcc
	v_lshlrev_b64 v[90:91], 1, v[4:5]
	v_lshlrev_b64 v[74:75], 1, v[74:75]
	v_addc_co_u32_e64 v77, s[0:1], v17, v77, s[0:1]
	v_mov_b32_e32 v4, v13
	v_add_co_u32_e32 v90, vcc, v7, v90
	ds_read_u16 v1, v23
	ds_read_u16 v94, v23 offset:512
	ds_read_u16 v95, v23 offset:1024
	;; [unrolled: 1-line block ×7, first 2 shown]
	v_add_u32_e32 v72, 0x800, v13
	v_mov_b32_e32 v73, v5
	v_add_co_u32_e64 v74, s[0:1], v7, v74
	v_addc_co_u32_e32 v91, vcc, v17, v91, vcc
	v_lshlrev_b64 v[92:93], 1, v[4:5]
	v_lshlrev_b64 v[72:73], 1, v[72:73]
	v_addc_co_u32_e64 v75, s[0:1], v17, v75, s[0:1]
	v_add_u32_e32 v4, 0x400, v10
	v_add_co_u32_e32 v92, vcc, v7, v92
	v_add_u32_e32 v82, 0xc00, v11
	v_mov_b32_e32 v83, v5
	ds_read_u16 v101, v23 offset:4096
	ds_read_u16 v102, v23 offset:4608
	;; [unrolled: 1-line block ×8, first 2 shown]
	v_add_co_u32_e64 v72, s[0:1], v7, v72
	v_addc_co_u32_e32 v93, vcc, v17, v93, vcc
	s_waitcnt lgkmcnt(14)
	global_store_short v[84:85], v1, off
	global_store_short v[88:89], v94, off
	s_waitcnt lgkmcnt(13)
	global_store_short v[90:91], v95, off
	v_lshlrev_b64 v[84:85], 1, v[4:5]
	v_lshlrev_b64 v[82:83], 1, v[82:83]
	v_addc_co_u32_e64 v73, s[0:1], v17, v73, s[0:1]
	v_add_u32_e32 v4, 0x800, v10
	v_add_co_u32_e32 v84, vcc, v7, v84
	v_add_u32_e32 v80, 0xc00, v12
	v_mov_b32_e32 v81, v5
	v_add_co_u32_e64 v82, s[0:1], v7, v82
	v_addc_co_u32_e32 v85, vcc, v17, v85, vcc
	v_lshlrev_b64 v[88:89], 1, v[4:5]
	v_lshlrev_b64 v[80:81], 1, v[80:81]
	v_addc_co_u32_e64 v83, s[0:1], v17, v83, s[0:1]
	s_waitcnt lgkmcnt(12)
	global_store_short v[92:93], v96, off
	v_add_u32_e32 v4, 0xc00, v10
	s_waitcnt lgkmcnt(11)
	global_store_short v[84:85], v97, off
	s_waitcnt lgkmcnt(10)
	global_store_short v[70:71], v98, off
	;; [unrolled: 2-line block ×4, first 2 shown]
	v_add_co_u32_e32 v2, vcc, v7, v88
	v_add_u32_e32 v78, 0xc00, v13
	v_mov_b32_e32 v79, v5
	v_add_co_u32_e64 v80, s[0:1], v7, v80
	v_addc_co_u32_e32 v3, vcc, v17, v89, vcc
	v_lshlrev_b64 v[70:71], 1, v[4:5]
	v_lshlrev_b64 v[78:79], 1, v[78:79]
	v_addc_co_u32_e64 v81, s[0:1], v17, v81, s[0:1]
	s_waitcnt lgkmcnt(7)
	global_store_short v[2:3], v101, off
	s_waitcnt lgkmcnt(6)
	global_store_short v[76:77], v102, off
	;; [unrolled: 2-line block ×4, first 2 shown]
	v_add_co_u32_e32 v2, vcc, v7, v70
	v_add_u32_e32 v23, 0x2000, v23
	v_add_u32_e32 v11, 0x1000, v11
	v_mov_b32_e32 v24, s14
	v_add_co_u32_e64 v78, s[0:1], v7, v78
	v_add_u32_e32 v12, 0x1000, v12
	v_add_u32_e32 v13, 0x1000, v13
	;; [unrolled: 1-line block ×3, first 2 shown]
	v_addc_co_u32_e32 v3, vcc, v17, v71, vcc
	v_addc_co_u32_e64 v79, s[0:1], v17, v79, s[0:1]
	s_waitcnt lgkmcnt(3)
	global_store_short v[2:3], v105, off
	s_waitcnt lgkmcnt(2)
	global_store_short v[82:83], v106, off
	;; [unrolled: 2-line block ×4, first 2 shown]
	s_andn2_b64 exec, exec, s[12:13]
	s_cbranch_execnz .LBB876_118
; %bb.119:
	s_or_b64 exec, exec, s[12:13]
.LBB876_120:
	s_or_b64 exec, exec, s[10:11]
	v_and_b32_e32 v1, 3, v21
	v_cmp_ne_u32_e32 vcc, 0, v1
	s_and_saveexec_b64 s[10:11], vcc
	s_cbranch_execz .LBB876_123
; %bb.121:
	v_lshl_or_b32 v4, v24, 9, v20
	s_mov_b64 s[12:13], 0
	v_mov_b32_e32 v3, 0
.LBB876_122:                            ; =>This Inner Loop Header: Depth=1
	v_mov_b32_e32 v2, v10
	v_add_u32_e32 v1, -1, v1
	v_lshlrev_b64 v[20:21], 1, v[2:3]
	v_mov_b32_e32 v2, v11
	v_cmp_eq_u32_e32 vcc, 0, v1
	v_lshlrev_b64 v[22:23], 1, v[2:3]
	ds_read_u16 v5, v4
	ds_read_u16 v72, v4 offset:512
	ds_read_u16 v73, v4 offset:1024
	;; [unrolled: 1-line block ×3, first 2 shown]
	v_mov_b32_e32 v2, v12
	s_or_b64 s[12:13], vcc, s[12:13]
	v_add_co_u32_e32 v22, vcc, v7, v22
	v_addc_co_u32_e32 v23, vcc, v17, v23, vcc
	v_lshlrev_b64 v[24:25], 1, v[2:3]
	v_mov_b32_e32 v2, v13
	v_add_co_u32_e32 v24, vcc, v7, v24
	v_add_co_u32_e64 v20, s[0:1], v7, v20
	v_addc_co_u32_e32 v25, vcc, v17, v25, vcc
	v_lshlrev_b64 v[70:71], 1, v[2:3]
	v_add_u32_e32 v10, 0x400, v10
	v_add_u32_e32 v4, 0x800, v4
	;; [unrolled: 1-line block ×3, first 2 shown]
	v_addc_co_u32_e64 v21, s[0:1], v17, v21, s[0:1]
	v_add_u32_e32 v12, 0x400, v12
	v_add_u32_e32 v13, 0x400, v13
	v_add_co_u32_e32 v70, vcc, v7, v70
	v_addc_co_u32_e32 v71, vcc, v17, v71, vcc
	s_waitcnt lgkmcnt(3)
	global_store_short v[20:21], v5, off
	s_waitcnt lgkmcnt(2)
	global_store_short v[22:23], v72, off
	;; [unrolled: 2-line block ×4, first 2 shown]
	s_andn2_b64 exec, exec, s[12:13]
	s_cbranch_execnz .LBB876_122
.LBB876_123:
	s_or_b64 exec, exec, s[10:11]
	v_add_u32_e32 v1, 1, v14
	v_and_b32_e32 v3, 0x1fffffc, v1
	v_cmp_ne_u32_e32 vcc, v1, v3
	v_lshl_or_b32 v2, v3, 8, v0
	s_orn2_b64 s[0:1], vcc, exec
.LBB876_124:
	s_or_b64 exec, exec, s[8:9]
	s_andn2_b64 s[4:5], s[4:5], exec
	s_and_b64 s[0:1], s[0:1], exec
	s_or_b64 s[4:5], s[4:5], s[0:1]
.LBB876_125:
	s_or_b64 exec, exec, s[6:7]
	s_and_b64 exec, exec, s[4:5]
	s_cbranch_execz .LBB876_128
; %bb.126:
	v_lshlrev_b32_e32 v1, 1, v2
	s_mov_b64 s[0:1], 0
	v_mov_b32_e32 v3, 0
.LBB876_127:                            ; =>This Inner Loop Header: Depth=1
	v_lshlrev_b64 v[4:5], 1, v[2:3]
	ds_read_u16 v10, v1
	v_add_co_u32_e32 v4, vcc, v7, v4
	v_add_u32_e32 v2, 0x100, v2
	v_addc_co_u32_e32 v5, vcc, v17, v5, vcc
	v_cmp_ge_u32_e32 vcc, v2, v6
	v_add_u32_e32 v1, 0x200, v1
	s_or_b64 s[0:1], vcc, s[0:1]
	s_waitcnt lgkmcnt(0)
	global_store_short v[4:5], v10, off
	s_andn2_b64 exec, exec, s[0:1]
	s_cbranch_execnz .LBB876_127
.LBB876_128:
	s_or_b64 exec, exec, s[2:3]
.LBB876_129:
	s_cmpk_lg_i32 s33, 0xf00
	s_cselect_b64 s[0:1], -1, 0
	v_cndmask_b32_e64 v10, 0, 1, s[46:47]
	s_and_b64 s[0:1], s[44:45], s[0:1]
	v_cmp_eq_u32_e32 vcc, 0, v0
	v_sub_u32_e32 v1, v6, v10
	v_cndmask_b32_e64 v2, 0, 1, s[0:1]
	s_and_b64 s[0:1], vcc, s[46:47]
	v_add_u32_e32 v1, v1, v2
	v_cndmask_b32_e64 v2, v69, 0, s[0:1]
	s_mul_hi_u32 s0, s33, 0x88888889
	s_lshr_b32 s0, s0, 3
	v_mad_i32_i24 v3, v0, -15, s33
	v_cmp_eq_u32_e32 vcc, s0, v0
	v_cmp_ne_u32_e64 s[0:1], 0, v3
	v_cndmask_b32_e64 v4, 1, v2, s[0:1]
	v_cmp_ne_u32_e64 s[0:1], 1, v3
	v_cndmask_b32_e64 v5, 1, v67, s[0:1]
	;; [unrolled: 2-line block ×15, first 2 shown]
	s_and_b64 vcc, s[44:45], vcc
	v_cndmask_b32_e32 v59, v59, v3, vcc
	v_cndmask_b32_e32 v20, v57, v20, vcc
	;; [unrolled: 1-line block ×3, first 2 shown]
	v_lshlrev_b64 v[2:3], 3, v[18:19]
	v_cndmask_b32_e32 v25, v58, v25, vcc
	v_cndmask_b32_e32 v15, v15, v24, vcc
	;; [unrolled: 1-line block ×12, first 2 shown]
	v_mov_b32_e32 v4, s51
	v_add_co_u32_e32 v5, vcc, s50, v2
	v_addc_co_u32_e32 v7, vcc, v4, v3, vcc
	v_lshlrev_b64 v[2:3], 3, v[8:9]
	v_add_co_u32_e32 v4, vcc, v5, v2
	v_addc_co_u32_e32 v5, vcc, v7, v3, vcc
	v_lshlrev_b32_e32 v2, 3, v10
	v_add_co_u32_e32 v2, vcc, v2, v4
	v_addc_co_u32_e32 v3, vcc, 0, v5, vcc
	v_add_co_u32_e32 v7, vcc, -8, v2
	v_addc_co_u32_e32 v9, vcc, -1, v3, vcc
	v_cmp_eq_u32_e32 vcc, 0, v57
	v_cndmask_b32_e64 v3, 1, 2, vcc
	v_cmp_eq_u32_e32 vcc, 0, v56
	v_add_u32_e32 v2, v8, v10
	v_cndmask_b32_e64 v10, 1, 2, vcc
	v_cmp_eq_u32_e32 vcc, 0, v24
	v_and_b32_e32 v3, v10, v3
	v_cndmask_b32_e64 v10, 1, 2, vcc
	v_cmp_eq_u32_e32 vcc, 0, v11
	v_and_b32_e32 v3, v3, v10
	;; [unrolled: 3-line block ×13, first 2 shown]
	v_cndmask_b32_e64 v10, 1, 2, vcc
	s_movk_i32 s30, 0x100
	v_and_b32_e32 v3, v3, v10
	v_cmp_gt_u32_e32 vcc, s30, v1
	v_cmp_ne_u32_e64 s[28:29], 0, v57
	v_cmp_ne_u32_e64 s[26:27], 0, v56
	;; [unrolled: 1-line block ×15, first 2 shown]
	s_mov_b64 s[34:35], -1
	v_cmp_gt_i16_e64 s[30:31], 2, v3
	s_barrier
	s_cbranch_vccz .LBB876_136
; %bb.130:
	s_and_saveexec_b64 s[34:35], s[30:31]
	s_cbranch_execz .LBB876_135
; %bb.131:
	v_cmp_ne_u16_e32 vcc, 1, v3
	s_mov_b64 s[36:37], 0
	s_and_saveexec_b64 s[30:31], vcc
	s_xor_b64 s[30:31], exec, s[30:31]
	s_cbranch_execnz .LBB876_185
; %bb.132:
	s_andn2_saveexec_b64 s[30:31], s[30:31]
	s_cbranch_execnz .LBB876_201
.LBB876_133:
	s_or_b64 exec, exec, s[30:31]
	s_and_b64 exec, exec, s[36:37]
	s_cbranch_execz .LBB876_135
.LBB876_134:
	v_mov_b32_e32 v11, 0
	v_sub_u32_e32 v12, v26, v2
	v_mov_b32_e32 v13, v11
	v_lshlrev_b64 v[12:13], 3, v[12:13]
	v_add_co_u32_e32 v12, vcc, v7, v12
	v_mov_b32_e32 v10, v27
	v_addc_co_u32_e32 v13, vcc, v9, v13, vcc
	global_store_dwordx2 v[12:13], v[10:11], off
.LBB876_135:
	s_or_b64 exec, exec, s[34:35]
	s_mov_b64 s[34:35], 0
.LBB876_136:
	s_and_b64 vcc, exec, s[34:35]
	s_cbranch_vccz .LBB876_146
; %bb.137:
	v_cmp_gt_i16_e32 vcc, 2, v3
	s_and_saveexec_b64 s[30:31], vcc
	s_cbranch_execz .LBB876_142
; %bb.138:
	v_cmp_ne_u16_e32 vcc, 1, v3
	s_mov_b64 s[36:37], 0
	s_and_saveexec_b64 s[34:35], vcc
	s_xor_b64 s[34:35], exec, s[34:35]
	s_cbranch_execnz .LBB876_202
; %bb.139:
	s_andn2_saveexec_b64 s[0:1], s[34:35]
	s_cbranch_execnz .LBB876_218
.LBB876_140:
	s_or_b64 exec, exec, s[0:1]
	s_and_b64 exec, exec, s[36:37]
	s_cbranch_execz .LBB876_142
.LBB876_141:
	v_sub_u32_e32 v2, v26, v2
	v_lshlrev_b32_e32 v2, 2, v2
	ds_write_b32 v2, v27
.LBB876_142:
	s_or_b64 exec, exec, s[30:31]
	v_cmp_lt_u32_e32 vcc, v0, v1
	s_waitcnt lgkmcnt(0)
	s_barrier
	s_and_saveexec_b64 s[0:1], vcc
	s_cbranch_execz .LBB876_145
; %bb.143:
	v_lshlrev_b32_e32 v10, 2, v0
	s_mov_b64 s[2:3], 0
	v_mov_b32_e32 v3, 0
	v_mov_b32_e32 v2, v0
.LBB876_144:                            ; =>This Inner Loop Header: Depth=1
	ds_read_b32 v12, v10
	v_lshlrev_b64 v[14:15], 3, v[2:3]
	v_add_co_u32_e32 v14, vcc, v7, v14
	v_add_u32_e32 v2, 0x100, v2
	v_addc_co_u32_e32 v15, vcc, v9, v15, vcc
	v_cmp_ge_u32_e32 vcc, v2, v1
	v_mov_b32_e32 v13, v3
	v_add_u32_e32 v10, 0x400, v10
	s_or_b64 s[2:3], vcc, s[2:3]
	s_waitcnt lgkmcnt(0)
	global_store_dwordx2 v[14:15], v[12:13], off
	s_andn2_b64 exec, exec, s[2:3]
	s_cbranch_execnz .LBB876_144
.LBB876_145:
	s_or_b64 exec, exec, s[0:1]
.LBB876_146:
	s_movk_i32 s0, 0xff
	v_cmp_eq_u32_e32 vcc, s0, v0
	s_and_b64 s[0:1], vcc, s[44:45]
	s_and_saveexec_b64 s[2:3], s[0:1]
	s_cbranch_execz .LBB876_149
; %bb.147:
	v_add_co_u32_e32 v0, vcc, v6, v8
	v_addc_co_u32_e64 v1, s[0:1], 0, 0, vcc
	v_add_co_u32_e32 v0, vcc, v0, v18
	v_mov_b32_e32 v7, 0
	v_addc_co_u32_e32 v1, vcc, v1, v19, vcc
	s_cmpk_lg_i32 s33, 0xf00
	global_store_dwordx2 v7, v[0:1], s[52:53]
	s_cbranch_scc1 .LBB876_149
; %bb.148:
	v_lshlrev_b64 v[0:1], 3, v[6:7]
	v_add_co_u32_e32 v0, vcc, v4, v0
	v_mov_b32_e32 v17, v7
	v_addc_co_u32_e32 v1, vcc, v5, v1, vcc
	global_store_dwordx2 v[0:1], v[16:17], off offset:-8
.LBB876_149:
	s_endpgm
.LBB876_150:
	s_or_b64 exec, exec, s[2:3]
	v_mov_b32_e32 v69, s7
	s_and_saveexec_b64 s[0:1], s[4:5]
	s_cbranch_execnz .LBB876_54
	s_branch .LBB876_55
.LBB876_151:
	s_and_saveexec_b64 s[36:37], s[28:29]
	s_cbranch_execnz .LBB876_219
; %bb.152:
	s_or_b64 exec, exec, s[36:37]
	s_and_saveexec_b64 s[36:37], s[26:27]
	s_cbranch_execnz .LBB876_220
.LBB876_153:
	s_or_b64 exec, exec, s[36:37]
	s_and_saveexec_b64 s[36:37], s[24:25]
	s_cbranch_execnz .LBB876_221
.LBB876_154:
	s_or_b64 exec, exec, s[36:37]
	s_and_saveexec_b64 s[36:37], s[22:23]
	s_cbranch_execnz .LBB876_222
.LBB876_155:
	s_or_b64 exec, exec, s[36:37]
	s_and_saveexec_b64 s[36:37], s[20:21]
	s_cbranch_execnz .LBB876_223
.LBB876_156:
	s_or_b64 exec, exec, s[36:37]
	s_and_saveexec_b64 s[36:37], s[18:19]
	s_cbranch_execnz .LBB876_224
.LBB876_157:
	s_or_b64 exec, exec, s[36:37]
	s_and_saveexec_b64 s[36:37], s[16:17]
	s_cbranch_execnz .LBB876_225
.LBB876_158:
	s_or_b64 exec, exec, s[36:37]
	s_and_saveexec_b64 s[36:37], s[14:15]
	s_cbranch_execnz .LBB876_226
.LBB876_159:
	s_or_b64 exec, exec, s[36:37]
	s_and_saveexec_b64 s[36:37], s[12:13]
	s_cbranch_execnz .LBB876_227
.LBB876_160:
	s_or_b64 exec, exec, s[36:37]
	s_and_saveexec_b64 s[36:37], s[10:11]
	s_cbranch_execnz .LBB876_228
.LBB876_161:
	s_or_b64 exec, exec, s[36:37]
	s_and_saveexec_b64 s[36:37], s[8:9]
	s_cbranch_execnz .LBB876_229
.LBB876_162:
	s_or_b64 exec, exec, s[36:37]
	s_and_saveexec_b64 s[36:37], s[6:7]
	s_cbranch_execnz .LBB876_230
.LBB876_163:
	s_or_b64 exec, exec, s[36:37]
	s_and_saveexec_b64 s[36:37], s[4:5]
	s_cbranch_execnz .LBB876_231
.LBB876_164:
	s_or_b64 exec, exec, s[36:37]
	s_and_saveexec_b64 s[36:37], s[2:3]
	s_cbranch_execz .LBB876_166
.LBB876_165:
	v_sub_u32_e32 v20, v28, v8
	v_mov_b32_e32 v21, 0
	v_lshlrev_b64 v[20:21], 1, v[20:21]
	v_add_co_u32_e32 v20, vcc, v7, v20
	v_addc_co_u32_e32 v21, vcc, v17, v21, vcc
	global_store_short_d16_hi v[20:21], v14, off
.LBB876_166:
	s_or_b64 exec, exec, s[36:37]
	s_and_b64 s[36:37], s[0:1], exec
	s_andn2_saveexec_b64 s[30:31], s[30:31]
	s_cbranch_execz .LBB876_104
.LBB876_167:
	v_sub_u32_e32 v20, v54, v8
	v_mov_b32_e32 v21, 0
	v_lshlrev_b64 v[22:23], 1, v[20:21]
	v_add_co_u32_e32 v22, vcc, v7, v22
	v_addc_co_u32_e32 v23, vcc, v17, v23, vcc
	v_sub_u32_e32 v20, v52, v8
	global_store_short v[22:23], v2, off
	v_lshlrev_b64 v[22:23], 1, v[20:21]
	v_add_co_u32_e32 v22, vcc, v7, v22
	v_addc_co_u32_e32 v23, vcc, v17, v23, vcc
	v_sub_u32_e32 v20, v50, v8
	global_store_short_d16_hi v[22:23], v2, off
	v_lshlrev_b64 v[22:23], 1, v[20:21]
	v_add_co_u32_e32 v22, vcc, v7, v22
	v_addc_co_u32_e32 v23, vcc, v17, v23, vcc
	v_sub_u32_e32 v20, v48, v8
	global_store_short v[22:23], v3, off
	v_lshlrev_b64 v[22:23], 1, v[20:21]
	v_add_co_u32_e32 v22, vcc, v7, v22
	v_addc_co_u32_e32 v23, vcc, v17, v23, vcc
	v_sub_u32_e32 v20, v46, v8
	global_store_short_d16_hi v[22:23], v3, off
	;; [unrolled: 10-line block ×6, first 2 shown]
	v_lshlrev_b64 v[22:23], 1, v[20:21]
	v_add_co_u32_e32 v22, vcc, v7, v22
	v_sub_u32_e32 v20, v28, v8
	v_addc_co_u32_e32 v23, vcc, v17, v23, vcc
	v_lshlrev_b64 v[20:21], 1, v[20:21]
	v_add_co_u32_e32 v20, vcc, v7, v20
	v_addc_co_u32_e32 v21, vcc, v17, v21, vcc
	s_or_b64 s[36:37], s[36:37], exec
	global_store_short v[22:23], v14, off
	global_store_short_d16_hi v[20:21], v14, off
	s_or_b64 exec, exec, s[30:31]
	s_and_b64 exec, exec, s[36:37]
	s_cbranch_execnz .LBB876_105
	s_branch .LBB876_106
.LBB876_168:
	s_and_saveexec_b64 s[36:37], s[28:29]
	s_cbranch_execnz .LBB876_232
; %bb.169:
	s_or_b64 exec, exec, s[36:37]
	s_and_saveexec_b64 s[28:29], s[26:27]
	s_cbranch_execnz .LBB876_233
.LBB876_170:
	s_or_b64 exec, exec, s[28:29]
	s_and_saveexec_b64 s[26:27], s[24:25]
	s_cbranch_execnz .LBB876_234
.LBB876_171:
	s_or_b64 exec, exec, s[26:27]
	s_and_saveexec_b64 s[24:25], s[22:23]
	s_cbranch_execnz .LBB876_235
.LBB876_172:
	s_or_b64 exec, exec, s[24:25]
	s_and_saveexec_b64 s[22:23], s[20:21]
	s_cbranch_execnz .LBB876_236
.LBB876_173:
	s_or_b64 exec, exec, s[22:23]
	s_and_saveexec_b64 s[20:21], s[18:19]
	s_cbranch_execnz .LBB876_237
.LBB876_174:
	s_or_b64 exec, exec, s[20:21]
	s_and_saveexec_b64 s[18:19], s[16:17]
	s_cbranch_execnz .LBB876_238
.LBB876_175:
	s_or_b64 exec, exec, s[18:19]
	s_and_saveexec_b64 s[16:17], s[14:15]
	s_cbranch_execnz .LBB876_239
.LBB876_176:
	s_or_b64 exec, exec, s[16:17]
	s_and_saveexec_b64 s[14:15], s[12:13]
	s_cbranch_execnz .LBB876_240
.LBB876_177:
	s_or_b64 exec, exec, s[14:15]
	s_and_saveexec_b64 s[12:13], s[10:11]
	s_cbranch_execnz .LBB876_241
.LBB876_178:
	s_or_b64 exec, exec, s[12:13]
	s_and_saveexec_b64 s[10:11], s[8:9]
	s_cbranch_execnz .LBB876_242
.LBB876_179:
	s_or_b64 exec, exec, s[10:11]
	s_and_saveexec_b64 s[8:9], s[6:7]
	s_cbranch_execnz .LBB876_243
.LBB876_180:
	s_or_b64 exec, exec, s[8:9]
	s_and_saveexec_b64 s[6:7], s[4:5]
	s_cbranch_execnz .LBB876_244
.LBB876_181:
	s_or_b64 exec, exec, s[6:7]
	s_and_saveexec_b64 s[4:5], s[2:3]
	s_cbranch_execz .LBB876_183
.LBB876_182:
	v_sub_u32_e32 v2, v28, v8
	v_lshlrev_b32_e32 v2, 1, v2
	ds_write_b16_d16_hi v2, v14
.LBB876_183:
	s_or_b64 exec, exec, s[4:5]
	s_and_b64 s[36:37], s[0:1], exec
                                        ; implicit-def: $vgpr2
                                        ; implicit-def: $vgpr12
	s_andn2_saveexec_b64 s[0:1], s[34:35]
	s_cbranch_execz .LBB876_111
.LBB876_184:
	v_sub_u32_e32 v10, v54, v8
	v_lshlrev_b32_e32 v10, 1, v10
	ds_write_b16 v10, v2
	v_sub_u32_e32 v10, v52, v8
	v_lshlrev_b32_e32 v10, 1, v10
	ds_write_b16_d16_hi v10, v2
	v_sub_u32_e32 v2, v50, v8
	v_lshlrev_b32_e32 v2, 1, v2
	ds_write_b16 v2, v3
	v_sub_u32_e32 v2, v48, v8
	v_lshlrev_b32_e32 v2, 1, v2
	ds_write_b16_d16_hi v2, v3
	;; [unrolled: 6-line block ×6, first 2 shown]
	v_sub_u32_e32 v2, v30, v8
	v_lshlrev_b32_e32 v2, 1, v2
	ds_write_b16 v2, v14
	v_sub_u32_e32 v2, v28, v8
	v_lshlrev_b32_e32 v2, 1, v2
	s_or_b64 s[36:37], s[36:37], exec
	ds_write_b16_d16_hi v2, v14
	s_or_b64 exec, exec, s[0:1]
	s_and_b64 exec, exec, s[36:37]
	s_cbranch_execnz .LBB876_112
	s_branch .LBB876_113
.LBB876_185:
	s_and_saveexec_b64 s[36:37], s[28:29]
	s_cbranch_execnz .LBB876_245
; %bb.186:
	s_or_b64 exec, exec, s[36:37]
	s_and_saveexec_b64 s[36:37], s[26:27]
	s_cbranch_execnz .LBB876_246
.LBB876_187:
	s_or_b64 exec, exec, s[36:37]
	s_and_saveexec_b64 s[36:37], s[24:25]
	s_cbranch_execnz .LBB876_247
.LBB876_188:
	s_or_b64 exec, exec, s[36:37]
	s_and_saveexec_b64 s[36:37], s[22:23]
	s_cbranch_execnz .LBB876_248
.LBB876_189:
	s_or_b64 exec, exec, s[36:37]
	s_and_saveexec_b64 s[36:37], s[20:21]
	s_cbranch_execnz .LBB876_249
.LBB876_190:
	s_or_b64 exec, exec, s[36:37]
	s_and_saveexec_b64 s[36:37], s[18:19]
	s_cbranch_execnz .LBB876_250
.LBB876_191:
	s_or_b64 exec, exec, s[36:37]
	s_and_saveexec_b64 s[36:37], s[16:17]
	s_cbranch_execnz .LBB876_251
.LBB876_192:
	s_or_b64 exec, exec, s[36:37]
	s_and_saveexec_b64 s[36:37], s[14:15]
	s_cbranch_execnz .LBB876_252
.LBB876_193:
	s_or_b64 exec, exec, s[36:37]
	s_and_saveexec_b64 s[36:37], s[12:13]
	s_cbranch_execnz .LBB876_253
.LBB876_194:
	s_or_b64 exec, exec, s[36:37]
	s_and_saveexec_b64 s[36:37], s[10:11]
	s_cbranch_execnz .LBB876_254
.LBB876_195:
	s_or_b64 exec, exec, s[36:37]
	s_and_saveexec_b64 s[36:37], s[8:9]
	s_cbranch_execnz .LBB876_255
.LBB876_196:
	s_or_b64 exec, exec, s[36:37]
	s_and_saveexec_b64 s[36:37], s[6:7]
	s_cbranch_execnz .LBB876_256
.LBB876_197:
	s_or_b64 exec, exec, s[36:37]
	s_and_saveexec_b64 s[36:37], s[4:5]
	s_cbranch_execnz .LBB876_257
.LBB876_198:
	s_or_b64 exec, exec, s[36:37]
	s_and_saveexec_b64 s[36:37], s[2:3]
	s_cbranch_execz .LBB876_200
.LBB876_199:
	v_sub_u32_e32 v10, v28, v2
	v_mov_b32_e32 v11, 0
	v_lshlrev_b64 v[12:13], 3, v[10:11]
	v_add_co_u32_e32 v12, vcc, v7, v12
	v_addc_co_u32_e32 v13, vcc, v9, v13, vcc
	v_mov_b32_e32 v10, v29
	global_store_dwordx2 v[12:13], v[10:11], off
.LBB876_200:
	s_or_b64 exec, exec, s[36:37]
	s_and_b64 s[36:37], s[0:1], exec
	s_andn2_saveexec_b64 s[30:31], s[30:31]
	s_cbranch_execz .LBB876_133
.LBB876_201:
	v_mov_b32_e32 v11, 0
	v_sub_u32_e32 v12, v54, v2
	v_mov_b32_e32 v13, v11
	v_lshlrev_b64 v[12:13], 3, v[12:13]
	v_add_co_u32_e32 v12, vcc, v7, v12
	v_mov_b32_e32 v10, v55
	v_addc_co_u32_e32 v13, vcc, v9, v13, vcc
	global_store_dwordx2 v[12:13], v[10:11], off
	v_sub_u32_e32 v12, v52, v2
	v_mov_b32_e32 v13, v11
	v_lshlrev_b64 v[12:13], 3, v[12:13]
	v_add_co_u32_e32 v12, vcc, v7, v12
	v_mov_b32_e32 v10, v53
	v_addc_co_u32_e32 v13, vcc, v9, v13, vcc
	global_store_dwordx2 v[12:13], v[10:11], off
	;; [unrolled: 7-line block ×13, first 2 shown]
	v_sub_u32_e32 v12, v28, v2
	v_mov_b32_e32 v13, v11
	v_lshlrev_b64 v[12:13], 3, v[12:13]
	v_add_co_u32_e32 v12, vcc, v7, v12
	v_mov_b32_e32 v10, v29
	v_addc_co_u32_e32 v13, vcc, v9, v13, vcc
	s_or_b64 s[36:37], s[36:37], exec
	global_store_dwordx2 v[12:13], v[10:11], off
	s_or_b64 exec, exec, s[30:31]
	s_and_b64 exec, exec, s[36:37]
	s_cbranch_execnz .LBB876_134
	s_branch .LBB876_135
.LBB876_202:
	s_and_saveexec_b64 s[36:37], s[28:29]
	s_cbranch_execnz .LBB876_258
; %bb.203:
	s_or_b64 exec, exec, s[36:37]
	s_and_saveexec_b64 s[28:29], s[26:27]
	s_cbranch_execnz .LBB876_259
.LBB876_204:
	s_or_b64 exec, exec, s[28:29]
	s_and_saveexec_b64 s[26:27], s[24:25]
	s_cbranch_execnz .LBB876_260
.LBB876_205:
	s_or_b64 exec, exec, s[26:27]
	s_and_saveexec_b64 s[24:25], s[22:23]
	s_cbranch_execnz .LBB876_261
.LBB876_206:
	s_or_b64 exec, exec, s[24:25]
	s_and_saveexec_b64 s[22:23], s[20:21]
	s_cbranch_execnz .LBB876_262
.LBB876_207:
	s_or_b64 exec, exec, s[22:23]
	s_and_saveexec_b64 s[20:21], s[18:19]
	s_cbranch_execnz .LBB876_263
.LBB876_208:
	s_or_b64 exec, exec, s[20:21]
	s_and_saveexec_b64 s[18:19], s[16:17]
	s_cbranch_execnz .LBB876_264
.LBB876_209:
	s_or_b64 exec, exec, s[18:19]
	s_and_saveexec_b64 s[16:17], s[14:15]
	s_cbranch_execnz .LBB876_265
.LBB876_210:
	s_or_b64 exec, exec, s[16:17]
	s_and_saveexec_b64 s[14:15], s[12:13]
	s_cbranch_execnz .LBB876_266
.LBB876_211:
	s_or_b64 exec, exec, s[14:15]
	s_and_saveexec_b64 s[12:13], s[10:11]
	s_cbranch_execnz .LBB876_267
.LBB876_212:
	s_or_b64 exec, exec, s[12:13]
	s_and_saveexec_b64 s[10:11], s[8:9]
	s_cbranch_execnz .LBB876_268
.LBB876_213:
	s_or_b64 exec, exec, s[10:11]
	s_and_saveexec_b64 s[8:9], s[6:7]
	s_cbranch_execnz .LBB876_269
.LBB876_214:
	s_or_b64 exec, exec, s[8:9]
	s_and_saveexec_b64 s[6:7], s[4:5]
	s_cbranch_execnz .LBB876_270
.LBB876_215:
	s_or_b64 exec, exec, s[6:7]
	s_and_saveexec_b64 s[4:5], s[2:3]
	s_cbranch_execz .LBB876_217
.LBB876_216:
	v_sub_u32_e32 v3, v28, v2
	v_lshlrev_b32_e32 v3, 2, v3
	ds_write_b32 v3, v29
.LBB876_217:
	s_or_b64 exec, exec, s[4:5]
	s_and_b64 s[36:37], s[0:1], exec
                                        ; implicit-def: $vgpr54_vgpr55
                                        ; implicit-def: $vgpr52_vgpr53
                                        ; implicit-def: $vgpr50_vgpr51
                                        ; implicit-def: $vgpr48_vgpr49
                                        ; implicit-def: $vgpr46_vgpr47
                                        ; implicit-def: $vgpr44_vgpr45
                                        ; implicit-def: $vgpr42_vgpr43
                                        ; implicit-def: $vgpr40_vgpr41
                                        ; implicit-def: $vgpr38_vgpr39
                                        ; implicit-def: $vgpr36_vgpr37
                                        ; implicit-def: $vgpr34_vgpr35
                                        ; implicit-def: $vgpr32_vgpr33
                                        ; implicit-def: $vgpr30_vgpr31
                                        ; implicit-def: $vgpr28_vgpr29
	s_andn2_saveexec_b64 s[0:1], s[34:35]
	s_cbranch_execz .LBB876_140
.LBB876_218:
	v_sub_u32_e32 v3, v54, v2
	v_lshlrev_b32_e32 v3, 2, v3
	ds_write_b32 v3, v55
	v_sub_u32_e32 v3, v52, v2
	v_lshlrev_b32_e32 v3, 2, v3
	ds_write_b32 v3, v53
	;; [unrolled: 3-line block ×13, first 2 shown]
	v_sub_u32_e32 v3, v28, v2
	v_lshlrev_b32_e32 v3, 2, v3
	s_or_b64 s[36:37], s[36:37], exec
	ds_write_b32 v3, v29
	s_or_b64 exec, exec, s[0:1]
	s_and_b64 exec, exec, s[36:37]
	s_cbranch_execnz .LBB876_141
	s_branch .LBB876_142
.LBB876_219:
	v_sub_u32_e32 v20, v54, v8
	v_mov_b32_e32 v21, 0
	v_lshlrev_b64 v[20:21], 1, v[20:21]
	v_add_co_u32_e32 v20, vcc, v7, v20
	v_addc_co_u32_e32 v21, vcc, v17, v21, vcc
	global_store_short v[20:21], v2, off
	s_or_b64 exec, exec, s[36:37]
	s_and_saveexec_b64 s[36:37], s[26:27]
	s_cbranch_execz .LBB876_153
.LBB876_220:
	v_sub_u32_e32 v20, v52, v8
	v_mov_b32_e32 v21, 0
	v_lshlrev_b64 v[20:21], 1, v[20:21]
	v_add_co_u32_e32 v20, vcc, v7, v20
	v_addc_co_u32_e32 v21, vcc, v17, v21, vcc
	global_store_short_d16_hi v[20:21], v2, off
	s_or_b64 exec, exec, s[36:37]
	s_and_saveexec_b64 s[36:37], s[24:25]
	s_cbranch_execz .LBB876_154
.LBB876_221:
	v_sub_u32_e32 v20, v50, v8
	v_mov_b32_e32 v21, 0
	v_lshlrev_b64 v[20:21], 1, v[20:21]
	v_add_co_u32_e32 v20, vcc, v7, v20
	v_addc_co_u32_e32 v21, vcc, v17, v21, vcc
	global_store_short v[20:21], v3, off
	s_or_b64 exec, exec, s[36:37]
	s_and_saveexec_b64 s[36:37], s[22:23]
	s_cbranch_execz .LBB876_155
.LBB876_222:
	v_sub_u32_e32 v20, v48, v8
	v_mov_b32_e32 v21, 0
	v_lshlrev_b64 v[20:21], 1, v[20:21]
	v_add_co_u32_e32 v20, vcc, v7, v20
	v_addc_co_u32_e32 v21, vcc, v17, v21, vcc
	global_store_short_d16_hi v[20:21], v3, off
	s_or_b64 exec, exec, s[36:37]
	s_and_saveexec_b64 s[36:37], s[20:21]
	s_cbranch_execz .LBB876_156
.LBB876_223:
	v_sub_u32_e32 v20, v46, v8
	v_mov_b32_e32 v21, 0
	v_lshlrev_b64 v[20:21], 1, v[20:21]
	v_add_co_u32_e32 v20, vcc, v7, v20
	v_addc_co_u32_e32 v21, vcc, v17, v21, vcc
	global_store_short v[20:21], v4, off
	s_or_b64 exec, exec, s[36:37]
	s_and_saveexec_b64 s[36:37], s[18:19]
	s_cbranch_execz .LBB876_157
.LBB876_224:
	v_sub_u32_e32 v20, v44, v8
	v_mov_b32_e32 v21, 0
	v_lshlrev_b64 v[20:21], 1, v[20:21]
	v_add_co_u32_e32 v20, vcc, v7, v20
	v_addc_co_u32_e32 v21, vcc, v17, v21, vcc
	global_store_short_d16_hi v[20:21], v4, off
	s_or_b64 exec, exec, s[36:37]
	s_and_saveexec_b64 s[36:37], s[16:17]
	s_cbranch_execz .LBB876_158
.LBB876_225:
	v_sub_u32_e32 v20, v42, v8
	v_mov_b32_e32 v21, 0
	v_lshlrev_b64 v[20:21], 1, v[20:21]
	v_add_co_u32_e32 v20, vcc, v7, v20
	v_addc_co_u32_e32 v21, vcc, v17, v21, vcc
	global_store_short v[20:21], v5, off
	s_or_b64 exec, exec, s[36:37]
	s_and_saveexec_b64 s[36:37], s[14:15]
	s_cbranch_execz .LBB876_159
.LBB876_226:
	v_sub_u32_e32 v20, v40, v8
	v_mov_b32_e32 v21, 0
	v_lshlrev_b64 v[20:21], 1, v[20:21]
	v_add_co_u32_e32 v20, vcc, v7, v20
	v_addc_co_u32_e32 v21, vcc, v17, v21, vcc
	global_store_short_d16_hi v[20:21], v5, off
	s_or_b64 exec, exec, s[36:37]
	s_and_saveexec_b64 s[36:37], s[12:13]
	s_cbranch_execz .LBB876_160
.LBB876_227:
	v_sub_u32_e32 v20, v38, v8
	v_mov_b32_e32 v21, 0
	v_lshlrev_b64 v[20:21], 1, v[20:21]
	v_add_co_u32_e32 v20, vcc, v7, v20
	v_addc_co_u32_e32 v21, vcc, v17, v21, vcc
	global_store_short v[20:21], v12, off
	s_or_b64 exec, exec, s[36:37]
	s_and_saveexec_b64 s[36:37], s[10:11]
	s_cbranch_execz .LBB876_161
.LBB876_228:
	v_sub_u32_e32 v20, v36, v8
	v_mov_b32_e32 v21, 0
	v_lshlrev_b64 v[20:21], 1, v[20:21]
	v_add_co_u32_e32 v20, vcc, v7, v20
	v_addc_co_u32_e32 v21, vcc, v17, v21, vcc
	global_store_short_d16_hi v[20:21], v12, off
	s_or_b64 exec, exec, s[36:37]
	s_and_saveexec_b64 s[36:37], s[8:9]
	s_cbranch_execz .LBB876_162
.LBB876_229:
	v_sub_u32_e32 v20, v34, v8
	v_mov_b32_e32 v21, 0
	v_lshlrev_b64 v[20:21], 1, v[20:21]
	v_add_co_u32_e32 v20, vcc, v7, v20
	v_addc_co_u32_e32 v21, vcc, v17, v21, vcc
	global_store_short v[20:21], v13, off
	s_or_b64 exec, exec, s[36:37]
	s_and_saveexec_b64 s[36:37], s[6:7]
	s_cbranch_execz .LBB876_163
.LBB876_230:
	v_sub_u32_e32 v20, v32, v8
	v_mov_b32_e32 v21, 0
	v_lshlrev_b64 v[20:21], 1, v[20:21]
	v_add_co_u32_e32 v20, vcc, v7, v20
	v_addc_co_u32_e32 v21, vcc, v17, v21, vcc
	global_store_short_d16_hi v[20:21], v13, off
	s_or_b64 exec, exec, s[36:37]
	s_and_saveexec_b64 s[36:37], s[4:5]
	s_cbranch_execz .LBB876_164
.LBB876_231:
	v_sub_u32_e32 v20, v30, v8
	v_mov_b32_e32 v21, 0
	v_lshlrev_b64 v[20:21], 1, v[20:21]
	v_add_co_u32_e32 v20, vcc, v7, v20
	v_addc_co_u32_e32 v21, vcc, v17, v21, vcc
	global_store_short v[20:21], v14, off
	s_or_b64 exec, exec, s[36:37]
	s_and_saveexec_b64 s[36:37], s[2:3]
	s_cbranch_execnz .LBB876_165
	s_branch .LBB876_166
.LBB876_232:
	v_sub_u32_e32 v10, v54, v8
	v_lshlrev_b32_e32 v10, 1, v10
	ds_write_b16 v10, v2
	s_or_b64 exec, exec, s[36:37]
	s_and_saveexec_b64 s[28:29], s[26:27]
	s_cbranch_execz .LBB876_170
.LBB876_233:
	v_sub_u32_e32 v10, v52, v8
	v_lshlrev_b32_e32 v10, 1, v10
	ds_write_b16_d16_hi v10, v2
	s_or_b64 exec, exec, s[28:29]
	s_and_saveexec_b64 s[26:27], s[24:25]
	s_cbranch_execz .LBB876_171
.LBB876_234:
	v_sub_u32_e32 v2, v50, v8
	v_lshlrev_b32_e32 v2, 1, v2
	ds_write_b16 v2, v3
	s_or_b64 exec, exec, s[26:27]
	s_and_saveexec_b64 s[24:25], s[22:23]
	s_cbranch_execz .LBB876_172
.LBB876_235:
	v_sub_u32_e32 v2, v48, v8
	v_lshlrev_b32_e32 v2, 1, v2
	ds_write_b16_d16_hi v2, v3
	s_or_b64 exec, exec, s[24:25]
	s_and_saveexec_b64 s[22:23], s[20:21]
	s_cbranch_execz .LBB876_173
.LBB876_236:
	v_sub_u32_e32 v2, v46, v8
	v_lshlrev_b32_e32 v2, 1, v2
	ds_write_b16 v2, v4
	s_or_b64 exec, exec, s[22:23]
	s_and_saveexec_b64 s[20:21], s[18:19]
	s_cbranch_execz .LBB876_174
.LBB876_237:
	v_sub_u32_e32 v2, v44, v8
	v_lshlrev_b32_e32 v2, 1, v2
	ds_write_b16_d16_hi v2, v4
	s_or_b64 exec, exec, s[20:21]
	s_and_saveexec_b64 s[18:19], s[16:17]
	s_cbranch_execz .LBB876_175
.LBB876_238:
	v_sub_u32_e32 v2, v42, v8
	v_lshlrev_b32_e32 v2, 1, v2
	ds_write_b16 v2, v5
	s_or_b64 exec, exec, s[18:19]
	s_and_saveexec_b64 s[16:17], s[14:15]
	s_cbranch_execz .LBB876_176
.LBB876_239:
	v_sub_u32_e32 v2, v40, v8
	v_lshlrev_b32_e32 v2, 1, v2
	ds_write_b16_d16_hi v2, v5
	s_or_b64 exec, exec, s[16:17]
	s_and_saveexec_b64 s[14:15], s[12:13]
	s_cbranch_execz .LBB876_177
.LBB876_240:
	v_sub_u32_e32 v2, v38, v8
	v_lshlrev_b32_e32 v2, 1, v2
	ds_write_b16 v2, v12
	s_or_b64 exec, exec, s[14:15]
	s_and_saveexec_b64 s[12:13], s[10:11]
	s_cbranch_execz .LBB876_178
.LBB876_241:
	v_sub_u32_e32 v2, v36, v8
	v_lshlrev_b32_e32 v2, 1, v2
	ds_write_b16_d16_hi v2, v12
	s_or_b64 exec, exec, s[12:13]
	s_and_saveexec_b64 s[10:11], s[8:9]
	s_cbranch_execz .LBB876_179
.LBB876_242:
	v_sub_u32_e32 v2, v34, v8
	v_lshlrev_b32_e32 v2, 1, v2
	ds_write_b16 v2, v13
	s_or_b64 exec, exec, s[10:11]
	s_and_saveexec_b64 s[8:9], s[6:7]
	s_cbranch_execz .LBB876_180
.LBB876_243:
	v_sub_u32_e32 v2, v32, v8
	v_lshlrev_b32_e32 v2, 1, v2
	ds_write_b16_d16_hi v2, v13
	s_or_b64 exec, exec, s[8:9]
	s_and_saveexec_b64 s[6:7], s[4:5]
	s_cbranch_execz .LBB876_181
.LBB876_244:
	v_sub_u32_e32 v2, v30, v8
	v_lshlrev_b32_e32 v2, 1, v2
	ds_write_b16 v2, v14
	s_or_b64 exec, exec, s[6:7]
	s_and_saveexec_b64 s[4:5], s[2:3]
	s_cbranch_execnz .LBB876_182
	s_branch .LBB876_183
.LBB876_245:
	v_sub_u32_e32 v10, v54, v2
	v_mov_b32_e32 v11, 0
	v_lshlrev_b64 v[12:13], 3, v[10:11]
	v_add_co_u32_e32 v12, vcc, v7, v12
	v_addc_co_u32_e32 v13, vcc, v9, v13, vcc
	v_mov_b32_e32 v10, v55
	global_store_dwordx2 v[12:13], v[10:11], off
	s_or_b64 exec, exec, s[36:37]
	s_and_saveexec_b64 s[36:37], s[26:27]
	s_cbranch_execz .LBB876_187
.LBB876_246:
	v_sub_u32_e32 v10, v52, v2
	v_mov_b32_e32 v11, 0
	v_lshlrev_b64 v[12:13], 3, v[10:11]
	v_add_co_u32_e32 v12, vcc, v7, v12
	v_addc_co_u32_e32 v13, vcc, v9, v13, vcc
	v_mov_b32_e32 v10, v53
	global_store_dwordx2 v[12:13], v[10:11], off
	s_or_b64 exec, exec, s[36:37]
	s_and_saveexec_b64 s[36:37], s[24:25]
	s_cbranch_execz .LBB876_188
.LBB876_247:
	v_sub_u32_e32 v10, v50, v2
	v_mov_b32_e32 v11, 0
	v_lshlrev_b64 v[12:13], 3, v[10:11]
	v_add_co_u32_e32 v12, vcc, v7, v12
	v_addc_co_u32_e32 v13, vcc, v9, v13, vcc
	v_mov_b32_e32 v10, v51
	global_store_dwordx2 v[12:13], v[10:11], off
	s_or_b64 exec, exec, s[36:37]
	s_and_saveexec_b64 s[36:37], s[22:23]
	s_cbranch_execz .LBB876_189
.LBB876_248:
	v_sub_u32_e32 v10, v48, v2
	v_mov_b32_e32 v11, 0
	v_lshlrev_b64 v[12:13], 3, v[10:11]
	v_add_co_u32_e32 v12, vcc, v7, v12
	v_addc_co_u32_e32 v13, vcc, v9, v13, vcc
	v_mov_b32_e32 v10, v49
	global_store_dwordx2 v[12:13], v[10:11], off
	s_or_b64 exec, exec, s[36:37]
	s_and_saveexec_b64 s[36:37], s[20:21]
	s_cbranch_execz .LBB876_190
.LBB876_249:
	v_sub_u32_e32 v10, v46, v2
	v_mov_b32_e32 v11, 0
	v_lshlrev_b64 v[12:13], 3, v[10:11]
	v_add_co_u32_e32 v12, vcc, v7, v12
	v_addc_co_u32_e32 v13, vcc, v9, v13, vcc
	v_mov_b32_e32 v10, v47
	global_store_dwordx2 v[12:13], v[10:11], off
	s_or_b64 exec, exec, s[36:37]
	s_and_saveexec_b64 s[36:37], s[18:19]
	s_cbranch_execz .LBB876_191
.LBB876_250:
	v_sub_u32_e32 v10, v44, v2
	v_mov_b32_e32 v11, 0
	v_lshlrev_b64 v[12:13], 3, v[10:11]
	v_add_co_u32_e32 v12, vcc, v7, v12
	v_addc_co_u32_e32 v13, vcc, v9, v13, vcc
	v_mov_b32_e32 v10, v45
	global_store_dwordx2 v[12:13], v[10:11], off
	s_or_b64 exec, exec, s[36:37]
	s_and_saveexec_b64 s[36:37], s[16:17]
	s_cbranch_execz .LBB876_192
.LBB876_251:
	v_sub_u32_e32 v10, v42, v2
	v_mov_b32_e32 v11, 0
	v_lshlrev_b64 v[12:13], 3, v[10:11]
	v_add_co_u32_e32 v12, vcc, v7, v12
	v_addc_co_u32_e32 v13, vcc, v9, v13, vcc
	v_mov_b32_e32 v10, v43
	global_store_dwordx2 v[12:13], v[10:11], off
	s_or_b64 exec, exec, s[36:37]
	s_and_saveexec_b64 s[36:37], s[14:15]
	s_cbranch_execz .LBB876_193
.LBB876_252:
	v_sub_u32_e32 v10, v40, v2
	v_mov_b32_e32 v11, 0
	v_lshlrev_b64 v[12:13], 3, v[10:11]
	v_add_co_u32_e32 v12, vcc, v7, v12
	v_addc_co_u32_e32 v13, vcc, v9, v13, vcc
	v_mov_b32_e32 v10, v41
	global_store_dwordx2 v[12:13], v[10:11], off
	s_or_b64 exec, exec, s[36:37]
	s_and_saveexec_b64 s[36:37], s[12:13]
	s_cbranch_execz .LBB876_194
.LBB876_253:
	v_sub_u32_e32 v10, v38, v2
	v_mov_b32_e32 v11, 0
	v_lshlrev_b64 v[12:13], 3, v[10:11]
	v_add_co_u32_e32 v12, vcc, v7, v12
	v_addc_co_u32_e32 v13, vcc, v9, v13, vcc
	v_mov_b32_e32 v10, v39
	global_store_dwordx2 v[12:13], v[10:11], off
	s_or_b64 exec, exec, s[36:37]
	s_and_saveexec_b64 s[36:37], s[10:11]
	s_cbranch_execz .LBB876_195
.LBB876_254:
	v_sub_u32_e32 v10, v36, v2
	v_mov_b32_e32 v11, 0
	v_lshlrev_b64 v[12:13], 3, v[10:11]
	v_add_co_u32_e32 v12, vcc, v7, v12
	v_addc_co_u32_e32 v13, vcc, v9, v13, vcc
	v_mov_b32_e32 v10, v37
	global_store_dwordx2 v[12:13], v[10:11], off
	s_or_b64 exec, exec, s[36:37]
	s_and_saveexec_b64 s[36:37], s[8:9]
	s_cbranch_execz .LBB876_196
.LBB876_255:
	v_sub_u32_e32 v10, v34, v2
	v_mov_b32_e32 v11, 0
	v_lshlrev_b64 v[12:13], 3, v[10:11]
	v_add_co_u32_e32 v12, vcc, v7, v12
	v_addc_co_u32_e32 v13, vcc, v9, v13, vcc
	v_mov_b32_e32 v10, v35
	global_store_dwordx2 v[12:13], v[10:11], off
	s_or_b64 exec, exec, s[36:37]
	s_and_saveexec_b64 s[36:37], s[6:7]
	s_cbranch_execz .LBB876_197
.LBB876_256:
	v_sub_u32_e32 v10, v32, v2
	v_mov_b32_e32 v11, 0
	v_lshlrev_b64 v[12:13], 3, v[10:11]
	v_add_co_u32_e32 v12, vcc, v7, v12
	v_addc_co_u32_e32 v13, vcc, v9, v13, vcc
	v_mov_b32_e32 v10, v33
	global_store_dwordx2 v[12:13], v[10:11], off
	s_or_b64 exec, exec, s[36:37]
	s_and_saveexec_b64 s[36:37], s[4:5]
	s_cbranch_execz .LBB876_198
.LBB876_257:
	v_sub_u32_e32 v10, v30, v2
	v_mov_b32_e32 v11, 0
	v_lshlrev_b64 v[12:13], 3, v[10:11]
	v_add_co_u32_e32 v12, vcc, v7, v12
	v_addc_co_u32_e32 v13, vcc, v9, v13, vcc
	v_mov_b32_e32 v10, v31
	global_store_dwordx2 v[12:13], v[10:11], off
	s_or_b64 exec, exec, s[36:37]
	s_and_saveexec_b64 s[36:37], s[2:3]
	s_cbranch_execnz .LBB876_199
	s_branch .LBB876_200
.LBB876_258:
	v_sub_u32_e32 v3, v54, v2
	v_lshlrev_b32_e32 v3, 2, v3
	ds_write_b32 v3, v55
	s_or_b64 exec, exec, s[36:37]
	s_and_saveexec_b64 s[28:29], s[26:27]
	s_cbranch_execz .LBB876_204
.LBB876_259:
	v_sub_u32_e32 v3, v52, v2
	v_lshlrev_b32_e32 v3, 2, v3
	ds_write_b32 v3, v53
	s_or_b64 exec, exec, s[28:29]
	s_and_saveexec_b64 s[26:27], s[24:25]
	s_cbranch_execz .LBB876_205
.LBB876_260:
	v_sub_u32_e32 v3, v50, v2
	v_lshlrev_b32_e32 v3, 2, v3
	ds_write_b32 v3, v51
	s_or_b64 exec, exec, s[26:27]
	s_and_saveexec_b64 s[24:25], s[22:23]
	s_cbranch_execz .LBB876_206
.LBB876_261:
	v_sub_u32_e32 v3, v48, v2
	v_lshlrev_b32_e32 v3, 2, v3
	ds_write_b32 v3, v49
	s_or_b64 exec, exec, s[24:25]
	s_and_saveexec_b64 s[22:23], s[20:21]
	s_cbranch_execz .LBB876_207
.LBB876_262:
	v_sub_u32_e32 v3, v46, v2
	v_lshlrev_b32_e32 v3, 2, v3
	ds_write_b32 v3, v47
	s_or_b64 exec, exec, s[22:23]
	s_and_saveexec_b64 s[20:21], s[18:19]
	s_cbranch_execz .LBB876_208
.LBB876_263:
	v_sub_u32_e32 v3, v44, v2
	v_lshlrev_b32_e32 v3, 2, v3
	ds_write_b32 v3, v45
	s_or_b64 exec, exec, s[20:21]
	s_and_saveexec_b64 s[18:19], s[16:17]
	s_cbranch_execz .LBB876_209
.LBB876_264:
	v_sub_u32_e32 v3, v42, v2
	v_lshlrev_b32_e32 v3, 2, v3
	ds_write_b32 v3, v43
	s_or_b64 exec, exec, s[18:19]
	s_and_saveexec_b64 s[16:17], s[14:15]
	s_cbranch_execz .LBB876_210
.LBB876_265:
	v_sub_u32_e32 v3, v40, v2
	v_lshlrev_b32_e32 v3, 2, v3
	ds_write_b32 v3, v41
	s_or_b64 exec, exec, s[16:17]
	s_and_saveexec_b64 s[14:15], s[12:13]
	s_cbranch_execz .LBB876_211
.LBB876_266:
	v_sub_u32_e32 v3, v38, v2
	v_lshlrev_b32_e32 v3, 2, v3
	ds_write_b32 v3, v39
	s_or_b64 exec, exec, s[14:15]
	s_and_saveexec_b64 s[12:13], s[10:11]
	s_cbranch_execz .LBB876_212
.LBB876_267:
	v_sub_u32_e32 v3, v36, v2
	v_lshlrev_b32_e32 v3, 2, v3
	ds_write_b32 v3, v37
	s_or_b64 exec, exec, s[12:13]
	s_and_saveexec_b64 s[10:11], s[8:9]
	s_cbranch_execz .LBB876_213
.LBB876_268:
	v_sub_u32_e32 v3, v34, v2
	v_lshlrev_b32_e32 v3, 2, v3
	ds_write_b32 v3, v35
	s_or_b64 exec, exec, s[10:11]
	s_and_saveexec_b64 s[8:9], s[6:7]
	s_cbranch_execz .LBB876_214
.LBB876_269:
	v_sub_u32_e32 v3, v32, v2
	v_lshlrev_b32_e32 v3, 2, v3
	ds_write_b32 v3, v33
	s_or_b64 exec, exec, s[8:9]
	s_and_saveexec_b64 s[6:7], s[4:5]
	s_cbranch_execz .LBB876_215
.LBB876_270:
	v_sub_u32_e32 v3, v30, v2
	v_lshlrev_b32_e32 v3, 2, v3
	ds_write_b32 v3, v31
	s_or_b64 exec, exec, s[6:7]
	s_and_saveexec_b64 s[4:5], s[2:3]
	s_cbranch_execnz .LBB876_216
	s_branch .LBB876_217
	.section	.rodata,"a",@progbits
	.p2align	6, 0x0
	.amdhsa_kernel _ZN7rocprim17ROCPRIM_400000_NS6detail17trampoline_kernelINS0_14default_configENS1_33run_length_encode_config_selectorIN3c108BFloat16EjNS0_4plusIjEEEEZZNS1_33reduce_by_key_impl_wrapped_configILNS1_25lookback_scan_determinismE0ES3_S9_PKS6_NS0_17constant_iteratorIjlEEPS6_PlSH_S8_NS0_8equal_toIS6_EEEE10hipError_tPvRmT2_T3_mT4_T5_T6_T7_T8_P12ihipStream_tbENKUlT_T0_E_clISt17integral_constantIbLb1EES10_IbLb0EEEEDaSW_SX_EUlSW_E_NS1_11comp_targetILNS1_3genE4ELNS1_11target_archE910ELNS1_3gpuE8ELNS1_3repE0EEENS1_30default_config_static_selectorELNS0_4arch9wavefront6targetE1EEEvT1_
		.amdhsa_group_segment_fixed_size 15360
		.amdhsa_private_segment_fixed_size 0
		.amdhsa_kernarg_size 128
		.amdhsa_user_sgpr_count 6
		.amdhsa_user_sgpr_private_segment_buffer 1
		.amdhsa_user_sgpr_dispatch_ptr 0
		.amdhsa_user_sgpr_queue_ptr 0
		.amdhsa_user_sgpr_kernarg_segment_ptr 1
		.amdhsa_user_sgpr_dispatch_id 0
		.amdhsa_user_sgpr_flat_scratch_init 0
		.amdhsa_user_sgpr_kernarg_preload_length 0
		.amdhsa_user_sgpr_kernarg_preload_offset 0
		.amdhsa_user_sgpr_private_segment_size 0
		.amdhsa_uses_dynamic_stack 0
		.amdhsa_system_sgpr_private_segment_wavefront_offset 0
		.amdhsa_system_sgpr_workgroup_id_x 1
		.amdhsa_system_sgpr_workgroup_id_y 0
		.amdhsa_system_sgpr_workgroup_id_z 0
		.amdhsa_system_sgpr_workgroup_info 0
		.amdhsa_system_vgpr_workitem_id 0
		.amdhsa_next_free_vgpr 109
		.amdhsa_next_free_sgpr 64
		.amdhsa_accum_offset 112
		.amdhsa_reserve_vcc 1
		.amdhsa_reserve_flat_scratch 0
		.amdhsa_float_round_mode_32 0
		.amdhsa_float_round_mode_16_64 0
		.amdhsa_float_denorm_mode_32 3
		.amdhsa_float_denorm_mode_16_64 3
		.amdhsa_dx10_clamp 1
		.amdhsa_ieee_mode 1
		.amdhsa_fp16_overflow 0
		.amdhsa_tg_split 0
		.amdhsa_exception_fp_ieee_invalid_op 0
		.amdhsa_exception_fp_denorm_src 0
		.amdhsa_exception_fp_ieee_div_zero 0
		.amdhsa_exception_fp_ieee_overflow 0
		.amdhsa_exception_fp_ieee_underflow 0
		.amdhsa_exception_fp_ieee_inexact 0
		.amdhsa_exception_int_div_zero 0
	.end_amdhsa_kernel
	.section	.text._ZN7rocprim17ROCPRIM_400000_NS6detail17trampoline_kernelINS0_14default_configENS1_33run_length_encode_config_selectorIN3c108BFloat16EjNS0_4plusIjEEEEZZNS1_33reduce_by_key_impl_wrapped_configILNS1_25lookback_scan_determinismE0ES3_S9_PKS6_NS0_17constant_iteratorIjlEEPS6_PlSH_S8_NS0_8equal_toIS6_EEEE10hipError_tPvRmT2_T3_mT4_T5_T6_T7_T8_P12ihipStream_tbENKUlT_T0_E_clISt17integral_constantIbLb1EES10_IbLb0EEEEDaSW_SX_EUlSW_E_NS1_11comp_targetILNS1_3genE4ELNS1_11target_archE910ELNS1_3gpuE8ELNS1_3repE0EEENS1_30default_config_static_selectorELNS0_4arch9wavefront6targetE1EEEvT1_,"axG",@progbits,_ZN7rocprim17ROCPRIM_400000_NS6detail17trampoline_kernelINS0_14default_configENS1_33run_length_encode_config_selectorIN3c108BFloat16EjNS0_4plusIjEEEEZZNS1_33reduce_by_key_impl_wrapped_configILNS1_25lookback_scan_determinismE0ES3_S9_PKS6_NS0_17constant_iteratorIjlEEPS6_PlSH_S8_NS0_8equal_toIS6_EEEE10hipError_tPvRmT2_T3_mT4_T5_T6_T7_T8_P12ihipStream_tbENKUlT_T0_E_clISt17integral_constantIbLb1EES10_IbLb0EEEEDaSW_SX_EUlSW_E_NS1_11comp_targetILNS1_3genE4ELNS1_11target_archE910ELNS1_3gpuE8ELNS1_3repE0EEENS1_30default_config_static_selectorELNS0_4arch9wavefront6targetE1EEEvT1_,comdat
.Lfunc_end876:
	.size	_ZN7rocprim17ROCPRIM_400000_NS6detail17trampoline_kernelINS0_14default_configENS1_33run_length_encode_config_selectorIN3c108BFloat16EjNS0_4plusIjEEEEZZNS1_33reduce_by_key_impl_wrapped_configILNS1_25lookback_scan_determinismE0ES3_S9_PKS6_NS0_17constant_iteratorIjlEEPS6_PlSH_S8_NS0_8equal_toIS6_EEEE10hipError_tPvRmT2_T3_mT4_T5_T6_T7_T8_P12ihipStream_tbENKUlT_T0_E_clISt17integral_constantIbLb1EES10_IbLb0EEEEDaSW_SX_EUlSW_E_NS1_11comp_targetILNS1_3genE4ELNS1_11target_archE910ELNS1_3gpuE8ELNS1_3repE0EEENS1_30default_config_static_selectorELNS0_4arch9wavefront6targetE1EEEvT1_, .Lfunc_end876-_ZN7rocprim17ROCPRIM_400000_NS6detail17trampoline_kernelINS0_14default_configENS1_33run_length_encode_config_selectorIN3c108BFloat16EjNS0_4plusIjEEEEZZNS1_33reduce_by_key_impl_wrapped_configILNS1_25lookback_scan_determinismE0ES3_S9_PKS6_NS0_17constant_iteratorIjlEEPS6_PlSH_S8_NS0_8equal_toIS6_EEEE10hipError_tPvRmT2_T3_mT4_T5_T6_T7_T8_P12ihipStream_tbENKUlT_T0_E_clISt17integral_constantIbLb1EES10_IbLb0EEEEDaSW_SX_EUlSW_E_NS1_11comp_targetILNS1_3genE4ELNS1_11target_archE910ELNS1_3gpuE8ELNS1_3repE0EEENS1_30default_config_static_selectorELNS0_4arch9wavefront6targetE1EEEvT1_
                                        ; -- End function
	.section	.AMDGPU.csdata,"",@progbits
; Kernel info:
; codeLenInByte = 16028
; NumSgprs: 68
; NumVgprs: 109
; NumAgprs: 0
; TotalNumVgprs: 109
; ScratchSize: 0
; MemoryBound: 0
; FloatMode: 240
; IeeeMode: 1
; LDSByteSize: 15360 bytes/workgroup (compile time only)
; SGPRBlocks: 8
; VGPRBlocks: 13
; NumSGPRsForWavesPerEU: 68
; NumVGPRsForWavesPerEU: 109
; AccumOffset: 112
; Occupancy: 4
; WaveLimiterHint : 1
; COMPUTE_PGM_RSRC2:SCRATCH_EN: 0
; COMPUTE_PGM_RSRC2:USER_SGPR: 6
; COMPUTE_PGM_RSRC2:TRAP_HANDLER: 0
; COMPUTE_PGM_RSRC2:TGID_X_EN: 1
; COMPUTE_PGM_RSRC2:TGID_Y_EN: 0
; COMPUTE_PGM_RSRC2:TGID_Z_EN: 0
; COMPUTE_PGM_RSRC2:TIDIG_COMP_CNT: 0
; COMPUTE_PGM_RSRC3_GFX90A:ACCUM_OFFSET: 27
; COMPUTE_PGM_RSRC3_GFX90A:TG_SPLIT: 0
	.section	.text._ZN7rocprim17ROCPRIM_400000_NS6detail17trampoline_kernelINS0_14default_configENS1_33run_length_encode_config_selectorIN3c108BFloat16EjNS0_4plusIjEEEEZZNS1_33reduce_by_key_impl_wrapped_configILNS1_25lookback_scan_determinismE0ES3_S9_PKS6_NS0_17constant_iteratorIjlEEPS6_PlSH_S8_NS0_8equal_toIS6_EEEE10hipError_tPvRmT2_T3_mT4_T5_T6_T7_T8_P12ihipStream_tbENKUlT_T0_E_clISt17integral_constantIbLb1EES10_IbLb0EEEEDaSW_SX_EUlSW_E_NS1_11comp_targetILNS1_3genE3ELNS1_11target_archE908ELNS1_3gpuE7ELNS1_3repE0EEENS1_30default_config_static_selectorELNS0_4arch9wavefront6targetE1EEEvT1_,"axG",@progbits,_ZN7rocprim17ROCPRIM_400000_NS6detail17trampoline_kernelINS0_14default_configENS1_33run_length_encode_config_selectorIN3c108BFloat16EjNS0_4plusIjEEEEZZNS1_33reduce_by_key_impl_wrapped_configILNS1_25lookback_scan_determinismE0ES3_S9_PKS6_NS0_17constant_iteratorIjlEEPS6_PlSH_S8_NS0_8equal_toIS6_EEEE10hipError_tPvRmT2_T3_mT4_T5_T6_T7_T8_P12ihipStream_tbENKUlT_T0_E_clISt17integral_constantIbLb1EES10_IbLb0EEEEDaSW_SX_EUlSW_E_NS1_11comp_targetILNS1_3genE3ELNS1_11target_archE908ELNS1_3gpuE7ELNS1_3repE0EEENS1_30default_config_static_selectorELNS0_4arch9wavefront6targetE1EEEvT1_,comdat
	.protected	_ZN7rocprim17ROCPRIM_400000_NS6detail17trampoline_kernelINS0_14default_configENS1_33run_length_encode_config_selectorIN3c108BFloat16EjNS0_4plusIjEEEEZZNS1_33reduce_by_key_impl_wrapped_configILNS1_25lookback_scan_determinismE0ES3_S9_PKS6_NS0_17constant_iteratorIjlEEPS6_PlSH_S8_NS0_8equal_toIS6_EEEE10hipError_tPvRmT2_T3_mT4_T5_T6_T7_T8_P12ihipStream_tbENKUlT_T0_E_clISt17integral_constantIbLb1EES10_IbLb0EEEEDaSW_SX_EUlSW_E_NS1_11comp_targetILNS1_3genE3ELNS1_11target_archE908ELNS1_3gpuE7ELNS1_3repE0EEENS1_30default_config_static_selectorELNS0_4arch9wavefront6targetE1EEEvT1_ ; -- Begin function _ZN7rocprim17ROCPRIM_400000_NS6detail17trampoline_kernelINS0_14default_configENS1_33run_length_encode_config_selectorIN3c108BFloat16EjNS0_4plusIjEEEEZZNS1_33reduce_by_key_impl_wrapped_configILNS1_25lookback_scan_determinismE0ES3_S9_PKS6_NS0_17constant_iteratorIjlEEPS6_PlSH_S8_NS0_8equal_toIS6_EEEE10hipError_tPvRmT2_T3_mT4_T5_T6_T7_T8_P12ihipStream_tbENKUlT_T0_E_clISt17integral_constantIbLb1EES10_IbLb0EEEEDaSW_SX_EUlSW_E_NS1_11comp_targetILNS1_3genE3ELNS1_11target_archE908ELNS1_3gpuE7ELNS1_3repE0EEENS1_30default_config_static_selectorELNS0_4arch9wavefront6targetE1EEEvT1_
	.globl	_ZN7rocprim17ROCPRIM_400000_NS6detail17trampoline_kernelINS0_14default_configENS1_33run_length_encode_config_selectorIN3c108BFloat16EjNS0_4plusIjEEEEZZNS1_33reduce_by_key_impl_wrapped_configILNS1_25lookback_scan_determinismE0ES3_S9_PKS6_NS0_17constant_iteratorIjlEEPS6_PlSH_S8_NS0_8equal_toIS6_EEEE10hipError_tPvRmT2_T3_mT4_T5_T6_T7_T8_P12ihipStream_tbENKUlT_T0_E_clISt17integral_constantIbLb1EES10_IbLb0EEEEDaSW_SX_EUlSW_E_NS1_11comp_targetILNS1_3genE3ELNS1_11target_archE908ELNS1_3gpuE7ELNS1_3repE0EEENS1_30default_config_static_selectorELNS0_4arch9wavefront6targetE1EEEvT1_
	.p2align	8
	.type	_ZN7rocprim17ROCPRIM_400000_NS6detail17trampoline_kernelINS0_14default_configENS1_33run_length_encode_config_selectorIN3c108BFloat16EjNS0_4plusIjEEEEZZNS1_33reduce_by_key_impl_wrapped_configILNS1_25lookback_scan_determinismE0ES3_S9_PKS6_NS0_17constant_iteratorIjlEEPS6_PlSH_S8_NS0_8equal_toIS6_EEEE10hipError_tPvRmT2_T3_mT4_T5_T6_T7_T8_P12ihipStream_tbENKUlT_T0_E_clISt17integral_constantIbLb1EES10_IbLb0EEEEDaSW_SX_EUlSW_E_NS1_11comp_targetILNS1_3genE3ELNS1_11target_archE908ELNS1_3gpuE7ELNS1_3repE0EEENS1_30default_config_static_selectorELNS0_4arch9wavefront6targetE1EEEvT1_,@function
_ZN7rocprim17ROCPRIM_400000_NS6detail17trampoline_kernelINS0_14default_configENS1_33run_length_encode_config_selectorIN3c108BFloat16EjNS0_4plusIjEEEEZZNS1_33reduce_by_key_impl_wrapped_configILNS1_25lookback_scan_determinismE0ES3_S9_PKS6_NS0_17constant_iteratorIjlEEPS6_PlSH_S8_NS0_8equal_toIS6_EEEE10hipError_tPvRmT2_T3_mT4_T5_T6_T7_T8_P12ihipStream_tbENKUlT_T0_E_clISt17integral_constantIbLb1EES10_IbLb0EEEEDaSW_SX_EUlSW_E_NS1_11comp_targetILNS1_3genE3ELNS1_11target_archE908ELNS1_3gpuE7ELNS1_3repE0EEENS1_30default_config_static_selectorELNS0_4arch9wavefront6targetE1EEEvT1_: ; @_ZN7rocprim17ROCPRIM_400000_NS6detail17trampoline_kernelINS0_14default_configENS1_33run_length_encode_config_selectorIN3c108BFloat16EjNS0_4plusIjEEEEZZNS1_33reduce_by_key_impl_wrapped_configILNS1_25lookback_scan_determinismE0ES3_S9_PKS6_NS0_17constant_iteratorIjlEEPS6_PlSH_S8_NS0_8equal_toIS6_EEEE10hipError_tPvRmT2_T3_mT4_T5_T6_T7_T8_P12ihipStream_tbENKUlT_T0_E_clISt17integral_constantIbLb1EES10_IbLb0EEEEDaSW_SX_EUlSW_E_NS1_11comp_targetILNS1_3genE3ELNS1_11target_archE908ELNS1_3gpuE7ELNS1_3repE0EEENS1_30default_config_static_selectorELNS0_4arch9wavefront6targetE1EEEvT1_
; %bb.0:
	.section	.rodata,"a",@progbits
	.p2align	6, 0x0
	.amdhsa_kernel _ZN7rocprim17ROCPRIM_400000_NS6detail17trampoline_kernelINS0_14default_configENS1_33run_length_encode_config_selectorIN3c108BFloat16EjNS0_4plusIjEEEEZZNS1_33reduce_by_key_impl_wrapped_configILNS1_25lookback_scan_determinismE0ES3_S9_PKS6_NS0_17constant_iteratorIjlEEPS6_PlSH_S8_NS0_8equal_toIS6_EEEE10hipError_tPvRmT2_T3_mT4_T5_T6_T7_T8_P12ihipStream_tbENKUlT_T0_E_clISt17integral_constantIbLb1EES10_IbLb0EEEEDaSW_SX_EUlSW_E_NS1_11comp_targetILNS1_3genE3ELNS1_11target_archE908ELNS1_3gpuE7ELNS1_3repE0EEENS1_30default_config_static_selectorELNS0_4arch9wavefront6targetE1EEEvT1_
		.amdhsa_group_segment_fixed_size 0
		.amdhsa_private_segment_fixed_size 0
		.amdhsa_kernarg_size 128
		.amdhsa_user_sgpr_count 6
		.amdhsa_user_sgpr_private_segment_buffer 1
		.amdhsa_user_sgpr_dispatch_ptr 0
		.amdhsa_user_sgpr_queue_ptr 0
		.amdhsa_user_sgpr_kernarg_segment_ptr 1
		.amdhsa_user_sgpr_dispatch_id 0
		.amdhsa_user_sgpr_flat_scratch_init 0
		.amdhsa_user_sgpr_kernarg_preload_length 0
		.amdhsa_user_sgpr_kernarg_preload_offset 0
		.amdhsa_user_sgpr_private_segment_size 0
		.amdhsa_uses_dynamic_stack 0
		.amdhsa_system_sgpr_private_segment_wavefront_offset 0
		.amdhsa_system_sgpr_workgroup_id_x 1
		.amdhsa_system_sgpr_workgroup_id_y 0
		.amdhsa_system_sgpr_workgroup_id_z 0
		.amdhsa_system_sgpr_workgroup_info 0
		.amdhsa_system_vgpr_workitem_id 0
		.amdhsa_next_free_vgpr 1
		.amdhsa_next_free_sgpr 0
		.amdhsa_accum_offset 4
		.amdhsa_reserve_vcc 0
		.amdhsa_reserve_flat_scratch 0
		.amdhsa_float_round_mode_32 0
		.amdhsa_float_round_mode_16_64 0
		.amdhsa_float_denorm_mode_32 3
		.amdhsa_float_denorm_mode_16_64 3
		.amdhsa_dx10_clamp 1
		.amdhsa_ieee_mode 1
		.amdhsa_fp16_overflow 0
		.amdhsa_tg_split 0
		.amdhsa_exception_fp_ieee_invalid_op 0
		.amdhsa_exception_fp_denorm_src 0
		.amdhsa_exception_fp_ieee_div_zero 0
		.amdhsa_exception_fp_ieee_overflow 0
		.amdhsa_exception_fp_ieee_underflow 0
		.amdhsa_exception_fp_ieee_inexact 0
		.amdhsa_exception_int_div_zero 0
	.end_amdhsa_kernel
	.section	.text._ZN7rocprim17ROCPRIM_400000_NS6detail17trampoline_kernelINS0_14default_configENS1_33run_length_encode_config_selectorIN3c108BFloat16EjNS0_4plusIjEEEEZZNS1_33reduce_by_key_impl_wrapped_configILNS1_25lookback_scan_determinismE0ES3_S9_PKS6_NS0_17constant_iteratorIjlEEPS6_PlSH_S8_NS0_8equal_toIS6_EEEE10hipError_tPvRmT2_T3_mT4_T5_T6_T7_T8_P12ihipStream_tbENKUlT_T0_E_clISt17integral_constantIbLb1EES10_IbLb0EEEEDaSW_SX_EUlSW_E_NS1_11comp_targetILNS1_3genE3ELNS1_11target_archE908ELNS1_3gpuE7ELNS1_3repE0EEENS1_30default_config_static_selectorELNS0_4arch9wavefront6targetE1EEEvT1_,"axG",@progbits,_ZN7rocprim17ROCPRIM_400000_NS6detail17trampoline_kernelINS0_14default_configENS1_33run_length_encode_config_selectorIN3c108BFloat16EjNS0_4plusIjEEEEZZNS1_33reduce_by_key_impl_wrapped_configILNS1_25lookback_scan_determinismE0ES3_S9_PKS6_NS0_17constant_iteratorIjlEEPS6_PlSH_S8_NS0_8equal_toIS6_EEEE10hipError_tPvRmT2_T3_mT4_T5_T6_T7_T8_P12ihipStream_tbENKUlT_T0_E_clISt17integral_constantIbLb1EES10_IbLb0EEEEDaSW_SX_EUlSW_E_NS1_11comp_targetILNS1_3genE3ELNS1_11target_archE908ELNS1_3gpuE7ELNS1_3repE0EEENS1_30default_config_static_selectorELNS0_4arch9wavefront6targetE1EEEvT1_,comdat
.Lfunc_end877:
	.size	_ZN7rocprim17ROCPRIM_400000_NS6detail17trampoline_kernelINS0_14default_configENS1_33run_length_encode_config_selectorIN3c108BFloat16EjNS0_4plusIjEEEEZZNS1_33reduce_by_key_impl_wrapped_configILNS1_25lookback_scan_determinismE0ES3_S9_PKS6_NS0_17constant_iteratorIjlEEPS6_PlSH_S8_NS0_8equal_toIS6_EEEE10hipError_tPvRmT2_T3_mT4_T5_T6_T7_T8_P12ihipStream_tbENKUlT_T0_E_clISt17integral_constantIbLb1EES10_IbLb0EEEEDaSW_SX_EUlSW_E_NS1_11comp_targetILNS1_3genE3ELNS1_11target_archE908ELNS1_3gpuE7ELNS1_3repE0EEENS1_30default_config_static_selectorELNS0_4arch9wavefront6targetE1EEEvT1_, .Lfunc_end877-_ZN7rocprim17ROCPRIM_400000_NS6detail17trampoline_kernelINS0_14default_configENS1_33run_length_encode_config_selectorIN3c108BFloat16EjNS0_4plusIjEEEEZZNS1_33reduce_by_key_impl_wrapped_configILNS1_25lookback_scan_determinismE0ES3_S9_PKS6_NS0_17constant_iteratorIjlEEPS6_PlSH_S8_NS0_8equal_toIS6_EEEE10hipError_tPvRmT2_T3_mT4_T5_T6_T7_T8_P12ihipStream_tbENKUlT_T0_E_clISt17integral_constantIbLb1EES10_IbLb0EEEEDaSW_SX_EUlSW_E_NS1_11comp_targetILNS1_3genE3ELNS1_11target_archE908ELNS1_3gpuE7ELNS1_3repE0EEENS1_30default_config_static_selectorELNS0_4arch9wavefront6targetE1EEEvT1_
                                        ; -- End function
	.section	.AMDGPU.csdata,"",@progbits
; Kernel info:
; codeLenInByte = 0
; NumSgprs: 4
; NumVgprs: 0
; NumAgprs: 0
; TotalNumVgprs: 0
; ScratchSize: 0
; MemoryBound: 0
; FloatMode: 240
; IeeeMode: 1
; LDSByteSize: 0 bytes/workgroup (compile time only)
; SGPRBlocks: 0
; VGPRBlocks: 0
; NumSGPRsForWavesPerEU: 4
; NumVGPRsForWavesPerEU: 1
; AccumOffset: 4
; Occupancy: 8
; WaveLimiterHint : 0
; COMPUTE_PGM_RSRC2:SCRATCH_EN: 0
; COMPUTE_PGM_RSRC2:USER_SGPR: 6
; COMPUTE_PGM_RSRC2:TRAP_HANDLER: 0
; COMPUTE_PGM_RSRC2:TGID_X_EN: 1
; COMPUTE_PGM_RSRC2:TGID_Y_EN: 0
; COMPUTE_PGM_RSRC2:TGID_Z_EN: 0
; COMPUTE_PGM_RSRC2:TIDIG_COMP_CNT: 0
; COMPUTE_PGM_RSRC3_GFX90A:ACCUM_OFFSET: 0
; COMPUTE_PGM_RSRC3_GFX90A:TG_SPLIT: 0
	.section	.text._ZN7rocprim17ROCPRIM_400000_NS6detail17trampoline_kernelINS0_14default_configENS1_33run_length_encode_config_selectorIN3c108BFloat16EjNS0_4plusIjEEEEZZNS1_33reduce_by_key_impl_wrapped_configILNS1_25lookback_scan_determinismE0ES3_S9_PKS6_NS0_17constant_iteratorIjlEEPS6_PlSH_S8_NS0_8equal_toIS6_EEEE10hipError_tPvRmT2_T3_mT4_T5_T6_T7_T8_P12ihipStream_tbENKUlT_T0_E_clISt17integral_constantIbLb1EES10_IbLb0EEEEDaSW_SX_EUlSW_E_NS1_11comp_targetILNS1_3genE2ELNS1_11target_archE906ELNS1_3gpuE6ELNS1_3repE0EEENS1_30default_config_static_selectorELNS0_4arch9wavefront6targetE1EEEvT1_,"axG",@progbits,_ZN7rocprim17ROCPRIM_400000_NS6detail17trampoline_kernelINS0_14default_configENS1_33run_length_encode_config_selectorIN3c108BFloat16EjNS0_4plusIjEEEEZZNS1_33reduce_by_key_impl_wrapped_configILNS1_25lookback_scan_determinismE0ES3_S9_PKS6_NS0_17constant_iteratorIjlEEPS6_PlSH_S8_NS0_8equal_toIS6_EEEE10hipError_tPvRmT2_T3_mT4_T5_T6_T7_T8_P12ihipStream_tbENKUlT_T0_E_clISt17integral_constantIbLb1EES10_IbLb0EEEEDaSW_SX_EUlSW_E_NS1_11comp_targetILNS1_3genE2ELNS1_11target_archE906ELNS1_3gpuE6ELNS1_3repE0EEENS1_30default_config_static_selectorELNS0_4arch9wavefront6targetE1EEEvT1_,comdat
	.protected	_ZN7rocprim17ROCPRIM_400000_NS6detail17trampoline_kernelINS0_14default_configENS1_33run_length_encode_config_selectorIN3c108BFloat16EjNS0_4plusIjEEEEZZNS1_33reduce_by_key_impl_wrapped_configILNS1_25lookback_scan_determinismE0ES3_S9_PKS6_NS0_17constant_iteratorIjlEEPS6_PlSH_S8_NS0_8equal_toIS6_EEEE10hipError_tPvRmT2_T3_mT4_T5_T6_T7_T8_P12ihipStream_tbENKUlT_T0_E_clISt17integral_constantIbLb1EES10_IbLb0EEEEDaSW_SX_EUlSW_E_NS1_11comp_targetILNS1_3genE2ELNS1_11target_archE906ELNS1_3gpuE6ELNS1_3repE0EEENS1_30default_config_static_selectorELNS0_4arch9wavefront6targetE1EEEvT1_ ; -- Begin function _ZN7rocprim17ROCPRIM_400000_NS6detail17trampoline_kernelINS0_14default_configENS1_33run_length_encode_config_selectorIN3c108BFloat16EjNS0_4plusIjEEEEZZNS1_33reduce_by_key_impl_wrapped_configILNS1_25lookback_scan_determinismE0ES3_S9_PKS6_NS0_17constant_iteratorIjlEEPS6_PlSH_S8_NS0_8equal_toIS6_EEEE10hipError_tPvRmT2_T3_mT4_T5_T6_T7_T8_P12ihipStream_tbENKUlT_T0_E_clISt17integral_constantIbLb1EES10_IbLb0EEEEDaSW_SX_EUlSW_E_NS1_11comp_targetILNS1_3genE2ELNS1_11target_archE906ELNS1_3gpuE6ELNS1_3repE0EEENS1_30default_config_static_selectorELNS0_4arch9wavefront6targetE1EEEvT1_
	.globl	_ZN7rocprim17ROCPRIM_400000_NS6detail17trampoline_kernelINS0_14default_configENS1_33run_length_encode_config_selectorIN3c108BFloat16EjNS0_4plusIjEEEEZZNS1_33reduce_by_key_impl_wrapped_configILNS1_25lookback_scan_determinismE0ES3_S9_PKS6_NS0_17constant_iteratorIjlEEPS6_PlSH_S8_NS0_8equal_toIS6_EEEE10hipError_tPvRmT2_T3_mT4_T5_T6_T7_T8_P12ihipStream_tbENKUlT_T0_E_clISt17integral_constantIbLb1EES10_IbLb0EEEEDaSW_SX_EUlSW_E_NS1_11comp_targetILNS1_3genE2ELNS1_11target_archE906ELNS1_3gpuE6ELNS1_3repE0EEENS1_30default_config_static_selectorELNS0_4arch9wavefront6targetE1EEEvT1_
	.p2align	8
	.type	_ZN7rocprim17ROCPRIM_400000_NS6detail17trampoline_kernelINS0_14default_configENS1_33run_length_encode_config_selectorIN3c108BFloat16EjNS0_4plusIjEEEEZZNS1_33reduce_by_key_impl_wrapped_configILNS1_25lookback_scan_determinismE0ES3_S9_PKS6_NS0_17constant_iteratorIjlEEPS6_PlSH_S8_NS0_8equal_toIS6_EEEE10hipError_tPvRmT2_T3_mT4_T5_T6_T7_T8_P12ihipStream_tbENKUlT_T0_E_clISt17integral_constantIbLb1EES10_IbLb0EEEEDaSW_SX_EUlSW_E_NS1_11comp_targetILNS1_3genE2ELNS1_11target_archE906ELNS1_3gpuE6ELNS1_3repE0EEENS1_30default_config_static_selectorELNS0_4arch9wavefront6targetE1EEEvT1_,@function
_ZN7rocprim17ROCPRIM_400000_NS6detail17trampoline_kernelINS0_14default_configENS1_33run_length_encode_config_selectorIN3c108BFloat16EjNS0_4plusIjEEEEZZNS1_33reduce_by_key_impl_wrapped_configILNS1_25lookback_scan_determinismE0ES3_S9_PKS6_NS0_17constant_iteratorIjlEEPS6_PlSH_S8_NS0_8equal_toIS6_EEEE10hipError_tPvRmT2_T3_mT4_T5_T6_T7_T8_P12ihipStream_tbENKUlT_T0_E_clISt17integral_constantIbLb1EES10_IbLb0EEEEDaSW_SX_EUlSW_E_NS1_11comp_targetILNS1_3genE2ELNS1_11target_archE906ELNS1_3gpuE6ELNS1_3repE0EEENS1_30default_config_static_selectorELNS0_4arch9wavefront6targetE1EEEvT1_: ; @_ZN7rocprim17ROCPRIM_400000_NS6detail17trampoline_kernelINS0_14default_configENS1_33run_length_encode_config_selectorIN3c108BFloat16EjNS0_4plusIjEEEEZZNS1_33reduce_by_key_impl_wrapped_configILNS1_25lookback_scan_determinismE0ES3_S9_PKS6_NS0_17constant_iteratorIjlEEPS6_PlSH_S8_NS0_8equal_toIS6_EEEE10hipError_tPvRmT2_T3_mT4_T5_T6_T7_T8_P12ihipStream_tbENKUlT_T0_E_clISt17integral_constantIbLb1EES10_IbLb0EEEEDaSW_SX_EUlSW_E_NS1_11comp_targetILNS1_3genE2ELNS1_11target_archE906ELNS1_3gpuE6ELNS1_3repE0EEENS1_30default_config_static_selectorELNS0_4arch9wavefront6targetE1EEEvT1_
; %bb.0:
	.section	.rodata,"a",@progbits
	.p2align	6, 0x0
	.amdhsa_kernel _ZN7rocprim17ROCPRIM_400000_NS6detail17trampoline_kernelINS0_14default_configENS1_33run_length_encode_config_selectorIN3c108BFloat16EjNS0_4plusIjEEEEZZNS1_33reduce_by_key_impl_wrapped_configILNS1_25lookback_scan_determinismE0ES3_S9_PKS6_NS0_17constant_iteratorIjlEEPS6_PlSH_S8_NS0_8equal_toIS6_EEEE10hipError_tPvRmT2_T3_mT4_T5_T6_T7_T8_P12ihipStream_tbENKUlT_T0_E_clISt17integral_constantIbLb1EES10_IbLb0EEEEDaSW_SX_EUlSW_E_NS1_11comp_targetILNS1_3genE2ELNS1_11target_archE906ELNS1_3gpuE6ELNS1_3repE0EEENS1_30default_config_static_selectorELNS0_4arch9wavefront6targetE1EEEvT1_
		.amdhsa_group_segment_fixed_size 0
		.amdhsa_private_segment_fixed_size 0
		.amdhsa_kernarg_size 128
		.amdhsa_user_sgpr_count 6
		.amdhsa_user_sgpr_private_segment_buffer 1
		.amdhsa_user_sgpr_dispatch_ptr 0
		.amdhsa_user_sgpr_queue_ptr 0
		.amdhsa_user_sgpr_kernarg_segment_ptr 1
		.amdhsa_user_sgpr_dispatch_id 0
		.amdhsa_user_sgpr_flat_scratch_init 0
		.amdhsa_user_sgpr_kernarg_preload_length 0
		.amdhsa_user_sgpr_kernarg_preload_offset 0
		.amdhsa_user_sgpr_private_segment_size 0
		.amdhsa_uses_dynamic_stack 0
		.amdhsa_system_sgpr_private_segment_wavefront_offset 0
		.amdhsa_system_sgpr_workgroup_id_x 1
		.amdhsa_system_sgpr_workgroup_id_y 0
		.amdhsa_system_sgpr_workgroup_id_z 0
		.amdhsa_system_sgpr_workgroup_info 0
		.amdhsa_system_vgpr_workitem_id 0
		.amdhsa_next_free_vgpr 1
		.amdhsa_next_free_sgpr 0
		.amdhsa_accum_offset 4
		.amdhsa_reserve_vcc 0
		.amdhsa_reserve_flat_scratch 0
		.amdhsa_float_round_mode_32 0
		.amdhsa_float_round_mode_16_64 0
		.amdhsa_float_denorm_mode_32 3
		.amdhsa_float_denorm_mode_16_64 3
		.amdhsa_dx10_clamp 1
		.amdhsa_ieee_mode 1
		.amdhsa_fp16_overflow 0
		.amdhsa_tg_split 0
		.amdhsa_exception_fp_ieee_invalid_op 0
		.amdhsa_exception_fp_denorm_src 0
		.amdhsa_exception_fp_ieee_div_zero 0
		.amdhsa_exception_fp_ieee_overflow 0
		.amdhsa_exception_fp_ieee_underflow 0
		.amdhsa_exception_fp_ieee_inexact 0
		.amdhsa_exception_int_div_zero 0
	.end_amdhsa_kernel
	.section	.text._ZN7rocprim17ROCPRIM_400000_NS6detail17trampoline_kernelINS0_14default_configENS1_33run_length_encode_config_selectorIN3c108BFloat16EjNS0_4plusIjEEEEZZNS1_33reduce_by_key_impl_wrapped_configILNS1_25lookback_scan_determinismE0ES3_S9_PKS6_NS0_17constant_iteratorIjlEEPS6_PlSH_S8_NS0_8equal_toIS6_EEEE10hipError_tPvRmT2_T3_mT4_T5_T6_T7_T8_P12ihipStream_tbENKUlT_T0_E_clISt17integral_constantIbLb1EES10_IbLb0EEEEDaSW_SX_EUlSW_E_NS1_11comp_targetILNS1_3genE2ELNS1_11target_archE906ELNS1_3gpuE6ELNS1_3repE0EEENS1_30default_config_static_selectorELNS0_4arch9wavefront6targetE1EEEvT1_,"axG",@progbits,_ZN7rocprim17ROCPRIM_400000_NS6detail17trampoline_kernelINS0_14default_configENS1_33run_length_encode_config_selectorIN3c108BFloat16EjNS0_4plusIjEEEEZZNS1_33reduce_by_key_impl_wrapped_configILNS1_25lookback_scan_determinismE0ES3_S9_PKS6_NS0_17constant_iteratorIjlEEPS6_PlSH_S8_NS0_8equal_toIS6_EEEE10hipError_tPvRmT2_T3_mT4_T5_T6_T7_T8_P12ihipStream_tbENKUlT_T0_E_clISt17integral_constantIbLb1EES10_IbLb0EEEEDaSW_SX_EUlSW_E_NS1_11comp_targetILNS1_3genE2ELNS1_11target_archE906ELNS1_3gpuE6ELNS1_3repE0EEENS1_30default_config_static_selectorELNS0_4arch9wavefront6targetE1EEEvT1_,comdat
.Lfunc_end878:
	.size	_ZN7rocprim17ROCPRIM_400000_NS6detail17trampoline_kernelINS0_14default_configENS1_33run_length_encode_config_selectorIN3c108BFloat16EjNS0_4plusIjEEEEZZNS1_33reduce_by_key_impl_wrapped_configILNS1_25lookback_scan_determinismE0ES3_S9_PKS6_NS0_17constant_iteratorIjlEEPS6_PlSH_S8_NS0_8equal_toIS6_EEEE10hipError_tPvRmT2_T3_mT4_T5_T6_T7_T8_P12ihipStream_tbENKUlT_T0_E_clISt17integral_constantIbLb1EES10_IbLb0EEEEDaSW_SX_EUlSW_E_NS1_11comp_targetILNS1_3genE2ELNS1_11target_archE906ELNS1_3gpuE6ELNS1_3repE0EEENS1_30default_config_static_selectorELNS0_4arch9wavefront6targetE1EEEvT1_, .Lfunc_end878-_ZN7rocprim17ROCPRIM_400000_NS6detail17trampoline_kernelINS0_14default_configENS1_33run_length_encode_config_selectorIN3c108BFloat16EjNS0_4plusIjEEEEZZNS1_33reduce_by_key_impl_wrapped_configILNS1_25lookback_scan_determinismE0ES3_S9_PKS6_NS0_17constant_iteratorIjlEEPS6_PlSH_S8_NS0_8equal_toIS6_EEEE10hipError_tPvRmT2_T3_mT4_T5_T6_T7_T8_P12ihipStream_tbENKUlT_T0_E_clISt17integral_constantIbLb1EES10_IbLb0EEEEDaSW_SX_EUlSW_E_NS1_11comp_targetILNS1_3genE2ELNS1_11target_archE906ELNS1_3gpuE6ELNS1_3repE0EEENS1_30default_config_static_selectorELNS0_4arch9wavefront6targetE1EEEvT1_
                                        ; -- End function
	.section	.AMDGPU.csdata,"",@progbits
; Kernel info:
; codeLenInByte = 0
; NumSgprs: 4
; NumVgprs: 0
; NumAgprs: 0
; TotalNumVgprs: 0
; ScratchSize: 0
; MemoryBound: 0
; FloatMode: 240
; IeeeMode: 1
; LDSByteSize: 0 bytes/workgroup (compile time only)
; SGPRBlocks: 0
; VGPRBlocks: 0
; NumSGPRsForWavesPerEU: 4
; NumVGPRsForWavesPerEU: 1
; AccumOffset: 4
; Occupancy: 8
; WaveLimiterHint : 0
; COMPUTE_PGM_RSRC2:SCRATCH_EN: 0
; COMPUTE_PGM_RSRC2:USER_SGPR: 6
; COMPUTE_PGM_RSRC2:TRAP_HANDLER: 0
; COMPUTE_PGM_RSRC2:TGID_X_EN: 1
; COMPUTE_PGM_RSRC2:TGID_Y_EN: 0
; COMPUTE_PGM_RSRC2:TGID_Z_EN: 0
; COMPUTE_PGM_RSRC2:TIDIG_COMP_CNT: 0
; COMPUTE_PGM_RSRC3_GFX90A:ACCUM_OFFSET: 0
; COMPUTE_PGM_RSRC3_GFX90A:TG_SPLIT: 0
	.section	.text._ZN7rocprim17ROCPRIM_400000_NS6detail17trampoline_kernelINS0_14default_configENS1_33run_length_encode_config_selectorIN3c108BFloat16EjNS0_4plusIjEEEEZZNS1_33reduce_by_key_impl_wrapped_configILNS1_25lookback_scan_determinismE0ES3_S9_PKS6_NS0_17constant_iteratorIjlEEPS6_PlSH_S8_NS0_8equal_toIS6_EEEE10hipError_tPvRmT2_T3_mT4_T5_T6_T7_T8_P12ihipStream_tbENKUlT_T0_E_clISt17integral_constantIbLb1EES10_IbLb0EEEEDaSW_SX_EUlSW_E_NS1_11comp_targetILNS1_3genE10ELNS1_11target_archE1201ELNS1_3gpuE5ELNS1_3repE0EEENS1_30default_config_static_selectorELNS0_4arch9wavefront6targetE1EEEvT1_,"axG",@progbits,_ZN7rocprim17ROCPRIM_400000_NS6detail17trampoline_kernelINS0_14default_configENS1_33run_length_encode_config_selectorIN3c108BFloat16EjNS0_4plusIjEEEEZZNS1_33reduce_by_key_impl_wrapped_configILNS1_25lookback_scan_determinismE0ES3_S9_PKS6_NS0_17constant_iteratorIjlEEPS6_PlSH_S8_NS0_8equal_toIS6_EEEE10hipError_tPvRmT2_T3_mT4_T5_T6_T7_T8_P12ihipStream_tbENKUlT_T0_E_clISt17integral_constantIbLb1EES10_IbLb0EEEEDaSW_SX_EUlSW_E_NS1_11comp_targetILNS1_3genE10ELNS1_11target_archE1201ELNS1_3gpuE5ELNS1_3repE0EEENS1_30default_config_static_selectorELNS0_4arch9wavefront6targetE1EEEvT1_,comdat
	.protected	_ZN7rocprim17ROCPRIM_400000_NS6detail17trampoline_kernelINS0_14default_configENS1_33run_length_encode_config_selectorIN3c108BFloat16EjNS0_4plusIjEEEEZZNS1_33reduce_by_key_impl_wrapped_configILNS1_25lookback_scan_determinismE0ES3_S9_PKS6_NS0_17constant_iteratorIjlEEPS6_PlSH_S8_NS0_8equal_toIS6_EEEE10hipError_tPvRmT2_T3_mT4_T5_T6_T7_T8_P12ihipStream_tbENKUlT_T0_E_clISt17integral_constantIbLb1EES10_IbLb0EEEEDaSW_SX_EUlSW_E_NS1_11comp_targetILNS1_3genE10ELNS1_11target_archE1201ELNS1_3gpuE5ELNS1_3repE0EEENS1_30default_config_static_selectorELNS0_4arch9wavefront6targetE1EEEvT1_ ; -- Begin function _ZN7rocprim17ROCPRIM_400000_NS6detail17trampoline_kernelINS0_14default_configENS1_33run_length_encode_config_selectorIN3c108BFloat16EjNS0_4plusIjEEEEZZNS1_33reduce_by_key_impl_wrapped_configILNS1_25lookback_scan_determinismE0ES3_S9_PKS6_NS0_17constant_iteratorIjlEEPS6_PlSH_S8_NS0_8equal_toIS6_EEEE10hipError_tPvRmT2_T3_mT4_T5_T6_T7_T8_P12ihipStream_tbENKUlT_T0_E_clISt17integral_constantIbLb1EES10_IbLb0EEEEDaSW_SX_EUlSW_E_NS1_11comp_targetILNS1_3genE10ELNS1_11target_archE1201ELNS1_3gpuE5ELNS1_3repE0EEENS1_30default_config_static_selectorELNS0_4arch9wavefront6targetE1EEEvT1_
	.globl	_ZN7rocprim17ROCPRIM_400000_NS6detail17trampoline_kernelINS0_14default_configENS1_33run_length_encode_config_selectorIN3c108BFloat16EjNS0_4plusIjEEEEZZNS1_33reduce_by_key_impl_wrapped_configILNS1_25lookback_scan_determinismE0ES3_S9_PKS6_NS0_17constant_iteratorIjlEEPS6_PlSH_S8_NS0_8equal_toIS6_EEEE10hipError_tPvRmT2_T3_mT4_T5_T6_T7_T8_P12ihipStream_tbENKUlT_T0_E_clISt17integral_constantIbLb1EES10_IbLb0EEEEDaSW_SX_EUlSW_E_NS1_11comp_targetILNS1_3genE10ELNS1_11target_archE1201ELNS1_3gpuE5ELNS1_3repE0EEENS1_30default_config_static_selectorELNS0_4arch9wavefront6targetE1EEEvT1_
	.p2align	8
	.type	_ZN7rocprim17ROCPRIM_400000_NS6detail17trampoline_kernelINS0_14default_configENS1_33run_length_encode_config_selectorIN3c108BFloat16EjNS0_4plusIjEEEEZZNS1_33reduce_by_key_impl_wrapped_configILNS1_25lookback_scan_determinismE0ES3_S9_PKS6_NS0_17constant_iteratorIjlEEPS6_PlSH_S8_NS0_8equal_toIS6_EEEE10hipError_tPvRmT2_T3_mT4_T5_T6_T7_T8_P12ihipStream_tbENKUlT_T0_E_clISt17integral_constantIbLb1EES10_IbLb0EEEEDaSW_SX_EUlSW_E_NS1_11comp_targetILNS1_3genE10ELNS1_11target_archE1201ELNS1_3gpuE5ELNS1_3repE0EEENS1_30default_config_static_selectorELNS0_4arch9wavefront6targetE1EEEvT1_,@function
_ZN7rocprim17ROCPRIM_400000_NS6detail17trampoline_kernelINS0_14default_configENS1_33run_length_encode_config_selectorIN3c108BFloat16EjNS0_4plusIjEEEEZZNS1_33reduce_by_key_impl_wrapped_configILNS1_25lookback_scan_determinismE0ES3_S9_PKS6_NS0_17constant_iteratorIjlEEPS6_PlSH_S8_NS0_8equal_toIS6_EEEE10hipError_tPvRmT2_T3_mT4_T5_T6_T7_T8_P12ihipStream_tbENKUlT_T0_E_clISt17integral_constantIbLb1EES10_IbLb0EEEEDaSW_SX_EUlSW_E_NS1_11comp_targetILNS1_3genE10ELNS1_11target_archE1201ELNS1_3gpuE5ELNS1_3repE0EEENS1_30default_config_static_selectorELNS0_4arch9wavefront6targetE1EEEvT1_: ; @_ZN7rocprim17ROCPRIM_400000_NS6detail17trampoline_kernelINS0_14default_configENS1_33run_length_encode_config_selectorIN3c108BFloat16EjNS0_4plusIjEEEEZZNS1_33reduce_by_key_impl_wrapped_configILNS1_25lookback_scan_determinismE0ES3_S9_PKS6_NS0_17constant_iteratorIjlEEPS6_PlSH_S8_NS0_8equal_toIS6_EEEE10hipError_tPvRmT2_T3_mT4_T5_T6_T7_T8_P12ihipStream_tbENKUlT_T0_E_clISt17integral_constantIbLb1EES10_IbLb0EEEEDaSW_SX_EUlSW_E_NS1_11comp_targetILNS1_3genE10ELNS1_11target_archE1201ELNS1_3gpuE5ELNS1_3repE0EEENS1_30default_config_static_selectorELNS0_4arch9wavefront6targetE1EEEvT1_
; %bb.0:
	.section	.rodata,"a",@progbits
	.p2align	6, 0x0
	.amdhsa_kernel _ZN7rocprim17ROCPRIM_400000_NS6detail17trampoline_kernelINS0_14default_configENS1_33run_length_encode_config_selectorIN3c108BFloat16EjNS0_4plusIjEEEEZZNS1_33reduce_by_key_impl_wrapped_configILNS1_25lookback_scan_determinismE0ES3_S9_PKS6_NS0_17constant_iteratorIjlEEPS6_PlSH_S8_NS0_8equal_toIS6_EEEE10hipError_tPvRmT2_T3_mT4_T5_T6_T7_T8_P12ihipStream_tbENKUlT_T0_E_clISt17integral_constantIbLb1EES10_IbLb0EEEEDaSW_SX_EUlSW_E_NS1_11comp_targetILNS1_3genE10ELNS1_11target_archE1201ELNS1_3gpuE5ELNS1_3repE0EEENS1_30default_config_static_selectorELNS0_4arch9wavefront6targetE1EEEvT1_
		.amdhsa_group_segment_fixed_size 0
		.amdhsa_private_segment_fixed_size 0
		.amdhsa_kernarg_size 128
		.amdhsa_user_sgpr_count 6
		.amdhsa_user_sgpr_private_segment_buffer 1
		.amdhsa_user_sgpr_dispatch_ptr 0
		.amdhsa_user_sgpr_queue_ptr 0
		.amdhsa_user_sgpr_kernarg_segment_ptr 1
		.amdhsa_user_sgpr_dispatch_id 0
		.amdhsa_user_sgpr_flat_scratch_init 0
		.amdhsa_user_sgpr_kernarg_preload_length 0
		.amdhsa_user_sgpr_kernarg_preload_offset 0
		.amdhsa_user_sgpr_private_segment_size 0
		.amdhsa_uses_dynamic_stack 0
		.amdhsa_system_sgpr_private_segment_wavefront_offset 0
		.amdhsa_system_sgpr_workgroup_id_x 1
		.amdhsa_system_sgpr_workgroup_id_y 0
		.amdhsa_system_sgpr_workgroup_id_z 0
		.amdhsa_system_sgpr_workgroup_info 0
		.amdhsa_system_vgpr_workitem_id 0
		.amdhsa_next_free_vgpr 1
		.amdhsa_next_free_sgpr 0
		.amdhsa_accum_offset 4
		.amdhsa_reserve_vcc 0
		.amdhsa_reserve_flat_scratch 0
		.amdhsa_float_round_mode_32 0
		.amdhsa_float_round_mode_16_64 0
		.amdhsa_float_denorm_mode_32 3
		.amdhsa_float_denorm_mode_16_64 3
		.amdhsa_dx10_clamp 1
		.amdhsa_ieee_mode 1
		.amdhsa_fp16_overflow 0
		.amdhsa_tg_split 0
		.amdhsa_exception_fp_ieee_invalid_op 0
		.amdhsa_exception_fp_denorm_src 0
		.amdhsa_exception_fp_ieee_div_zero 0
		.amdhsa_exception_fp_ieee_overflow 0
		.amdhsa_exception_fp_ieee_underflow 0
		.amdhsa_exception_fp_ieee_inexact 0
		.amdhsa_exception_int_div_zero 0
	.end_amdhsa_kernel
	.section	.text._ZN7rocprim17ROCPRIM_400000_NS6detail17trampoline_kernelINS0_14default_configENS1_33run_length_encode_config_selectorIN3c108BFloat16EjNS0_4plusIjEEEEZZNS1_33reduce_by_key_impl_wrapped_configILNS1_25lookback_scan_determinismE0ES3_S9_PKS6_NS0_17constant_iteratorIjlEEPS6_PlSH_S8_NS0_8equal_toIS6_EEEE10hipError_tPvRmT2_T3_mT4_T5_T6_T7_T8_P12ihipStream_tbENKUlT_T0_E_clISt17integral_constantIbLb1EES10_IbLb0EEEEDaSW_SX_EUlSW_E_NS1_11comp_targetILNS1_3genE10ELNS1_11target_archE1201ELNS1_3gpuE5ELNS1_3repE0EEENS1_30default_config_static_selectorELNS0_4arch9wavefront6targetE1EEEvT1_,"axG",@progbits,_ZN7rocprim17ROCPRIM_400000_NS6detail17trampoline_kernelINS0_14default_configENS1_33run_length_encode_config_selectorIN3c108BFloat16EjNS0_4plusIjEEEEZZNS1_33reduce_by_key_impl_wrapped_configILNS1_25lookback_scan_determinismE0ES3_S9_PKS6_NS0_17constant_iteratorIjlEEPS6_PlSH_S8_NS0_8equal_toIS6_EEEE10hipError_tPvRmT2_T3_mT4_T5_T6_T7_T8_P12ihipStream_tbENKUlT_T0_E_clISt17integral_constantIbLb1EES10_IbLb0EEEEDaSW_SX_EUlSW_E_NS1_11comp_targetILNS1_3genE10ELNS1_11target_archE1201ELNS1_3gpuE5ELNS1_3repE0EEENS1_30default_config_static_selectorELNS0_4arch9wavefront6targetE1EEEvT1_,comdat
.Lfunc_end879:
	.size	_ZN7rocprim17ROCPRIM_400000_NS6detail17trampoline_kernelINS0_14default_configENS1_33run_length_encode_config_selectorIN3c108BFloat16EjNS0_4plusIjEEEEZZNS1_33reduce_by_key_impl_wrapped_configILNS1_25lookback_scan_determinismE0ES3_S9_PKS6_NS0_17constant_iteratorIjlEEPS6_PlSH_S8_NS0_8equal_toIS6_EEEE10hipError_tPvRmT2_T3_mT4_T5_T6_T7_T8_P12ihipStream_tbENKUlT_T0_E_clISt17integral_constantIbLb1EES10_IbLb0EEEEDaSW_SX_EUlSW_E_NS1_11comp_targetILNS1_3genE10ELNS1_11target_archE1201ELNS1_3gpuE5ELNS1_3repE0EEENS1_30default_config_static_selectorELNS0_4arch9wavefront6targetE1EEEvT1_, .Lfunc_end879-_ZN7rocprim17ROCPRIM_400000_NS6detail17trampoline_kernelINS0_14default_configENS1_33run_length_encode_config_selectorIN3c108BFloat16EjNS0_4plusIjEEEEZZNS1_33reduce_by_key_impl_wrapped_configILNS1_25lookback_scan_determinismE0ES3_S9_PKS6_NS0_17constant_iteratorIjlEEPS6_PlSH_S8_NS0_8equal_toIS6_EEEE10hipError_tPvRmT2_T3_mT4_T5_T6_T7_T8_P12ihipStream_tbENKUlT_T0_E_clISt17integral_constantIbLb1EES10_IbLb0EEEEDaSW_SX_EUlSW_E_NS1_11comp_targetILNS1_3genE10ELNS1_11target_archE1201ELNS1_3gpuE5ELNS1_3repE0EEENS1_30default_config_static_selectorELNS0_4arch9wavefront6targetE1EEEvT1_
                                        ; -- End function
	.section	.AMDGPU.csdata,"",@progbits
; Kernel info:
; codeLenInByte = 0
; NumSgprs: 4
; NumVgprs: 0
; NumAgprs: 0
; TotalNumVgprs: 0
; ScratchSize: 0
; MemoryBound: 0
; FloatMode: 240
; IeeeMode: 1
; LDSByteSize: 0 bytes/workgroup (compile time only)
; SGPRBlocks: 0
; VGPRBlocks: 0
; NumSGPRsForWavesPerEU: 4
; NumVGPRsForWavesPerEU: 1
; AccumOffset: 4
; Occupancy: 8
; WaveLimiterHint : 0
; COMPUTE_PGM_RSRC2:SCRATCH_EN: 0
; COMPUTE_PGM_RSRC2:USER_SGPR: 6
; COMPUTE_PGM_RSRC2:TRAP_HANDLER: 0
; COMPUTE_PGM_RSRC2:TGID_X_EN: 1
; COMPUTE_PGM_RSRC2:TGID_Y_EN: 0
; COMPUTE_PGM_RSRC2:TGID_Z_EN: 0
; COMPUTE_PGM_RSRC2:TIDIG_COMP_CNT: 0
; COMPUTE_PGM_RSRC3_GFX90A:ACCUM_OFFSET: 0
; COMPUTE_PGM_RSRC3_GFX90A:TG_SPLIT: 0
	.section	.text._ZN7rocprim17ROCPRIM_400000_NS6detail17trampoline_kernelINS0_14default_configENS1_33run_length_encode_config_selectorIN3c108BFloat16EjNS0_4plusIjEEEEZZNS1_33reduce_by_key_impl_wrapped_configILNS1_25lookback_scan_determinismE0ES3_S9_PKS6_NS0_17constant_iteratorIjlEEPS6_PlSH_S8_NS0_8equal_toIS6_EEEE10hipError_tPvRmT2_T3_mT4_T5_T6_T7_T8_P12ihipStream_tbENKUlT_T0_E_clISt17integral_constantIbLb1EES10_IbLb0EEEEDaSW_SX_EUlSW_E_NS1_11comp_targetILNS1_3genE10ELNS1_11target_archE1200ELNS1_3gpuE4ELNS1_3repE0EEENS1_30default_config_static_selectorELNS0_4arch9wavefront6targetE1EEEvT1_,"axG",@progbits,_ZN7rocprim17ROCPRIM_400000_NS6detail17trampoline_kernelINS0_14default_configENS1_33run_length_encode_config_selectorIN3c108BFloat16EjNS0_4plusIjEEEEZZNS1_33reduce_by_key_impl_wrapped_configILNS1_25lookback_scan_determinismE0ES3_S9_PKS6_NS0_17constant_iteratorIjlEEPS6_PlSH_S8_NS0_8equal_toIS6_EEEE10hipError_tPvRmT2_T3_mT4_T5_T6_T7_T8_P12ihipStream_tbENKUlT_T0_E_clISt17integral_constantIbLb1EES10_IbLb0EEEEDaSW_SX_EUlSW_E_NS1_11comp_targetILNS1_3genE10ELNS1_11target_archE1200ELNS1_3gpuE4ELNS1_3repE0EEENS1_30default_config_static_selectorELNS0_4arch9wavefront6targetE1EEEvT1_,comdat
	.protected	_ZN7rocprim17ROCPRIM_400000_NS6detail17trampoline_kernelINS0_14default_configENS1_33run_length_encode_config_selectorIN3c108BFloat16EjNS0_4plusIjEEEEZZNS1_33reduce_by_key_impl_wrapped_configILNS1_25lookback_scan_determinismE0ES3_S9_PKS6_NS0_17constant_iteratorIjlEEPS6_PlSH_S8_NS0_8equal_toIS6_EEEE10hipError_tPvRmT2_T3_mT4_T5_T6_T7_T8_P12ihipStream_tbENKUlT_T0_E_clISt17integral_constantIbLb1EES10_IbLb0EEEEDaSW_SX_EUlSW_E_NS1_11comp_targetILNS1_3genE10ELNS1_11target_archE1200ELNS1_3gpuE4ELNS1_3repE0EEENS1_30default_config_static_selectorELNS0_4arch9wavefront6targetE1EEEvT1_ ; -- Begin function _ZN7rocprim17ROCPRIM_400000_NS6detail17trampoline_kernelINS0_14default_configENS1_33run_length_encode_config_selectorIN3c108BFloat16EjNS0_4plusIjEEEEZZNS1_33reduce_by_key_impl_wrapped_configILNS1_25lookback_scan_determinismE0ES3_S9_PKS6_NS0_17constant_iteratorIjlEEPS6_PlSH_S8_NS0_8equal_toIS6_EEEE10hipError_tPvRmT2_T3_mT4_T5_T6_T7_T8_P12ihipStream_tbENKUlT_T0_E_clISt17integral_constantIbLb1EES10_IbLb0EEEEDaSW_SX_EUlSW_E_NS1_11comp_targetILNS1_3genE10ELNS1_11target_archE1200ELNS1_3gpuE4ELNS1_3repE0EEENS1_30default_config_static_selectorELNS0_4arch9wavefront6targetE1EEEvT1_
	.globl	_ZN7rocprim17ROCPRIM_400000_NS6detail17trampoline_kernelINS0_14default_configENS1_33run_length_encode_config_selectorIN3c108BFloat16EjNS0_4plusIjEEEEZZNS1_33reduce_by_key_impl_wrapped_configILNS1_25lookback_scan_determinismE0ES3_S9_PKS6_NS0_17constant_iteratorIjlEEPS6_PlSH_S8_NS0_8equal_toIS6_EEEE10hipError_tPvRmT2_T3_mT4_T5_T6_T7_T8_P12ihipStream_tbENKUlT_T0_E_clISt17integral_constantIbLb1EES10_IbLb0EEEEDaSW_SX_EUlSW_E_NS1_11comp_targetILNS1_3genE10ELNS1_11target_archE1200ELNS1_3gpuE4ELNS1_3repE0EEENS1_30default_config_static_selectorELNS0_4arch9wavefront6targetE1EEEvT1_
	.p2align	8
	.type	_ZN7rocprim17ROCPRIM_400000_NS6detail17trampoline_kernelINS0_14default_configENS1_33run_length_encode_config_selectorIN3c108BFloat16EjNS0_4plusIjEEEEZZNS1_33reduce_by_key_impl_wrapped_configILNS1_25lookback_scan_determinismE0ES3_S9_PKS6_NS0_17constant_iteratorIjlEEPS6_PlSH_S8_NS0_8equal_toIS6_EEEE10hipError_tPvRmT2_T3_mT4_T5_T6_T7_T8_P12ihipStream_tbENKUlT_T0_E_clISt17integral_constantIbLb1EES10_IbLb0EEEEDaSW_SX_EUlSW_E_NS1_11comp_targetILNS1_3genE10ELNS1_11target_archE1200ELNS1_3gpuE4ELNS1_3repE0EEENS1_30default_config_static_selectorELNS0_4arch9wavefront6targetE1EEEvT1_,@function
_ZN7rocprim17ROCPRIM_400000_NS6detail17trampoline_kernelINS0_14default_configENS1_33run_length_encode_config_selectorIN3c108BFloat16EjNS0_4plusIjEEEEZZNS1_33reduce_by_key_impl_wrapped_configILNS1_25lookback_scan_determinismE0ES3_S9_PKS6_NS0_17constant_iteratorIjlEEPS6_PlSH_S8_NS0_8equal_toIS6_EEEE10hipError_tPvRmT2_T3_mT4_T5_T6_T7_T8_P12ihipStream_tbENKUlT_T0_E_clISt17integral_constantIbLb1EES10_IbLb0EEEEDaSW_SX_EUlSW_E_NS1_11comp_targetILNS1_3genE10ELNS1_11target_archE1200ELNS1_3gpuE4ELNS1_3repE0EEENS1_30default_config_static_selectorELNS0_4arch9wavefront6targetE1EEEvT1_: ; @_ZN7rocprim17ROCPRIM_400000_NS6detail17trampoline_kernelINS0_14default_configENS1_33run_length_encode_config_selectorIN3c108BFloat16EjNS0_4plusIjEEEEZZNS1_33reduce_by_key_impl_wrapped_configILNS1_25lookback_scan_determinismE0ES3_S9_PKS6_NS0_17constant_iteratorIjlEEPS6_PlSH_S8_NS0_8equal_toIS6_EEEE10hipError_tPvRmT2_T3_mT4_T5_T6_T7_T8_P12ihipStream_tbENKUlT_T0_E_clISt17integral_constantIbLb1EES10_IbLb0EEEEDaSW_SX_EUlSW_E_NS1_11comp_targetILNS1_3genE10ELNS1_11target_archE1200ELNS1_3gpuE4ELNS1_3repE0EEENS1_30default_config_static_selectorELNS0_4arch9wavefront6targetE1EEEvT1_
; %bb.0:
	.section	.rodata,"a",@progbits
	.p2align	6, 0x0
	.amdhsa_kernel _ZN7rocprim17ROCPRIM_400000_NS6detail17trampoline_kernelINS0_14default_configENS1_33run_length_encode_config_selectorIN3c108BFloat16EjNS0_4plusIjEEEEZZNS1_33reduce_by_key_impl_wrapped_configILNS1_25lookback_scan_determinismE0ES3_S9_PKS6_NS0_17constant_iteratorIjlEEPS6_PlSH_S8_NS0_8equal_toIS6_EEEE10hipError_tPvRmT2_T3_mT4_T5_T6_T7_T8_P12ihipStream_tbENKUlT_T0_E_clISt17integral_constantIbLb1EES10_IbLb0EEEEDaSW_SX_EUlSW_E_NS1_11comp_targetILNS1_3genE10ELNS1_11target_archE1200ELNS1_3gpuE4ELNS1_3repE0EEENS1_30default_config_static_selectorELNS0_4arch9wavefront6targetE1EEEvT1_
		.amdhsa_group_segment_fixed_size 0
		.amdhsa_private_segment_fixed_size 0
		.amdhsa_kernarg_size 128
		.amdhsa_user_sgpr_count 6
		.amdhsa_user_sgpr_private_segment_buffer 1
		.amdhsa_user_sgpr_dispatch_ptr 0
		.amdhsa_user_sgpr_queue_ptr 0
		.amdhsa_user_sgpr_kernarg_segment_ptr 1
		.amdhsa_user_sgpr_dispatch_id 0
		.amdhsa_user_sgpr_flat_scratch_init 0
		.amdhsa_user_sgpr_kernarg_preload_length 0
		.amdhsa_user_sgpr_kernarg_preload_offset 0
		.amdhsa_user_sgpr_private_segment_size 0
		.amdhsa_uses_dynamic_stack 0
		.amdhsa_system_sgpr_private_segment_wavefront_offset 0
		.amdhsa_system_sgpr_workgroup_id_x 1
		.amdhsa_system_sgpr_workgroup_id_y 0
		.amdhsa_system_sgpr_workgroup_id_z 0
		.amdhsa_system_sgpr_workgroup_info 0
		.amdhsa_system_vgpr_workitem_id 0
		.amdhsa_next_free_vgpr 1
		.amdhsa_next_free_sgpr 0
		.amdhsa_accum_offset 4
		.amdhsa_reserve_vcc 0
		.amdhsa_reserve_flat_scratch 0
		.amdhsa_float_round_mode_32 0
		.amdhsa_float_round_mode_16_64 0
		.amdhsa_float_denorm_mode_32 3
		.amdhsa_float_denorm_mode_16_64 3
		.amdhsa_dx10_clamp 1
		.amdhsa_ieee_mode 1
		.amdhsa_fp16_overflow 0
		.amdhsa_tg_split 0
		.amdhsa_exception_fp_ieee_invalid_op 0
		.amdhsa_exception_fp_denorm_src 0
		.amdhsa_exception_fp_ieee_div_zero 0
		.amdhsa_exception_fp_ieee_overflow 0
		.amdhsa_exception_fp_ieee_underflow 0
		.amdhsa_exception_fp_ieee_inexact 0
		.amdhsa_exception_int_div_zero 0
	.end_amdhsa_kernel
	.section	.text._ZN7rocprim17ROCPRIM_400000_NS6detail17trampoline_kernelINS0_14default_configENS1_33run_length_encode_config_selectorIN3c108BFloat16EjNS0_4plusIjEEEEZZNS1_33reduce_by_key_impl_wrapped_configILNS1_25lookback_scan_determinismE0ES3_S9_PKS6_NS0_17constant_iteratorIjlEEPS6_PlSH_S8_NS0_8equal_toIS6_EEEE10hipError_tPvRmT2_T3_mT4_T5_T6_T7_T8_P12ihipStream_tbENKUlT_T0_E_clISt17integral_constantIbLb1EES10_IbLb0EEEEDaSW_SX_EUlSW_E_NS1_11comp_targetILNS1_3genE10ELNS1_11target_archE1200ELNS1_3gpuE4ELNS1_3repE0EEENS1_30default_config_static_selectorELNS0_4arch9wavefront6targetE1EEEvT1_,"axG",@progbits,_ZN7rocprim17ROCPRIM_400000_NS6detail17trampoline_kernelINS0_14default_configENS1_33run_length_encode_config_selectorIN3c108BFloat16EjNS0_4plusIjEEEEZZNS1_33reduce_by_key_impl_wrapped_configILNS1_25lookback_scan_determinismE0ES3_S9_PKS6_NS0_17constant_iteratorIjlEEPS6_PlSH_S8_NS0_8equal_toIS6_EEEE10hipError_tPvRmT2_T3_mT4_T5_T6_T7_T8_P12ihipStream_tbENKUlT_T0_E_clISt17integral_constantIbLb1EES10_IbLb0EEEEDaSW_SX_EUlSW_E_NS1_11comp_targetILNS1_3genE10ELNS1_11target_archE1200ELNS1_3gpuE4ELNS1_3repE0EEENS1_30default_config_static_selectorELNS0_4arch9wavefront6targetE1EEEvT1_,comdat
.Lfunc_end880:
	.size	_ZN7rocprim17ROCPRIM_400000_NS6detail17trampoline_kernelINS0_14default_configENS1_33run_length_encode_config_selectorIN3c108BFloat16EjNS0_4plusIjEEEEZZNS1_33reduce_by_key_impl_wrapped_configILNS1_25lookback_scan_determinismE0ES3_S9_PKS6_NS0_17constant_iteratorIjlEEPS6_PlSH_S8_NS0_8equal_toIS6_EEEE10hipError_tPvRmT2_T3_mT4_T5_T6_T7_T8_P12ihipStream_tbENKUlT_T0_E_clISt17integral_constantIbLb1EES10_IbLb0EEEEDaSW_SX_EUlSW_E_NS1_11comp_targetILNS1_3genE10ELNS1_11target_archE1200ELNS1_3gpuE4ELNS1_3repE0EEENS1_30default_config_static_selectorELNS0_4arch9wavefront6targetE1EEEvT1_, .Lfunc_end880-_ZN7rocprim17ROCPRIM_400000_NS6detail17trampoline_kernelINS0_14default_configENS1_33run_length_encode_config_selectorIN3c108BFloat16EjNS0_4plusIjEEEEZZNS1_33reduce_by_key_impl_wrapped_configILNS1_25lookback_scan_determinismE0ES3_S9_PKS6_NS0_17constant_iteratorIjlEEPS6_PlSH_S8_NS0_8equal_toIS6_EEEE10hipError_tPvRmT2_T3_mT4_T5_T6_T7_T8_P12ihipStream_tbENKUlT_T0_E_clISt17integral_constantIbLb1EES10_IbLb0EEEEDaSW_SX_EUlSW_E_NS1_11comp_targetILNS1_3genE10ELNS1_11target_archE1200ELNS1_3gpuE4ELNS1_3repE0EEENS1_30default_config_static_selectorELNS0_4arch9wavefront6targetE1EEEvT1_
                                        ; -- End function
	.section	.AMDGPU.csdata,"",@progbits
; Kernel info:
; codeLenInByte = 0
; NumSgprs: 4
; NumVgprs: 0
; NumAgprs: 0
; TotalNumVgprs: 0
; ScratchSize: 0
; MemoryBound: 0
; FloatMode: 240
; IeeeMode: 1
; LDSByteSize: 0 bytes/workgroup (compile time only)
; SGPRBlocks: 0
; VGPRBlocks: 0
; NumSGPRsForWavesPerEU: 4
; NumVGPRsForWavesPerEU: 1
; AccumOffset: 4
; Occupancy: 8
; WaveLimiterHint : 0
; COMPUTE_PGM_RSRC2:SCRATCH_EN: 0
; COMPUTE_PGM_RSRC2:USER_SGPR: 6
; COMPUTE_PGM_RSRC2:TRAP_HANDLER: 0
; COMPUTE_PGM_RSRC2:TGID_X_EN: 1
; COMPUTE_PGM_RSRC2:TGID_Y_EN: 0
; COMPUTE_PGM_RSRC2:TGID_Z_EN: 0
; COMPUTE_PGM_RSRC2:TIDIG_COMP_CNT: 0
; COMPUTE_PGM_RSRC3_GFX90A:ACCUM_OFFSET: 0
; COMPUTE_PGM_RSRC3_GFX90A:TG_SPLIT: 0
	.section	.text._ZN7rocprim17ROCPRIM_400000_NS6detail17trampoline_kernelINS0_14default_configENS1_33run_length_encode_config_selectorIN3c108BFloat16EjNS0_4plusIjEEEEZZNS1_33reduce_by_key_impl_wrapped_configILNS1_25lookback_scan_determinismE0ES3_S9_PKS6_NS0_17constant_iteratorIjlEEPS6_PlSH_S8_NS0_8equal_toIS6_EEEE10hipError_tPvRmT2_T3_mT4_T5_T6_T7_T8_P12ihipStream_tbENKUlT_T0_E_clISt17integral_constantIbLb1EES10_IbLb0EEEEDaSW_SX_EUlSW_E_NS1_11comp_targetILNS1_3genE9ELNS1_11target_archE1100ELNS1_3gpuE3ELNS1_3repE0EEENS1_30default_config_static_selectorELNS0_4arch9wavefront6targetE1EEEvT1_,"axG",@progbits,_ZN7rocprim17ROCPRIM_400000_NS6detail17trampoline_kernelINS0_14default_configENS1_33run_length_encode_config_selectorIN3c108BFloat16EjNS0_4plusIjEEEEZZNS1_33reduce_by_key_impl_wrapped_configILNS1_25lookback_scan_determinismE0ES3_S9_PKS6_NS0_17constant_iteratorIjlEEPS6_PlSH_S8_NS0_8equal_toIS6_EEEE10hipError_tPvRmT2_T3_mT4_T5_T6_T7_T8_P12ihipStream_tbENKUlT_T0_E_clISt17integral_constantIbLb1EES10_IbLb0EEEEDaSW_SX_EUlSW_E_NS1_11comp_targetILNS1_3genE9ELNS1_11target_archE1100ELNS1_3gpuE3ELNS1_3repE0EEENS1_30default_config_static_selectorELNS0_4arch9wavefront6targetE1EEEvT1_,comdat
	.protected	_ZN7rocprim17ROCPRIM_400000_NS6detail17trampoline_kernelINS0_14default_configENS1_33run_length_encode_config_selectorIN3c108BFloat16EjNS0_4plusIjEEEEZZNS1_33reduce_by_key_impl_wrapped_configILNS1_25lookback_scan_determinismE0ES3_S9_PKS6_NS0_17constant_iteratorIjlEEPS6_PlSH_S8_NS0_8equal_toIS6_EEEE10hipError_tPvRmT2_T3_mT4_T5_T6_T7_T8_P12ihipStream_tbENKUlT_T0_E_clISt17integral_constantIbLb1EES10_IbLb0EEEEDaSW_SX_EUlSW_E_NS1_11comp_targetILNS1_3genE9ELNS1_11target_archE1100ELNS1_3gpuE3ELNS1_3repE0EEENS1_30default_config_static_selectorELNS0_4arch9wavefront6targetE1EEEvT1_ ; -- Begin function _ZN7rocprim17ROCPRIM_400000_NS6detail17trampoline_kernelINS0_14default_configENS1_33run_length_encode_config_selectorIN3c108BFloat16EjNS0_4plusIjEEEEZZNS1_33reduce_by_key_impl_wrapped_configILNS1_25lookback_scan_determinismE0ES3_S9_PKS6_NS0_17constant_iteratorIjlEEPS6_PlSH_S8_NS0_8equal_toIS6_EEEE10hipError_tPvRmT2_T3_mT4_T5_T6_T7_T8_P12ihipStream_tbENKUlT_T0_E_clISt17integral_constantIbLb1EES10_IbLb0EEEEDaSW_SX_EUlSW_E_NS1_11comp_targetILNS1_3genE9ELNS1_11target_archE1100ELNS1_3gpuE3ELNS1_3repE0EEENS1_30default_config_static_selectorELNS0_4arch9wavefront6targetE1EEEvT1_
	.globl	_ZN7rocprim17ROCPRIM_400000_NS6detail17trampoline_kernelINS0_14default_configENS1_33run_length_encode_config_selectorIN3c108BFloat16EjNS0_4plusIjEEEEZZNS1_33reduce_by_key_impl_wrapped_configILNS1_25lookback_scan_determinismE0ES3_S9_PKS6_NS0_17constant_iteratorIjlEEPS6_PlSH_S8_NS0_8equal_toIS6_EEEE10hipError_tPvRmT2_T3_mT4_T5_T6_T7_T8_P12ihipStream_tbENKUlT_T0_E_clISt17integral_constantIbLb1EES10_IbLb0EEEEDaSW_SX_EUlSW_E_NS1_11comp_targetILNS1_3genE9ELNS1_11target_archE1100ELNS1_3gpuE3ELNS1_3repE0EEENS1_30default_config_static_selectorELNS0_4arch9wavefront6targetE1EEEvT1_
	.p2align	8
	.type	_ZN7rocprim17ROCPRIM_400000_NS6detail17trampoline_kernelINS0_14default_configENS1_33run_length_encode_config_selectorIN3c108BFloat16EjNS0_4plusIjEEEEZZNS1_33reduce_by_key_impl_wrapped_configILNS1_25lookback_scan_determinismE0ES3_S9_PKS6_NS0_17constant_iteratorIjlEEPS6_PlSH_S8_NS0_8equal_toIS6_EEEE10hipError_tPvRmT2_T3_mT4_T5_T6_T7_T8_P12ihipStream_tbENKUlT_T0_E_clISt17integral_constantIbLb1EES10_IbLb0EEEEDaSW_SX_EUlSW_E_NS1_11comp_targetILNS1_3genE9ELNS1_11target_archE1100ELNS1_3gpuE3ELNS1_3repE0EEENS1_30default_config_static_selectorELNS0_4arch9wavefront6targetE1EEEvT1_,@function
_ZN7rocprim17ROCPRIM_400000_NS6detail17trampoline_kernelINS0_14default_configENS1_33run_length_encode_config_selectorIN3c108BFloat16EjNS0_4plusIjEEEEZZNS1_33reduce_by_key_impl_wrapped_configILNS1_25lookback_scan_determinismE0ES3_S9_PKS6_NS0_17constant_iteratorIjlEEPS6_PlSH_S8_NS0_8equal_toIS6_EEEE10hipError_tPvRmT2_T3_mT4_T5_T6_T7_T8_P12ihipStream_tbENKUlT_T0_E_clISt17integral_constantIbLb1EES10_IbLb0EEEEDaSW_SX_EUlSW_E_NS1_11comp_targetILNS1_3genE9ELNS1_11target_archE1100ELNS1_3gpuE3ELNS1_3repE0EEENS1_30default_config_static_selectorELNS0_4arch9wavefront6targetE1EEEvT1_: ; @_ZN7rocprim17ROCPRIM_400000_NS6detail17trampoline_kernelINS0_14default_configENS1_33run_length_encode_config_selectorIN3c108BFloat16EjNS0_4plusIjEEEEZZNS1_33reduce_by_key_impl_wrapped_configILNS1_25lookback_scan_determinismE0ES3_S9_PKS6_NS0_17constant_iteratorIjlEEPS6_PlSH_S8_NS0_8equal_toIS6_EEEE10hipError_tPvRmT2_T3_mT4_T5_T6_T7_T8_P12ihipStream_tbENKUlT_T0_E_clISt17integral_constantIbLb1EES10_IbLb0EEEEDaSW_SX_EUlSW_E_NS1_11comp_targetILNS1_3genE9ELNS1_11target_archE1100ELNS1_3gpuE3ELNS1_3repE0EEENS1_30default_config_static_selectorELNS0_4arch9wavefront6targetE1EEEvT1_
; %bb.0:
	.section	.rodata,"a",@progbits
	.p2align	6, 0x0
	.amdhsa_kernel _ZN7rocprim17ROCPRIM_400000_NS6detail17trampoline_kernelINS0_14default_configENS1_33run_length_encode_config_selectorIN3c108BFloat16EjNS0_4plusIjEEEEZZNS1_33reduce_by_key_impl_wrapped_configILNS1_25lookback_scan_determinismE0ES3_S9_PKS6_NS0_17constant_iteratorIjlEEPS6_PlSH_S8_NS0_8equal_toIS6_EEEE10hipError_tPvRmT2_T3_mT4_T5_T6_T7_T8_P12ihipStream_tbENKUlT_T0_E_clISt17integral_constantIbLb1EES10_IbLb0EEEEDaSW_SX_EUlSW_E_NS1_11comp_targetILNS1_3genE9ELNS1_11target_archE1100ELNS1_3gpuE3ELNS1_3repE0EEENS1_30default_config_static_selectorELNS0_4arch9wavefront6targetE1EEEvT1_
		.amdhsa_group_segment_fixed_size 0
		.amdhsa_private_segment_fixed_size 0
		.amdhsa_kernarg_size 128
		.amdhsa_user_sgpr_count 6
		.amdhsa_user_sgpr_private_segment_buffer 1
		.amdhsa_user_sgpr_dispatch_ptr 0
		.amdhsa_user_sgpr_queue_ptr 0
		.amdhsa_user_sgpr_kernarg_segment_ptr 1
		.amdhsa_user_sgpr_dispatch_id 0
		.amdhsa_user_sgpr_flat_scratch_init 0
		.amdhsa_user_sgpr_kernarg_preload_length 0
		.amdhsa_user_sgpr_kernarg_preload_offset 0
		.amdhsa_user_sgpr_private_segment_size 0
		.amdhsa_uses_dynamic_stack 0
		.amdhsa_system_sgpr_private_segment_wavefront_offset 0
		.amdhsa_system_sgpr_workgroup_id_x 1
		.amdhsa_system_sgpr_workgroup_id_y 0
		.amdhsa_system_sgpr_workgroup_id_z 0
		.amdhsa_system_sgpr_workgroup_info 0
		.amdhsa_system_vgpr_workitem_id 0
		.amdhsa_next_free_vgpr 1
		.amdhsa_next_free_sgpr 0
		.amdhsa_accum_offset 4
		.amdhsa_reserve_vcc 0
		.amdhsa_reserve_flat_scratch 0
		.amdhsa_float_round_mode_32 0
		.amdhsa_float_round_mode_16_64 0
		.amdhsa_float_denorm_mode_32 3
		.amdhsa_float_denorm_mode_16_64 3
		.amdhsa_dx10_clamp 1
		.amdhsa_ieee_mode 1
		.amdhsa_fp16_overflow 0
		.amdhsa_tg_split 0
		.amdhsa_exception_fp_ieee_invalid_op 0
		.amdhsa_exception_fp_denorm_src 0
		.amdhsa_exception_fp_ieee_div_zero 0
		.amdhsa_exception_fp_ieee_overflow 0
		.amdhsa_exception_fp_ieee_underflow 0
		.amdhsa_exception_fp_ieee_inexact 0
		.amdhsa_exception_int_div_zero 0
	.end_amdhsa_kernel
	.section	.text._ZN7rocprim17ROCPRIM_400000_NS6detail17trampoline_kernelINS0_14default_configENS1_33run_length_encode_config_selectorIN3c108BFloat16EjNS0_4plusIjEEEEZZNS1_33reduce_by_key_impl_wrapped_configILNS1_25lookback_scan_determinismE0ES3_S9_PKS6_NS0_17constant_iteratorIjlEEPS6_PlSH_S8_NS0_8equal_toIS6_EEEE10hipError_tPvRmT2_T3_mT4_T5_T6_T7_T8_P12ihipStream_tbENKUlT_T0_E_clISt17integral_constantIbLb1EES10_IbLb0EEEEDaSW_SX_EUlSW_E_NS1_11comp_targetILNS1_3genE9ELNS1_11target_archE1100ELNS1_3gpuE3ELNS1_3repE0EEENS1_30default_config_static_selectorELNS0_4arch9wavefront6targetE1EEEvT1_,"axG",@progbits,_ZN7rocprim17ROCPRIM_400000_NS6detail17trampoline_kernelINS0_14default_configENS1_33run_length_encode_config_selectorIN3c108BFloat16EjNS0_4plusIjEEEEZZNS1_33reduce_by_key_impl_wrapped_configILNS1_25lookback_scan_determinismE0ES3_S9_PKS6_NS0_17constant_iteratorIjlEEPS6_PlSH_S8_NS0_8equal_toIS6_EEEE10hipError_tPvRmT2_T3_mT4_T5_T6_T7_T8_P12ihipStream_tbENKUlT_T0_E_clISt17integral_constantIbLb1EES10_IbLb0EEEEDaSW_SX_EUlSW_E_NS1_11comp_targetILNS1_3genE9ELNS1_11target_archE1100ELNS1_3gpuE3ELNS1_3repE0EEENS1_30default_config_static_selectorELNS0_4arch9wavefront6targetE1EEEvT1_,comdat
.Lfunc_end881:
	.size	_ZN7rocprim17ROCPRIM_400000_NS6detail17trampoline_kernelINS0_14default_configENS1_33run_length_encode_config_selectorIN3c108BFloat16EjNS0_4plusIjEEEEZZNS1_33reduce_by_key_impl_wrapped_configILNS1_25lookback_scan_determinismE0ES3_S9_PKS6_NS0_17constant_iteratorIjlEEPS6_PlSH_S8_NS0_8equal_toIS6_EEEE10hipError_tPvRmT2_T3_mT4_T5_T6_T7_T8_P12ihipStream_tbENKUlT_T0_E_clISt17integral_constantIbLb1EES10_IbLb0EEEEDaSW_SX_EUlSW_E_NS1_11comp_targetILNS1_3genE9ELNS1_11target_archE1100ELNS1_3gpuE3ELNS1_3repE0EEENS1_30default_config_static_selectorELNS0_4arch9wavefront6targetE1EEEvT1_, .Lfunc_end881-_ZN7rocprim17ROCPRIM_400000_NS6detail17trampoline_kernelINS0_14default_configENS1_33run_length_encode_config_selectorIN3c108BFloat16EjNS0_4plusIjEEEEZZNS1_33reduce_by_key_impl_wrapped_configILNS1_25lookback_scan_determinismE0ES3_S9_PKS6_NS0_17constant_iteratorIjlEEPS6_PlSH_S8_NS0_8equal_toIS6_EEEE10hipError_tPvRmT2_T3_mT4_T5_T6_T7_T8_P12ihipStream_tbENKUlT_T0_E_clISt17integral_constantIbLb1EES10_IbLb0EEEEDaSW_SX_EUlSW_E_NS1_11comp_targetILNS1_3genE9ELNS1_11target_archE1100ELNS1_3gpuE3ELNS1_3repE0EEENS1_30default_config_static_selectorELNS0_4arch9wavefront6targetE1EEEvT1_
                                        ; -- End function
	.section	.AMDGPU.csdata,"",@progbits
; Kernel info:
; codeLenInByte = 0
; NumSgprs: 4
; NumVgprs: 0
; NumAgprs: 0
; TotalNumVgprs: 0
; ScratchSize: 0
; MemoryBound: 0
; FloatMode: 240
; IeeeMode: 1
; LDSByteSize: 0 bytes/workgroup (compile time only)
; SGPRBlocks: 0
; VGPRBlocks: 0
; NumSGPRsForWavesPerEU: 4
; NumVGPRsForWavesPerEU: 1
; AccumOffset: 4
; Occupancy: 8
; WaveLimiterHint : 0
; COMPUTE_PGM_RSRC2:SCRATCH_EN: 0
; COMPUTE_PGM_RSRC2:USER_SGPR: 6
; COMPUTE_PGM_RSRC2:TRAP_HANDLER: 0
; COMPUTE_PGM_RSRC2:TGID_X_EN: 1
; COMPUTE_PGM_RSRC2:TGID_Y_EN: 0
; COMPUTE_PGM_RSRC2:TGID_Z_EN: 0
; COMPUTE_PGM_RSRC2:TIDIG_COMP_CNT: 0
; COMPUTE_PGM_RSRC3_GFX90A:ACCUM_OFFSET: 0
; COMPUTE_PGM_RSRC3_GFX90A:TG_SPLIT: 0
	.section	.text._ZN7rocprim17ROCPRIM_400000_NS6detail17trampoline_kernelINS0_14default_configENS1_33run_length_encode_config_selectorIN3c108BFloat16EjNS0_4plusIjEEEEZZNS1_33reduce_by_key_impl_wrapped_configILNS1_25lookback_scan_determinismE0ES3_S9_PKS6_NS0_17constant_iteratorIjlEEPS6_PlSH_S8_NS0_8equal_toIS6_EEEE10hipError_tPvRmT2_T3_mT4_T5_T6_T7_T8_P12ihipStream_tbENKUlT_T0_E_clISt17integral_constantIbLb1EES10_IbLb0EEEEDaSW_SX_EUlSW_E_NS1_11comp_targetILNS1_3genE8ELNS1_11target_archE1030ELNS1_3gpuE2ELNS1_3repE0EEENS1_30default_config_static_selectorELNS0_4arch9wavefront6targetE1EEEvT1_,"axG",@progbits,_ZN7rocprim17ROCPRIM_400000_NS6detail17trampoline_kernelINS0_14default_configENS1_33run_length_encode_config_selectorIN3c108BFloat16EjNS0_4plusIjEEEEZZNS1_33reduce_by_key_impl_wrapped_configILNS1_25lookback_scan_determinismE0ES3_S9_PKS6_NS0_17constant_iteratorIjlEEPS6_PlSH_S8_NS0_8equal_toIS6_EEEE10hipError_tPvRmT2_T3_mT4_T5_T6_T7_T8_P12ihipStream_tbENKUlT_T0_E_clISt17integral_constantIbLb1EES10_IbLb0EEEEDaSW_SX_EUlSW_E_NS1_11comp_targetILNS1_3genE8ELNS1_11target_archE1030ELNS1_3gpuE2ELNS1_3repE0EEENS1_30default_config_static_selectorELNS0_4arch9wavefront6targetE1EEEvT1_,comdat
	.protected	_ZN7rocprim17ROCPRIM_400000_NS6detail17trampoline_kernelINS0_14default_configENS1_33run_length_encode_config_selectorIN3c108BFloat16EjNS0_4plusIjEEEEZZNS1_33reduce_by_key_impl_wrapped_configILNS1_25lookback_scan_determinismE0ES3_S9_PKS6_NS0_17constant_iteratorIjlEEPS6_PlSH_S8_NS0_8equal_toIS6_EEEE10hipError_tPvRmT2_T3_mT4_T5_T6_T7_T8_P12ihipStream_tbENKUlT_T0_E_clISt17integral_constantIbLb1EES10_IbLb0EEEEDaSW_SX_EUlSW_E_NS1_11comp_targetILNS1_3genE8ELNS1_11target_archE1030ELNS1_3gpuE2ELNS1_3repE0EEENS1_30default_config_static_selectorELNS0_4arch9wavefront6targetE1EEEvT1_ ; -- Begin function _ZN7rocprim17ROCPRIM_400000_NS6detail17trampoline_kernelINS0_14default_configENS1_33run_length_encode_config_selectorIN3c108BFloat16EjNS0_4plusIjEEEEZZNS1_33reduce_by_key_impl_wrapped_configILNS1_25lookback_scan_determinismE0ES3_S9_PKS6_NS0_17constant_iteratorIjlEEPS6_PlSH_S8_NS0_8equal_toIS6_EEEE10hipError_tPvRmT2_T3_mT4_T5_T6_T7_T8_P12ihipStream_tbENKUlT_T0_E_clISt17integral_constantIbLb1EES10_IbLb0EEEEDaSW_SX_EUlSW_E_NS1_11comp_targetILNS1_3genE8ELNS1_11target_archE1030ELNS1_3gpuE2ELNS1_3repE0EEENS1_30default_config_static_selectorELNS0_4arch9wavefront6targetE1EEEvT1_
	.globl	_ZN7rocprim17ROCPRIM_400000_NS6detail17trampoline_kernelINS0_14default_configENS1_33run_length_encode_config_selectorIN3c108BFloat16EjNS0_4plusIjEEEEZZNS1_33reduce_by_key_impl_wrapped_configILNS1_25lookback_scan_determinismE0ES3_S9_PKS6_NS0_17constant_iteratorIjlEEPS6_PlSH_S8_NS0_8equal_toIS6_EEEE10hipError_tPvRmT2_T3_mT4_T5_T6_T7_T8_P12ihipStream_tbENKUlT_T0_E_clISt17integral_constantIbLb1EES10_IbLb0EEEEDaSW_SX_EUlSW_E_NS1_11comp_targetILNS1_3genE8ELNS1_11target_archE1030ELNS1_3gpuE2ELNS1_3repE0EEENS1_30default_config_static_selectorELNS0_4arch9wavefront6targetE1EEEvT1_
	.p2align	8
	.type	_ZN7rocprim17ROCPRIM_400000_NS6detail17trampoline_kernelINS0_14default_configENS1_33run_length_encode_config_selectorIN3c108BFloat16EjNS0_4plusIjEEEEZZNS1_33reduce_by_key_impl_wrapped_configILNS1_25lookback_scan_determinismE0ES3_S9_PKS6_NS0_17constant_iteratorIjlEEPS6_PlSH_S8_NS0_8equal_toIS6_EEEE10hipError_tPvRmT2_T3_mT4_T5_T6_T7_T8_P12ihipStream_tbENKUlT_T0_E_clISt17integral_constantIbLb1EES10_IbLb0EEEEDaSW_SX_EUlSW_E_NS1_11comp_targetILNS1_3genE8ELNS1_11target_archE1030ELNS1_3gpuE2ELNS1_3repE0EEENS1_30default_config_static_selectorELNS0_4arch9wavefront6targetE1EEEvT1_,@function
_ZN7rocprim17ROCPRIM_400000_NS6detail17trampoline_kernelINS0_14default_configENS1_33run_length_encode_config_selectorIN3c108BFloat16EjNS0_4plusIjEEEEZZNS1_33reduce_by_key_impl_wrapped_configILNS1_25lookback_scan_determinismE0ES3_S9_PKS6_NS0_17constant_iteratorIjlEEPS6_PlSH_S8_NS0_8equal_toIS6_EEEE10hipError_tPvRmT2_T3_mT4_T5_T6_T7_T8_P12ihipStream_tbENKUlT_T0_E_clISt17integral_constantIbLb1EES10_IbLb0EEEEDaSW_SX_EUlSW_E_NS1_11comp_targetILNS1_3genE8ELNS1_11target_archE1030ELNS1_3gpuE2ELNS1_3repE0EEENS1_30default_config_static_selectorELNS0_4arch9wavefront6targetE1EEEvT1_: ; @_ZN7rocprim17ROCPRIM_400000_NS6detail17trampoline_kernelINS0_14default_configENS1_33run_length_encode_config_selectorIN3c108BFloat16EjNS0_4plusIjEEEEZZNS1_33reduce_by_key_impl_wrapped_configILNS1_25lookback_scan_determinismE0ES3_S9_PKS6_NS0_17constant_iteratorIjlEEPS6_PlSH_S8_NS0_8equal_toIS6_EEEE10hipError_tPvRmT2_T3_mT4_T5_T6_T7_T8_P12ihipStream_tbENKUlT_T0_E_clISt17integral_constantIbLb1EES10_IbLb0EEEEDaSW_SX_EUlSW_E_NS1_11comp_targetILNS1_3genE8ELNS1_11target_archE1030ELNS1_3gpuE2ELNS1_3repE0EEENS1_30default_config_static_selectorELNS0_4arch9wavefront6targetE1EEEvT1_
; %bb.0:
	.section	.rodata,"a",@progbits
	.p2align	6, 0x0
	.amdhsa_kernel _ZN7rocprim17ROCPRIM_400000_NS6detail17trampoline_kernelINS0_14default_configENS1_33run_length_encode_config_selectorIN3c108BFloat16EjNS0_4plusIjEEEEZZNS1_33reduce_by_key_impl_wrapped_configILNS1_25lookback_scan_determinismE0ES3_S9_PKS6_NS0_17constant_iteratorIjlEEPS6_PlSH_S8_NS0_8equal_toIS6_EEEE10hipError_tPvRmT2_T3_mT4_T5_T6_T7_T8_P12ihipStream_tbENKUlT_T0_E_clISt17integral_constantIbLb1EES10_IbLb0EEEEDaSW_SX_EUlSW_E_NS1_11comp_targetILNS1_3genE8ELNS1_11target_archE1030ELNS1_3gpuE2ELNS1_3repE0EEENS1_30default_config_static_selectorELNS0_4arch9wavefront6targetE1EEEvT1_
		.amdhsa_group_segment_fixed_size 0
		.amdhsa_private_segment_fixed_size 0
		.amdhsa_kernarg_size 128
		.amdhsa_user_sgpr_count 6
		.amdhsa_user_sgpr_private_segment_buffer 1
		.amdhsa_user_sgpr_dispatch_ptr 0
		.amdhsa_user_sgpr_queue_ptr 0
		.amdhsa_user_sgpr_kernarg_segment_ptr 1
		.amdhsa_user_sgpr_dispatch_id 0
		.amdhsa_user_sgpr_flat_scratch_init 0
		.amdhsa_user_sgpr_kernarg_preload_length 0
		.amdhsa_user_sgpr_kernarg_preload_offset 0
		.amdhsa_user_sgpr_private_segment_size 0
		.amdhsa_uses_dynamic_stack 0
		.amdhsa_system_sgpr_private_segment_wavefront_offset 0
		.amdhsa_system_sgpr_workgroup_id_x 1
		.amdhsa_system_sgpr_workgroup_id_y 0
		.amdhsa_system_sgpr_workgroup_id_z 0
		.amdhsa_system_sgpr_workgroup_info 0
		.amdhsa_system_vgpr_workitem_id 0
		.amdhsa_next_free_vgpr 1
		.amdhsa_next_free_sgpr 0
		.amdhsa_accum_offset 4
		.amdhsa_reserve_vcc 0
		.amdhsa_reserve_flat_scratch 0
		.amdhsa_float_round_mode_32 0
		.amdhsa_float_round_mode_16_64 0
		.amdhsa_float_denorm_mode_32 3
		.amdhsa_float_denorm_mode_16_64 3
		.amdhsa_dx10_clamp 1
		.amdhsa_ieee_mode 1
		.amdhsa_fp16_overflow 0
		.amdhsa_tg_split 0
		.amdhsa_exception_fp_ieee_invalid_op 0
		.amdhsa_exception_fp_denorm_src 0
		.amdhsa_exception_fp_ieee_div_zero 0
		.amdhsa_exception_fp_ieee_overflow 0
		.amdhsa_exception_fp_ieee_underflow 0
		.amdhsa_exception_fp_ieee_inexact 0
		.amdhsa_exception_int_div_zero 0
	.end_amdhsa_kernel
	.section	.text._ZN7rocprim17ROCPRIM_400000_NS6detail17trampoline_kernelINS0_14default_configENS1_33run_length_encode_config_selectorIN3c108BFloat16EjNS0_4plusIjEEEEZZNS1_33reduce_by_key_impl_wrapped_configILNS1_25lookback_scan_determinismE0ES3_S9_PKS6_NS0_17constant_iteratorIjlEEPS6_PlSH_S8_NS0_8equal_toIS6_EEEE10hipError_tPvRmT2_T3_mT4_T5_T6_T7_T8_P12ihipStream_tbENKUlT_T0_E_clISt17integral_constantIbLb1EES10_IbLb0EEEEDaSW_SX_EUlSW_E_NS1_11comp_targetILNS1_3genE8ELNS1_11target_archE1030ELNS1_3gpuE2ELNS1_3repE0EEENS1_30default_config_static_selectorELNS0_4arch9wavefront6targetE1EEEvT1_,"axG",@progbits,_ZN7rocprim17ROCPRIM_400000_NS6detail17trampoline_kernelINS0_14default_configENS1_33run_length_encode_config_selectorIN3c108BFloat16EjNS0_4plusIjEEEEZZNS1_33reduce_by_key_impl_wrapped_configILNS1_25lookback_scan_determinismE0ES3_S9_PKS6_NS0_17constant_iteratorIjlEEPS6_PlSH_S8_NS0_8equal_toIS6_EEEE10hipError_tPvRmT2_T3_mT4_T5_T6_T7_T8_P12ihipStream_tbENKUlT_T0_E_clISt17integral_constantIbLb1EES10_IbLb0EEEEDaSW_SX_EUlSW_E_NS1_11comp_targetILNS1_3genE8ELNS1_11target_archE1030ELNS1_3gpuE2ELNS1_3repE0EEENS1_30default_config_static_selectorELNS0_4arch9wavefront6targetE1EEEvT1_,comdat
.Lfunc_end882:
	.size	_ZN7rocprim17ROCPRIM_400000_NS6detail17trampoline_kernelINS0_14default_configENS1_33run_length_encode_config_selectorIN3c108BFloat16EjNS0_4plusIjEEEEZZNS1_33reduce_by_key_impl_wrapped_configILNS1_25lookback_scan_determinismE0ES3_S9_PKS6_NS0_17constant_iteratorIjlEEPS6_PlSH_S8_NS0_8equal_toIS6_EEEE10hipError_tPvRmT2_T3_mT4_T5_T6_T7_T8_P12ihipStream_tbENKUlT_T0_E_clISt17integral_constantIbLb1EES10_IbLb0EEEEDaSW_SX_EUlSW_E_NS1_11comp_targetILNS1_3genE8ELNS1_11target_archE1030ELNS1_3gpuE2ELNS1_3repE0EEENS1_30default_config_static_selectorELNS0_4arch9wavefront6targetE1EEEvT1_, .Lfunc_end882-_ZN7rocprim17ROCPRIM_400000_NS6detail17trampoline_kernelINS0_14default_configENS1_33run_length_encode_config_selectorIN3c108BFloat16EjNS0_4plusIjEEEEZZNS1_33reduce_by_key_impl_wrapped_configILNS1_25lookback_scan_determinismE0ES3_S9_PKS6_NS0_17constant_iteratorIjlEEPS6_PlSH_S8_NS0_8equal_toIS6_EEEE10hipError_tPvRmT2_T3_mT4_T5_T6_T7_T8_P12ihipStream_tbENKUlT_T0_E_clISt17integral_constantIbLb1EES10_IbLb0EEEEDaSW_SX_EUlSW_E_NS1_11comp_targetILNS1_3genE8ELNS1_11target_archE1030ELNS1_3gpuE2ELNS1_3repE0EEENS1_30default_config_static_selectorELNS0_4arch9wavefront6targetE1EEEvT1_
                                        ; -- End function
	.section	.AMDGPU.csdata,"",@progbits
; Kernel info:
; codeLenInByte = 0
; NumSgprs: 4
; NumVgprs: 0
; NumAgprs: 0
; TotalNumVgprs: 0
; ScratchSize: 0
; MemoryBound: 0
; FloatMode: 240
; IeeeMode: 1
; LDSByteSize: 0 bytes/workgroup (compile time only)
; SGPRBlocks: 0
; VGPRBlocks: 0
; NumSGPRsForWavesPerEU: 4
; NumVGPRsForWavesPerEU: 1
; AccumOffset: 4
; Occupancy: 8
; WaveLimiterHint : 0
; COMPUTE_PGM_RSRC2:SCRATCH_EN: 0
; COMPUTE_PGM_RSRC2:USER_SGPR: 6
; COMPUTE_PGM_RSRC2:TRAP_HANDLER: 0
; COMPUTE_PGM_RSRC2:TGID_X_EN: 1
; COMPUTE_PGM_RSRC2:TGID_Y_EN: 0
; COMPUTE_PGM_RSRC2:TGID_Z_EN: 0
; COMPUTE_PGM_RSRC2:TIDIG_COMP_CNT: 0
; COMPUTE_PGM_RSRC3_GFX90A:ACCUM_OFFSET: 0
; COMPUTE_PGM_RSRC3_GFX90A:TG_SPLIT: 0
	.section	.text._ZN7rocprim17ROCPRIM_400000_NS6detail17trampoline_kernelINS0_14default_configENS1_33run_length_encode_config_selectorIN3c108BFloat16EjNS0_4plusIjEEEEZZNS1_33reduce_by_key_impl_wrapped_configILNS1_25lookback_scan_determinismE0ES3_S9_PKS6_NS0_17constant_iteratorIjlEEPS6_PlSH_S8_NS0_8equal_toIS6_EEEE10hipError_tPvRmT2_T3_mT4_T5_T6_T7_T8_P12ihipStream_tbENKUlT_T0_E_clISt17integral_constantIbLb0EES10_IbLb1EEEEDaSW_SX_EUlSW_E_NS1_11comp_targetILNS1_3genE0ELNS1_11target_archE4294967295ELNS1_3gpuE0ELNS1_3repE0EEENS1_30default_config_static_selectorELNS0_4arch9wavefront6targetE1EEEvT1_,"axG",@progbits,_ZN7rocprim17ROCPRIM_400000_NS6detail17trampoline_kernelINS0_14default_configENS1_33run_length_encode_config_selectorIN3c108BFloat16EjNS0_4plusIjEEEEZZNS1_33reduce_by_key_impl_wrapped_configILNS1_25lookback_scan_determinismE0ES3_S9_PKS6_NS0_17constant_iteratorIjlEEPS6_PlSH_S8_NS0_8equal_toIS6_EEEE10hipError_tPvRmT2_T3_mT4_T5_T6_T7_T8_P12ihipStream_tbENKUlT_T0_E_clISt17integral_constantIbLb0EES10_IbLb1EEEEDaSW_SX_EUlSW_E_NS1_11comp_targetILNS1_3genE0ELNS1_11target_archE4294967295ELNS1_3gpuE0ELNS1_3repE0EEENS1_30default_config_static_selectorELNS0_4arch9wavefront6targetE1EEEvT1_,comdat
	.protected	_ZN7rocprim17ROCPRIM_400000_NS6detail17trampoline_kernelINS0_14default_configENS1_33run_length_encode_config_selectorIN3c108BFloat16EjNS0_4plusIjEEEEZZNS1_33reduce_by_key_impl_wrapped_configILNS1_25lookback_scan_determinismE0ES3_S9_PKS6_NS0_17constant_iteratorIjlEEPS6_PlSH_S8_NS0_8equal_toIS6_EEEE10hipError_tPvRmT2_T3_mT4_T5_T6_T7_T8_P12ihipStream_tbENKUlT_T0_E_clISt17integral_constantIbLb0EES10_IbLb1EEEEDaSW_SX_EUlSW_E_NS1_11comp_targetILNS1_3genE0ELNS1_11target_archE4294967295ELNS1_3gpuE0ELNS1_3repE0EEENS1_30default_config_static_selectorELNS0_4arch9wavefront6targetE1EEEvT1_ ; -- Begin function _ZN7rocprim17ROCPRIM_400000_NS6detail17trampoline_kernelINS0_14default_configENS1_33run_length_encode_config_selectorIN3c108BFloat16EjNS0_4plusIjEEEEZZNS1_33reduce_by_key_impl_wrapped_configILNS1_25lookback_scan_determinismE0ES3_S9_PKS6_NS0_17constant_iteratorIjlEEPS6_PlSH_S8_NS0_8equal_toIS6_EEEE10hipError_tPvRmT2_T3_mT4_T5_T6_T7_T8_P12ihipStream_tbENKUlT_T0_E_clISt17integral_constantIbLb0EES10_IbLb1EEEEDaSW_SX_EUlSW_E_NS1_11comp_targetILNS1_3genE0ELNS1_11target_archE4294967295ELNS1_3gpuE0ELNS1_3repE0EEENS1_30default_config_static_selectorELNS0_4arch9wavefront6targetE1EEEvT1_
	.globl	_ZN7rocprim17ROCPRIM_400000_NS6detail17trampoline_kernelINS0_14default_configENS1_33run_length_encode_config_selectorIN3c108BFloat16EjNS0_4plusIjEEEEZZNS1_33reduce_by_key_impl_wrapped_configILNS1_25lookback_scan_determinismE0ES3_S9_PKS6_NS0_17constant_iteratorIjlEEPS6_PlSH_S8_NS0_8equal_toIS6_EEEE10hipError_tPvRmT2_T3_mT4_T5_T6_T7_T8_P12ihipStream_tbENKUlT_T0_E_clISt17integral_constantIbLb0EES10_IbLb1EEEEDaSW_SX_EUlSW_E_NS1_11comp_targetILNS1_3genE0ELNS1_11target_archE4294967295ELNS1_3gpuE0ELNS1_3repE0EEENS1_30default_config_static_selectorELNS0_4arch9wavefront6targetE1EEEvT1_
	.p2align	8
	.type	_ZN7rocprim17ROCPRIM_400000_NS6detail17trampoline_kernelINS0_14default_configENS1_33run_length_encode_config_selectorIN3c108BFloat16EjNS0_4plusIjEEEEZZNS1_33reduce_by_key_impl_wrapped_configILNS1_25lookback_scan_determinismE0ES3_S9_PKS6_NS0_17constant_iteratorIjlEEPS6_PlSH_S8_NS0_8equal_toIS6_EEEE10hipError_tPvRmT2_T3_mT4_T5_T6_T7_T8_P12ihipStream_tbENKUlT_T0_E_clISt17integral_constantIbLb0EES10_IbLb1EEEEDaSW_SX_EUlSW_E_NS1_11comp_targetILNS1_3genE0ELNS1_11target_archE4294967295ELNS1_3gpuE0ELNS1_3repE0EEENS1_30default_config_static_selectorELNS0_4arch9wavefront6targetE1EEEvT1_,@function
_ZN7rocprim17ROCPRIM_400000_NS6detail17trampoline_kernelINS0_14default_configENS1_33run_length_encode_config_selectorIN3c108BFloat16EjNS0_4plusIjEEEEZZNS1_33reduce_by_key_impl_wrapped_configILNS1_25lookback_scan_determinismE0ES3_S9_PKS6_NS0_17constant_iteratorIjlEEPS6_PlSH_S8_NS0_8equal_toIS6_EEEE10hipError_tPvRmT2_T3_mT4_T5_T6_T7_T8_P12ihipStream_tbENKUlT_T0_E_clISt17integral_constantIbLb0EES10_IbLb1EEEEDaSW_SX_EUlSW_E_NS1_11comp_targetILNS1_3genE0ELNS1_11target_archE4294967295ELNS1_3gpuE0ELNS1_3repE0EEENS1_30default_config_static_selectorELNS0_4arch9wavefront6targetE1EEEvT1_: ; @_ZN7rocprim17ROCPRIM_400000_NS6detail17trampoline_kernelINS0_14default_configENS1_33run_length_encode_config_selectorIN3c108BFloat16EjNS0_4plusIjEEEEZZNS1_33reduce_by_key_impl_wrapped_configILNS1_25lookback_scan_determinismE0ES3_S9_PKS6_NS0_17constant_iteratorIjlEEPS6_PlSH_S8_NS0_8equal_toIS6_EEEE10hipError_tPvRmT2_T3_mT4_T5_T6_T7_T8_P12ihipStream_tbENKUlT_T0_E_clISt17integral_constantIbLb0EES10_IbLb1EEEEDaSW_SX_EUlSW_E_NS1_11comp_targetILNS1_3genE0ELNS1_11target_archE4294967295ELNS1_3gpuE0ELNS1_3repE0EEENS1_30default_config_static_selectorELNS0_4arch9wavefront6targetE1EEEvT1_
; %bb.0:
	.section	.rodata,"a",@progbits
	.p2align	6, 0x0
	.amdhsa_kernel _ZN7rocprim17ROCPRIM_400000_NS6detail17trampoline_kernelINS0_14default_configENS1_33run_length_encode_config_selectorIN3c108BFloat16EjNS0_4plusIjEEEEZZNS1_33reduce_by_key_impl_wrapped_configILNS1_25lookback_scan_determinismE0ES3_S9_PKS6_NS0_17constant_iteratorIjlEEPS6_PlSH_S8_NS0_8equal_toIS6_EEEE10hipError_tPvRmT2_T3_mT4_T5_T6_T7_T8_P12ihipStream_tbENKUlT_T0_E_clISt17integral_constantIbLb0EES10_IbLb1EEEEDaSW_SX_EUlSW_E_NS1_11comp_targetILNS1_3genE0ELNS1_11target_archE4294967295ELNS1_3gpuE0ELNS1_3repE0EEENS1_30default_config_static_selectorELNS0_4arch9wavefront6targetE1EEEvT1_
		.amdhsa_group_segment_fixed_size 0
		.amdhsa_private_segment_fixed_size 0
		.amdhsa_kernarg_size 128
		.amdhsa_user_sgpr_count 6
		.amdhsa_user_sgpr_private_segment_buffer 1
		.amdhsa_user_sgpr_dispatch_ptr 0
		.amdhsa_user_sgpr_queue_ptr 0
		.amdhsa_user_sgpr_kernarg_segment_ptr 1
		.amdhsa_user_sgpr_dispatch_id 0
		.amdhsa_user_sgpr_flat_scratch_init 0
		.amdhsa_user_sgpr_kernarg_preload_length 0
		.amdhsa_user_sgpr_kernarg_preload_offset 0
		.amdhsa_user_sgpr_private_segment_size 0
		.amdhsa_uses_dynamic_stack 0
		.amdhsa_system_sgpr_private_segment_wavefront_offset 0
		.amdhsa_system_sgpr_workgroup_id_x 1
		.amdhsa_system_sgpr_workgroup_id_y 0
		.amdhsa_system_sgpr_workgroup_id_z 0
		.amdhsa_system_sgpr_workgroup_info 0
		.amdhsa_system_vgpr_workitem_id 0
		.amdhsa_next_free_vgpr 1
		.amdhsa_next_free_sgpr 0
		.amdhsa_accum_offset 4
		.amdhsa_reserve_vcc 0
		.amdhsa_reserve_flat_scratch 0
		.amdhsa_float_round_mode_32 0
		.amdhsa_float_round_mode_16_64 0
		.amdhsa_float_denorm_mode_32 3
		.amdhsa_float_denorm_mode_16_64 3
		.amdhsa_dx10_clamp 1
		.amdhsa_ieee_mode 1
		.amdhsa_fp16_overflow 0
		.amdhsa_tg_split 0
		.amdhsa_exception_fp_ieee_invalid_op 0
		.amdhsa_exception_fp_denorm_src 0
		.amdhsa_exception_fp_ieee_div_zero 0
		.amdhsa_exception_fp_ieee_overflow 0
		.amdhsa_exception_fp_ieee_underflow 0
		.amdhsa_exception_fp_ieee_inexact 0
		.amdhsa_exception_int_div_zero 0
	.end_amdhsa_kernel
	.section	.text._ZN7rocprim17ROCPRIM_400000_NS6detail17trampoline_kernelINS0_14default_configENS1_33run_length_encode_config_selectorIN3c108BFloat16EjNS0_4plusIjEEEEZZNS1_33reduce_by_key_impl_wrapped_configILNS1_25lookback_scan_determinismE0ES3_S9_PKS6_NS0_17constant_iteratorIjlEEPS6_PlSH_S8_NS0_8equal_toIS6_EEEE10hipError_tPvRmT2_T3_mT4_T5_T6_T7_T8_P12ihipStream_tbENKUlT_T0_E_clISt17integral_constantIbLb0EES10_IbLb1EEEEDaSW_SX_EUlSW_E_NS1_11comp_targetILNS1_3genE0ELNS1_11target_archE4294967295ELNS1_3gpuE0ELNS1_3repE0EEENS1_30default_config_static_selectorELNS0_4arch9wavefront6targetE1EEEvT1_,"axG",@progbits,_ZN7rocprim17ROCPRIM_400000_NS6detail17trampoline_kernelINS0_14default_configENS1_33run_length_encode_config_selectorIN3c108BFloat16EjNS0_4plusIjEEEEZZNS1_33reduce_by_key_impl_wrapped_configILNS1_25lookback_scan_determinismE0ES3_S9_PKS6_NS0_17constant_iteratorIjlEEPS6_PlSH_S8_NS0_8equal_toIS6_EEEE10hipError_tPvRmT2_T3_mT4_T5_T6_T7_T8_P12ihipStream_tbENKUlT_T0_E_clISt17integral_constantIbLb0EES10_IbLb1EEEEDaSW_SX_EUlSW_E_NS1_11comp_targetILNS1_3genE0ELNS1_11target_archE4294967295ELNS1_3gpuE0ELNS1_3repE0EEENS1_30default_config_static_selectorELNS0_4arch9wavefront6targetE1EEEvT1_,comdat
.Lfunc_end883:
	.size	_ZN7rocprim17ROCPRIM_400000_NS6detail17trampoline_kernelINS0_14default_configENS1_33run_length_encode_config_selectorIN3c108BFloat16EjNS0_4plusIjEEEEZZNS1_33reduce_by_key_impl_wrapped_configILNS1_25lookback_scan_determinismE0ES3_S9_PKS6_NS0_17constant_iteratorIjlEEPS6_PlSH_S8_NS0_8equal_toIS6_EEEE10hipError_tPvRmT2_T3_mT4_T5_T6_T7_T8_P12ihipStream_tbENKUlT_T0_E_clISt17integral_constantIbLb0EES10_IbLb1EEEEDaSW_SX_EUlSW_E_NS1_11comp_targetILNS1_3genE0ELNS1_11target_archE4294967295ELNS1_3gpuE0ELNS1_3repE0EEENS1_30default_config_static_selectorELNS0_4arch9wavefront6targetE1EEEvT1_, .Lfunc_end883-_ZN7rocprim17ROCPRIM_400000_NS6detail17trampoline_kernelINS0_14default_configENS1_33run_length_encode_config_selectorIN3c108BFloat16EjNS0_4plusIjEEEEZZNS1_33reduce_by_key_impl_wrapped_configILNS1_25lookback_scan_determinismE0ES3_S9_PKS6_NS0_17constant_iteratorIjlEEPS6_PlSH_S8_NS0_8equal_toIS6_EEEE10hipError_tPvRmT2_T3_mT4_T5_T6_T7_T8_P12ihipStream_tbENKUlT_T0_E_clISt17integral_constantIbLb0EES10_IbLb1EEEEDaSW_SX_EUlSW_E_NS1_11comp_targetILNS1_3genE0ELNS1_11target_archE4294967295ELNS1_3gpuE0ELNS1_3repE0EEENS1_30default_config_static_selectorELNS0_4arch9wavefront6targetE1EEEvT1_
                                        ; -- End function
	.section	.AMDGPU.csdata,"",@progbits
; Kernel info:
; codeLenInByte = 0
; NumSgprs: 4
; NumVgprs: 0
; NumAgprs: 0
; TotalNumVgprs: 0
; ScratchSize: 0
; MemoryBound: 0
; FloatMode: 240
; IeeeMode: 1
; LDSByteSize: 0 bytes/workgroup (compile time only)
; SGPRBlocks: 0
; VGPRBlocks: 0
; NumSGPRsForWavesPerEU: 4
; NumVGPRsForWavesPerEU: 1
; AccumOffset: 4
; Occupancy: 8
; WaveLimiterHint : 0
; COMPUTE_PGM_RSRC2:SCRATCH_EN: 0
; COMPUTE_PGM_RSRC2:USER_SGPR: 6
; COMPUTE_PGM_RSRC2:TRAP_HANDLER: 0
; COMPUTE_PGM_RSRC2:TGID_X_EN: 1
; COMPUTE_PGM_RSRC2:TGID_Y_EN: 0
; COMPUTE_PGM_RSRC2:TGID_Z_EN: 0
; COMPUTE_PGM_RSRC2:TIDIG_COMP_CNT: 0
; COMPUTE_PGM_RSRC3_GFX90A:ACCUM_OFFSET: 0
; COMPUTE_PGM_RSRC3_GFX90A:TG_SPLIT: 0
	.section	.text._ZN7rocprim17ROCPRIM_400000_NS6detail17trampoline_kernelINS0_14default_configENS1_33run_length_encode_config_selectorIN3c108BFloat16EjNS0_4plusIjEEEEZZNS1_33reduce_by_key_impl_wrapped_configILNS1_25lookback_scan_determinismE0ES3_S9_PKS6_NS0_17constant_iteratorIjlEEPS6_PlSH_S8_NS0_8equal_toIS6_EEEE10hipError_tPvRmT2_T3_mT4_T5_T6_T7_T8_P12ihipStream_tbENKUlT_T0_E_clISt17integral_constantIbLb0EES10_IbLb1EEEEDaSW_SX_EUlSW_E_NS1_11comp_targetILNS1_3genE5ELNS1_11target_archE942ELNS1_3gpuE9ELNS1_3repE0EEENS1_30default_config_static_selectorELNS0_4arch9wavefront6targetE1EEEvT1_,"axG",@progbits,_ZN7rocprim17ROCPRIM_400000_NS6detail17trampoline_kernelINS0_14default_configENS1_33run_length_encode_config_selectorIN3c108BFloat16EjNS0_4plusIjEEEEZZNS1_33reduce_by_key_impl_wrapped_configILNS1_25lookback_scan_determinismE0ES3_S9_PKS6_NS0_17constant_iteratorIjlEEPS6_PlSH_S8_NS0_8equal_toIS6_EEEE10hipError_tPvRmT2_T3_mT4_T5_T6_T7_T8_P12ihipStream_tbENKUlT_T0_E_clISt17integral_constantIbLb0EES10_IbLb1EEEEDaSW_SX_EUlSW_E_NS1_11comp_targetILNS1_3genE5ELNS1_11target_archE942ELNS1_3gpuE9ELNS1_3repE0EEENS1_30default_config_static_selectorELNS0_4arch9wavefront6targetE1EEEvT1_,comdat
	.protected	_ZN7rocprim17ROCPRIM_400000_NS6detail17trampoline_kernelINS0_14default_configENS1_33run_length_encode_config_selectorIN3c108BFloat16EjNS0_4plusIjEEEEZZNS1_33reduce_by_key_impl_wrapped_configILNS1_25lookback_scan_determinismE0ES3_S9_PKS6_NS0_17constant_iteratorIjlEEPS6_PlSH_S8_NS0_8equal_toIS6_EEEE10hipError_tPvRmT2_T3_mT4_T5_T6_T7_T8_P12ihipStream_tbENKUlT_T0_E_clISt17integral_constantIbLb0EES10_IbLb1EEEEDaSW_SX_EUlSW_E_NS1_11comp_targetILNS1_3genE5ELNS1_11target_archE942ELNS1_3gpuE9ELNS1_3repE0EEENS1_30default_config_static_selectorELNS0_4arch9wavefront6targetE1EEEvT1_ ; -- Begin function _ZN7rocprim17ROCPRIM_400000_NS6detail17trampoline_kernelINS0_14default_configENS1_33run_length_encode_config_selectorIN3c108BFloat16EjNS0_4plusIjEEEEZZNS1_33reduce_by_key_impl_wrapped_configILNS1_25lookback_scan_determinismE0ES3_S9_PKS6_NS0_17constant_iteratorIjlEEPS6_PlSH_S8_NS0_8equal_toIS6_EEEE10hipError_tPvRmT2_T3_mT4_T5_T6_T7_T8_P12ihipStream_tbENKUlT_T0_E_clISt17integral_constantIbLb0EES10_IbLb1EEEEDaSW_SX_EUlSW_E_NS1_11comp_targetILNS1_3genE5ELNS1_11target_archE942ELNS1_3gpuE9ELNS1_3repE0EEENS1_30default_config_static_selectorELNS0_4arch9wavefront6targetE1EEEvT1_
	.globl	_ZN7rocprim17ROCPRIM_400000_NS6detail17trampoline_kernelINS0_14default_configENS1_33run_length_encode_config_selectorIN3c108BFloat16EjNS0_4plusIjEEEEZZNS1_33reduce_by_key_impl_wrapped_configILNS1_25lookback_scan_determinismE0ES3_S9_PKS6_NS0_17constant_iteratorIjlEEPS6_PlSH_S8_NS0_8equal_toIS6_EEEE10hipError_tPvRmT2_T3_mT4_T5_T6_T7_T8_P12ihipStream_tbENKUlT_T0_E_clISt17integral_constantIbLb0EES10_IbLb1EEEEDaSW_SX_EUlSW_E_NS1_11comp_targetILNS1_3genE5ELNS1_11target_archE942ELNS1_3gpuE9ELNS1_3repE0EEENS1_30default_config_static_selectorELNS0_4arch9wavefront6targetE1EEEvT1_
	.p2align	8
	.type	_ZN7rocprim17ROCPRIM_400000_NS6detail17trampoline_kernelINS0_14default_configENS1_33run_length_encode_config_selectorIN3c108BFloat16EjNS0_4plusIjEEEEZZNS1_33reduce_by_key_impl_wrapped_configILNS1_25lookback_scan_determinismE0ES3_S9_PKS6_NS0_17constant_iteratorIjlEEPS6_PlSH_S8_NS0_8equal_toIS6_EEEE10hipError_tPvRmT2_T3_mT4_T5_T6_T7_T8_P12ihipStream_tbENKUlT_T0_E_clISt17integral_constantIbLb0EES10_IbLb1EEEEDaSW_SX_EUlSW_E_NS1_11comp_targetILNS1_3genE5ELNS1_11target_archE942ELNS1_3gpuE9ELNS1_3repE0EEENS1_30default_config_static_selectorELNS0_4arch9wavefront6targetE1EEEvT1_,@function
_ZN7rocprim17ROCPRIM_400000_NS6detail17trampoline_kernelINS0_14default_configENS1_33run_length_encode_config_selectorIN3c108BFloat16EjNS0_4plusIjEEEEZZNS1_33reduce_by_key_impl_wrapped_configILNS1_25lookback_scan_determinismE0ES3_S9_PKS6_NS0_17constant_iteratorIjlEEPS6_PlSH_S8_NS0_8equal_toIS6_EEEE10hipError_tPvRmT2_T3_mT4_T5_T6_T7_T8_P12ihipStream_tbENKUlT_T0_E_clISt17integral_constantIbLb0EES10_IbLb1EEEEDaSW_SX_EUlSW_E_NS1_11comp_targetILNS1_3genE5ELNS1_11target_archE942ELNS1_3gpuE9ELNS1_3repE0EEENS1_30default_config_static_selectorELNS0_4arch9wavefront6targetE1EEEvT1_: ; @_ZN7rocprim17ROCPRIM_400000_NS6detail17trampoline_kernelINS0_14default_configENS1_33run_length_encode_config_selectorIN3c108BFloat16EjNS0_4plusIjEEEEZZNS1_33reduce_by_key_impl_wrapped_configILNS1_25lookback_scan_determinismE0ES3_S9_PKS6_NS0_17constant_iteratorIjlEEPS6_PlSH_S8_NS0_8equal_toIS6_EEEE10hipError_tPvRmT2_T3_mT4_T5_T6_T7_T8_P12ihipStream_tbENKUlT_T0_E_clISt17integral_constantIbLb0EES10_IbLb1EEEEDaSW_SX_EUlSW_E_NS1_11comp_targetILNS1_3genE5ELNS1_11target_archE942ELNS1_3gpuE9ELNS1_3repE0EEENS1_30default_config_static_selectorELNS0_4arch9wavefront6targetE1EEEvT1_
; %bb.0:
	.section	.rodata,"a",@progbits
	.p2align	6, 0x0
	.amdhsa_kernel _ZN7rocprim17ROCPRIM_400000_NS6detail17trampoline_kernelINS0_14default_configENS1_33run_length_encode_config_selectorIN3c108BFloat16EjNS0_4plusIjEEEEZZNS1_33reduce_by_key_impl_wrapped_configILNS1_25lookback_scan_determinismE0ES3_S9_PKS6_NS0_17constant_iteratorIjlEEPS6_PlSH_S8_NS0_8equal_toIS6_EEEE10hipError_tPvRmT2_T3_mT4_T5_T6_T7_T8_P12ihipStream_tbENKUlT_T0_E_clISt17integral_constantIbLb0EES10_IbLb1EEEEDaSW_SX_EUlSW_E_NS1_11comp_targetILNS1_3genE5ELNS1_11target_archE942ELNS1_3gpuE9ELNS1_3repE0EEENS1_30default_config_static_selectorELNS0_4arch9wavefront6targetE1EEEvT1_
		.amdhsa_group_segment_fixed_size 0
		.amdhsa_private_segment_fixed_size 0
		.amdhsa_kernarg_size 128
		.amdhsa_user_sgpr_count 6
		.amdhsa_user_sgpr_private_segment_buffer 1
		.amdhsa_user_sgpr_dispatch_ptr 0
		.amdhsa_user_sgpr_queue_ptr 0
		.amdhsa_user_sgpr_kernarg_segment_ptr 1
		.amdhsa_user_sgpr_dispatch_id 0
		.amdhsa_user_sgpr_flat_scratch_init 0
		.amdhsa_user_sgpr_kernarg_preload_length 0
		.amdhsa_user_sgpr_kernarg_preload_offset 0
		.amdhsa_user_sgpr_private_segment_size 0
		.amdhsa_uses_dynamic_stack 0
		.amdhsa_system_sgpr_private_segment_wavefront_offset 0
		.amdhsa_system_sgpr_workgroup_id_x 1
		.amdhsa_system_sgpr_workgroup_id_y 0
		.amdhsa_system_sgpr_workgroup_id_z 0
		.amdhsa_system_sgpr_workgroup_info 0
		.amdhsa_system_vgpr_workitem_id 0
		.amdhsa_next_free_vgpr 1
		.amdhsa_next_free_sgpr 0
		.amdhsa_accum_offset 4
		.amdhsa_reserve_vcc 0
		.amdhsa_reserve_flat_scratch 0
		.amdhsa_float_round_mode_32 0
		.amdhsa_float_round_mode_16_64 0
		.amdhsa_float_denorm_mode_32 3
		.amdhsa_float_denorm_mode_16_64 3
		.amdhsa_dx10_clamp 1
		.amdhsa_ieee_mode 1
		.amdhsa_fp16_overflow 0
		.amdhsa_tg_split 0
		.amdhsa_exception_fp_ieee_invalid_op 0
		.amdhsa_exception_fp_denorm_src 0
		.amdhsa_exception_fp_ieee_div_zero 0
		.amdhsa_exception_fp_ieee_overflow 0
		.amdhsa_exception_fp_ieee_underflow 0
		.amdhsa_exception_fp_ieee_inexact 0
		.amdhsa_exception_int_div_zero 0
	.end_amdhsa_kernel
	.section	.text._ZN7rocprim17ROCPRIM_400000_NS6detail17trampoline_kernelINS0_14default_configENS1_33run_length_encode_config_selectorIN3c108BFloat16EjNS0_4plusIjEEEEZZNS1_33reduce_by_key_impl_wrapped_configILNS1_25lookback_scan_determinismE0ES3_S9_PKS6_NS0_17constant_iteratorIjlEEPS6_PlSH_S8_NS0_8equal_toIS6_EEEE10hipError_tPvRmT2_T3_mT4_T5_T6_T7_T8_P12ihipStream_tbENKUlT_T0_E_clISt17integral_constantIbLb0EES10_IbLb1EEEEDaSW_SX_EUlSW_E_NS1_11comp_targetILNS1_3genE5ELNS1_11target_archE942ELNS1_3gpuE9ELNS1_3repE0EEENS1_30default_config_static_selectorELNS0_4arch9wavefront6targetE1EEEvT1_,"axG",@progbits,_ZN7rocprim17ROCPRIM_400000_NS6detail17trampoline_kernelINS0_14default_configENS1_33run_length_encode_config_selectorIN3c108BFloat16EjNS0_4plusIjEEEEZZNS1_33reduce_by_key_impl_wrapped_configILNS1_25lookback_scan_determinismE0ES3_S9_PKS6_NS0_17constant_iteratorIjlEEPS6_PlSH_S8_NS0_8equal_toIS6_EEEE10hipError_tPvRmT2_T3_mT4_T5_T6_T7_T8_P12ihipStream_tbENKUlT_T0_E_clISt17integral_constantIbLb0EES10_IbLb1EEEEDaSW_SX_EUlSW_E_NS1_11comp_targetILNS1_3genE5ELNS1_11target_archE942ELNS1_3gpuE9ELNS1_3repE0EEENS1_30default_config_static_selectorELNS0_4arch9wavefront6targetE1EEEvT1_,comdat
.Lfunc_end884:
	.size	_ZN7rocprim17ROCPRIM_400000_NS6detail17trampoline_kernelINS0_14default_configENS1_33run_length_encode_config_selectorIN3c108BFloat16EjNS0_4plusIjEEEEZZNS1_33reduce_by_key_impl_wrapped_configILNS1_25lookback_scan_determinismE0ES3_S9_PKS6_NS0_17constant_iteratorIjlEEPS6_PlSH_S8_NS0_8equal_toIS6_EEEE10hipError_tPvRmT2_T3_mT4_T5_T6_T7_T8_P12ihipStream_tbENKUlT_T0_E_clISt17integral_constantIbLb0EES10_IbLb1EEEEDaSW_SX_EUlSW_E_NS1_11comp_targetILNS1_3genE5ELNS1_11target_archE942ELNS1_3gpuE9ELNS1_3repE0EEENS1_30default_config_static_selectorELNS0_4arch9wavefront6targetE1EEEvT1_, .Lfunc_end884-_ZN7rocprim17ROCPRIM_400000_NS6detail17trampoline_kernelINS0_14default_configENS1_33run_length_encode_config_selectorIN3c108BFloat16EjNS0_4plusIjEEEEZZNS1_33reduce_by_key_impl_wrapped_configILNS1_25lookback_scan_determinismE0ES3_S9_PKS6_NS0_17constant_iteratorIjlEEPS6_PlSH_S8_NS0_8equal_toIS6_EEEE10hipError_tPvRmT2_T3_mT4_T5_T6_T7_T8_P12ihipStream_tbENKUlT_T0_E_clISt17integral_constantIbLb0EES10_IbLb1EEEEDaSW_SX_EUlSW_E_NS1_11comp_targetILNS1_3genE5ELNS1_11target_archE942ELNS1_3gpuE9ELNS1_3repE0EEENS1_30default_config_static_selectorELNS0_4arch9wavefront6targetE1EEEvT1_
                                        ; -- End function
	.section	.AMDGPU.csdata,"",@progbits
; Kernel info:
; codeLenInByte = 0
; NumSgprs: 4
; NumVgprs: 0
; NumAgprs: 0
; TotalNumVgprs: 0
; ScratchSize: 0
; MemoryBound: 0
; FloatMode: 240
; IeeeMode: 1
; LDSByteSize: 0 bytes/workgroup (compile time only)
; SGPRBlocks: 0
; VGPRBlocks: 0
; NumSGPRsForWavesPerEU: 4
; NumVGPRsForWavesPerEU: 1
; AccumOffset: 4
; Occupancy: 8
; WaveLimiterHint : 0
; COMPUTE_PGM_RSRC2:SCRATCH_EN: 0
; COMPUTE_PGM_RSRC2:USER_SGPR: 6
; COMPUTE_PGM_RSRC2:TRAP_HANDLER: 0
; COMPUTE_PGM_RSRC2:TGID_X_EN: 1
; COMPUTE_PGM_RSRC2:TGID_Y_EN: 0
; COMPUTE_PGM_RSRC2:TGID_Z_EN: 0
; COMPUTE_PGM_RSRC2:TIDIG_COMP_CNT: 0
; COMPUTE_PGM_RSRC3_GFX90A:ACCUM_OFFSET: 0
; COMPUTE_PGM_RSRC3_GFX90A:TG_SPLIT: 0
	.section	.text._ZN7rocprim17ROCPRIM_400000_NS6detail17trampoline_kernelINS0_14default_configENS1_33run_length_encode_config_selectorIN3c108BFloat16EjNS0_4plusIjEEEEZZNS1_33reduce_by_key_impl_wrapped_configILNS1_25lookback_scan_determinismE0ES3_S9_PKS6_NS0_17constant_iteratorIjlEEPS6_PlSH_S8_NS0_8equal_toIS6_EEEE10hipError_tPvRmT2_T3_mT4_T5_T6_T7_T8_P12ihipStream_tbENKUlT_T0_E_clISt17integral_constantIbLb0EES10_IbLb1EEEEDaSW_SX_EUlSW_E_NS1_11comp_targetILNS1_3genE4ELNS1_11target_archE910ELNS1_3gpuE8ELNS1_3repE0EEENS1_30default_config_static_selectorELNS0_4arch9wavefront6targetE1EEEvT1_,"axG",@progbits,_ZN7rocprim17ROCPRIM_400000_NS6detail17trampoline_kernelINS0_14default_configENS1_33run_length_encode_config_selectorIN3c108BFloat16EjNS0_4plusIjEEEEZZNS1_33reduce_by_key_impl_wrapped_configILNS1_25lookback_scan_determinismE0ES3_S9_PKS6_NS0_17constant_iteratorIjlEEPS6_PlSH_S8_NS0_8equal_toIS6_EEEE10hipError_tPvRmT2_T3_mT4_T5_T6_T7_T8_P12ihipStream_tbENKUlT_T0_E_clISt17integral_constantIbLb0EES10_IbLb1EEEEDaSW_SX_EUlSW_E_NS1_11comp_targetILNS1_3genE4ELNS1_11target_archE910ELNS1_3gpuE8ELNS1_3repE0EEENS1_30default_config_static_selectorELNS0_4arch9wavefront6targetE1EEEvT1_,comdat
	.protected	_ZN7rocprim17ROCPRIM_400000_NS6detail17trampoline_kernelINS0_14default_configENS1_33run_length_encode_config_selectorIN3c108BFloat16EjNS0_4plusIjEEEEZZNS1_33reduce_by_key_impl_wrapped_configILNS1_25lookback_scan_determinismE0ES3_S9_PKS6_NS0_17constant_iteratorIjlEEPS6_PlSH_S8_NS0_8equal_toIS6_EEEE10hipError_tPvRmT2_T3_mT4_T5_T6_T7_T8_P12ihipStream_tbENKUlT_T0_E_clISt17integral_constantIbLb0EES10_IbLb1EEEEDaSW_SX_EUlSW_E_NS1_11comp_targetILNS1_3genE4ELNS1_11target_archE910ELNS1_3gpuE8ELNS1_3repE0EEENS1_30default_config_static_selectorELNS0_4arch9wavefront6targetE1EEEvT1_ ; -- Begin function _ZN7rocprim17ROCPRIM_400000_NS6detail17trampoline_kernelINS0_14default_configENS1_33run_length_encode_config_selectorIN3c108BFloat16EjNS0_4plusIjEEEEZZNS1_33reduce_by_key_impl_wrapped_configILNS1_25lookback_scan_determinismE0ES3_S9_PKS6_NS0_17constant_iteratorIjlEEPS6_PlSH_S8_NS0_8equal_toIS6_EEEE10hipError_tPvRmT2_T3_mT4_T5_T6_T7_T8_P12ihipStream_tbENKUlT_T0_E_clISt17integral_constantIbLb0EES10_IbLb1EEEEDaSW_SX_EUlSW_E_NS1_11comp_targetILNS1_3genE4ELNS1_11target_archE910ELNS1_3gpuE8ELNS1_3repE0EEENS1_30default_config_static_selectorELNS0_4arch9wavefront6targetE1EEEvT1_
	.globl	_ZN7rocprim17ROCPRIM_400000_NS6detail17trampoline_kernelINS0_14default_configENS1_33run_length_encode_config_selectorIN3c108BFloat16EjNS0_4plusIjEEEEZZNS1_33reduce_by_key_impl_wrapped_configILNS1_25lookback_scan_determinismE0ES3_S9_PKS6_NS0_17constant_iteratorIjlEEPS6_PlSH_S8_NS0_8equal_toIS6_EEEE10hipError_tPvRmT2_T3_mT4_T5_T6_T7_T8_P12ihipStream_tbENKUlT_T0_E_clISt17integral_constantIbLb0EES10_IbLb1EEEEDaSW_SX_EUlSW_E_NS1_11comp_targetILNS1_3genE4ELNS1_11target_archE910ELNS1_3gpuE8ELNS1_3repE0EEENS1_30default_config_static_selectorELNS0_4arch9wavefront6targetE1EEEvT1_
	.p2align	8
	.type	_ZN7rocprim17ROCPRIM_400000_NS6detail17trampoline_kernelINS0_14default_configENS1_33run_length_encode_config_selectorIN3c108BFloat16EjNS0_4plusIjEEEEZZNS1_33reduce_by_key_impl_wrapped_configILNS1_25lookback_scan_determinismE0ES3_S9_PKS6_NS0_17constant_iteratorIjlEEPS6_PlSH_S8_NS0_8equal_toIS6_EEEE10hipError_tPvRmT2_T3_mT4_T5_T6_T7_T8_P12ihipStream_tbENKUlT_T0_E_clISt17integral_constantIbLb0EES10_IbLb1EEEEDaSW_SX_EUlSW_E_NS1_11comp_targetILNS1_3genE4ELNS1_11target_archE910ELNS1_3gpuE8ELNS1_3repE0EEENS1_30default_config_static_selectorELNS0_4arch9wavefront6targetE1EEEvT1_,@function
_ZN7rocprim17ROCPRIM_400000_NS6detail17trampoline_kernelINS0_14default_configENS1_33run_length_encode_config_selectorIN3c108BFloat16EjNS0_4plusIjEEEEZZNS1_33reduce_by_key_impl_wrapped_configILNS1_25lookback_scan_determinismE0ES3_S9_PKS6_NS0_17constant_iteratorIjlEEPS6_PlSH_S8_NS0_8equal_toIS6_EEEE10hipError_tPvRmT2_T3_mT4_T5_T6_T7_T8_P12ihipStream_tbENKUlT_T0_E_clISt17integral_constantIbLb0EES10_IbLb1EEEEDaSW_SX_EUlSW_E_NS1_11comp_targetILNS1_3genE4ELNS1_11target_archE910ELNS1_3gpuE8ELNS1_3repE0EEENS1_30default_config_static_selectorELNS0_4arch9wavefront6targetE1EEEvT1_: ; @_ZN7rocprim17ROCPRIM_400000_NS6detail17trampoline_kernelINS0_14default_configENS1_33run_length_encode_config_selectorIN3c108BFloat16EjNS0_4plusIjEEEEZZNS1_33reduce_by_key_impl_wrapped_configILNS1_25lookback_scan_determinismE0ES3_S9_PKS6_NS0_17constant_iteratorIjlEEPS6_PlSH_S8_NS0_8equal_toIS6_EEEE10hipError_tPvRmT2_T3_mT4_T5_T6_T7_T8_P12ihipStream_tbENKUlT_T0_E_clISt17integral_constantIbLb0EES10_IbLb1EEEEDaSW_SX_EUlSW_E_NS1_11comp_targetILNS1_3genE4ELNS1_11target_archE910ELNS1_3gpuE8ELNS1_3repE0EEENS1_30default_config_static_selectorELNS0_4arch9wavefront6targetE1EEEvT1_
; %bb.0:
	s_load_dword s12, s[4:5], 0x10
	s_load_dwordx4 s[48:51], s[4:5], 0x20
	s_load_dwordx2 s[56:57], s[4:5], 0x30
	s_load_dwordx2 s[58:59], s[4:5], 0x70
	s_load_dwordx4 s[52:55], s[4:5], 0x60
	s_load_dwordx8 s[40:47], s[4:5], 0x40
	v_cmp_ne_u32_e64 s[2:3], 0, v0
	v_cmp_eq_u32_e64 s[0:1], 0, v0
	s_and_saveexec_b64 s[6:7], s[0:1]
	s_cbranch_execz .LBB885_4
; %bb.1:
	s_mov_b64 s[10:11], exec
	v_mbcnt_lo_u32_b32 v1, s10, 0
	v_mbcnt_hi_u32_b32 v1, s11, v1
	v_cmp_eq_u32_e32 vcc, 0, v1
                                        ; implicit-def: $vgpr2
	s_and_saveexec_b64 s[8:9], vcc
	s_cbranch_execz .LBB885_3
; %bb.2:
	s_load_dwordx2 s[14:15], s[4:5], 0x78
	s_bcnt1_i32_b64 s10, s[10:11]
	v_mov_b32_e32 v2, 0
	v_mov_b32_e32 v3, s10
	s_waitcnt lgkmcnt(0)
	global_atomic_add v2, v2, v3, s[14:15] glc
.LBB885_3:
	s_or_b64 exec, exec, s[8:9]
	s_waitcnt vmcnt(0)
	v_readfirstlane_b32 s8, v2
	v_add_u32_e32 v1, s8, v1
	v_mov_b32_e32 v2, 0
	ds_write_b32 v2, v1
.LBB885_4:
	s_or_b64 exec, exec, s[6:7]
	s_load_dwordx4 s[4:7], s[4:5], 0x0
	v_mov_b32_e32 v3, 0
	s_waitcnt lgkmcnt(0)
	s_barrier
	ds_read_b32 v1, v3
	s_mul_i32 s8, s44, s43
	s_mul_hi_u32 s9, s44, s42
	s_add_i32 s8, s9, s8
	s_mul_i32 s9, s45, s42
	s_add_i32 s8, s8, s9
	s_lshl_b64 s[6:7], s[6:7], 1
	s_add_u32 s4, s4, s6
	s_movk_i32 s6, 0xf00
	s_waitcnt lgkmcnt(0)
	v_mul_lo_u32 v2, v1, s6
	s_mul_i32 s9, s44, s42
	s_addc_u32 s5, s5, s7
	v_readfirstlane_b32 s60, v1
	v_lshlrev_b64 v[2:3], 1, v[2:3]
	v_add_co_u32_e32 v6, vcc, s4, v2
	s_add_u32 s4, s9, s60
	v_mov_b32_e32 v1, s5
	s_addc_u32 s5, s8, 0
	s_add_u32 s10, s46, -1
	s_addc_u32 s11, s47, -1
	s_cmp_eq_u64 s[4:5], s[10:11]
	v_addc_co_u32_e32 v7, vcc, v1, v3, vcc
	s_cselect_b64 s[44:45], -1, 0
	s_cmp_lg_u64 s[4:5], s[10:11]
	s_mov_b64 s[8:9], -1
	s_cselect_b64 s[6:7], -1, 0
	s_mul_i32 s33, s10, 0xfffff100
	s_and_b64 vcc, exec, s[44:45]
	s_barrier
	s_cbranch_vccnz .LBB885_6
; %bb.5:
	v_lshlrev_b32_e32 v1, 1, v0
	v_add_co_u32_e32 v2, vcc, v6, v1
	v_addc_co_u32_e32 v3, vcc, 0, v7, vcc
	v_add_co_u32_e32 v2, vcc, 0x1000, v2
	v_readfirstlane_b32 s8, v6
	v_readfirstlane_b32 s9, v7
	v_addc_co_u32_e32 v3, vcc, 0, v3, vcc
	s_nop 3
	global_load_ushort v4, v1, s[8:9]
	global_load_ushort v5, v1, s[8:9] offset:512
	global_load_ushort v12, v1, s[8:9] offset:1024
	global_load_ushort v13, v1, s[8:9] offset:1536
	global_load_ushort v14, v1, s[8:9] offset:2048
	global_load_ushort v19, v1, s[8:9] offset:2560
	global_load_ushort v20, v1, s[8:9] offset:3072
	global_load_ushort v21, v1, s[8:9] offset:3584
	global_load_ushort v22, v[2:3], off
	global_load_ushort v23, v[2:3], off offset:512
	global_load_ushort v24, v[2:3], off offset:1024
	;; [unrolled: 1-line block ×6, first 2 shown]
	v_mad_u32_u24 v30, v0, 28, v1
	s_movk_i32 s8, 0xffe6
	v_mul_u32_u24_e32 v8, 15, v0
	v_mad_u32_u24 v18, v0, 15, 2
	v_mad_u32_u24 v11, v0, 15, 4
	;; [unrolled: 1-line block ×7, first 2 shown]
	v_mov_b32_e32 v29, s12
	v_mad_i32_i24 v31, v0, s8, v30
	s_waitcnt vmcnt(14)
	ds_write_b16 v1, v4
	s_waitcnt vmcnt(13)
	ds_write_b16 v1, v5 offset:512
	s_waitcnt vmcnt(12)
	ds_write_b16 v1, v12 offset:1024
	s_waitcnt vmcnt(11)
	ds_write_b16 v1, v13 offset:1536
	s_waitcnt vmcnt(10)
	ds_write_b16 v1, v14 offset:2048
	s_waitcnt vmcnt(9)
	ds_write_b16 v1, v19 offset:2560
	s_waitcnt vmcnt(8)
	ds_write_b16 v1, v20 offset:3072
	s_waitcnt vmcnt(7)
	ds_write_b16 v1, v21 offset:3584
	s_waitcnt vmcnt(6)
	ds_write_b16 v1, v22 offset:4096
	s_waitcnt vmcnt(5)
	ds_write_b16 v1, v23 offset:4608
	s_waitcnt vmcnt(4)
	ds_write_b16 v1, v24 offset:5120
	s_waitcnt vmcnt(3)
	ds_write_b16 v1, v25 offset:5632
	s_waitcnt vmcnt(2)
	ds_write_b16 v1, v26 offset:6144
	s_waitcnt vmcnt(1)
	ds_write_b16 v1, v27 offset:6656
	s_waitcnt vmcnt(0)
	ds_write_b16 v1, v28 offset:7168
	s_waitcnt lgkmcnt(0)
	s_barrier
	ds_read_b128 v[2:5], v30
	ds_read_b96 v[12:14], v30 offset:16
	ds_read_u16 v1, v30 offset:28
	s_waitcnt lgkmcnt(0)
	s_barrier
	ds_write2st64_b32 v31, v29, v29 offset1:4
	ds_write2st64_b32 v31, v29, v29 offset0:8 offset1:12
	ds_write2st64_b32 v31, v29, v29 offset0:16 offset1:20
	;; [unrolled: 1-line block ×6, first 2 shown]
	ds_write_b32 v31, v29 offset:14336
	s_waitcnt lgkmcnt(0)
	s_barrier
	s_add_i32 s33, s33, s52
	s_cbranch_execz .LBB885_7
	s_branch .LBB885_38
.LBB885_6:
                                        ; implicit-def: $vgpr14
                                        ; implicit-def: $vgpr5
                                        ; implicit-def: $vgpr15
                                        ; implicit-def: $vgpr16
                                        ; implicit-def: $vgpr17
                                        ; implicit-def: $vgpr9
                                        ; implicit-def: $vgpr10
                                        ; implicit-def: $vgpr11
                                        ; implicit-def: $vgpr18
                                        ; implicit-def: $vgpr8
                                        ; implicit-def: $vgpr1
	s_andn2_b64 vcc, exec, s[8:9]
	s_add_i32 s33, s33, s52
	s_cbranch_vccnz .LBB885_38
.LBB885_7:
	v_cmp_gt_u32_e32 vcc, s33, v0
                                        ; implicit-def: $vgpr1
	s_and_saveexec_b64 s[8:9], vcc
	s_cbranch_execz .LBB885_9
; %bb.8:
	v_lshlrev_b32_e32 v1, 1, v0
	v_readfirstlane_b32 s10, v6
	v_readfirstlane_b32 s11, v7
	s_nop 4
	global_load_ushort v1, v1, s[10:11]
.LBB885_9:
	s_or_b64 exec, exec, s[8:9]
	v_or_b32_e32 v2, 0x100, v0
	v_cmp_gt_u32_e32 vcc, s33, v2
                                        ; implicit-def: $vgpr2
	s_and_saveexec_b64 s[8:9], vcc
	s_cbranch_execz .LBB885_11
; %bb.10:
	v_lshlrev_b32_e32 v2, 1, v0
	v_readfirstlane_b32 s10, v6
	v_readfirstlane_b32 s11, v7
	s_nop 4
	global_load_ushort v2, v2, s[10:11] offset:512
.LBB885_11:
	s_or_b64 exec, exec, s[8:9]
	v_or_b32_e32 v3, 0x200, v0
	v_cmp_gt_u32_e32 vcc, s33, v3
                                        ; implicit-def: $vgpr3
	s_and_saveexec_b64 s[8:9], vcc
	s_cbranch_execz .LBB885_13
; %bb.12:
	v_lshlrev_b32_e32 v3, 1, v0
	v_readfirstlane_b32 s10, v6
	v_readfirstlane_b32 s11, v7
	s_nop 4
	global_load_ushort v3, v3, s[10:11] offset:1024
.LBB885_13:
	s_or_b64 exec, exec, s[8:9]
	v_or_b32_e32 v4, 0x300, v0
	v_cmp_gt_u32_e32 vcc, s33, v4
                                        ; implicit-def: $vgpr4
	s_and_saveexec_b64 s[8:9], vcc
	s_cbranch_execz .LBB885_15
; %bb.14:
	v_lshlrev_b32_e32 v4, 1, v0
	v_readfirstlane_b32 s10, v6
	v_readfirstlane_b32 s11, v7
	s_nop 4
	global_load_ushort v4, v4, s[10:11] offset:1536
.LBB885_15:
	s_or_b64 exec, exec, s[8:9]
	v_or_b32_e32 v5, 0x400, v0
	v_cmp_gt_u32_e32 vcc, s33, v5
                                        ; implicit-def: $vgpr5
	s_and_saveexec_b64 s[8:9], vcc
	s_cbranch_execz .LBB885_17
; %bb.16:
	v_lshlrev_b32_e32 v5, 1, v0
	v_readfirstlane_b32 s10, v6
	v_readfirstlane_b32 s11, v7
	s_nop 4
	global_load_ushort v5, v5, s[10:11] offset:2048
.LBB885_17:
	s_or_b64 exec, exec, s[8:9]
	v_or_b32_e32 v8, 0x500, v0
	v_cmp_gt_u32_e32 vcc, s33, v8
                                        ; implicit-def: $vgpr8
	s_and_saveexec_b64 s[8:9], vcc
	s_cbranch_execz .LBB885_19
; %bb.18:
	v_lshlrev_b32_e32 v8, 1, v0
	v_readfirstlane_b32 s10, v6
	v_readfirstlane_b32 s11, v7
	s_nop 4
	global_load_ushort v8, v8, s[10:11] offset:2560
.LBB885_19:
	s_or_b64 exec, exec, s[8:9]
	v_or_b32_e32 v9, 0x600, v0
	v_cmp_gt_u32_e32 vcc, s33, v9
                                        ; implicit-def: $vgpr9
	s_and_saveexec_b64 s[8:9], vcc
	s_cbranch_execz .LBB885_21
; %bb.20:
	v_lshlrev_b32_e32 v9, 1, v0
	v_readfirstlane_b32 s10, v6
	v_readfirstlane_b32 s11, v7
	s_nop 4
	global_load_ushort v9, v9, s[10:11] offset:3072
.LBB885_21:
	s_or_b64 exec, exec, s[8:9]
	v_or_b32_e32 v10, 0x700, v0
	v_cmp_gt_u32_e32 vcc, s33, v10
                                        ; implicit-def: $vgpr10
	s_and_saveexec_b64 s[8:9], vcc
	s_cbranch_execz .LBB885_23
; %bb.22:
	v_lshlrev_b32_e32 v10, 1, v0
	v_readfirstlane_b32 s10, v6
	v_readfirstlane_b32 s11, v7
	s_nop 4
	global_load_ushort v10, v10, s[10:11] offset:3584
.LBB885_23:
	s_or_b64 exec, exec, s[8:9]
	v_or_b32_e32 v12, 0x800, v0
	v_cmp_gt_u32_e32 vcc, s33, v12
                                        ; implicit-def: $vgpr11
	s_and_saveexec_b64 s[8:9], vcc
	s_cbranch_execz .LBB885_25
; %bb.24:
	v_lshlrev_b32_e32 v11, 1, v12
	v_readfirstlane_b32 s10, v6
	v_readfirstlane_b32 s11, v7
	s_nop 4
	global_load_ushort v11, v11, s[10:11]
.LBB885_25:
	s_or_b64 exec, exec, s[8:9]
	v_or_b32_e32 v13, 0x900, v0
	v_cmp_gt_u32_e32 vcc, s33, v13
                                        ; implicit-def: $vgpr12
	s_and_saveexec_b64 s[8:9], vcc
	s_cbranch_execz .LBB885_27
; %bb.26:
	v_lshlrev_b32_e32 v12, 1, v13
	v_readfirstlane_b32 s10, v6
	v_readfirstlane_b32 s11, v7
	s_nop 4
	global_load_ushort v12, v12, s[10:11]
.LBB885_27:
	s_or_b64 exec, exec, s[8:9]
	v_or_b32_e32 v14, 0xa00, v0
	v_cmp_gt_u32_e32 vcc, s33, v14
                                        ; implicit-def: $vgpr13
	s_and_saveexec_b64 s[8:9], vcc
	s_cbranch_execz .LBB885_29
; %bb.28:
	v_lshlrev_b32_e32 v13, 1, v14
	v_readfirstlane_b32 s10, v6
	v_readfirstlane_b32 s11, v7
	s_nop 4
	global_load_ushort v13, v13, s[10:11]
.LBB885_29:
	s_or_b64 exec, exec, s[8:9]
	v_or_b32_e32 v15, 0xb00, v0
	v_cmp_gt_u32_e32 vcc, s33, v15
                                        ; implicit-def: $vgpr14
	s_and_saveexec_b64 s[8:9], vcc
	s_cbranch_execz .LBB885_31
; %bb.30:
	v_lshlrev_b32_e32 v14, 1, v15
	v_readfirstlane_b32 s10, v6
	v_readfirstlane_b32 s11, v7
	s_nop 4
	global_load_ushort v14, v14, s[10:11]
.LBB885_31:
	s_or_b64 exec, exec, s[8:9]
	v_or_b32_e32 v16, 0xc00, v0
	v_cmp_gt_u32_e32 vcc, s33, v16
                                        ; implicit-def: $vgpr15
	s_and_saveexec_b64 s[8:9], vcc
	s_cbranch_execz .LBB885_33
; %bb.32:
	v_lshlrev_b32_e32 v15, 1, v16
	v_readfirstlane_b32 s10, v6
	v_readfirstlane_b32 s11, v7
	s_nop 4
	global_load_ushort v15, v15, s[10:11]
.LBB885_33:
	s_or_b64 exec, exec, s[8:9]
	v_or_b32_e32 v17, 0xd00, v0
	v_cmp_gt_u32_e32 vcc, s33, v17
                                        ; implicit-def: $vgpr16
	s_and_saveexec_b64 s[8:9], vcc
	s_cbranch_execz .LBB885_35
; %bb.34:
	v_lshlrev_b32_e32 v16, 1, v17
	v_readfirstlane_b32 s10, v6
	v_readfirstlane_b32 s11, v7
	s_nop 4
	global_load_ushort v16, v16, s[10:11]
.LBB885_35:
	s_or_b64 exec, exec, s[8:9]
	v_or_b32_e32 v18, 0xe00, v0
	v_cmp_gt_u32_e32 vcc, s33, v18
                                        ; implicit-def: $vgpr17
	s_and_saveexec_b64 s[8:9], vcc
	s_cbranch_execz .LBB885_37
; %bb.36:
	v_lshlrev_b32_e32 v17, 1, v18
	v_readfirstlane_b32 s10, v6
	v_readfirstlane_b32 s11, v7
	s_nop 4
	global_load_ushort v17, v17, s[10:11]
.LBB885_37:
	s_or_b64 exec, exec, s[8:9]
	v_lshlrev_b32_e32 v18, 1, v0
	v_mad_u32_u24 v19, v0, 28, v18
	s_waitcnt vmcnt(0)
	ds_write_b16 v18, v1
	ds_write_b16 v18, v2 offset:512
	ds_write_b16 v18, v3 offset:1024
	;; [unrolled: 1-line block ×14, first 2 shown]
	s_waitcnt lgkmcnt(0)
	s_barrier
	ds_read_b128 v[2:5], v19
	ds_read_b96 v[12:14], v19 offset:16
	ds_read_u16 v1, v19 offset:28
	s_movk_i32 s8, 0xffe6
	v_mul_u32_u24_e32 v8, 15, v0
	v_mad_u32_u24 v18, v0, 15, 2
	v_mad_u32_u24 v11, v0, 15, 4
	;; [unrolled: 1-line block ×7, first 2 shown]
	v_mad_i32_i24 v19, v0, s8, v19
	v_mov_b32_e32 v20, s12
	s_waitcnt lgkmcnt(0)
	s_barrier
	ds_write2st64_b32 v19, v20, v20 offset1:4
	ds_write2st64_b32 v19, v20, v20 offset0:8 offset1:12
	ds_write2st64_b32 v19, v20, v20 offset0:16 offset1:20
	;; [unrolled: 1-line block ×6, first 2 shown]
	ds_write_b32 v19, v20 offset:14336
	s_waitcnt lgkmcnt(0)
	s_barrier
.LBB885_38:
	v_lshlrev_b32_e32 v8, 2, v8
	v_lshlrev_b32_e32 v20, 2, v18
	ds_read2_b32 v[30:31], v8 offset0:3 offset1:5
	ds_read2_b32 v[22:23], v8 offset0:7 offset1:9
	;; [unrolled: 1-line block ×3, first 2 shown]
	v_lshlrev_b32_e32 v11, 2, v11
	v_lshlrev_b32_e32 v10, 2, v10
	;; [unrolled: 1-line block ×6, first 2 shown]
	ds_read2_b32 v[50:51], v8 offset1:1
	ds_read_b32 v75, v20
	ds_read_b32 v74, v11
	;; [unrolled: 1-line block ×7, first 2 shown]
	s_cmp_eq_u64 s[4:5], 0
	s_cselect_b64 s[46:47], -1, 0
	s_cmp_lg_u64 s[4:5], 0
	s_mov_b64 s[8:9], 0
	s_cselect_b64 s[10:11], -1, 0
	s_and_b64 vcc, exec, s[6:7]
	s_waitcnt lgkmcnt(0)
	s_barrier
	s_cbranch_vccz .LBB885_44
; %bb.39:
	s_and_b64 vcc, exec, s[10:11]
	s_cbranch_vccz .LBB885_45
; %bb.40:
	global_load_ushort v8, v[6:7], off offset:-2
	v_lshlrev_b32_e32 v9, 1, v0
	ds_write_b16 v9, v1
	s_waitcnt lgkmcnt(0)
	s_barrier
	s_and_saveexec_b64 s[6:7], s[2:3]
	s_cbranch_execz .LBB885_42
; %bb.41:
	s_waitcnt vmcnt(0)
	v_add_u32_e32 v8, -2, v9
	ds_read_u16 v8, v8
.LBB885_42:
	s_or_b64 exec, exec, s[6:7]
	v_and_b32_e32 v28, 0xffff0000, v2
	v_lshlrev_b32_e32 v29, 16, v2
	v_lshlrev_b32_e32 v32, 16, v3
	v_cmp_neq_f32_e32 vcc, v28, v29
	v_and_b32_e32 v27, 0xffff0000, v3
	v_cndmask_b32_e64 v67, 0, 1, vcc
	v_cmp_neq_f32_e32 vcc, v28, v32
	v_lshlrev_b32_e32 v25, 16, v4
	v_cndmask_b32_e64 v68, 0, 1, vcc
	v_cmp_neq_f32_e32 vcc, v32, v27
	v_and_b32_e32 v24, 0xffff0000, v4
	v_cndmask_b32_e64 v66, 0, 1, vcc
	v_cmp_neq_f32_e32 vcc, v25, v27
	v_lshlrev_b32_e32 v26, 16, v5
	v_cndmask_b32_e64 v63, 0, 1, vcc
	;; [unrolled: 6-line block ×6, first 2 shown]
	v_cmp_neq_f32_e32 vcc, v9, v10
	v_cndmask_b32_e64 v58, 0, 1, vcc
	v_cmp_neq_f32_e32 vcc, v9, v11
	s_waitcnt vmcnt(0) lgkmcnt(0)
	v_lshlrev_b32_e32 v8, 16, v8
	v_cndmask_b32_e64 v59, 0, 1, vcc
	v_cmp_neq_f32_e64 s[6:7], v29, v8
	s_mov_b64 s[8:9], -1
.LBB885_43:
                                        ; implicit-def: $sgpr14
	s_branch .LBB885_57
.LBB885_44:
                                        ; implicit-def: $sgpr6_sgpr7
                                        ; implicit-def: $vgpr59
                                        ; implicit-def: $vgpr58
                                        ; implicit-def: $vgpr15
                                        ; implicit-def: $vgpr61
                                        ; implicit-def: $vgpr62
                                        ; implicit-def: $vgpr56
                                        ; implicit-def: $vgpr57
                                        ; implicit-def: $vgpr64
                                        ; implicit-def: $vgpr65
                                        ; implicit-def: $vgpr60
                                        ; implicit-def: $vgpr63
                                        ; implicit-def: $vgpr66
                                        ; implicit-def: $vgpr68
                                        ; implicit-def: $vgpr67
                                        ; implicit-def: $sgpr14
	s_cbranch_execnz .LBB885_49
	s_branch .LBB885_57
.LBB885_45:
                                        ; implicit-def: $sgpr6_sgpr7
                                        ; implicit-def: $vgpr59
                                        ; implicit-def: $vgpr58
                                        ; implicit-def: $vgpr15
                                        ; implicit-def: $vgpr61
                                        ; implicit-def: $vgpr62
                                        ; implicit-def: $vgpr56
                                        ; implicit-def: $vgpr57
                                        ; implicit-def: $vgpr64
                                        ; implicit-def: $vgpr65
                                        ; implicit-def: $vgpr60
                                        ; implicit-def: $vgpr63
                                        ; implicit-def: $vgpr66
                                        ; implicit-def: $vgpr68
                                        ; implicit-def: $vgpr67
	s_cbranch_execz .LBB885_43
; %bb.46:
	v_and_b32_e32 v29, 0xffff0000, v2
	v_lshlrev_b32_e32 v9, 16, v2
	v_lshlrev_b32_e32 v32, 16, v3
	v_cmp_neq_f32_e32 vcc, v29, v9
	v_and_b32_e32 v28, 0xffff0000, v3
	v_cndmask_b32_e64 v67, 0, 1, vcc
	v_cmp_neq_f32_e32 vcc, v29, v32
	v_lshlrev_b32_e32 v26, 16, v4
	v_cndmask_b32_e64 v68, 0, 1, vcc
	v_cmp_neq_f32_e32 vcc, v32, v28
	v_and_b32_e32 v25, 0xffff0000, v4
	v_cndmask_b32_e64 v66, 0, 1, vcc
	v_cmp_neq_f32_e32 vcc, v26, v28
	v_lshlrev_b32_e32 v27, 16, v5
	v_cndmask_b32_e64 v63, 0, 1, vcc
	;; [unrolled: 6-line block ×6, first 2 shown]
	v_cmp_neq_f32_e32 vcc, v10, v11
	v_cndmask_b32_e64 v58, 0, 1, vcc
	v_cmp_neq_f32_e32 vcc, v10, v16
	s_mov_b32 s14, 1
	v_lshlrev_b32_e32 v8, 1, v0
	v_cndmask_b32_e64 v59, 0, 1, vcc
	ds_write_b16 v8, v1
	s_waitcnt lgkmcnt(0)
	s_barrier
	s_waitcnt lgkmcnt(0)
                                        ; implicit-def: $sgpr6_sgpr7
	s_and_saveexec_b64 s[12:13], s[2:3]
	s_xor_b64 s[12:13], exec, s[12:13]
	s_cbranch_execz .LBB885_48
; %bb.47:
	v_add_u32_e32 v8, -2, v8
	ds_read_u16 v8, v8
	s_or_b64 s[8:9], s[8:9], exec
	s_waitcnt lgkmcnt(0)
	v_lshlrev_b32_e32 v8, 16, v8
	v_cmp_neq_f32_e32 vcc, v9, v8
	s_and_b64 s[6:7], vcc, exec
.LBB885_48:
	s_or_b64 exec, exec, s[12:13]
	s_branch .LBB885_57
.LBB885_49:
	s_mul_hi_u32 s6, s4, 0xfffff100
	s_mulk_i32 s5, 0xf100
	s_sub_i32 s6, s6, s4
	s_add_i32 s6, s6, s5
	s_mulk_i32 s4, 0xf100
	s_add_u32 s52, s4, s52
	s_addc_u32 s53, s6, s53
	s_and_b64 vcc, exec, s[10:11]
	s_cbranch_vccz .LBB885_54
; %bb.50:
	global_load_ushort v8, v[6:7], off offset:-2
	v_lshlrev_b32_e32 v7, 1, v0
	v_mul_u32_u24_e32 v6, 15, v0
	ds_write_b16 v7, v1
	s_waitcnt lgkmcnt(0)
	s_barrier
	s_and_saveexec_b64 s[4:5], s[2:3]
	s_cbranch_execz .LBB885_52
; %bb.51:
	v_add_u32_e32 v7, -2, v7
	s_waitcnt vmcnt(0)
	ds_read_u16 v8, v7
.LBB885_52:
	s_or_b64 exec, exec, s[4:5]
	s_mov_b32 s4, 0xe000d
	v_pk_add_u16 v9, v6, s4 op_sel_hi:[0,1]
	v_mov_b32_e32 v17, 0
	v_alignbit_b32 v10, 0, v9, 16
	v_and_b32_e32 v16, 0xffff, v9
	v_mov_b32_e32 v11, v17
	v_cmp_gt_u64_e32 vcc, s[52:53], v[16:17]
	v_cmp_gt_u64_e64 s[4:5], s[52:53], v[10:11]
	v_lshlrev_b32_e32 v10, 16, v14
	v_add_u32_e32 v16, 12, v6
	v_and_b32_e32 v20, 0xffff0000, v13
	v_cmp_gt_u64_e64 s[10:11], s[52:53], v[16:17]
	v_cmp_neq_f32_e64 s[12:13], v20, v10
	s_and_b64 s[10:11], s[10:11], s[12:13]
	v_cndmask_b32_e64 v15, 0, 1, s[10:11]
	s_mov_b32 s10, 0xb000a
	v_and_b32_e32 v7, 0xffff0000, v14
	v_lshlrev_b32_e32 v9, 16, v1
	v_pk_add_u16 v11, v6, s10 op_sel_hi:[0,1]
	v_cmp_neq_f32_e64 s[8:9], v7, v10
	v_cmp_neq_f32_e64 s[6:7], v7, v9
	v_lshlrev_b32_e32 v7, 16, v13
	v_and_b32_e32 v9, 0xffff0000, v12
	v_and_b32_e32 v16, 0xffff, v11
	v_cmp_gt_u64_e64 s[10:11], s[52:53], v[16:17]
	v_cmp_neq_f32_e64 s[14:15], v7, v9
	v_cmp_neq_f32_e64 s[16:17], v7, v20
	v_add_u32_e32 v16, 9, v6
	v_lshlrev_b32_e32 v7, 16, v12
	v_cmp_gt_u64_e64 s[18:19], s[52:53], v[16:17]
	v_cmp_neq_f32_e64 s[20:21], v9, v7
	s_and_b64 s[18:19], s[18:19], s[20:21]
	v_add_u32_e32 v16, 8, v6
	v_and_b32_e32 v21, 0xffff0000, v5
	v_cndmask_b32_e64 v56, 0, 1, s[18:19]
	v_cmp_gt_u64_e64 s[18:19], s[52:53], v[16:17]
	v_cmp_neq_f32_e64 s[20:21], v21, v7
	s_and_b64 s[18:19], s[18:19], s[20:21]
	v_cndmask_b32_e64 v57, 0, 1, s[18:19]
	s_mov_b32 s18, 0x70006
	v_pk_add_u16 v7, v6, s18 op_sel_hi:[0,1]
	v_alignbit_b32 v10, 0, v11, 16
	v_mov_b32_e32 v11, v17
	v_and_b32_e32 v16, 0xffff, v7
	v_cmp_gt_u64_e64 s[12:13], s[52:53], v[10:11]
	v_and_b32_e32 v20, 0xffff0000, v4
	v_alignbit_b32 v10, 0, v7, 16
	v_cmp_gt_u64_e64 s[18:19], s[52:53], v[16:17]
	v_add_u32_e32 v16, 5, v6
	v_lshlrev_b32_e32 v7, 16, v4
	v_lshlrev_b32_e32 v9, 16, v5
	v_cmp_gt_u64_e64 s[26:27], s[52:53], v[16:17]
	v_cmp_neq_f32_e64 s[28:29], v20, v7
	v_cmp_neq_f32_e64 s[24:25], v9, v21
	s_and_b64 s[26:27], s[26:27], s[28:29]
	v_add_u32_e32 v16, 4, v6
	v_and_b32_e32 v21, 0xffff0000, v3
	v_cndmask_b32_e64 v60, 0, 1, s[26:27]
	v_cmp_gt_u64_e64 s[26:27], s[52:53], v[16:17]
	v_cmp_neq_f32_e64 s[28:29], v21, v7
	s_and_b64 s[26:27], s[26:27], s[28:29]
	v_cndmask_b32_e64 v63, 0, 1, s[26:27]
	s_mov_b32 s26, 0x30002
	v_pk_add_u16 v7, v6, s26 op_sel_hi:[0,1]
	v_cmp_neq_f32_e64 s[22:23], v9, v20
	v_lshlrev_b32_e32 v9, 16, v3
	v_and_b32_e32 v20, 0xffff0000, v2
	v_and_b32_e32 v16, 0xffff, v7
	v_cmp_gt_u64_e64 s[20:21], s[52:53], v[10:11]
	v_alignbit_b32 v10, 0, v7, 16
	v_cmp_gt_u64_e64 s[26:27], s[52:53], v[16:17]
	v_cmp_neq_f32_e64 s[30:31], v9, v20
	v_cmp_neq_f32_e64 s[34:35], v9, v21
	v_add_u32_e32 v16, 1, v6
	v_lshlrev_b32_e32 v9, 16, v2
	v_mov_b32_e32 v7, v17
	v_cmp_gt_u64_e64 s[28:29], s[52:53], v[10:11]
	v_cmp_gt_u64_e64 s[36:37], s[52:53], v[16:17]
	v_cmp_neq_f32_e64 s[38:39], v20, v9
	s_and_b64 s[26:27], s[26:27], s[30:31]
	s_and_b64 s[18:19], s[18:19], s[22:23]
	;; [unrolled: 1-line block ×3, first 2 shown]
	s_and_b64 s[8:9], vcc, s[8:9]
	s_and_b64 s[4:5], s[4:5], s[6:7]
	v_cmp_gt_u64_e32 vcc, s[52:53], v[6:7]
	s_waitcnt vmcnt(0) lgkmcnt(0)
	v_lshlrev_b32_e32 v6, 16, v8
	s_and_b64 s[36:37], s[36:37], s[38:39]
	v_cndmask_b32_e64 v68, 0, 1, s[26:27]
	s_and_b64 s[26:27], s[28:29], s[34:35]
	v_cndmask_b32_e64 v65, 0, 1, s[18:19]
	;; [unrolled: 2-line block ×4, first 2 shown]
	v_cmp_neq_f32_e64 s[4:5], v6, v9
	v_cndmask_b32_e64 v67, 0, 1, s[36:37]
	v_cndmask_b32_e64 v66, 0, 1, s[26:27]
	;; [unrolled: 1-line block ×5, first 2 shown]
	s_and_b64 s[6:7], vcc, s[4:5]
	s_mov_b64 s[8:9], -1
.LBB885_53:
                                        ; implicit-def: $sgpr14
	v_mov_b32_e32 v69, s14
	s_and_saveexec_b64 s[2:3], s[8:9]
	s_cbranch_execnz .LBB885_58
	s_branch .LBB885_59
.LBB885_54:
                                        ; implicit-def: $sgpr6_sgpr7
                                        ; implicit-def: $vgpr59
                                        ; implicit-def: $vgpr58
                                        ; implicit-def: $vgpr15
                                        ; implicit-def: $vgpr61
                                        ; implicit-def: $vgpr62
                                        ; implicit-def: $vgpr56
                                        ; implicit-def: $vgpr57
                                        ; implicit-def: $vgpr64
                                        ; implicit-def: $vgpr65
                                        ; implicit-def: $vgpr60
                                        ; implicit-def: $vgpr63
                                        ; implicit-def: $vgpr66
                                        ; implicit-def: $vgpr68
                                        ; implicit-def: $vgpr67
	s_cbranch_execz .LBB885_53
; %bb.55:
	v_mad_u32_u24 v6, v0, 15, 14
	v_mov_b32_e32 v7, 0
	v_cmp_gt_u64_e32 vcc, s[52:53], v[6:7]
	v_mad_u32_u24 v6, v0, 15, 13
	v_lshlrev_b32_e32 v9, 16, v1
	v_cmp_gt_u64_e64 s[4:5], s[52:53], v[6:7]
	v_and_b32_e32 v6, 0xffff0000, v14
	v_lshlrev_b32_e32 v10, 16, v14
	v_cmp_neq_f32_e64 s[6:7], v6, v9
	s_and_b64 s[6:7], vcc, s[6:7]
	v_cmp_neq_f32_e32 vcc, v10, v6
	v_mad_u32_u24 v6, v0, 15, 12
	s_and_b64 s[4:5], s[4:5], vcc
	v_cmp_gt_u64_e32 vcc, s[52:53], v[6:7]
	v_mad_u32_u24 v6, v0, 15, 11
	v_cndmask_b32_e64 v58, 0, 1, s[4:5]
	v_cmp_gt_u64_e64 s[4:5], s[52:53], v[6:7]
	v_and_b32_e32 v6, 0xffff0000, v13
	v_cndmask_b32_e64 v59, 0, 1, s[6:7]
	v_lshlrev_b32_e32 v9, 16, v13
	v_cmp_neq_f32_e64 s[6:7], v6, v10
	s_and_b64 s[6:7], vcc, s[6:7]
	v_cmp_neq_f32_e32 vcc, v9, v6
	v_mad_u32_u24 v6, v0, 15, 10
	s_and_b64 s[4:5], s[4:5], vcc
	v_cmp_gt_u64_e32 vcc, s[52:53], v[6:7]
	v_mad_u32_u24 v6, v0, 15, 9
	v_cndmask_b32_e64 v61, 0, 1, s[4:5]
	v_cmp_gt_u64_e64 s[4:5], s[52:53], v[6:7]
	v_and_b32_e32 v6, 0xffff0000, v12
	v_cndmask_b32_e64 v15, 0, 1, s[6:7]
	;; [unrolled: 12-line block ×6, first 2 shown]
	v_lshlrev_b32_e32 v9, 16, v2
	v_cmp_neq_f32_e64 s[6:7], v6, v11
	s_and_b64 s[6:7], vcc, s[6:7]
	v_cmp_neq_f32_e32 vcc, v9, v6
	s_and_b64 s[4:5], s[4:5], vcc
	s_mov_b32 s14, 1
	v_lshlrev_b32_e32 v8, 1, v0
	v_cndmask_b32_e64 v68, 0, 1, s[6:7]
	v_cndmask_b32_e64 v67, 0, 1, s[4:5]
	ds_write_b16 v8, v1
	s_waitcnt lgkmcnt(0)
	s_barrier
	s_waitcnt lgkmcnt(0)
                                        ; implicit-def: $sgpr6_sgpr7
	s_and_saveexec_b64 s[4:5], s[2:3]
	s_cbranch_execz .LBB885_150
; %bb.56:
	v_add_u32_e32 v6, -2, v8
	ds_read_u16 v8, v6
	v_mul_u32_u24_e32 v6, 15, v0
	v_cmp_gt_u64_e32 vcc, s[52:53], v[6:7]
	s_or_b64 s[8:9], s[8:9], exec
	s_waitcnt lgkmcnt(0)
	v_lshlrev_b32_e32 v6, 16, v8
	v_cmp_neq_f32_e64 s[2:3], v9, v6
	s_and_b64 s[2:3], vcc, s[2:3]
	s_and_b64 s[6:7], s[2:3], exec
	s_or_b64 exec, exec, s[4:5]
.LBB885_57:
	v_mov_b32_e32 v69, s14
	s_and_saveexec_b64 s[2:3], s[8:9]
.LBB885_58:
	v_cndmask_b32_e64 v69, 0, 1, s[6:7]
.LBB885_59:
	s_or_b64 exec, exec, s[2:3]
	s_cmp_eq_u64 s[42:43], 0
	v_add3_u32 v6, v67, v69, v68
	s_cselect_b64 s[34:35], -1, 0
	s_cmp_lg_u32 s60, 0
	v_cmp_eq_u32_e64 s[26:27], 0, v67
	v_cmp_eq_u32_e64 s[24:25], 0, v68
	;; [unrolled: 1-line block ×3, first 2 shown]
	v_add3_u32 v80, v6, v66, v63
	v_cmp_eq_u32_e64 s[20:21], 0, v63
	v_cmp_eq_u32_e64 s[18:19], 0, v60
	;; [unrolled: 1-line block ×10, first 2 shown]
	v_cmp_eq_u32_e32 vcc, 0, v59
	v_mbcnt_lo_u32_b32 v79, -1, 0
	v_lshrrev_b32_e32 v77, 6, v0
	v_or_b32_e32 v78, 63, v0
	s_cbranch_scc0 .LBB885_86
; %bb.60:
	v_cndmask_b32_e64 v6, 0, v50, s[26:27]
	v_add_u32_e32 v6, v6, v51
	v_cndmask_b32_e64 v6, 0, v6, s[24:25]
	v_add_u32_e32 v6, v6, v75
	;; [unrolled: 2-line block ×11, first 2 shown]
	v_cndmask_b32_e64 v6, 0, v6, s[4:5]
	v_add3_u32 v7, v80, v60, v65
	v_add_u32_e32 v6, v6, v70
	v_add3_u32 v7, v7, v64, v57
	v_cndmask_b32_e64 v6, 0, v6, s[2:3]
	v_add3_u32 v7, v7, v56, v62
	v_add_u32_e32 v6, v6, v19
	v_add3_u32 v7, v7, v61, v15
	v_cndmask_b32_e32 v6, 0, v6, vcc
	v_add3_u32 v7, v7, v58, v59
	v_add_u32_e32 v6, v6, v76
	v_mbcnt_hi_u32_b32 v21, -1, v79
	v_and_b32_e32 v8, 15, v21
	v_mov_b32_dpp v10, v6 row_shr:1 row_mask:0xf bank_mask:0xf
	v_cmp_eq_u32_e32 vcc, 0, v7
	v_mov_b32_dpp v9, v7 row_shr:1 row_mask:0xf bank_mask:0xf
	v_cndmask_b32_e32 v10, 0, v10, vcc
	v_cmp_eq_u32_e32 vcc, 0, v8
	v_cndmask_b32_e64 v9, v9, 0, vcc
	v_add_u32_e32 v7, v9, v7
	v_cndmask_b32_e64 v9, v10, 0, vcc
	v_add_u32_e32 v6, v9, v6
	v_cmp_eq_u32_e32 vcc, 0, v7
	v_mov_b32_dpp v9, v7 row_shr:2 row_mask:0xf bank_mask:0xf
	v_cmp_lt_u32_e64 s[28:29], 1, v8
	v_mov_b32_dpp v10, v6 row_shr:2 row_mask:0xf bank_mask:0xf
	v_cndmask_b32_e64 v9, 0, v9, s[28:29]
	s_and_b64 vcc, s[28:29], vcc
	v_cndmask_b32_e32 v10, 0, v10, vcc
	v_add_u32_e32 v7, v7, v9
	v_add_u32_e32 v6, v10, v6
	v_cmp_eq_u32_e32 vcc, 0, v7
	v_mov_b32_dpp v9, v7 row_shr:4 row_mask:0xf bank_mask:0xf
	v_cmp_lt_u32_e64 s[28:29], 3, v8
	v_mov_b32_dpp v10, v6 row_shr:4 row_mask:0xf bank_mask:0xf
	v_cndmask_b32_e64 v9, 0, v9, s[28:29]
	s_and_b64 vcc, s[28:29], vcc
	v_cndmask_b32_e32 v10, 0, v10, vcc
	v_add_u32_e32 v7, v9, v7
	v_add_u32_e32 v6, v6, v10
	v_cmp_eq_u32_e32 vcc, 0, v7
	v_cmp_lt_u32_e64 s[28:29], 7, v8
	v_mov_b32_dpp v9, v7 row_shr:8 row_mask:0xf bank_mask:0xf
	v_mov_b32_dpp v10, v6 row_shr:8 row_mask:0xf bank_mask:0xf
	s_and_b64 vcc, s[28:29], vcc
	v_cndmask_b32_e64 v8, 0, v9, s[28:29]
	v_cndmask_b32_e32 v9, 0, v10, vcc
	v_add_u32_e32 v6, v9, v6
	v_add_u32_e32 v7, v8, v7
	v_bfe_i32 v10, v21, 4, 1
	v_mov_b32_dpp v9, v6 row_bcast:15 row_mask:0xf bank_mask:0xf
	v_mov_b32_dpp v8, v7 row_bcast:15 row_mask:0xf bank_mask:0xf
	v_cmp_eq_u32_e32 vcc, 0, v7
	v_cndmask_b32_e32 v9, 0, v9, vcc
	v_and_b32_e32 v8, v10, v8
	v_add_u32_e32 v7, v8, v7
	v_and_b32_e32 v8, v10, v9
	v_add_u32_e32 v8, v8, v6
	v_mov_b32_dpp v6, v7 row_bcast:31 row_mask:0xf bank_mask:0xf
	v_cmp_eq_u32_e32 vcc, 0, v7
	v_cmp_lt_u32_e64 s[28:29], 31, v21
	v_mov_b32_dpp v9, v8 row_bcast:31 row_mask:0xf bank_mask:0xf
	v_cndmask_b32_e64 v6, 0, v6, s[28:29]
	s_and_b64 vcc, s[28:29], vcc
	v_add_u32_e32 v6, v6, v7
	v_cndmask_b32_e32 v7, 0, v9, vcc
	v_add_u32_e32 v7, v7, v8
	v_cmp_eq_u32_e32 vcc, v78, v0
	v_lshlrev_b32_e32 v8, 3, v77
	s_and_saveexec_b64 s[28:29], vcc
	s_cbranch_execz .LBB885_62
; %bb.61:
	ds_write_b64 v8, v[6:7] offset:1040
.LBB885_62:
	s_or_b64 exec, exec, s[28:29]
	v_cmp_gt_u32_e32 vcc, 4, v0
	s_waitcnt lgkmcnt(0)
	s_barrier
	s_and_saveexec_b64 s[30:31], vcc
	s_cbranch_execz .LBB885_64
; %bb.63:
	v_lshlrev_b32_e32 v9, 3, v0
	ds_read_b64 v[10:11], v9 offset:1040
	v_and_b32_e32 v16, 3, v21
	v_cmp_lt_u32_e64 s[28:29], 1, v16
	s_waitcnt lgkmcnt(0)
	v_mov_b32_dpp v20, v11 row_shr:1 row_mask:0xf bank_mask:0xf
	v_cmp_eq_u32_e32 vcc, 0, v10
	v_mov_b32_dpp v17, v10 row_shr:1 row_mask:0xf bank_mask:0xf
	v_cndmask_b32_e32 v20, 0, v20, vcc
	v_cmp_eq_u32_e32 vcc, 0, v16
	v_cndmask_b32_e64 v17, v17, 0, vcc
	v_add_u32_e32 v10, v17, v10
	v_cndmask_b32_e64 v17, v20, 0, vcc
	v_add_u32_e32 v11, v17, v11
	v_cmp_eq_u32_e32 vcc, 0, v10
	v_mov_b32_dpp v17, v10 row_shr:2 row_mask:0xf bank_mask:0xf
	v_mov_b32_dpp v20, v11 row_shr:2 row_mask:0xf bank_mask:0xf
	v_cndmask_b32_e64 v16, 0, v17, s[28:29]
	s_and_b64 vcc, s[28:29], vcc
	v_add_u32_e32 v10, v16, v10
	v_cndmask_b32_e32 v16, 0, v20, vcc
	v_add_u32_e32 v11, v16, v11
	ds_write_b64 v9, v[10:11] offset:1040
.LBB885_64:
	s_or_b64 exec, exec, s[30:31]
	v_cmp_gt_u32_e32 vcc, 64, v0
	v_cmp_lt_u32_e64 s[28:29], 63, v0
	v_mov_b32_e32 v16, 0
	v_mov_b32_e32 v17, 0
	s_waitcnt lgkmcnt(0)
	s_barrier
	s_and_saveexec_b64 s[30:31], s[28:29]
	s_cbranch_execz .LBB885_66
; %bb.65:
	ds_read_b64 v[16:17], v8 offset:1032
	v_cmp_eq_u32_e64 s[28:29], 0, v6
	s_waitcnt lgkmcnt(0)
	v_add_u32_e32 v8, v16, v6
	v_cndmask_b32_e64 v6, 0, v17, s[28:29]
	v_add_u32_e32 v7, v6, v7
	v_mov_b32_e32 v6, v8
.LBB885_66:
	s_or_b64 exec, exec, s[30:31]
	v_add_u32_e32 v8, -1, v21
	v_and_b32_e32 v9, 64, v21
	v_cmp_lt_i32_e64 s[28:29], v8, v9
	v_cndmask_b32_e64 v8, v8, v21, s[28:29]
	v_lshlrev_b32_e32 v8, 2, v8
	ds_bpermute_b32 v28, v8, v6
	ds_bpermute_b32 v29, v8, v7
	v_cmp_eq_u32_e64 s[28:29], 0, v21
	s_and_saveexec_b64 s[36:37], vcc
	s_cbranch_execz .LBB885_85
; %bb.67:
	v_mov_b32_e32 v11, 0
	ds_read_b64 v[6:7], v11 offset:1064
	s_waitcnt lgkmcnt(0)
	v_readfirstlane_b32 s42, v6
	v_readfirstlane_b32 s43, v7
	s_and_saveexec_b64 s[30:31], s[28:29]
	s_cbranch_execz .LBB885_69
; %bb.68:
	s_add_i32 s38, s60, 64
	s_mov_b32 s39, 0
	s_lshl_b64 s[52:53], s[38:39], 4
	s_add_u32 s52, s40, s52
	s_addc_u32 s53, s41, s53
	s_and_b32 s63, s43, 0xff000000
	s_mov_b32 s62, s39
	s_and_b32 s65, s43, 0xff0000
	s_mov_b32 s64, s39
	s_or_b64 s[62:63], s[64:65], s[62:63]
	s_and_b32 s65, s43, 0xff00
	s_or_b64 s[62:63], s[62:63], s[64:65]
	s_and_b32 s65, s43, 0xff
	s_or_b64 s[38:39], s[62:63], s[64:65]
	v_mov_b32_e32 v8, s42
	v_mov_b32_e32 v9, s39
	v_mov_b32_e32 v10, 1
	v_pk_mov_b32 v[6:7], s[52:53], s[52:53] op_sel:[0,1]
	;;#ASMSTART
	global_store_dwordx4 v[6:7], v[8:11] off	
s_waitcnt vmcnt(0)
	;;#ASMEND
.LBB885_69:
	s_or_b64 exec, exec, s[30:31]
	v_xad_u32 v20, v21, -1, s60
	v_add_u32_e32 v10, 64, v20
	v_lshlrev_b64 v[6:7], 4, v[10:11]
	v_mov_b32_e32 v8, s41
	v_add_co_u32_e32 v24, vcc, s40, v6
	v_addc_co_u32_e32 v25, vcc, v8, v7, vcc
	;;#ASMSTART
	global_load_dwordx4 v[6:9], v[24:25] off glc	
s_waitcnt vmcnt(0)
	;;#ASMEND
	v_and_b32_e32 v9, 0xff, v7
	v_and_b32_e32 v10, 0xff00, v7
	v_or3_b32 v9, 0, v9, v10
	v_or3_b32 v6, v6, 0, 0
	v_and_b32_e32 v10, 0xff000000, v7
	v_and_b32_e32 v7, 0xff0000, v7
	v_or3_b32 v7, v9, v7, v10
	v_or3_b32 v6, v6, 0, 0
	v_cmp_eq_u16_sdwa s[38:39], v8, v11 src0_sel:BYTE_0 src1_sel:DWORD
	s_and_saveexec_b64 s[30:31], s[38:39]
	s_cbranch_execz .LBB885_73
; %bb.70:
	s_mov_b64 s[38:39], 0
	v_mov_b32_e32 v10, 0
.LBB885_71:                             ; =>This Inner Loop Header: Depth=1
	;;#ASMSTART
	global_load_dwordx4 v[6:9], v[24:25] off glc	
s_waitcnt vmcnt(0)
	;;#ASMEND
	v_cmp_ne_u16_sdwa s[52:53], v8, v10 src0_sel:BYTE_0 src1_sel:DWORD
	s_or_b64 s[38:39], s[52:53], s[38:39]
	s_andn2_b64 exec, exec, s[38:39]
	s_cbranch_execnz .LBB885_71
; %bb.72:
	s_or_b64 exec, exec, s[38:39]
.LBB885_73:
	s_or_b64 exec, exec, s[30:31]
	v_mov_b32_e32 v32, 2
	v_cmp_eq_u16_sdwa s[30:31], v8, v32 src0_sel:BYTE_0 src1_sel:DWORD
	v_lshlrev_b64 v[24:25], v21, -1
	v_and_b32_e32 v9, s31, v25
	v_and_b32_e32 v33, 63, v21
	v_or_b32_e32 v9, 0x80000000, v9
	v_cmp_ne_u32_e32 vcc, 63, v33
	v_and_b32_e32 v10, s30, v24
	v_ffbl_b32_e32 v9, v9
	v_addc_co_u32_e32 v11, vcc, 0, v21, vcc
	v_add_u32_e32 v9, 32, v9
	v_ffbl_b32_e32 v10, v10
	v_lshlrev_b32_e32 v34, 2, v11
	v_min_u32_e32 v9, v10, v9
	ds_bpermute_b32 v10, v34, v7
	v_cmp_eq_u32_e32 vcc, 0, v6
	v_cmp_lt_u32_e64 s[30:31], v33, v9
	ds_bpermute_b32 v11, v34, v6
	s_and_b64 vcc, s[30:31], vcc
	s_waitcnt lgkmcnt(1)
	v_cndmask_b32_e32 v10, 0, v10, vcc
	v_cmp_gt_u32_e32 vcc, 62, v33
	v_add_u32_e32 v7, v10, v7
	v_cndmask_b32_e64 v10, 0, 1, vcc
	v_lshlrev_b32_e32 v10, 1, v10
	v_add_lshl_u32 v35, v10, v21, 2
	s_waitcnt lgkmcnt(0)
	v_cndmask_b32_e64 v11, 0, v11, s[30:31]
	ds_bpermute_b32 v10, v35, v7
	v_add_u32_e32 v6, v11, v6
	ds_bpermute_b32 v11, v35, v6
	v_add_u32_e32 v36, 2, v33
	v_cmp_eq_u32_e32 vcc, 0, v6
	s_waitcnt lgkmcnt(1)
	v_cndmask_b32_e32 v10, 0, v10, vcc
	v_cmp_gt_u32_e32 vcc, v36, v9
	v_cndmask_b32_e64 v10, v10, 0, vcc
	v_add_u32_e32 v7, v10, v7
	s_waitcnt lgkmcnt(0)
	v_cndmask_b32_e64 v10, v11, 0, vcc
	v_cmp_gt_u32_e32 vcc, 60, v33
	v_cndmask_b32_e64 v11, 0, 1, vcc
	v_lshlrev_b32_e32 v11, 2, v11
	v_add_lshl_u32 v37, v11, v21, 2
	ds_bpermute_b32 v11, v37, v7
	v_add_u32_e32 v6, v6, v10
	ds_bpermute_b32 v10, v37, v6
	v_add_u32_e32 v38, 4, v33
	v_cmp_eq_u32_e32 vcc, 0, v6
	s_waitcnt lgkmcnt(1)
	v_cndmask_b32_e32 v11, 0, v11, vcc
	v_cmp_gt_u32_e32 vcc, v38, v9
	v_cndmask_b32_e64 v11, v11, 0, vcc
	s_waitcnt lgkmcnt(0)
	v_cndmask_b32_e64 v10, v10, 0, vcc
	v_cmp_gt_u32_e32 vcc, 56, v33
	v_add_u32_e32 v7, v7, v11
	v_cndmask_b32_e64 v11, 0, 1, vcc
	v_lshlrev_b32_e32 v11, 3, v11
	v_add_lshl_u32 v39, v11, v21, 2
	ds_bpermute_b32 v11, v39, v7
	v_add_u32_e32 v6, v6, v10
	ds_bpermute_b32 v10, v39, v6
	v_add_u32_e32 v40, 8, v33
	v_cmp_eq_u32_e32 vcc, 0, v6
	s_waitcnt lgkmcnt(1)
	v_cndmask_b32_e32 v11, 0, v11, vcc
	v_cmp_gt_u32_e32 vcc, v40, v9
	v_cndmask_b32_e64 v11, v11, 0, vcc
	s_waitcnt lgkmcnt(0)
	v_cndmask_b32_e64 v10, v10, 0, vcc
	v_cmp_gt_u32_e32 vcc, 48, v33
	v_add_u32_e32 v7, v7, v11
	;; [unrolled: 16-line block ×3, first 2 shown]
	v_cndmask_b32_e64 v11, 0, 1, vcc
	v_lshlrev_b32_e32 v11, 5, v11
	v_add_lshl_u32 v43, v11, v21, 2
	ds_bpermute_b32 v11, v43, v7
	v_add_u32_e32 v6, v6, v10
	ds_bpermute_b32 v10, v43, v6
	v_add_u32_e32 v44, 32, v33
	v_cmp_eq_u32_e32 vcc, 0, v6
	s_waitcnt lgkmcnt(1)
	v_cndmask_b32_e32 v11, 0, v11, vcc
	v_cmp_gt_u32_e32 vcc, v44, v9
	v_cndmask_b32_e64 v9, v11, 0, vcc
	v_add_u32_e32 v7, v9, v7
	s_waitcnt lgkmcnt(0)
	v_cndmask_b32_e64 v9, v10, 0, vcc
	v_add_u32_e32 v6, v9, v6
	v_mov_b32_e32 v21, 0
	s_branch .LBB885_75
.LBB885_74:                             ;   in Loop: Header=BB885_75 Depth=1
	s_or_b64 exec, exec, s[30:31]
	v_cmp_eq_u16_sdwa s[30:31], v8, v32 src0_sel:BYTE_0 src1_sel:DWORD
	v_and_b32_e32 v9, s31, v25
	v_or_b32_e32 v9, 0x80000000, v9
	v_and_b32_e32 v26, s30, v24
	v_ffbl_b32_e32 v9, v9
	v_add_u32_e32 v9, 32, v9
	v_ffbl_b32_e32 v26, v26
	v_min_u32_e32 v9, v26, v9
	ds_bpermute_b32 v26, v34, v7
	v_cmp_eq_u32_e32 vcc, 0, v6
	v_cmp_lt_u32_e64 s[30:31], v33, v9
	ds_bpermute_b32 v27, v34, v6
	s_and_b64 vcc, s[30:31], vcc
	s_waitcnt lgkmcnt(1)
	v_cndmask_b32_e32 v26, 0, v26, vcc
	v_add_u32_e32 v7, v26, v7
	ds_bpermute_b32 v26, v35, v7
	s_waitcnt lgkmcnt(1)
	v_cndmask_b32_e64 v27, 0, v27, s[30:31]
	v_add_u32_e32 v6, v27, v6
	v_cmp_eq_u32_e32 vcc, 0, v6
	ds_bpermute_b32 v27, v35, v6
	s_waitcnt lgkmcnt(1)
	v_cndmask_b32_e32 v26, 0, v26, vcc
	v_cmp_gt_u32_e32 vcc, v36, v9
	v_cndmask_b32_e64 v26, v26, 0, vcc
	v_add_u32_e32 v7, v26, v7
	ds_bpermute_b32 v26, v37, v7
	s_waitcnt lgkmcnt(1)
	v_cndmask_b32_e64 v27, v27, 0, vcc
	v_add_u32_e32 v6, v6, v27
	v_cmp_eq_u32_e32 vcc, 0, v6
	ds_bpermute_b32 v27, v37, v6
	s_waitcnt lgkmcnt(1)
	v_cndmask_b32_e32 v26, 0, v26, vcc
	v_cmp_gt_u32_e32 vcc, v38, v9
	v_cndmask_b32_e64 v26, v26, 0, vcc
	v_add_u32_e32 v7, v7, v26
	ds_bpermute_b32 v26, v39, v7
	s_waitcnt lgkmcnt(1)
	v_cndmask_b32_e64 v27, v27, 0, vcc
	v_add_u32_e32 v6, v6, v27
	ds_bpermute_b32 v27, v39, v6
	v_cmp_eq_u32_e32 vcc, 0, v6
	s_waitcnt lgkmcnt(1)
	v_cndmask_b32_e32 v26, 0, v26, vcc
	v_cmp_gt_u32_e32 vcc, v40, v9
	v_cndmask_b32_e64 v26, v26, 0, vcc
	v_add_u32_e32 v7, v7, v26
	ds_bpermute_b32 v26, v41, v7
	s_waitcnt lgkmcnt(1)
	v_cndmask_b32_e64 v27, v27, 0, vcc
	v_add_u32_e32 v6, v6, v27
	ds_bpermute_b32 v27, v41, v6
	v_cmp_eq_u32_e32 vcc, 0, v6
	;; [unrolled: 11-line block ×3, first 2 shown]
	s_waitcnt lgkmcnt(1)
	v_cndmask_b32_e32 v26, 0, v26, vcc
	v_cmp_gt_u32_e32 vcc, v44, v9
	v_cndmask_b32_e64 v9, v26, 0, vcc
	v_add_u32_e32 v7, v9, v7
	s_waitcnt lgkmcnt(0)
	v_cndmask_b32_e64 v9, v27, 0, vcc
	v_cmp_eq_u32_e32 vcc, 0, v10
	v_cndmask_b32_e32 v7, 0, v7, vcc
	v_subrev_u32_e32 v20, 64, v20
	v_add3_u32 v6, v6, v10, v9
	v_add_u32_e32 v7, v7, v11
.LBB885_75:                             ; =>This Loop Header: Depth=1
                                        ;     Child Loop BB885_78 Depth 2
	v_cmp_ne_u16_sdwa s[30:31], v8, v32 src0_sel:BYTE_0 src1_sel:DWORD
	v_mov_b32_e32 v11, v7
	v_cndmask_b32_e64 v7, 0, 1, s[30:31]
	;;#ASMSTART
	;;#ASMEND
	v_cmp_ne_u32_e32 vcc, 0, v7
	s_cmp_lg_u64 vcc, exec
	v_mov_b32_e32 v10, v6
	s_cbranch_scc1 .LBB885_80
; %bb.76:                               ;   in Loop: Header=BB885_75 Depth=1
	v_lshlrev_b64 v[6:7], 4, v[20:21]
	v_mov_b32_e32 v8, s41
	v_add_co_u32_e32 v26, vcc, s40, v6
	v_addc_co_u32_e32 v27, vcc, v8, v7, vcc
	;;#ASMSTART
	global_load_dwordx4 v[6:9], v[26:27] off glc	
s_waitcnt vmcnt(0)
	;;#ASMEND
	v_and_b32_e32 v9, 0xff, v7
	v_and_b32_e32 v45, 0xff00, v7
	v_or3_b32 v9, 0, v9, v45
	v_or3_b32 v6, v6, 0, 0
	v_and_b32_e32 v45, 0xff000000, v7
	v_and_b32_e32 v7, 0xff0000, v7
	v_or3_b32 v7, v9, v7, v45
	v_or3_b32 v6, v6, 0, 0
	v_cmp_eq_u16_sdwa s[38:39], v8, v21 src0_sel:BYTE_0 src1_sel:DWORD
	s_and_saveexec_b64 s[30:31], s[38:39]
	s_cbranch_execz .LBB885_74
; %bb.77:                               ;   in Loop: Header=BB885_75 Depth=1
	s_mov_b64 s[38:39], 0
.LBB885_78:                             ;   Parent Loop BB885_75 Depth=1
                                        ; =>  This Inner Loop Header: Depth=2
	;;#ASMSTART
	global_load_dwordx4 v[6:9], v[26:27] off glc	
s_waitcnt vmcnt(0)
	;;#ASMEND
	v_cmp_ne_u16_sdwa s[52:53], v8, v21 src0_sel:BYTE_0 src1_sel:DWORD
	s_or_b64 s[38:39], s[52:53], s[38:39]
	s_andn2_b64 exec, exec, s[38:39]
	s_cbranch_execnz .LBB885_78
; %bb.79:                               ;   in Loop: Header=BB885_75 Depth=1
	s_or_b64 exec, exec, s[38:39]
	s_branch .LBB885_74
.LBB885_80:                             ;   in Loop: Header=BB885_75 Depth=1
                                        ; implicit-def: $vgpr7
                                        ; implicit-def: $vgpr6
                                        ; implicit-def: $vgpr8
	s_cbranch_execz .LBB885_75
; %bb.81:
	s_and_saveexec_b64 s[30:31], s[28:29]
	s_cbranch_execz .LBB885_83
; %bb.82:
	s_cmp_eq_u32 s42, 0
	s_cselect_b64 vcc, -1, 0
	s_mov_b32 s39, 0
	v_cndmask_b32_e32 v6, 0, v11, vcc
	s_add_i32 s38, s60, 64
	v_add_u32_e32 v6, s43, v6
	s_lshl_b64 s[38:39], s[38:39], 4
	s_add_u32 s38, s40, s38
	v_and_b32_e32 v7, 0xff000000, v6
	v_and_b32_e32 v8, 0xff0000, v6
	s_addc_u32 s39, s41, s39
	v_or_b32_e32 v7, v8, v7
	v_and_b32_e32 v8, 0xff00, v6
	v_and_b32_e32 v6, 0xff, v6
	v_add_u32_e32 v24, s42, v10
	v_mov_b32_e32 v27, 0
	v_or3_b32 v25, v7, v8, v6
	v_mov_b32_e32 v26, 2
	v_pk_mov_b32 v[6:7], s[38:39], s[38:39] op_sel:[0,1]
	;;#ASMSTART
	global_store_dwordx4 v[6:7], v[24:27] off	
s_waitcnt vmcnt(0)
	;;#ASMEND
	v_mov_b32_e32 v8, s42
	v_mov_b32_e32 v9, s43
	ds_write_b128 v27, v[8:11] offset:1024
.LBB885_83:
	s_or_b64 exec, exec, s[30:31]
	s_and_b64 exec, exec, s[0:1]
	s_cbranch_execz .LBB885_85
; %bb.84:
	v_mov_b32_e32 v6, 0
	ds_write_b64 v6, v[10:11] offset:1064
.LBB885_85:
	s_or_b64 exec, exec, s[36:37]
	v_mov_b32_e32 v8, 0
	s_waitcnt lgkmcnt(0)
	s_barrier
	ds_read_b64 v[6:7], v8 offset:1064
	v_cndmask_b32_e64 v10, v28, v16, s[28:29]
	v_cmp_eq_u32_e32 vcc, 0, v10
	v_cndmask_b32_e64 v9, v29, v17, s[28:29]
	s_waitcnt lgkmcnt(0)
	v_cndmask_b32_e32 v11, 0, v7, vcc
	v_add_u32_e32 v9, v11, v9
	v_cndmask_b32_e64 v55, v9, v7, s[0:1]
	v_cndmask_b32_e64 v7, v10, 0, s[0:1]
	v_cmp_eq_u32_e32 vcc, 0, v69
	v_add_u32_e32 v54, v6, v7
	v_cndmask_b32_e32 v6, 0, v55, vcc
	v_add_u32_e32 v53, v6, v50
	v_cndmask_b32_e64 v6, 0, v53, s[26:27]
	v_add_u32_e32 v49, v6, v51
	v_cndmask_b32_e64 v6, 0, v49, s[24:25]
	;; [unrolled: 2-line block ×8, first 2 shown]
	v_add_u32_e32 v52, v54, v69
	v_add_u32_e32 v35, v6, v72
	v_add_u32_e32 v48, v52, v67
	v_cndmask_b32_e64 v6, 0, v35, s[10:11]
	v_add_u32_e32 v46, v48, v68
	v_add_u32_e32 v33, v6, v23
	v_add_u32_e32 v44, v46, v66
	v_cndmask_b32_e64 v6, 0, v33, s[8:9]
	v_add_u32_e32 v42, v44, v63
	v_add_u32_e32 v29, v6, v71
	v_add_u32_e32 v40, v42, v60
	v_cndmask_b32_e64 v6, 0, v29, s[6:7]
	v_add_u32_e32 v38, v40, v65
	v_add_u32_e32 v27, v6, v18
	s_barrier
	ds_read_b128 v[6:9], v8 offset:1024
	v_add_u32_e32 v36, v38, v64
	v_add_u32_e32 v34, v36, v57
	;; [unrolled: 1-line block ×4, first 2 shown]
	v_cndmask_b32_e64 v10, 0, v27, s[4:5]
	v_add_u32_e32 v26, v28, v61
	v_add_u32_e32 v25, v10, v70
	s_waitcnt lgkmcnt(0)
	v_cmp_eq_u32_e32 vcc, 0, v6
	v_add_u32_e32 v24, v26, v15
	v_cndmask_b32_e64 v10, 0, v25, s[2:3]
	v_cndmask_b32_e32 v9, 0, v9, vcc
	v_add_u32_e32 v20, v24, v58
	v_add_u32_e32 v21, v10, v19
	;; [unrolled: 1-line block ×3, first 2 shown]
	s_branch .LBB885_98
.LBB885_86:
                                        ; implicit-def: $vgpr6
                                        ; implicit-def: $vgpr16
                                        ; implicit-def: $vgpr54_vgpr55
                                        ; implicit-def: $vgpr52_vgpr53
                                        ; implicit-def: $vgpr48_vgpr49
                                        ; implicit-def: $vgpr46_vgpr47
                                        ; implicit-def: $vgpr44_vgpr45
                                        ; implicit-def: $vgpr42_vgpr43
                                        ; implicit-def: $vgpr40_vgpr41
                                        ; implicit-def: $vgpr38_vgpr39
                                        ; implicit-def: $vgpr36_vgpr37
                                        ; implicit-def: $vgpr34_vgpr35
                                        ; implicit-def: $vgpr32_vgpr33
                                        ; implicit-def: $vgpr28_vgpr29
                                        ; implicit-def: $vgpr26_vgpr27
                                        ; implicit-def: $vgpr24_vgpr25
                                        ; implicit-def: $vgpr20_vgpr21
	s_cbranch_execz .LBB885_98
; %bb.87:
	s_and_b64 s[2:3], s[34:35], exec
	s_cselect_b32 s3, 0, s59
	s_cselect_b32 s2, 0, s58
	s_cmp_eq_u64 s[2:3], 0
	v_mov_b32_e32 v10, v50
	s_cbranch_scc1 .LBB885_89
; %bb.88:
	v_mov_b32_e32 v6, 0
	global_load_dword v10, v6, s[2:3]
.LBB885_89:
	v_cmp_eq_u32_e64 s[2:3], 0, v67
	v_cndmask_b32_e64 v6, 0, v50, s[2:3]
	v_add_u32_e32 v6, v6, v51
	v_cmp_eq_u32_e64 s[4:5], 0, v68
	v_cndmask_b32_e64 v6, 0, v6, s[4:5]
	v_add_u32_e32 v6, v6, v75
	;; [unrolled: 3-line block ×11, first 2 shown]
	v_cmp_eq_u32_e64 s[24:25], 0, v15
	v_cndmask_b32_e64 v6, 0, v6, s[24:25]
	v_add3_u32 v7, v80, v60, v65
	v_add_u32_e32 v6, v6, v70
	v_cmp_eq_u32_e32 vcc, 0, v58
	v_add3_u32 v7, v7, v64, v57
	v_cndmask_b32_e32 v6, 0, v6, vcc
	v_add3_u32 v7, v7, v56, v62
	v_add_u32_e32 v6, v6, v19
	v_cmp_eq_u32_e64 s[26:27], 0, v59
	v_add3_u32 v7, v7, v61, v15
	v_cndmask_b32_e64 v6, 0, v6, s[26:27]
	v_add3_u32 v7, v7, v58, v59
	v_add_u32_e32 v6, v6, v76
	v_mbcnt_hi_u32_b32 v11, -1, v79
	v_and_b32_e32 v8, 15, v11
	v_mov_b32_dpp v16, v6 row_shr:1 row_mask:0xf bank_mask:0xf
	v_cmp_eq_u32_e64 s[26:27], 0, v7
	v_mov_b32_dpp v9, v7 row_shr:1 row_mask:0xf bank_mask:0xf
	v_cndmask_b32_e64 v16, 0, v16, s[26:27]
	v_cmp_eq_u32_e64 s[26:27], 0, v8
	v_cndmask_b32_e64 v9, v9, 0, s[26:27]
	v_add_u32_e32 v7, v9, v7
	v_cndmask_b32_e64 v9, v16, 0, s[26:27]
	v_add_u32_e32 v6, v9, v6
	v_cmp_eq_u32_e64 s[26:27], 0, v7
	v_mov_b32_dpp v9, v7 row_shr:2 row_mask:0xf bank_mask:0xf
	v_cmp_lt_u32_e64 s[28:29], 1, v8
	v_mov_b32_dpp v16, v6 row_shr:2 row_mask:0xf bank_mask:0xf
	v_cndmask_b32_e64 v9, 0, v9, s[28:29]
	s_and_b64 s[26:27], s[28:29], s[26:27]
	v_cndmask_b32_e64 v16, 0, v16, s[26:27]
	v_add_u32_e32 v7, v7, v9
	v_add_u32_e32 v6, v16, v6
	v_cmp_eq_u32_e64 s[26:27], 0, v7
	v_mov_b32_dpp v9, v7 row_shr:4 row_mask:0xf bank_mask:0xf
	v_cmp_lt_u32_e64 s[28:29], 3, v8
	v_mov_b32_dpp v16, v6 row_shr:4 row_mask:0xf bank_mask:0xf
	v_cndmask_b32_e64 v9, 0, v9, s[28:29]
	s_and_b64 s[26:27], s[28:29], s[26:27]
	v_cndmask_b32_e64 v16, 0, v16, s[26:27]
	v_add_u32_e32 v7, v9, v7
	v_add_u32_e32 v6, v6, v16
	v_cmp_eq_u32_e64 s[26:27], 0, v7
	v_cmp_lt_u32_e64 s[28:29], 7, v8
	v_mov_b32_dpp v9, v7 row_shr:8 row_mask:0xf bank_mask:0xf
	v_mov_b32_dpp v16, v6 row_shr:8 row_mask:0xf bank_mask:0xf
	s_and_b64 s[26:27], s[28:29], s[26:27]
	v_cndmask_b32_e64 v8, 0, v9, s[28:29]
	v_cndmask_b32_e64 v9, 0, v16, s[26:27]
	v_add_u32_e32 v6, v9, v6
	v_add_u32_e32 v7, v8, v7
	v_bfe_i32 v16, v11, 4, 1
	v_mov_b32_dpp v9, v6 row_bcast:15 row_mask:0xf bank_mask:0xf
	v_mov_b32_dpp v8, v7 row_bcast:15 row_mask:0xf bank_mask:0xf
	v_cmp_eq_u32_e64 s[26:27], 0, v7
	v_cndmask_b32_e64 v9, 0, v9, s[26:27]
	v_and_b32_e32 v8, v16, v8
	v_add_u32_e32 v7, v8, v7
	v_and_b32_e32 v8, v16, v9
	v_add_u32_e32 v8, v8, v6
	v_mov_b32_dpp v6, v7 row_bcast:31 row_mask:0xf bank_mask:0xf
	v_cmp_eq_u32_e64 s[26:27], 0, v7
	v_cmp_lt_u32_e64 s[28:29], 31, v11
	v_mov_b32_dpp v9, v8 row_bcast:31 row_mask:0xf bank_mask:0xf
	v_cndmask_b32_e64 v6, 0, v6, s[28:29]
	s_and_b64 s[26:27], s[28:29], s[26:27]
	v_add_u32_e32 v6, v6, v7
	v_cndmask_b32_e64 v7, 0, v9, s[26:27]
	v_add_u32_e32 v7, v7, v8
	v_cmp_eq_u32_e64 s[26:27], v78, v0
	v_lshlrev_b32_e32 v9, 3, v77
	s_and_saveexec_b64 s[28:29], s[26:27]
	s_cbranch_execz .LBB885_91
; %bb.90:
	ds_write_b64 v9, v[6:7] offset:1040
.LBB885_91:
	s_or_b64 exec, exec, s[28:29]
	v_cmp_gt_u32_e64 s[26:27], 4, v0
	s_waitcnt lgkmcnt(0)
	s_barrier
	s_and_saveexec_b64 s[30:31], s[26:27]
	s_cbranch_execz .LBB885_93
; %bb.92:
	v_lshlrev_b32_e32 v8, 3, v0
	ds_read_b64 v[16:17], v8 offset:1040
	v_and_b32_e32 v20, 3, v11
	v_cmp_lt_u32_e64 s[28:29], 1, v20
	s_waitcnt lgkmcnt(0)
	v_mov_b32_dpp v24, v17 row_shr:1 row_mask:0xf bank_mask:0xf
	v_cmp_eq_u32_e64 s[26:27], 0, v16
	v_mov_b32_dpp v21, v16 row_shr:1 row_mask:0xf bank_mask:0xf
	v_cndmask_b32_e64 v24, 0, v24, s[26:27]
	v_cmp_eq_u32_e64 s[26:27], 0, v20
	v_cndmask_b32_e64 v21, v21, 0, s[26:27]
	v_add_u32_e32 v16, v21, v16
	v_cndmask_b32_e64 v21, v24, 0, s[26:27]
	v_add_u32_e32 v17, v21, v17
	v_cmp_eq_u32_e64 s[26:27], 0, v16
	v_mov_b32_dpp v21, v16 row_shr:2 row_mask:0xf bank_mask:0xf
	v_mov_b32_dpp v24, v17 row_shr:2 row_mask:0xf bank_mask:0xf
	v_cndmask_b32_e64 v20, 0, v21, s[28:29]
	s_and_b64 s[26:27], s[28:29], s[26:27]
	v_add_u32_e32 v16, v20, v16
	v_cndmask_b32_e64 v20, 0, v24, s[26:27]
	v_add_u32_e32 v17, v20, v17
	ds_write_b64 v8, v[16:17] offset:1040
.LBB885_93:
	s_or_b64 exec, exec, s[30:31]
	v_cmp_lt_u32_e64 s[26:27], 63, v0
	v_mov_b32_e32 v16, 0
	v_mov_b32_e32 v8, 0
	s_waitcnt vmcnt(0)
	v_mov_b32_e32 v17, v10
	s_waitcnt lgkmcnt(0)
	s_barrier
	s_and_saveexec_b64 s[28:29], s[26:27]
	s_cbranch_execz .LBB885_95
; %bb.94:
	ds_read_b64 v[8:9], v9 offset:1032
	s_waitcnt lgkmcnt(0)
	v_cmp_eq_u32_e64 s[26:27], 0, v8
	v_cndmask_b32_e64 v17, 0, v10, s[26:27]
	v_add_u32_e32 v17, v17, v9
.LBB885_95:
	s_or_b64 exec, exec, s[28:29]
	v_cmp_eq_u32_e64 s[26:27], 0, v6
	v_add_u32_e32 v9, v8, v6
	v_cndmask_b32_e64 v6, 0, v17, s[26:27]
	v_add_u32_e32 v6, v6, v7
	v_add_u32_e32 v7, -1, v11
	v_and_b32_e32 v20, 64, v11
	v_cmp_lt_i32_e64 s[26:27], v7, v20
	v_cndmask_b32_e64 v7, v7, v11, s[26:27]
	v_lshlrev_b32_e32 v7, 2, v7
	ds_bpermute_b32 v6, v7, v6
	ds_bpermute_b32 v9, v7, v9
	v_cmp_eq_u32_e64 s[26:27], 0, v11
	s_waitcnt lgkmcnt(1)
	v_cndmask_b32_e64 v6, v6, v17, s[26:27]
	s_waitcnt lgkmcnt(0)
	v_cndmask_b32_e64 v7, v9, v8, s[26:27]
	v_cndmask_b32_e64 v55, v6, v10, s[0:1]
	v_cmp_eq_u32_e64 s[26:27], 0, v69
	v_cndmask_b32_e64 v6, 0, v55, s[26:27]
	v_add_u32_e32 v53, v6, v50
	v_cndmask_b32_e64 v6, 0, v53, s[2:3]
	v_add_u32_e32 v49, v6, v51
	;; [unrolled: 2-line block ×8, first 2 shown]
	v_cndmask_b32_e64 v54, v7, 0, s[0:1]
	v_cndmask_b32_e64 v6, 0, v37, s[16:17]
	v_add_u32_e32 v52, v54, v69
	v_add_u32_e32 v35, v6, v72
	v_add_u32_e32 v48, v52, v67
	v_cndmask_b32_e64 v6, 0, v35, s[18:19]
	v_add_u32_e32 v46, v48, v68
	v_add_u32_e32 v33, v6, v23
	v_add_u32_e32 v44, v46, v66
	;; [unrolled: 4-line block ×3, first 2 shown]
	v_cndmask_b32_e64 v6, 0, v29, s[22:23]
	v_add_u32_e32 v38, v40, v65
	v_add_u32_e32 v27, v6, v18
	ds_read_b64 v[6:7], v16 offset:1064
	v_add_u32_e32 v36, v38, v64
	v_add_u32_e32 v34, v36, v57
	;; [unrolled: 1-line block ×3, first 2 shown]
	v_cndmask_b32_e64 v8, 0, v27, s[24:25]
	v_add_u32_e32 v28, v32, v62
	v_add_u32_e32 v25, v8, v70
	;; [unrolled: 1-line block ×3, first 2 shown]
	v_cndmask_b32_e32 v8, 0, v25, vcc
	s_waitcnt lgkmcnt(0)
	v_cmp_eq_u32_e32 vcc, 0, v6
	v_add_u32_e32 v24, v26, v15
	v_add_u32_e32 v21, v8, v19
	v_cndmask_b32_e32 v8, 0, v10, vcc
	v_add_u32_e32 v20, v24, v58
	v_add_u32_e32 v16, v8, v7
	s_and_saveexec_b64 s[2:3], s[0:1]
	s_cbranch_execz .LBB885_97
; %bb.96:
	s_add_u32 s4, s40, 0x400
	v_and_b32_e32 v7, 0xff000000, v16
	v_and_b32_e32 v8, 0xff0000, v16
	s_addc_u32 s5, s41, 0
	v_or_b32_e32 v7, v8, v7
	v_and_b32_e32 v8, 0xff00, v16
	v_and_b32_e32 v10, 0xff, v16
	v_mov_b32_e32 v9, 0
	v_or3_b32 v7, v7, v8, v10
	v_mov_b32_e32 v8, 2
	v_pk_mov_b32 v[10:11], s[4:5], s[4:5] op_sel:[0,1]
	;;#ASMSTART
	global_store_dwordx4 v[10:11], v[6:9] off	
s_waitcnt vmcnt(0)
	;;#ASMEND
.LBB885_97:
	s_or_b64 exec, exec, s[2:3]
	v_mov_b32_e32 v8, 0
.LBB885_98:
	s_and_b64 s[2:3], s[34:35], exec
	s_cselect_b32 s3, 0, s55
	s_cselect_b32 s2, 0, s54
	s_cmp_eq_u64 s[2:3], 0
	v_pk_mov_b32 v[18:19], 0, 0
	s_barrier
	s_cbranch_scc1 .LBB885_100
; %bb.99:
	v_mov_b32_e32 v7, 0
	global_load_dwordx2 v[18:19], v7, s[2:3]
.LBB885_100:
	s_waitcnt vmcnt(0)
	v_lshlrev_b64 v[10:11], 1, v[18:19]
	v_mov_b32_e32 v7, s49
	v_add_co_u32_e32 v17, vcc, s48, v10
	v_mov_b32_e32 v9, 0
	v_addc_co_u32_e32 v22, vcc, v7, v11, vcc
	v_lshlrev_b64 v[10:11], 1, v[8:9]
	v_add_co_u32_e32 v7, vcc, v17, v10
	v_addc_co_u32_e32 v17, vcc, v22, v11, vcc
	v_cmp_eq_u32_e32 vcc, 0, v69
	v_cndmask_b32_e64 v10, 1, 2, vcc
	v_cmp_eq_u32_e32 vcc, 0, v67
	v_cndmask_b32_e64 v11, 1, 2, vcc
	v_cmp_eq_u32_e32 vcc, 0, v68
	v_and_b32_e32 v10, v11, v10
	v_cndmask_b32_e64 v11, 1, 2, vcc
	v_cmp_eq_u32_e32 vcc, 0, v66
	v_and_b32_e32 v10, v10, v11
	;; [unrolled: 3-line block ×13, first 2 shown]
	v_cndmask_b32_e64 v11, 1, 2, vcc
	s_movk_i32 s34, 0x100
	v_and_b32_e32 v10, v10, v11
	v_cmp_gt_u32_e32 vcc, s34, v6
	v_cmp_ne_u32_e64 s[30:31], 0, v69
	v_cmp_ne_u32_e64 s[28:29], 0, v67
	;; [unrolled: 1-line block ×15, first 2 shown]
	s_mov_b64 s[36:37], -1
	v_cmp_gt_i16_e64 s[34:35], 2, v10
	s_cbranch_vccz .LBB885_107
; %bb.101:
	s_and_saveexec_b64 s[36:37], s[34:35]
	s_cbranch_execz .LBB885_106
; %bb.102:
	v_cmp_ne_u16_e32 vcc, 1, v10
	s_mov_b64 s[38:39], 0
	s_and_saveexec_b64 s[34:35], vcc
	s_xor_b64 s[34:35], exec, s[34:35]
	s_cbranch_execnz .LBB885_151
; %bb.103:
	s_andn2_saveexec_b64 s[34:35], s[34:35]
	s_cbranch_execnz .LBB885_167
.LBB885_104:
	s_or_b64 exec, exec, s[34:35]
	s_and_b64 exec, exec, s[38:39]
	s_cbranch_execz .LBB885_106
.LBB885_105:
	v_sub_u32_e32 v22, v20, v8
	v_mov_b32_e32 v23, 0
	v_lshlrev_b64 v[22:23], 1, v[22:23]
	v_add_co_u32_e32 v22, vcc, v7, v22
	v_addc_co_u32_e32 v23, vcc, v17, v23, vcc
	global_store_short v[22:23], v1, off
.LBB885_106:
	s_or_b64 exec, exec, s[36:37]
	s_mov_b64 s[36:37], 0
.LBB885_107:
	s_and_b64 vcc, exec, s[36:37]
	s_cbranch_vccz .LBB885_129
; %bb.108:
	v_cmp_gt_i16_e32 vcc, 2, v10
	s_and_saveexec_b64 s[34:35], vcc
	s_cbranch_execz .LBB885_113
; %bb.109:
	v_cmp_ne_u16_e32 vcc, 1, v10
	s_mov_b64 s[38:39], 0
	s_and_saveexec_b64 s[36:37], vcc
	s_xor_b64 s[36:37], exec, s[36:37]
	s_cbranch_execnz .LBB885_168
; %bb.110:
	s_andn2_saveexec_b64 s[2:3], s[36:37]
	s_cbranch_execnz .LBB885_184
.LBB885_111:
	s_or_b64 exec, exec, s[2:3]
	s_and_b64 exec, exec, s[38:39]
	s_cbranch_execz .LBB885_113
.LBB885_112:
	v_sub_u32_e32 v2, v20, v8
	v_lshlrev_b32_e32 v2, 1, v2
	ds_write_b16 v2, v1
.LBB885_113:
	s_or_b64 exec, exec, s[34:35]
	v_cmp_lt_u32_e32 vcc, v0, v6
	s_waitcnt lgkmcnt(0)
	s_barrier
	s_and_saveexec_b64 s[4:5], vcc
	s_cbranch_execz .LBB885_128
; %bb.114:
	v_xad_u32 v1, v0, -1, v6
	s_movk_i32 s2, 0x1700
	v_cmp_gt_u32_e64 s[6:7], s2, v1
	s_movk_i32 s2, 0x16ff
	v_cmp_lt_u32_e32 vcc, s2, v1
	v_mov_b32_e32 v2, v0
	s_and_saveexec_b64 s[8:9], vcc
	s_cbranch_execz .LBB885_125
; %bb.115:
	v_sub_u32_e32 v2, v0, v6
	v_or_b32_e32 v2, 0xff, v2
	v_cmp_ge_u32_e32 vcc, v2, v0
	s_mov_b64 s[2:3], -1
	v_mov_b32_e32 v2, v0
	s_and_saveexec_b64 s[10:11], vcc
	s_cbranch_execz .LBB885_124
; %bb.116:
	v_lshrrev_b32_e32 v14, 8, v1
	v_or_b32_e32 v3, 0x300, v0
	v_or_b32_e32 v2, 0x200, v0
	v_add_u32_e32 v4, -3, v14
	v_or_b32_e32 v1, 0x100, v0
	v_lshrrev_b32_e32 v5, 2, v4
	v_pk_mov_b32 v[12:13], v[2:3], v[2:3] op_sel:[0,1]
	v_add_u32_e32 v23, 1, v5
	v_cmp_lt_u32_e32 vcc, 11, v4
	v_mov_b32_e32 v50, 0
	v_lshlrev_b32_e32 v22, 1, v0
	v_pk_mov_b32 v[10:11], v[0:1], v[0:1] op_sel:[0,1]
	s_and_saveexec_b64 s[12:13], vcc
	s_cbranch_execz .LBB885_120
; %bb.117:
	v_pk_mov_b32 v[12:13], v[2:3], v[2:3] op_sel:[0,1]
	v_and_b32_e32 v30, 0x7ffffffc, v23
	s_mov_b32 s16, 0
	s_mov_b64 s[14:15], 0
	v_mov_b32_e32 v5, 0
	v_mov_b32_e32 v31, v22
	v_pk_mov_b32 v[10:11], v[0:1], v[0:1] op_sel:[0,1]
.LBB885_118:                            ; =>This Inner Loop Header: Depth=1
	v_mov_b32_e32 v4, v10
	v_lshlrev_b64 v[84:85], 1, v[4:5]
	v_add_u32_e32 v70, 0x400, v11
	v_mov_b32_e32 v71, v5
	v_add_co_u32_e64 v84, s[2:3], v7, v84
	v_lshlrev_b64 v[70:71], 1, v[70:71]
	v_addc_co_u32_e64 v85, s[2:3], v17, v85, s[2:3]
	v_add_u32_e32 v50, 0x400, v12
	v_mov_b32_e32 v51, v5
	v_add_co_u32_e64 v70, s[2:3], v7, v70
	v_lshlrev_b64 v[86:87], 1, v[50:51]
	v_addc_co_u32_e64 v71, s[2:3], v17, v71, s[2:3]
	v_add_u32_e32 v2, 0x400, v13
	v_mov_b32_e32 v3, v5
	v_add_co_u32_e64 v86, s[2:3], v7, v86
	v_add_u32_e32 v30, -4, v30
	v_mov_b32_e32 v4, v11
	v_lshlrev_b64 v[2:3], 1, v[2:3]
	v_addc_co_u32_e64 v87, s[2:3], v17, v87, s[2:3]
	v_add_u32_e32 v76, 0x800, v11
	v_mov_b32_e32 v77, v5
	s_add_i32 s16, s16, 16
	v_cmp_eq_u32_e32 vcc, 0, v30
	v_lshlrev_b64 v[88:89], 1, v[4:5]
	v_add_co_u32_e64 v2, s[2:3], v7, v2
	v_lshlrev_b64 v[76:77], 1, v[76:77]
	v_mov_b32_e32 v4, v12
	v_addc_co_u32_e64 v3, s[2:3], v17, v3, s[2:3]
	s_or_b64 s[14:15], vcc, s[14:15]
	v_add_co_u32_e32 v88, vcc, v7, v88
	v_add_u32_e32 v74, 0x800, v12
	v_mov_b32_e32 v75, v5
	v_add_co_u32_e64 v76, s[2:3], v7, v76
	v_addc_co_u32_e32 v89, vcc, v17, v89, vcc
	v_lshlrev_b64 v[90:91], 1, v[4:5]
	v_lshlrev_b64 v[74:75], 1, v[74:75]
	v_addc_co_u32_e64 v77, s[2:3], v17, v77, s[2:3]
	v_mov_b32_e32 v4, v13
	v_add_co_u32_e32 v90, vcc, v7, v90
	ds_read_u16 v1, v31
	ds_read_u16 v94, v31 offset:512
	ds_read_u16 v95, v31 offset:1024
	;; [unrolled: 1-line block ×7, first 2 shown]
	v_add_u32_e32 v72, 0x800, v13
	v_mov_b32_e32 v73, v5
	v_add_co_u32_e64 v74, s[2:3], v7, v74
	v_addc_co_u32_e32 v91, vcc, v17, v91, vcc
	v_lshlrev_b64 v[92:93], 1, v[4:5]
	v_lshlrev_b64 v[72:73], 1, v[72:73]
	v_addc_co_u32_e64 v75, s[2:3], v17, v75, s[2:3]
	v_add_u32_e32 v4, 0x400, v10
	v_add_co_u32_e32 v92, vcc, v7, v92
	v_add_u32_e32 v82, 0xc00, v11
	v_mov_b32_e32 v83, v5
	ds_read_u16 v101, v31 offset:4096
	ds_read_u16 v102, v31 offset:4608
	;; [unrolled: 1-line block ×8, first 2 shown]
	v_add_co_u32_e64 v72, s[2:3], v7, v72
	v_addc_co_u32_e32 v93, vcc, v17, v93, vcc
	s_waitcnt lgkmcnt(14)
	global_store_short v[84:85], v1, off
	global_store_short v[88:89], v94, off
	s_waitcnt lgkmcnt(13)
	global_store_short v[90:91], v95, off
	v_lshlrev_b64 v[84:85], 1, v[4:5]
	v_lshlrev_b64 v[82:83], 1, v[82:83]
	v_addc_co_u32_e64 v73, s[2:3], v17, v73, s[2:3]
	v_add_u32_e32 v4, 0x800, v10
	v_add_co_u32_e32 v84, vcc, v7, v84
	v_add_u32_e32 v80, 0xc00, v12
	v_mov_b32_e32 v81, v5
	v_add_co_u32_e64 v82, s[2:3], v7, v82
	v_addc_co_u32_e32 v85, vcc, v17, v85, vcc
	v_lshlrev_b64 v[88:89], 1, v[4:5]
	v_lshlrev_b64 v[80:81], 1, v[80:81]
	v_addc_co_u32_e64 v83, s[2:3], v17, v83, s[2:3]
	s_waitcnt lgkmcnt(12)
	global_store_short v[92:93], v96, off
	v_add_u32_e32 v4, 0xc00, v10
	s_waitcnt lgkmcnt(11)
	global_store_short v[84:85], v97, off
	s_waitcnt lgkmcnt(10)
	global_store_short v[70:71], v98, off
	;; [unrolled: 2-line block ×4, first 2 shown]
	v_add_co_u32_e32 v2, vcc, v7, v88
	v_add_u32_e32 v78, 0xc00, v13
	v_mov_b32_e32 v79, v5
	v_add_co_u32_e64 v80, s[2:3], v7, v80
	v_addc_co_u32_e32 v3, vcc, v17, v89, vcc
	v_lshlrev_b64 v[70:71], 1, v[4:5]
	v_lshlrev_b64 v[78:79], 1, v[78:79]
	v_addc_co_u32_e64 v81, s[2:3], v17, v81, s[2:3]
	s_waitcnt lgkmcnt(7)
	global_store_short v[2:3], v101, off
	s_waitcnt lgkmcnt(6)
	global_store_short v[76:77], v102, off
	;; [unrolled: 2-line block ×4, first 2 shown]
	v_add_co_u32_e32 v2, vcc, v7, v70
	v_add_u32_e32 v31, 0x2000, v31
	v_add_u32_e32 v11, 0x1000, v11
	v_mov_b32_e32 v50, s16
	v_add_co_u32_e64 v78, s[2:3], v7, v78
	v_add_u32_e32 v12, 0x1000, v12
	v_add_u32_e32 v13, 0x1000, v13
	;; [unrolled: 1-line block ×3, first 2 shown]
	v_addc_co_u32_e32 v3, vcc, v17, v71, vcc
	v_addc_co_u32_e64 v79, s[2:3], v17, v79, s[2:3]
	s_waitcnt lgkmcnt(3)
	global_store_short v[2:3], v105, off
	s_waitcnt lgkmcnt(2)
	global_store_short v[82:83], v106, off
	;; [unrolled: 2-line block ×4, first 2 shown]
	s_andn2_b64 exec, exec, s[14:15]
	s_cbranch_execnz .LBB885_118
; %bb.119:
	s_or_b64 exec, exec, s[14:15]
.LBB885_120:
	s_or_b64 exec, exec, s[12:13]
	v_and_b32_e32 v1, 3, v23
	v_cmp_ne_u32_e32 vcc, 0, v1
	s_and_saveexec_b64 s[12:13], vcc
	s_cbranch_execz .LBB885_123
; %bb.121:
	v_lshl_or_b32 v4, v50, 9, v22
	s_mov_b64 s[14:15], 0
	v_mov_b32_e32 v3, 0
.LBB885_122:                            ; =>This Inner Loop Header: Depth=1
	v_mov_b32_e32 v2, v10
	v_add_u32_e32 v1, -1, v1
	v_lshlrev_b64 v[22:23], 1, v[2:3]
	v_mov_b32_e32 v2, v11
	v_cmp_eq_u32_e32 vcc, 0, v1
	v_lshlrev_b64 v[30:31], 1, v[2:3]
	ds_read_u16 v5, v4
	ds_read_u16 v72, v4 offset:512
	ds_read_u16 v73, v4 offset:1024
	;; [unrolled: 1-line block ×3, first 2 shown]
	v_mov_b32_e32 v2, v12
	s_or_b64 s[14:15], vcc, s[14:15]
	v_add_co_u32_e32 v30, vcc, v7, v30
	v_addc_co_u32_e32 v31, vcc, v17, v31, vcc
	v_lshlrev_b64 v[50:51], 1, v[2:3]
	v_mov_b32_e32 v2, v13
	v_add_co_u32_e32 v50, vcc, v7, v50
	v_add_co_u32_e64 v22, s[2:3], v7, v22
	v_addc_co_u32_e32 v51, vcc, v17, v51, vcc
	v_lshlrev_b64 v[70:71], 1, v[2:3]
	v_add_u32_e32 v10, 0x400, v10
	v_add_u32_e32 v4, 0x800, v4
	;; [unrolled: 1-line block ×3, first 2 shown]
	v_addc_co_u32_e64 v23, s[2:3], v17, v23, s[2:3]
	v_add_u32_e32 v12, 0x400, v12
	v_add_u32_e32 v13, 0x400, v13
	v_add_co_u32_e32 v70, vcc, v7, v70
	v_addc_co_u32_e32 v71, vcc, v17, v71, vcc
	s_waitcnt lgkmcnt(3)
	global_store_short v[22:23], v5, off
	s_waitcnt lgkmcnt(2)
	global_store_short v[30:31], v72, off
	;; [unrolled: 2-line block ×4, first 2 shown]
	s_andn2_b64 exec, exec, s[14:15]
	s_cbranch_execnz .LBB885_122
.LBB885_123:
	s_or_b64 exec, exec, s[12:13]
	v_add_u32_e32 v1, 1, v14
	v_and_b32_e32 v3, 0x1fffffc, v1
	v_cmp_ne_u32_e32 vcc, v1, v3
	v_lshl_or_b32 v2, v3, 8, v0
	s_orn2_b64 s[2:3], vcc, exec
.LBB885_124:
	s_or_b64 exec, exec, s[10:11]
	s_andn2_b64 s[6:7], s[6:7], exec
	s_and_b64 s[2:3], s[2:3], exec
	s_or_b64 s[6:7], s[6:7], s[2:3]
.LBB885_125:
	s_or_b64 exec, exec, s[8:9]
	s_and_b64 exec, exec, s[6:7]
	s_cbranch_execz .LBB885_128
; %bb.126:
	v_lshlrev_b32_e32 v1, 1, v2
	s_mov_b64 s[2:3], 0
	v_mov_b32_e32 v3, 0
.LBB885_127:                            ; =>This Inner Loop Header: Depth=1
	v_lshlrev_b64 v[4:5], 1, v[2:3]
	ds_read_u16 v10, v1
	v_add_co_u32_e32 v4, vcc, v7, v4
	v_add_u32_e32 v2, 0x100, v2
	v_addc_co_u32_e32 v5, vcc, v17, v5, vcc
	v_cmp_ge_u32_e32 vcc, v2, v6
	v_add_u32_e32 v1, 0x200, v1
	s_or_b64 s[2:3], vcc, s[2:3]
	s_waitcnt lgkmcnt(0)
	global_store_short v[4:5], v10, off
	s_andn2_b64 exec, exec, s[2:3]
	s_cbranch_execnz .LBB885_127
.LBB885_128:
	s_or_b64 exec, exec, s[4:5]
.LBB885_129:
	s_cmpk_lg_i32 s33, 0xf00
	s_cselect_b64 s[2:3], -1, 0
	v_cndmask_b32_e64 v10, 0, 1, s[46:47]
	s_and_b64 s[2:3], s[2:3], s[44:45]
	v_sub_u32_e32 v1, v6, v10
	v_cndmask_b32_e64 v2, 0, 1, s[2:3]
	s_and_b64 s[0:1], s[0:1], s[46:47]
	v_add_u32_e32 v1, v1, v2
	v_cndmask_b32_e64 v2, v69, 0, s[0:1]
	s_mul_hi_u32 s0, s33, 0x88888889
	s_lshr_b32 s0, s0, 3
	v_mad_i32_i24 v3, v0, -15, s33
	v_cmp_eq_u32_e32 vcc, s0, v0
	v_cmp_ne_u32_e64 s[0:1], 0, v3
	v_cndmask_b32_e64 v4, 1, v2, s[0:1]
	v_cmp_ne_u32_e64 s[0:1], 1, v3
	v_cndmask_b32_e64 v5, 1, v67, s[0:1]
	;; [unrolled: 2-line block ×15, first 2 shown]
	s_and_b64 vcc, vcc, s[44:45]
	v_cndmask_b32_e32 v59, v59, v3, vcc
	v_cndmask_b32_e32 v22, v57, v22, vcc
	;; [unrolled: 1-line block ×3, first 2 shown]
	v_lshlrev_b64 v[2:3], 3, v[18:19]
	v_cndmask_b32_e32 v51, v58, v51, vcc
	v_cndmask_b32_e32 v15, v15, v50, vcc
	;; [unrolled: 1-line block ×12, first 2 shown]
	v_mov_b32_e32 v4, s51
	v_add_co_u32_e32 v5, vcc, s50, v2
	v_addc_co_u32_e32 v7, vcc, v4, v3, vcc
	v_lshlrev_b64 v[2:3], 3, v[8:9]
	v_add_co_u32_e32 v4, vcc, v5, v2
	v_addc_co_u32_e32 v5, vcc, v7, v3, vcc
	v_lshlrev_b32_e32 v2, 3, v10
	v_add_co_u32_e32 v2, vcc, v2, v4
	v_addc_co_u32_e32 v3, vcc, 0, v5, vcc
	v_add_co_u32_e32 v7, vcc, -8, v2
	v_addc_co_u32_e32 v9, vcc, -1, v3, vcc
	v_cmp_eq_u32_e32 vcc, 0, v57
	v_cndmask_b32_e64 v3, 1, 2, vcc
	v_cmp_eq_u32_e32 vcc, 0, v56
	v_add_u32_e32 v2, v8, v10
	v_cndmask_b32_e64 v10, 1, 2, vcc
	v_cmp_eq_u32_e32 vcc, 0, v50
	v_and_b32_e32 v3, v10, v3
	v_cndmask_b32_e64 v10, 1, 2, vcc
	v_cmp_eq_u32_e32 vcc, 0, v11
	v_and_b32_e32 v3, v3, v10
	;; [unrolled: 3-line block ×13, first 2 shown]
	v_cndmask_b32_e64 v10, 1, 2, vcc
	s_movk_i32 s30, 0x100
	v_and_b32_e32 v3, v3, v10
	v_cmp_gt_u32_e32 vcc, s30, v1
	v_cmp_ne_u32_e64 s[28:29], 0, v57
	v_cmp_ne_u32_e64 s[26:27], 0, v56
	;; [unrolled: 1-line block ×15, first 2 shown]
	s_mov_b64 s[34:35], -1
	v_cmp_gt_i16_e64 s[30:31], 2, v3
	s_barrier
	s_cbranch_vccz .LBB885_136
; %bb.130:
	s_and_saveexec_b64 s[34:35], s[30:31]
	s_cbranch_execz .LBB885_135
; %bb.131:
	v_cmp_ne_u16_e32 vcc, 1, v3
	s_mov_b64 s[36:37], 0
	s_and_saveexec_b64 s[30:31], vcc
	s_xor_b64 s[30:31], exec, s[30:31]
	s_cbranch_execnz .LBB885_185
; %bb.132:
	s_andn2_saveexec_b64 s[30:31], s[30:31]
	s_cbranch_execnz .LBB885_201
.LBB885_133:
	s_or_b64 exec, exec, s[30:31]
	s_and_b64 exec, exec, s[36:37]
	s_cbranch_execz .LBB885_135
.LBB885_134:
	v_mov_b32_e32 v11, 0
	v_sub_u32_e32 v12, v20, v2
	v_mov_b32_e32 v13, v11
	v_lshlrev_b64 v[12:13], 3, v[12:13]
	v_add_co_u32_e32 v12, vcc, v7, v12
	v_mov_b32_e32 v10, v21
	v_addc_co_u32_e32 v13, vcc, v9, v13, vcc
	global_store_dwordx2 v[12:13], v[10:11], off
.LBB885_135:
	s_or_b64 exec, exec, s[34:35]
	s_mov_b64 s[34:35], 0
.LBB885_136:
	s_and_b64 vcc, exec, s[34:35]
	s_cbranch_vccz .LBB885_146
; %bb.137:
	v_cmp_gt_i16_e32 vcc, 2, v3
	s_and_saveexec_b64 s[30:31], vcc
	s_cbranch_execz .LBB885_142
; %bb.138:
	v_cmp_ne_u16_e32 vcc, 1, v3
	s_mov_b64 s[36:37], 0
	s_and_saveexec_b64 s[34:35], vcc
	s_xor_b64 s[34:35], exec, s[34:35]
	s_cbranch_execnz .LBB885_202
; %bb.139:
	s_andn2_saveexec_b64 s[0:1], s[34:35]
	s_cbranch_execnz .LBB885_218
.LBB885_140:
	s_or_b64 exec, exec, s[0:1]
	s_and_b64 exec, exec, s[36:37]
	s_cbranch_execz .LBB885_142
.LBB885_141:
	v_sub_u32_e32 v2, v20, v2
	v_lshlrev_b32_e32 v2, 2, v2
	ds_write_b32 v2, v21
.LBB885_142:
	s_or_b64 exec, exec, s[30:31]
	v_cmp_lt_u32_e32 vcc, v0, v1
	s_waitcnt lgkmcnt(0)
	s_barrier
	s_and_saveexec_b64 s[0:1], vcc
	s_cbranch_execz .LBB885_145
; %bb.143:
	v_lshlrev_b32_e32 v10, 2, v0
	s_mov_b64 s[2:3], 0
	v_mov_b32_e32 v3, 0
	v_mov_b32_e32 v2, v0
.LBB885_144:                            ; =>This Inner Loop Header: Depth=1
	ds_read_b32 v12, v10
	v_lshlrev_b64 v[14:15], 3, v[2:3]
	v_add_co_u32_e32 v14, vcc, v7, v14
	v_add_u32_e32 v2, 0x100, v2
	v_addc_co_u32_e32 v15, vcc, v9, v15, vcc
	v_cmp_ge_u32_e32 vcc, v2, v1
	v_mov_b32_e32 v13, v3
	v_add_u32_e32 v10, 0x400, v10
	s_or_b64 s[2:3], vcc, s[2:3]
	s_waitcnt lgkmcnt(0)
	global_store_dwordx2 v[14:15], v[12:13], off
	s_andn2_b64 exec, exec, s[2:3]
	s_cbranch_execnz .LBB885_144
.LBB885_145:
	s_or_b64 exec, exec, s[0:1]
.LBB885_146:
	s_movk_i32 s0, 0xff
	v_cmp_eq_u32_e32 vcc, s0, v0
	s_and_b64 s[0:1], vcc, s[44:45]
	s_and_saveexec_b64 s[2:3], s[0:1]
	s_cbranch_execz .LBB885_149
; %bb.147:
	v_add_co_u32_e32 v0, vcc, v6, v8
	v_addc_co_u32_e64 v1, s[0:1], 0, 0, vcc
	v_add_co_u32_e32 v0, vcc, v0, v18
	v_mov_b32_e32 v7, 0
	v_addc_co_u32_e32 v1, vcc, v1, v19, vcc
	s_cmpk_lg_i32 s33, 0xf00
	global_store_dwordx2 v7, v[0:1], s[56:57]
	s_cbranch_scc1 .LBB885_149
; %bb.148:
	v_lshlrev_b64 v[0:1], 3, v[6:7]
	v_add_co_u32_e32 v0, vcc, v4, v0
	v_mov_b32_e32 v17, v7
	v_addc_co_u32_e32 v1, vcc, v5, v1, vcc
	global_store_dwordx2 v[0:1], v[16:17], off offset:-8
.LBB885_149:
	s_endpgm
.LBB885_150:
	s_or_b64 exec, exec, s[4:5]
	v_mov_b32_e32 v69, s14
	s_and_saveexec_b64 s[2:3], s[8:9]
	s_cbranch_execnz .LBB885_58
	s_branch .LBB885_59
.LBB885_151:
	s_and_saveexec_b64 s[38:39], s[30:31]
	s_cbranch_execnz .LBB885_219
; %bb.152:
	s_or_b64 exec, exec, s[38:39]
	s_and_saveexec_b64 s[38:39], s[28:29]
	s_cbranch_execnz .LBB885_220
.LBB885_153:
	s_or_b64 exec, exec, s[38:39]
	s_and_saveexec_b64 s[38:39], s[26:27]
	s_cbranch_execnz .LBB885_221
.LBB885_154:
	s_or_b64 exec, exec, s[38:39]
	s_and_saveexec_b64 s[38:39], s[24:25]
	s_cbranch_execnz .LBB885_222
.LBB885_155:
	s_or_b64 exec, exec, s[38:39]
	s_and_saveexec_b64 s[38:39], s[22:23]
	s_cbranch_execnz .LBB885_223
.LBB885_156:
	s_or_b64 exec, exec, s[38:39]
	s_and_saveexec_b64 s[38:39], s[20:21]
	s_cbranch_execnz .LBB885_224
.LBB885_157:
	s_or_b64 exec, exec, s[38:39]
	s_and_saveexec_b64 s[38:39], s[18:19]
	s_cbranch_execnz .LBB885_225
.LBB885_158:
	s_or_b64 exec, exec, s[38:39]
	s_and_saveexec_b64 s[38:39], s[16:17]
	s_cbranch_execnz .LBB885_226
.LBB885_159:
	s_or_b64 exec, exec, s[38:39]
	s_and_saveexec_b64 s[38:39], s[14:15]
	s_cbranch_execnz .LBB885_227
.LBB885_160:
	s_or_b64 exec, exec, s[38:39]
	s_and_saveexec_b64 s[38:39], s[12:13]
	s_cbranch_execnz .LBB885_228
.LBB885_161:
	s_or_b64 exec, exec, s[38:39]
	s_and_saveexec_b64 s[38:39], s[10:11]
	s_cbranch_execnz .LBB885_229
.LBB885_162:
	s_or_b64 exec, exec, s[38:39]
	s_and_saveexec_b64 s[38:39], s[8:9]
	s_cbranch_execnz .LBB885_230
.LBB885_163:
	s_or_b64 exec, exec, s[38:39]
	s_and_saveexec_b64 s[38:39], s[6:7]
	s_cbranch_execnz .LBB885_231
.LBB885_164:
	s_or_b64 exec, exec, s[38:39]
	s_and_saveexec_b64 s[38:39], s[4:5]
	s_cbranch_execz .LBB885_166
.LBB885_165:
	v_sub_u32_e32 v22, v24, v8
	v_mov_b32_e32 v23, 0
	v_lshlrev_b64 v[22:23], 1, v[22:23]
	v_add_co_u32_e32 v22, vcc, v7, v22
	v_addc_co_u32_e32 v23, vcc, v17, v23, vcc
	global_store_short_d16_hi v[22:23], v14, off
.LBB885_166:
	s_or_b64 exec, exec, s[38:39]
	s_and_b64 s[38:39], s[2:3], exec
	s_andn2_saveexec_b64 s[34:35], s[34:35]
	s_cbranch_execz .LBB885_104
.LBB885_167:
	v_sub_u32_e32 v22, v54, v8
	v_mov_b32_e32 v23, 0
	v_lshlrev_b64 v[30:31], 1, v[22:23]
	v_add_co_u32_e32 v30, vcc, v7, v30
	v_addc_co_u32_e32 v31, vcc, v17, v31, vcc
	v_sub_u32_e32 v22, v52, v8
	global_store_short v[30:31], v2, off
	v_lshlrev_b64 v[30:31], 1, v[22:23]
	v_add_co_u32_e32 v30, vcc, v7, v30
	v_addc_co_u32_e32 v31, vcc, v17, v31, vcc
	v_sub_u32_e32 v22, v48, v8
	global_store_short_d16_hi v[30:31], v2, off
	v_lshlrev_b64 v[30:31], 1, v[22:23]
	v_add_co_u32_e32 v30, vcc, v7, v30
	v_addc_co_u32_e32 v31, vcc, v17, v31, vcc
	v_sub_u32_e32 v22, v46, v8
	global_store_short v[30:31], v3, off
	v_lshlrev_b64 v[30:31], 1, v[22:23]
	v_add_co_u32_e32 v30, vcc, v7, v30
	v_addc_co_u32_e32 v31, vcc, v17, v31, vcc
	v_sub_u32_e32 v22, v44, v8
	global_store_short_d16_hi v[30:31], v3, off
	;; [unrolled: 10-line block ×6, first 2 shown]
	v_lshlrev_b64 v[30:31], 1, v[22:23]
	v_add_co_u32_e32 v30, vcc, v7, v30
	v_sub_u32_e32 v22, v24, v8
	v_addc_co_u32_e32 v31, vcc, v17, v31, vcc
	v_lshlrev_b64 v[22:23], 1, v[22:23]
	v_add_co_u32_e32 v22, vcc, v7, v22
	v_addc_co_u32_e32 v23, vcc, v17, v23, vcc
	s_or_b64 s[38:39], s[38:39], exec
	global_store_short v[30:31], v14, off
	global_store_short_d16_hi v[22:23], v14, off
	s_or_b64 exec, exec, s[34:35]
	s_and_b64 exec, exec, s[38:39]
	s_cbranch_execnz .LBB885_105
	s_branch .LBB885_106
.LBB885_168:
	s_and_saveexec_b64 s[38:39], s[30:31]
	s_cbranch_execnz .LBB885_232
; %bb.169:
	s_or_b64 exec, exec, s[38:39]
	s_and_saveexec_b64 s[30:31], s[28:29]
	s_cbranch_execnz .LBB885_233
.LBB885_170:
	s_or_b64 exec, exec, s[30:31]
	s_and_saveexec_b64 s[28:29], s[26:27]
	s_cbranch_execnz .LBB885_234
.LBB885_171:
	s_or_b64 exec, exec, s[28:29]
	s_and_saveexec_b64 s[26:27], s[24:25]
	s_cbranch_execnz .LBB885_235
.LBB885_172:
	s_or_b64 exec, exec, s[26:27]
	s_and_saveexec_b64 s[24:25], s[22:23]
	s_cbranch_execnz .LBB885_236
.LBB885_173:
	s_or_b64 exec, exec, s[24:25]
	s_and_saveexec_b64 s[22:23], s[20:21]
	s_cbranch_execnz .LBB885_237
.LBB885_174:
	s_or_b64 exec, exec, s[22:23]
	s_and_saveexec_b64 s[20:21], s[18:19]
	s_cbranch_execnz .LBB885_238
.LBB885_175:
	s_or_b64 exec, exec, s[20:21]
	s_and_saveexec_b64 s[18:19], s[16:17]
	s_cbranch_execnz .LBB885_239
.LBB885_176:
	s_or_b64 exec, exec, s[18:19]
	s_and_saveexec_b64 s[16:17], s[14:15]
	s_cbranch_execnz .LBB885_240
.LBB885_177:
	s_or_b64 exec, exec, s[16:17]
	s_and_saveexec_b64 s[14:15], s[12:13]
	s_cbranch_execnz .LBB885_241
.LBB885_178:
	s_or_b64 exec, exec, s[14:15]
	s_and_saveexec_b64 s[12:13], s[10:11]
	s_cbranch_execnz .LBB885_242
.LBB885_179:
	s_or_b64 exec, exec, s[12:13]
	s_and_saveexec_b64 s[10:11], s[8:9]
	s_cbranch_execnz .LBB885_243
.LBB885_180:
	s_or_b64 exec, exec, s[10:11]
	s_and_saveexec_b64 s[8:9], s[6:7]
	s_cbranch_execnz .LBB885_244
.LBB885_181:
	s_or_b64 exec, exec, s[8:9]
	s_and_saveexec_b64 s[6:7], s[4:5]
	s_cbranch_execz .LBB885_183
.LBB885_182:
	v_sub_u32_e32 v2, v24, v8
	v_lshlrev_b32_e32 v2, 1, v2
	ds_write_b16_d16_hi v2, v14
.LBB885_183:
	s_or_b64 exec, exec, s[6:7]
	s_and_b64 s[38:39], s[2:3], exec
                                        ; implicit-def: $vgpr2
                                        ; implicit-def: $vgpr12
	s_andn2_saveexec_b64 s[2:3], s[36:37]
	s_cbranch_execz .LBB885_111
.LBB885_184:
	v_sub_u32_e32 v10, v54, v8
	v_lshlrev_b32_e32 v10, 1, v10
	ds_write_b16 v10, v2
	v_sub_u32_e32 v10, v52, v8
	v_lshlrev_b32_e32 v10, 1, v10
	ds_write_b16_d16_hi v10, v2
	v_sub_u32_e32 v2, v48, v8
	v_lshlrev_b32_e32 v2, 1, v2
	ds_write_b16 v2, v3
	v_sub_u32_e32 v2, v46, v8
	v_lshlrev_b32_e32 v2, 1, v2
	ds_write_b16_d16_hi v2, v3
	;; [unrolled: 6-line block ×6, first 2 shown]
	v_sub_u32_e32 v2, v26, v8
	v_lshlrev_b32_e32 v2, 1, v2
	ds_write_b16 v2, v14
	v_sub_u32_e32 v2, v24, v8
	v_lshlrev_b32_e32 v2, 1, v2
	s_or_b64 s[38:39], s[38:39], exec
	ds_write_b16_d16_hi v2, v14
	s_or_b64 exec, exec, s[2:3]
	s_and_b64 exec, exec, s[38:39]
	s_cbranch_execnz .LBB885_112
	s_branch .LBB885_113
.LBB885_185:
	s_and_saveexec_b64 s[36:37], s[28:29]
	s_cbranch_execnz .LBB885_245
; %bb.186:
	s_or_b64 exec, exec, s[36:37]
	s_and_saveexec_b64 s[36:37], s[26:27]
	s_cbranch_execnz .LBB885_246
.LBB885_187:
	s_or_b64 exec, exec, s[36:37]
	s_and_saveexec_b64 s[36:37], s[24:25]
	s_cbranch_execnz .LBB885_247
.LBB885_188:
	s_or_b64 exec, exec, s[36:37]
	s_and_saveexec_b64 s[36:37], s[22:23]
	s_cbranch_execnz .LBB885_248
.LBB885_189:
	s_or_b64 exec, exec, s[36:37]
	s_and_saveexec_b64 s[36:37], s[20:21]
	s_cbranch_execnz .LBB885_249
.LBB885_190:
	s_or_b64 exec, exec, s[36:37]
	s_and_saveexec_b64 s[36:37], s[18:19]
	s_cbranch_execnz .LBB885_250
.LBB885_191:
	s_or_b64 exec, exec, s[36:37]
	s_and_saveexec_b64 s[36:37], s[16:17]
	s_cbranch_execnz .LBB885_251
.LBB885_192:
	s_or_b64 exec, exec, s[36:37]
	s_and_saveexec_b64 s[36:37], s[14:15]
	s_cbranch_execnz .LBB885_252
.LBB885_193:
	s_or_b64 exec, exec, s[36:37]
	s_and_saveexec_b64 s[36:37], s[12:13]
	s_cbranch_execnz .LBB885_253
.LBB885_194:
	s_or_b64 exec, exec, s[36:37]
	s_and_saveexec_b64 s[36:37], s[10:11]
	s_cbranch_execnz .LBB885_254
.LBB885_195:
	s_or_b64 exec, exec, s[36:37]
	s_and_saveexec_b64 s[36:37], s[8:9]
	s_cbranch_execnz .LBB885_255
.LBB885_196:
	s_or_b64 exec, exec, s[36:37]
	s_and_saveexec_b64 s[36:37], s[6:7]
	s_cbranch_execnz .LBB885_256
.LBB885_197:
	s_or_b64 exec, exec, s[36:37]
	s_and_saveexec_b64 s[36:37], s[4:5]
	s_cbranch_execnz .LBB885_257
.LBB885_198:
	s_or_b64 exec, exec, s[36:37]
	s_and_saveexec_b64 s[36:37], s[2:3]
	s_cbranch_execz .LBB885_200
.LBB885_199:
	v_sub_u32_e32 v10, v24, v2
	v_mov_b32_e32 v11, 0
	v_lshlrev_b64 v[12:13], 3, v[10:11]
	v_add_co_u32_e32 v12, vcc, v7, v12
	v_addc_co_u32_e32 v13, vcc, v9, v13, vcc
	v_mov_b32_e32 v10, v25
	global_store_dwordx2 v[12:13], v[10:11], off
.LBB885_200:
	s_or_b64 exec, exec, s[36:37]
	s_and_b64 s[36:37], s[0:1], exec
	s_andn2_saveexec_b64 s[30:31], s[30:31]
	s_cbranch_execz .LBB885_133
.LBB885_201:
	v_mov_b32_e32 v11, 0
	v_sub_u32_e32 v12, v54, v2
	v_mov_b32_e32 v13, v11
	v_lshlrev_b64 v[12:13], 3, v[12:13]
	v_add_co_u32_e32 v12, vcc, v7, v12
	v_mov_b32_e32 v10, v55
	v_addc_co_u32_e32 v13, vcc, v9, v13, vcc
	global_store_dwordx2 v[12:13], v[10:11], off
	v_sub_u32_e32 v12, v52, v2
	v_mov_b32_e32 v13, v11
	v_lshlrev_b64 v[12:13], 3, v[12:13]
	v_add_co_u32_e32 v12, vcc, v7, v12
	v_mov_b32_e32 v10, v53
	v_addc_co_u32_e32 v13, vcc, v9, v13, vcc
	global_store_dwordx2 v[12:13], v[10:11], off
	;; [unrolled: 7-line block ×13, first 2 shown]
	v_sub_u32_e32 v12, v24, v2
	v_mov_b32_e32 v13, v11
	v_lshlrev_b64 v[12:13], 3, v[12:13]
	v_add_co_u32_e32 v12, vcc, v7, v12
	v_mov_b32_e32 v10, v25
	v_addc_co_u32_e32 v13, vcc, v9, v13, vcc
	s_or_b64 s[36:37], s[36:37], exec
	global_store_dwordx2 v[12:13], v[10:11], off
	s_or_b64 exec, exec, s[30:31]
	s_and_b64 exec, exec, s[36:37]
	s_cbranch_execnz .LBB885_134
	s_branch .LBB885_135
.LBB885_202:
	s_and_saveexec_b64 s[36:37], s[28:29]
	s_cbranch_execnz .LBB885_258
; %bb.203:
	s_or_b64 exec, exec, s[36:37]
	s_and_saveexec_b64 s[28:29], s[26:27]
	s_cbranch_execnz .LBB885_259
.LBB885_204:
	s_or_b64 exec, exec, s[28:29]
	s_and_saveexec_b64 s[26:27], s[24:25]
	s_cbranch_execnz .LBB885_260
.LBB885_205:
	s_or_b64 exec, exec, s[26:27]
	s_and_saveexec_b64 s[24:25], s[22:23]
	s_cbranch_execnz .LBB885_261
.LBB885_206:
	s_or_b64 exec, exec, s[24:25]
	s_and_saveexec_b64 s[22:23], s[20:21]
	s_cbranch_execnz .LBB885_262
.LBB885_207:
	s_or_b64 exec, exec, s[22:23]
	s_and_saveexec_b64 s[20:21], s[18:19]
	s_cbranch_execnz .LBB885_263
.LBB885_208:
	s_or_b64 exec, exec, s[20:21]
	s_and_saveexec_b64 s[18:19], s[16:17]
	s_cbranch_execnz .LBB885_264
.LBB885_209:
	s_or_b64 exec, exec, s[18:19]
	s_and_saveexec_b64 s[16:17], s[14:15]
	s_cbranch_execnz .LBB885_265
.LBB885_210:
	s_or_b64 exec, exec, s[16:17]
	s_and_saveexec_b64 s[14:15], s[12:13]
	s_cbranch_execnz .LBB885_266
.LBB885_211:
	s_or_b64 exec, exec, s[14:15]
	s_and_saveexec_b64 s[12:13], s[10:11]
	s_cbranch_execnz .LBB885_267
.LBB885_212:
	s_or_b64 exec, exec, s[12:13]
	s_and_saveexec_b64 s[10:11], s[8:9]
	s_cbranch_execnz .LBB885_268
.LBB885_213:
	s_or_b64 exec, exec, s[10:11]
	s_and_saveexec_b64 s[8:9], s[6:7]
	s_cbranch_execnz .LBB885_269
.LBB885_214:
	s_or_b64 exec, exec, s[8:9]
	s_and_saveexec_b64 s[6:7], s[4:5]
	s_cbranch_execnz .LBB885_270
.LBB885_215:
	s_or_b64 exec, exec, s[6:7]
	s_and_saveexec_b64 s[4:5], s[2:3]
	s_cbranch_execz .LBB885_217
.LBB885_216:
	v_sub_u32_e32 v3, v24, v2
	v_lshlrev_b32_e32 v3, 2, v3
	ds_write_b32 v3, v25
.LBB885_217:
	s_or_b64 exec, exec, s[4:5]
	s_and_b64 s[36:37], s[0:1], exec
                                        ; implicit-def: $vgpr54_vgpr55
                                        ; implicit-def: $vgpr52_vgpr53
                                        ; implicit-def: $vgpr48_vgpr49
                                        ; implicit-def: $vgpr46_vgpr47
                                        ; implicit-def: $vgpr44_vgpr45
                                        ; implicit-def: $vgpr42_vgpr43
                                        ; implicit-def: $vgpr40_vgpr41
                                        ; implicit-def: $vgpr38_vgpr39
                                        ; implicit-def: $vgpr36_vgpr37
                                        ; implicit-def: $vgpr34_vgpr35
                                        ; implicit-def: $vgpr32_vgpr33
                                        ; implicit-def: $vgpr28_vgpr29
                                        ; implicit-def: $vgpr26_vgpr27
                                        ; implicit-def: $vgpr24_vgpr25
	s_andn2_saveexec_b64 s[0:1], s[34:35]
	s_cbranch_execz .LBB885_140
.LBB885_218:
	v_sub_u32_e32 v3, v54, v2
	v_lshlrev_b32_e32 v3, 2, v3
	ds_write_b32 v3, v55
	v_sub_u32_e32 v3, v52, v2
	v_lshlrev_b32_e32 v3, 2, v3
	ds_write_b32 v3, v53
	;; [unrolled: 3-line block ×13, first 2 shown]
	v_sub_u32_e32 v3, v24, v2
	v_lshlrev_b32_e32 v3, 2, v3
	s_or_b64 s[36:37], s[36:37], exec
	ds_write_b32 v3, v25
	s_or_b64 exec, exec, s[0:1]
	s_and_b64 exec, exec, s[36:37]
	s_cbranch_execnz .LBB885_141
	s_branch .LBB885_142
.LBB885_219:
	v_sub_u32_e32 v22, v54, v8
	v_mov_b32_e32 v23, 0
	v_lshlrev_b64 v[22:23], 1, v[22:23]
	v_add_co_u32_e32 v22, vcc, v7, v22
	v_addc_co_u32_e32 v23, vcc, v17, v23, vcc
	global_store_short v[22:23], v2, off
	s_or_b64 exec, exec, s[38:39]
	s_and_saveexec_b64 s[38:39], s[28:29]
	s_cbranch_execz .LBB885_153
.LBB885_220:
	v_sub_u32_e32 v22, v52, v8
	v_mov_b32_e32 v23, 0
	v_lshlrev_b64 v[22:23], 1, v[22:23]
	v_add_co_u32_e32 v22, vcc, v7, v22
	v_addc_co_u32_e32 v23, vcc, v17, v23, vcc
	global_store_short_d16_hi v[22:23], v2, off
	s_or_b64 exec, exec, s[38:39]
	s_and_saveexec_b64 s[38:39], s[26:27]
	s_cbranch_execz .LBB885_154
.LBB885_221:
	v_sub_u32_e32 v22, v48, v8
	v_mov_b32_e32 v23, 0
	v_lshlrev_b64 v[22:23], 1, v[22:23]
	v_add_co_u32_e32 v22, vcc, v7, v22
	v_addc_co_u32_e32 v23, vcc, v17, v23, vcc
	global_store_short v[22:23], v3, off
	s_or_b64 exec, exec, s[38:39]
	s_and_saveexec_b64 s[38:39], s[24:25]
	s_cbranch_execz .LBB885_155
.LBB885_222:
	v_sub_u32_e32 v22, v46, v8
	v_mov_b32_e32 v23, 0
	v_lshlrev_b64 v[22:23], 1, v[22:23]
	v_add_co_u32_e32 v22, vcc, v7, v22
	v_addc_co_u32_e32 v23, vcc, v17, v23, vcc
	global_store_short_d16_hi v[22:23], v3, off
	s_or_b64 exec, exec, s[38:39]
	s_and_saveexec_b64 s[38:39], s[22:23]
	s_cbranch_execz .LBB885_156
.LBB885_223:
	v_sub_u32_e32 v22, v44, v8
	v_mov_b32_e32 v23, 0
	v_lshlrev_b64 v[22:23], 1, v[22:23]
	v_add_co_u32_e32 v22, vcc, v7, v22
	v_addc_co_u32_e32 v23, vcc, v17, v23, vcc
	global_store_short v[22:23], v4, off
	s_or_b64 exec, exec, s[38:39]
	s_and_saveexec_b64 s[38:39], s[20:21]
	s_cbranch_execz .LBB885_157
.LBB885_224:
	v_sub_u32_e32 v22, v42, v8
	v_mov_b32_e32 v23, 0
	v_lshlrev_b64 v[22:23], 1, v[22:23]
	v_add_co_u32_e32 v22, vcc, v7, v22
	v_addc_co_u32_e32 v23, vcc, v17, v23, vcc
	global_store_short_d16_hi v[22:23], v4, off
	s_or_b64 exec, exec, s[38:39]
	s_and_saveexec_b64 s[38:39], s[18:19]
	s_cbranch_execz .LBB885_158
.LBB885_225:
	v_sub_u32_e32 v22, v40, v8
	v_mov_b32_e32 v23, 0
	v_lshlrev_b64 v[22:23], 1, v[22:23]
	v_add_co_u32_e32 v22, vcc, v7, v22
	v_addc_co_u32_e32 v23, vcc, v17, v23, vcc
	global_store_short v[22:23], v5, off
	s_or_b64 exec, exec, s[38:39]
	s_and_saveexec_b64 s[38:39], s[16:17]
	s_cbranch_execz .LBB885_159
.LBB885_226:
	v_sub_u32_e32 v22, v38, v8
	v_mov_b32_e32 v23, 0
	v_lshlrev_b64 v[22:23], 1, v[22:23]
	v_add_co_u32_e32 v22, vcc, v7, v22
	v_addc_co_u32_e32 v23, vcc, v17, v23, vcc
	global_store_short_d16_hi v[22:23], v5, off
	s_or_b64 exec, exec, s[38:39]
	s_and_saveexec_b64 s[38:39], s[14:15]
	s_cbranch_execz .LBB885_160
.LBB885_227:
	v_sub_u32_e32 v22, v36, v8
	v_mov_b32_e32 v23, 0
	v_lshlrev_b64 v[22:23], 1, v[22:23]
	v_add_co_u32_e32 v22, vcc, v7, v22
	v_addc_co_u32_e32 v23, vcc, v17, v23, vcc
	global_store_short v[22:23], v12, off
	s_or_b64 exec, exec, s[38:39]
	s_and_saveexec_b64 s[38:39], s[12:13]
	s_cbranch_execz .LBB885_161
.LBB885_228:
	v_sub_u32_e32 v22, v34, v8
	v_mov_b32_e32 v23, 0
	v_lshlrev_b64 v[22:23], 1, v[22:23]
	v_add_co_u32_e32 v22, vcc, v7, v22
	v_addc_co_u32_e32 v23, vcc, v17, v23, vcc
	global_store_short_d16_hi v[22:23], v12, off
	s_or_b64 exec, exec, s[38:39]
	s_and_saveexec_b64 s[38:39], s[10:11]
	s_cbranch_execz .LBB885_162
.LBB885_229:
	v_sub_u32_e32 v22, v32, v8
	v_mov_b32_e32 v23, 0
	v_lshlrev_b64 v[22:23], 1, v[22:23]
	v_add_co_u32_e32 v22, vcc, v7, v22
	v_addc_co_u32_e32 v23, vcc, v17, v23, vcc
	global_store_short v[22:23], v13, off
	s_or_b64 exec, exec, s[38:39]
	s_and_saveexec_b64 s[38:39], s[8:9]
	s_cbranch_execz .LBB885_163
.LBB885_230:
	v_sub_u32_e32 v22, v28, v8
	v_mov_b32_e32 v23, 0
	v_lshlrev_b64 v[22:23], 1, v[22:23]
	v_add_co_u32_e32 v22, vcc, v7, v22
	v_addc_co_u32_e32 v23, vcc, v17, v23, vcc
	global_store_short_d16_hi v[22:23], v13, off
	s_or_b64 exec, exec, s[38:39]
	s_and_saveexec_b64 s[38:39], s[6:7]
	s_cbranch_execz .LBB885_164
.LBB885_231:
	v_sub_u32_e32 v22, v26, v8
	v_mov_b32_e32 v23, 0
	v_lshlrev_b64 v[22:23], 1, v[22:23]
	v_add_co_u32_e32 v22, vcc, v7, v22
	v_addc_co_u32_e32 v23, vcc, v17, v23, vcc
	global_store_short v[22:23], v14, off
	s_or_b64 exec, exec, s[38:39]
	s_and_saveexec_b64 s[38:39], s[4:5]
	s_cbranch_execnz .LBB885_165
	s_branch .LBB885_166
.LBB885_232:
	v_sub_u32_e32 v10, v54, v8
	v_lshlrev_b32_e32 v10, 1, v10
	ds_write_b16 v10, v2
	s_or_b64 exec, exec, s[38:39]
	s_and_saveexec_b64 s[30:31], s[28:29]
	s_cbranch_execz .LBB885_170
.LBB885_233:
	v_sub_u32_e32 v10, v52, v8
	v_lshlrev_b32_e32 v10, 1, v10
	ds_write_b16_d16_hi v10, v2
	s_or_b64 exec, exec, s[30:31]
	s_and_saveexec_b64 s[28:29], s[26:27]
	s_cbranch_execz .LBB885_171
.LBB885_234:
	v_sub_u32_e32 v2, v48, v8
	v_lshlrev_b32_e32 v2, 1, v2
	ds_write_b16 v2, v3
	s_or_b64 exec, exec, s[28:29]
	s_and_saveexec_b64 s[26:27], s[24:25]
	s_cbranch_execz .LBB885_172
.LBB885_235:
	v_sub_u32_e32 v2, v46, v8
	v_lshlrev_b32_e32 v2, 1, v2
	ds_write_b16_d16_hi v2, v3
	s_or_b64 exec, exec, s[26:27]
	s_and_saveexec_b64 s[24:25], s[22:23]
	s_cbranch_execz .LBB885_173
.LBB885_236:
	v_sub_u32_e32 v2, v44, v8
	v_lshlrev_b32_e32 v2, 1, v2
	ds_write_b16 v2, v4
	s_or_b64 exec, exec, s[24:25]
	s_and_saveexec_b64 s[22:23], s[20:21]
	s_cbranch_execz .LBB885_174
.LBB885_237:
	v_sub_u32_e32 v2, v42, v8
	v_lshlrev_b32_e32 v2, 1, v2
	ds_write_b16_d16_hi v2, v4
	s_or_b64 exec, exec, s[22:23]
	s_and_saveexec_b64 s[20:21], s[18:19]
	s_cbranch_execz .LBB885_175
.LBB885_238:
	v_sub_u32_e32 v2, v40, v8
	v_lshlrev_b32_e32 v2, 1, v2
	ds_write_b16 v2, v5
	s_or_b64 exec, exec, s[20:21]
	s_and_saveexec_b64 s[18:19], s[16:17]
	s_cbranch_execz .LBB885_176
.LBB885_239:
	v_sub_u32_e32 v2, v38, v8
	v_lshlrev_b32_e32 v2, 1, v2
	ds_write_b16_d16_hi v2, v5
	s_or_b64 exec, exec, s[18:19]
	s_and_saveexec_b64 s[16:17], s[14:15]
	s_cbranch_execz .LBB885_177
.LBB885_240:
	v_sub_u32_e32 v2, v36, v8
	v_lshlrev_b32_e32 v2, 1, v2
	ds_write_b16 v2, v12
	s_or_b64 exec, exec, s[16:17]
	s_and_saveexec_b64 s[14:15], s[12:13]
	s_cbranch_execz .LBB885_178
.LBB885_241:
	v_sub_u32_e32 v2, v34, v8
	v_lshlrev_b32_e32 v2, 1, v2
	ds_write_b16_d16_hi v2, v12
	s_or_b64 exec, exec, s[14:15]
	s_and_saveexec_b64 s[12:13], s[10:11]
	s_cbranch_execz .LBB885_179
.LBB885_242:
	v_sub_u32_e32 v2, v32, v8
	v_lshlrev_b32_e32 v2, 1, v2
	ds_write_b16 v2, v13
	s_or_b64 exec, exec, s[12:13]
	s_and_saveexec_b64 s[10:11], s[8:9]
	s_cbranch_execz .LBB885_180
.LBB885_243:
	v_sub_u32_e32 v2, v28, v8
	v_lshlrev_b32_e32 v2, 1, v2
	ds_write_b16_d16_hi v2, v13
	s_or_b64 exec, exec, s[10:11]
	s_and_saveexec_b64 s[8:9], s[6:7]
	s_cbranch_execz .LBB885_181
.LBB885_244:
	v_sub_u32_e32 v2, v26, v8
	v_lshlrev_b32_e32 v2, 1, v2
	ds_write_b16 v2, v14
	s_or_b64 exec, exec, s[8:9]
	s_and_saveexec_b64 s[6:7], s[4:5]
	s_cbranch_execnz .LBB885_182
	s_branch .LBB885_183
.LBB885_245:
	v_sub_u32_e32 v10, v54, v2
	v_mov_b32_e32 v11, 0
	v_lshlrev_b64 v[12:13], 3, v[10:11]
	v_add_co_u32_e32 v12, vcc, v7, v12
	v_addc_co_u32_e32 v13, vcc, v9, v13, vcc
	v_mov_b32_e32 v10, v55
	global_store_dwordx2 v[12:13], v[10:11], off
	s_or_b64 exec, exec, s[36:37]
	s_and_saveexec_b64 s[36:37], s[26:27]
	s_cbranch_execz .LBB885_187
.LBB885_246:
	v_sub_u32_e32 v10, v52, v2
	v_mov_b32_e32 v11, 0
	v_lshlrev_b64 v[12:13], 3, v[10:11]
	v_add_co_u32_e32 v12, vcc, v7, v12
	v_addc_co_u32_e32 v13, vcc, v9, v13, vcc
	v_mov_b32_e32 v10, v53
	global_store_dwordx2 v[12:13], v[10:11], off
	s_or_b64 exec, exec, s[36:37]
	s_and_saveexec_b64 s[36:37], s[24:25]
	s_cbranch_execz .LBB885_188
.LBB885_247:
	v_sub_u32_e32 v10, v48, v2
	v_mov_b32_e32 v11, 0
	v_lshlrev_b64 v[12:13], 3, v[10:11]
	v_add_co_u32_e32 v12, vcc, v7, v12
	v_addc_co_u32_e32 v13, vcc, v9, v13, vcc
	v_mov_b32_e32 v10, v49
	global_store_dwordx2 v[12:13], v[10:11], off
	s_or_b64 exec, exec, s[36:37]
	s_and_saveexec_b64 s[36:37], s[22:23]
	s_cbranch_execz .LBB885_189
.LBB885_248:
	v_sub_u32_e32 v10, v46, v2
	v_mov_b32_e32 v11, 0
	v_lshlrev_b64 v[12:13], 3, v[10:11]
	v_add_co_u32_e32 v12, vcc, v7, v12
	v_addc_co_u32_e32 v13, vcc, v9, v13, vcc
	v_mov_b32_e32 v10, v47
	global_store_dwordx2 v[12:13], v[10:11], off
	s_or_b64 exec, exec, s[36:37]
	s_and_saveexec_b64 s[36:37], s[20:21]
	s_cbranch_execz .LBB885_190
.LBB885_249:
	v_sub_u32_e32 v10, v44, v2
	v_mov_b32_e32 v11, 0
	v_lshlrev_b64 v[12:13], 3, v[10:11]
	v_add_co_u32_e32 v12, vcc, v7, v12
	v_addc_co_u32_e32 v13, vcc, v9, v13, vcc
	v_mov_b32_e32 v10, v45
	global_store_dwordx2 v[12:13], v[10:11], off
	s_or_b64 exec, exec, s[36:37]
	s_and_saveexec_b64 s[36:37], s[18:19]
	s_cbranch_execz .LBB885_191
.LBB885_250:
	v_sub_u32_e32 v10, v42, v2
	v_mov_b32_e32 v11, 0
	v_lshlrev_b64 v[12:13], 3, v[10:11]
	v_add_co_u32_e32 v12, vcc, v7, v12
	v_addc_co_u32_e32 v13, vcc, v9, v13, vcc
	v_mov_b32_e32 v10, v43
	global_store_dwordx2 v[12:13], v[10:11], off
	s_or_b64 exec, exec, s[36:37]
	s_and_saveexec_b64 s[36:37], s[16:17]
	s_cbranch_execz .LBB885_192
.LBB885_251:
	v_sub_u32_e32 v10, v40, v2
	v_mov_b32_e32 v11, 0
	v_lshlrev_b64 v[12:13], 3, v[10:11]
	v_add_co_u32_e32 v12, vcc, v7, v12
	v_addc_co_u32_e32 v13, vcc, v9, v13, vcc
	v_mov_b32_e32 v10, v41
	global_store_dwordx2 v[12:13], v[10:11], off
	s_or_b64 exec, exec, s[36:37]
	s_and_saveexec_b64 s[36:37], s[14:15]
	s_cbranch_execz .LBB885_193
.LBB885_252:
	v_sub_u32_e32 v10, v38, v2
	v_mov_b32_e32 v11, 0
	v_lshlrev_b64 v[12:13], 3, v[10:11]
	v_add_co_u32_e32 v12, vcc, v7, v12
	v_addc_co_u32_e32 v13, vcc, v9, v13, vcc
	v_mov_b32_e32 v10, v39
	global_store_dwordx2 v[12:13], v[10:11], off
	s_or_b64 exec, exec, s[36:37]
	s_and_saveexec_b64 s[36:37], s[12:13]
	s_cbranch_execz .LBB885_194
.LBB885_253:
	v_sub_u32_e32 v10, v36, v2
	v_mov_b32_e32 v11, 0
	v_lshlrev_b64 v[12:13], 3, v[10:11]
	v_add_co_u32_e32 v12, vcc, v7, v12
	v_addc_co_u32_e32 v13, vcc, v9, v13, vcc
	v_mov_b32_e32 v10, v37
	global_store_dwordx2 v[12:13], v[10:11], off
	s_or_b64 exec, exec, s[36:37]
	s_and_saveexec_b64 s[36:37], s[10:11]
	s_cbranch_execz .LBB885_195
.LBB885_254:
	v_sub_u32_e32 v10, v34, v2
	v_mov_b32_e32 v11, 0
	v_lshlrev_b64 v[12:13], 3, v[10:11]
	v_add_co_u32_e32 v12, vcc, v7, v12
	v_addc_co_u32_e32 v13, vcc, v9, v13, vcc
	v_mov_b32_e32 v10, v35
	global_store_dwordx2 v[12:13], v[10:11], off
	s_or_b64 exec, exec, s[36:37]
	s_and_saveexec_b64 s[36:37], s[8:9]
	s_cbranch_execz .LBB885_196
.LBB885_255:
	v_sub_u32_e32 v10, v32, v2
	v_mov_b32_e32 v11, 0
	v_lshlrev_b64 v[12:13], 3, v[10:11]
	v_add_co_u32_e32 v12, vcc, v7, v12
	v_addc_co_u32_e32 v13, vcc, v9, v13, vcc
	v_mov_b32_e32 v10, v33
	global_store_dwordx2 v[12:13], v[10:11], off
	s_or_b64 exec, exec, s[36:37]
	s_and_saveexec_b64 s[36:37], s[6:7]
	s_cbranch_execz .LBB885_197
.LBB885_256:
	v_sub_u32_e32 v10, v28, v2
	v_mov_b32_e32 v11, 0
	v_lshlrev_b64 v[12:13], 3, v[10:11]
	v_add_co_u32_e32 v12, vcc, v7, v12
	v_addc_co_u32_e32 v13, vcc, v9, v13, vcc
	v_mov_b32_e32 v10, v29
	global_store_dwordx2 v[12:13], v[10:11], off
	s_or_b64 exec, exec, s[36:37]
	s_and_saveexec_b64 s[36:37], s[4:5]
	s_cbranch_execz .LBB885_198
.LBB885_257:
	v_sub_u32_e32 v10, v26, v2
	v_mov_b32_e32 v11, 0
	v_lshlrev_b64 v[12:13], 3, v[10:11]
	v_add_co_u32_e32 v12, vcc, v7, v12
	v_addc_co_u32_e32 v13, vcc, v9, v13, vcc
	v_mov_b32_e32 v10, v27
	global_store_dwordx2 v[12:13], v[10:11], off
	s_or_b64 exec, exec, s[36:37]
	s_and_saveexec_b64 s[36:37], s[2:3]
	s_cbranch_execnz .LBB885_199
	s_branch .LBB885_200
.LBB885_258:
	v_sub_u32_e32 v3, v54, v2
	v_lshlrev_b32_e32 v3, 2, v3
	ds_write_b32 v3, v55
	s_or_b64 exec, exec, s[36:37]
	s_and_saveexec_b64 s[28:29], s[26:27]
	s_cbranch_execz .LBB885_204
.LBB885_259:
	v_sub_u32_e32 v3, v52, v2
	v_lshlrev_b32_e32 v3, 2, v3
	ds_write_b32 v3, v53
	s_or_b64 exec, exec, s[28:29]
	s_and_saveexec_b64 s[26:27], s[24:25]
	s_cbranch_execz .LBB885_205
.LBB885_260:
	v_sub_u32_e32 v3, v48, v2
	v_lshlrev_b32_e32 v3, 2, v3
	ds_write_b32 v3, v49
	s_or_b64 exec, exec, s[26:27]
	s_and_saveexec_b64 s[24:25], s[22:23]
	s_cbranch_execz .LBB885_206
.LBB885_261:
	v_sub_u32_e32 v3, v46, v2
	v_lshlrev_b32_e32 v3, 2, v3
	ds_write_b32 v3, v47
	s_or_b64 exec, exec, s[24:25]
	s_and_saveexec_b64 s[22:23], s[20:21]
	s_cbranch_execz .LBB885_207
.LBB885_262:
	v_sub_u32_e32 v3, v44, v2
	v_lshlrev_b32_e32 v3, 2, v3
	ds_write_b32 v3, v45
	s_or_b64 exec, exec, s[22:23]
	s_and_saveexec_b64 s[20:21], s[18:19]
	s_cbranch_execz .LBB885_208
.LBB885_263:
	v_sub_u32_e32 v3, v42, v2
	v_lshlrev_b32_e32 v3, 2, v3
	ds_write_b32 v3, v43
	s_or_b64 exec, exec, s[20:21]
	s_and_saveexec_b64 s[18:19], s[16:17]
	s_cbranch_execz .LBB885_209
.LBB885_264:
	v_sub_u32_e32 v3, v40, v2
	v_lshlrev_b32_e32 v3, 2, v3
	ds_write_b32 v3, v41
	s_or_b64 exec, exec, s[18:19]
	s_and_saveexec_b64 s[16:17], s[14:15]
	s_cbranch_execz .LBB885_210
.LBB885_265:
	v_sub_u32_e32 v3, v38, v2
	v_lshlrev_b32_e32 v3, 2, v3
	ds_write_b32 v3, v39
	s_or_b64 exec, exec, s[16:17]
	s_and_saveexec_b64 s[14:15], s[12:13]
	s_cbranch_execz .LBB885_211
.LBB885_266:
	v_sub_u32_e32 v3, v36, v2
	v_lshlrev_b32_e32 v3, 2, v3
	ds_write_b32 v3, v37
	s_or_b64 exec, exec, s[14:15]
	s_and_saveexec_b64 s[12:13], s[10:11]
	s_cbranch_execz .LBB885_212
.LBB885_267:
	v_sub_u32_e32 v3, v34, v2
	v_lshlrev_b32_e32 v3, 2, v3
	ds_write_b32 v3, v35
	s_or_b64 exec, exec, s[12:13]
	s_and_saveexec_b64 s[10:11], s[8:9]
	s_cbranch_execz .LBB885_213
.LBB885_268:
	v_sub_u32_e32 v3, v32, v2
	v_lshlrev_b32_e32 v3, 2, v3
	ds_write_b32 v3, v33
	s_or_b64 exec, exec, s[10:11]
	s_and_saveexec_b64 s[8:9], s[6:7]
	s_cbranch_execz .LBB885_214
.LBB885_269:
	v_sub_u32_e32 v3, v28, v2
	v_lshlrev_b32_e32 v3, 2, v3
	ds_write_b32 v3, v29
	s_or_b64 exec, exec, s[8:9]
	s_and_saveexec_b64 s[6:7], s[4:5]
	s_cbranch_execz .LBB885_215
.LBB885_270:
	v_sub_u32_e32 v3, v26, v2
	v_lshlrev_b32_e32 v3, 2, v3
	ds_write_b32 v3, v27
	s_or_b64 exec, exec, s[6:7]
	s_and_saveexec_b64 s[4:5], s[2:3]
	s_cbranch_execnz .LBB885_216
	s_branch .LBB885_217
	.section	.rodata,"a",@progbits
	.p2align	6, 0x0
	.amdhsa_kernel _ZN7rocprim17ROCPRIM_400000_NS6detail17trampoline_kernelINS0_14default_configENS1_33run_length_encode_config_selectorIN3c108BFloat16EjNS0_4plusIjEEEEZZNS1_33reduce_by_key_impl_wrapped_configILNS1_25lookback_scan_determinismE0ES3_S9_PKS6_NS0_17constant_iteratorIjlEEPS6_PlSH_S8_NS0_8equal_toIS6_EEEE10hipError_tPvRmT2_T3_mT4_T5_T6_T7_T8_P12ihipStream_tbENKUlT_T0_E_clISt17integral_constantIbLb0EES10_IbLb1EEEEDaSW_SX_EUlSW_E_NS1_11comp_targetILNS1_3genE4ELNS1_11target_archE910ELNS1_3gpuE8ELNS1_3repE0EEENS1_30default_config_static_selectorELNS0_4arch9wavefront6targetE1EEEvT1_
		.amdhsa_group_segment_fixed_size 15360
		.amdhsa_private_segment_fixed_size 0
		.amdhsa_kernarg_size 128
		.amdhsa_user_sgpr_count 6
		.amdhsa_user_sgpr_private_segment_buffer 1
		.amdhsa_user_sgpr_dispatch_ptr 0
		.amdhsa_user_sgpr_queue_ptr 0
		.amdhsa_user_sgpr_kernarg_segment_ptr 1
		.amdhsa_user_sgpr_dispatch_id 0
		.amdhsa_user_sgpr_flat_scratch_init 0
		.amdhsa_user_sgpr_kernarg_preload_length 0
		.amdhsa_user_sgpr_kernarg_preload_offset 0
		.amdhsa_user_sgpr_private_segment_size 0
		.amdhsa_uses_dynamic_stack 0
		.amdhsa_system_sgpr_private_segment_wavefront_offset 0
		.amdhsa_system_sgpr_workgroup_id_x 1
		.amdhsa_system_sgpr_workgroup_id_y 0
		.amdhsa_system_sgpr_workgroup_id_z 0
		.amdhsa_system_sgpr_workgroup_info 0
		.amdhsa_system_vgpr_workitem_id 0
		.amdhsa_next_free_vgpr 109
		.amdhsa_next_free_sgpr 66
		.amdhsa_accum_offset 112
		.amdhsa_reserve_vcc 1
		.amdhsa_reserve_flat_scratch 0
		.amdhsa_float_round_mode_32 0
		.amdhsa_float_round_mode_16_64 0
		.amdhsa_float_denorm_mode_32 3
		.amdhsa_float_denorm_mode_16_64 3
		.amdhsa_dx10_clamp 1
		.amdhsa_ieee_mode 1
		.amdhsa_fp16_overflow 0
		.amdhsa_tg_split 0
		.amdhsa_exception_fp_ieee_invalid_op 0
		.amdhsa_exception_fp_denorm_src 0
		.amdhsa_exception_fp_ieee_div_zero 0
		.amdhsa_exception_fp_ieee_overflow 0
		.amdhsa_exception_fp_ieee_underflow 0
		.amdhsa_exception_fp_ieee_inexact 0
		.amdhsa_exception_int_div_zero 0
	.end_amdhsa_kernel
	.section	.text._ZN7rocprim17ROCPRIM_400000_NS6detail17trampoline_kernelINS0_14default_configENS1_33run_length_encode_config_selectorIN3c108BFloat16EjNS0_4plusIjEEEEZZNS1_33reduce_by_key_impl_wrapped_configILNS1_25lookback_scan_determinismE0ES3_S9_PKS6_NS0_17constant_iteratorIjlEEPS6_PlSH_S8_NS0_8equal_toIS6_EEEE10hipError_tPvRmT2_T3_mT4_T5_T6_T7_T8_P12ihipStream_tbENKUlT_T0_E_clISt17integral_constantIbLb0EES10_IbLb1EEEEDaSW_SX_EUlSW_E_NS1_11comp_targetILNS1_3genE4ELNS1_11target_archE910ELNS1_3gpuE8ELNS1_3repE0EEENS1_30default_config_static_selectorELNS0_4arch9wavefront6targetE1EEEvT1_,"axG",@progbits,_ZN7rocprim17ROCPRIM_400000_NS6detail17trampoline_kernelINS0_14default_configENS1_33run_length_encode_config_selectorIN3c108BFloat16EjNS0_4plusIjEEEEZZNS1_33reduce_by_key_impl_wrapped_configILNS1_25lookback_scan_determinismE0ES3_S9_PKS6_NS0_17constant_iteratorIjlEEPS6_PlSH_S8_NS0_8equal_toIS6_EEEE10hipError_tPvRmT2_T3_mT4_T5_T6_T7_T8_P12ihipStream_tbENKUlT_T0_E_clISt17integral_constantIbLb0EES10_IbLb1EEEEDaSW_SX_EUlSW_E_NS1_11comp_targetILNS1_3genE4ELNS1_11target_archE910ELNS1_3gpuE8ELNS1_3repE0EEENS1_30default_config_static_selectorELNS0_4arch9wavefront6targetE1EEEvT1_,comdat
.Lfunc_end885:
	.size	_ZN7rocprim17ROCPRIM_400000_NS6detail17trampoline_kernelINS0_14default_configENS1_33run_length_encode_config_selectorIN3c108BFloat16EjNS0_4plusIjEEEEZZNS1_33reduce_by_key_impl_wrapped_configILNS1_25lookback_scan_determinismE0ES3_S9_PKS6_NS0_17constant_iteratorIjlEEPS6_PlSH_S8_NS0_8equal_toIS6_EEEE10hipError_tPvRmT2_T3_mT4_T5_T6_T7_T8_P12ihipStream_tbENKUlT_T0_E_clISt17integral_constantIbLb0EES10_IbLb1EEEEDaSW_SX_EUlSW_E_NS1_11comp_targetILNS1_3genE4ELNS1_11target_archE910ELNS1_3gpuE8ELNS1_3repE0EEENS1_30default_config_static_selectorELNS0_4arch9wavefront6targetE1EEEvT1_, .Lfunc_end885-_ZN7rocprim17ROCPRIM_400000_NS6detail17trampoline_kernelINS0_14default_configENS1_33run_length_encode_config_selectorIN3c108BFloat16EjNS0_4plusIjEEEEZZNS1_33reduce_by_key_impl_wrapped_configILNS1_25lookback_scan_determinismE0ES3_S9_PKS6_NS0_17constant_iteratorIjlEEPS6_PlSH_S8_NS0_8equal_toIS6_EEEE10hipError_tPvRmT2_T3_mT4_T5_T6_T7_T8_P12ihipStream_tbENKUlT_T0_E_clISt17integral_constantIbLb0EES10_IbLb1EEEEDaSW_SX_EUlSW_E_NS1_11comp_targetILNS1_3genE4ELNS1_11target_archE910ELNS1_3gpuE8ELNS1_3repE0EEENS1_30default_config_static_selectorELNS0_4arch9wavefront6targetE1EEEvT1_
                                        ; -- End function
	.section	.AMDGPU.csdata,"",@progbits
; Kernel info:
; codeLenInByte = 16256
; NumSgprs: 70
; NumVgprs: 109
; NumAgprs: 0
; TotalNumVgprs: 109
; ScratchSize: 0
; MemoryBound: 0
; FloatMode: 240
; IeeeMode: 1
; LDSByteSize: 15360 bytes/workgroup (compile time only)
; SGPRBlocks: 8
; VGPRBlocks: 13
; NumSGPRsForWavesPerEU: 70
; NumVGPRsForWavesPerEU: 109
; AccumOffset: 112
; Occupancy: 4
; WaveLimiterHint : 1
; COMPUTE_PGM_RSRC2:SCRATCH_EN: 0
; COMPUTE_PGM_RSRC2:USER_SGPR: 6
; COMPUTE_PGM_RSRC2:TRAP_HANDLER: 0
; COMPUTE_PGM_RSRC2:TGID_X_EN: 1
; COMPUTE_PGM_RSRC2:TGID_Y_EN: 0
; COMPUTE_PGM_RSRC2:TGID_Z_EN: 0
; COMPUTE_PGM_RSRC2:TIDIG_COMP_CNT: 0
; COMPUTE_PGM_RSRC3_GFX90A:ACCUM_OFFSET: 27
; COMPUTE_PGM_RSRC3_GFX90A:TG_SPLIT: 0
	.section	.text._ZN7rocprim17ROCPRIM_400000_NS6detail17trampoline_kernelINS0_14default_configENS1_33run_length_encode_config_selectorIN3c108BFloat16EjNS0_4plusIjEEEEZZNS1_33reduce_by_key_impl_wrapped_configILNS1_25lookback_scan_determinismE0ES3_S9_PKS6_NS0_17constant_iteratorIjlEEPS6_PlSH_S8_NS0_8equal_toIS6_EEEE10hipError_tPvRmT2_T3_mT4_T5_T6_T7_T8_P12ihipStream_tbENKUlT_T0_E_clISt17integral_constantIbLb0EES10_IbLb1EEEEDaSW_SX_EUlSW_E_NS1_11comp_targetILNS1_3genE3ELNS1_11target_archE908ELNS1_3gpuE7ELNS1_3repE0EEENS1_30default_config_static_selectorELNS0_4arch9wavefront6targetE1EEEvT1_,"axG",@progbits,_ZN7rocprim17ROCPRIM_400000_NS6detail17trampoline_kernelINS0_14default_configENS1_33run_length_encode_config_selectorIN3c108BFloat16EjNS0_4plusIjEEEEZZNS1_33reduce_by_key_impl_wrapped_configILNS1_25lookback_scan_determinismE0ES3_S9_PKS6_NS0_17constant_iteratorIjlEEPS6_PlSH_S8_NS0_8equal_toIS6_EEEE10hipError_tPvRmT2_T3_mT4_T5_T6_T7_T8_P12ihipStream_tbENKUlT_T0_E_clISt17integral_constantIbLb0EES10_IbLb1EEEEDaSW_SX_EUlSW_E_NS1_11comp_targetILNS1_3genE3ELNS1_11target_archE908ELNS1_3gpuE7ELNS1_3repE0EEENS1_30default_config_static_selectorELNS0_4arch9wavefront6targetE1EEEvT1_,comdat
	.protected	_ZN7rocprim17ROCPRIM_400000_NS6detail17trampoline_kernelINS0_14default_configENS1_33run_length_encode_config_selectorIN3c108BFloat16EjNS0_4plusIjEEEEZZNS1_33reduce_by_key_impl_wrapped_configILNS1_25lookback_scan_determinismE0ES3_S9_PKS6_NS0_17constant_iteratorIjlEEPS6_PlSH_S8_NS0_8equal_toIS6_EEEE10hipError_tPvRmT2_T3_mT4_T5_T6_T7_T8_P12ihipStream_tbENKUlT_T0_E_clISt17integral_constantIbLb0EES10_IbLb1EEEEDaSW_SX_EUlSW_E_NS1_11comp_targetILNS1_3genE3ELNS1_11target_archE908ELNS1_3gpuE7ELNS1_3repE0EEENS1_30default_config_static_selectorELNS0_4arch9wavefront6targetE1EEEvT1_ ; -- Begin function _ZN7rocprim17ROCPRIM_400000_NS6detail17trampoline_kernelINS0_14default_configENS1_33run_length_encode_config_selectorIN3c108BFloat16EjNS0_4plusIjEEEEZZNS1_33reduce_by_key_impl_wrapped_configILNS1_25lookback_scan_determinismE0ES3_S9_PKS6_NS0_17constant_iteratorIjlEEPS6_PlSH_S8_NS0_8equal_toIS6_EEEE10hipError_tPvRmT2_T3_mT4_T5_T6_T7_T8_P12ihipStream_tbENKUlT_T0_E_clISt17integral_constantIbLb0EES10_IbLb1EEEEDaSW_SX_EUlSW_E_NS1_11comp_targetILNS1_3genE3ELNS1_11target_archE908ELNS1_3gpuE7ELNS1_3repE0EEENS1_30default_config_static_selectorELNS0_4arch9wavefront6targetE1EEEvT1_
	.globl	_ZN7rocprim17ROCPRIM_400000_NS6detail17trampoline_kernelINS0_14default_configENS1_33run_length_encode_config_selectorIN3c108BFloat16EjNS0_4plusIjEEEEZZNS1_33reduce_by_key_impl_wrapped_configILNS1_25lookback_scan_determinismE0ES3_S9_PKS6_NS0_17constant_iteratorIjlEEPS6_PlSH_S8_NS0_8equal_toIS6_EEEE10hipError_tPvRmT2_T3_mT4_T5_T6_T7_T8_P12ihipStream_tbENKUlT_T0_E_clISt17integral_constantIbLb0EES10_IbLb1EEEEDaSW_SX_EUlSW_E_NS1_11comp_targetILNS1_3genE3ELNS1_11target_archE908ELNS1_3gpuE7ELNS1_3repE0EEENS1_30default_config_static_selectorELNS0_4arch9wavefront6targetE1EEEvT1_
	.p2align	8
	.type	_ZN7rocprim17ROCPRIM_400000_NS6detail17trampoline_kernelINS0_14default_configENS1_33run_length_encode_config_selectorIN3c108BFloat16EjNS0_4plusIjEEEEZZNS1_33reduce_by_key_impl_wrapped_configILNS1_25lookback_scan_determinismE0ES3_S9_PKS6_NS0_17constant_iteratorIjlEEPS6_PlSH_S8_NS0_8equal_toIS6_EEEE10hipError_tPvRmT2_T3_mT4_T5_T6_T7_T8_P12ihipStream_tbENKUlT_T0_E_clISt17integral_constantIbLb0EES10_IbLb1EEEEDaSW_SX_EUlSW_E_NS1_11comp_targetILNS1_3genE3ELNS1_11target_archE908ELNS1_3gpuE7ELNS1_3repE0EEENS1_30default_config_static_selectorELNS0_4arch9wavefront6targetE1EEEvT1_,@function
_ZN7rocprim17ROCPRIM_400000_NS6detail17trampoline_kernelINS0_14default_configENS1_33run_length_encode_config_selectorIN3c108BFloat16EjNS0_4plusIjEEEEZZNS1_33reduce_by_key_impl_wrapped_configILNS1_25lookback_scan_determinismE0ES3_S9_PKS6_NS0_17constant_iteratorIjlEEPS6_PlSH_S8_NS0_8equal_toIS6_EEEE10hipError_tPvRmT2_T3_mT4_T5_T6_T7_T8_P12ihipStream_tbENKUlT_T0_E_clISt17integral_constantIbLb0EES10_IbLb1EEEEDaSW_SX_EUlSW_E_NS1_11comp_targetILNS1_3genE3ELNS1_11target_archE908ELNS1_3gpuE7ELNS1_3repE0EEENS1_30default_config_static_selectorELNS0_4arch9wavefront6targetE1EEEvT1_: ; @_ZN7rocprim17ROCPRIM_400000_NS6detail17trampoline_kernelINS0_14default_configENS1_33run_length_encode_config_selectorIN3c108BFloat16EjNS0_4plusIjEEEEZZNS1_33reduce_by_key_impl_wrapped_configILNS1_25lookback_scan_determinismE0ES3_S9_PKS6_NS0_17constant_iteratorIjlEEPS6_PlSH_S8_NS0_8equal_toIS6_EEEE10hipError_tPvRmT2_T3_mT4_T5_T6_T7_T8_P12ihipStream_tbENKUlT_T0_E_clISt17integral_constantIbLb0EES10_IbLb1EEEEDaSW_SX_EUlSW_E_NS1_11comp_targetILNS1_3genE3ELNS1_11target_archE908ELNS1_3gpuE7ELNS1_3repE0EEENS1_30default_config_static_selectorELNS0_4arch9wavefront6targetE1EEEvT1_
; %bb.0:
	.section	.rodata,"a",@progbits
	.p2align	6, 0x0
	.amdhsa_kernel _ZN7rocprim17ROCPRIM_400000_NS6detail17trampoline_kernelINS0_14default_configENS1_33run_length_encode_config_selectorIN3c108BFloat16EjNS0_4plusIjEEEEZZNS1_33reduce_by_key_impl_wrapped_configILNS1_25lookback_scan_determinismE0ES3_S9_PKS6_NS0_17constant_iteratorIjlEEPS6_PlSH_S8_NS0_8equal_toIS6_EEEE10hipError_tPvRmT2_T3_mT4_T5_T6_T7_T8_P12ihipStream_tbENKUlT_T0_E_clISt17integral_constantIbLb0EES10_IbLb1EEEEDaSW_SX_EUlSW_E_NS1_11comp_targetILNS1_3genE3ELNS1_11target_archE908ELNS1_3gpuE7ELNS1_3repE0EEENS1_30default_config_static_selectorELNS0_4arch9wavefront6targetE1EEEvT1_
		.amdhsa_group_segment_fixed_size 0
		.amdhsa_private_segment_fixed_size 0
		.amdhsa_kernarg_size 128
		.amdhsa_user_sgpr_count 6
		.amdhsa_user_sgpr_private_segment_buffer 1
		.amdhsa_user_sgpr_dispatch_ptr 0
		.amdhsa_user_sgpr_queue_ptr 0
		.amdhsa_user_sgpr_kernarg_segment_ptr 1
		.amdhsa_user_sgpr_dispatch_id 0
		.amdhsa_user_sgpr_flat_scratch_init 0
		.amdhsa_user_sgpr_kernarg_preload_length 0
		.amdhsa_user_sgpr_kernarg_preload_offset 0
		.amdhsa_user_sgpr_private_segment_size 0
		.amdhsa_uses_dynamic_stack 0
		.amdhsa_system_sgpr_private_segment_wavefront_offset 0
		.amdhsa_system_sgpr_workgroup_id_x 1
		.amdhsa_system_sgpr_workgroup_id_y 0
		.amdhsa_system_sgpr_workgroup_id_z 0
		.amdhsa_system_sgpr_workgroup_info 0
		.amdhsa_system_vgpr_workitem_id 0
		.amdhsa_next_free_vgpr 1
		.amdhsa_next_free_sgpr 0
		.amdhsa_accum_offset 4
		.amdhsa_reserve_vcc 0
		.amdhsa_reserve_flat_scratch 0
		.amdhsa_float_round_mode_32 0
		.amdhsa_float_round_mode_16_64 0
		.amdhsa_float_denorm_mode_32 3
		.amdhsa_float_denorm_mode_16_64 3
		.amdhsa_dx10_clamp 1
		.amdhsa_ieee_mode 1
		.amdhsa_fp16_overflow 0
		.amdhsa_tg_split 0
		.amdhsa_exception_fp_ieee_invalid_op 0
		.amdhsa_exception_fp_denorm_src 0
		.amdhsa_exception_fp_ieee_div_zero 0
		.amdhsa_exception_fp_ieee_overflow 0
		.amdhsa_exception_fp_ieee_underflow 0
		.amdhsa_exception_fp_ieee_inexact 0
		.amdhsa_exception_int_div_zero 0
	.end_amdhsa_kernel
	.section	.text._ZN7rocprim17ROCPRIM_400000_NS6detail17trampoline_kernelINS0_14default_configENS1_33run_length_encode_config_selectorIN3c108BFloat16EjNS0_4plusIjEEEEZZNS1_33reduce_by_key_impl_wrapped_configILNS1_25lookback_scan_determinismE0ES3_S9_PKS6_NS0_17constant_iteratorIjlEEPS6_PlSH_S8_NS0_8equal_toIS6_EEEE10hipError_tPvRmT2_T3_mT4_T5_T6_T7_T8_P12ihipStream_tbENKUlT_T0_E_clISt17integral_constantIbLb0EES10_IbLb1EEEEDaSW_SX_EUlSW_E_NS1_11comp_targetILNS1_3genE3ELNS1_11target_archE908ELNS1_3gpuE7ELNS1_3repE0EEENS1_30default_config_static_selectorELNS0_4arch9wavefront6targetE1EEEvT1_,"axG",@progbits,_ZN7rocprim17ROCPRIM_400000_NS6detail17trampoline_kernelINS0_14default_configENS1_33run_length_encode_config_selectorIN3c108BFloat16EjNS0_4plusIjEEEEZZNS1_33reduce_by_key_impl_wrapped_configILNS1_25lookback_scan_determinismE0ES3_S9_PKS6_NS0_17constant_iteratorIjlEEPS6_PlSH_S8_NS0_8equal_toIS6_EEEE10hipError_tPvRmT2_T3_mT4_T5_T6_T7_T8_P12ihipStream_tbENKUlT_T0_E_clISt17integral_constantIbLb0EES10_IbLb1EEEEDaSW_SX_EUlSW_E_NS1_11comp_targetILNS1_3genE3ELNS1_11target_archE908ELNS1_3gpuE7ELNS1_3repE0EEENS1_30default_config_static_selectorELNS0_4arch9wavefront6targetE1EEEvT1_,comdat
.Lfunc_end886:
	.size	_ZN7rocprim17ROCPRIM_400000_NS6detail17trampoline_kernelINS0_14default_configENS1_33run_length_encode_config_selectorIN3c108BFloat16EjNS0_4plusIjEEEEZZNS1_33reduce_by_key_impl_wrapped_configILNS1_25lookback_scan_determinismE0ES3_S9_PKS6_NS0_17constant_iteratorIjlEEPS6_PlSH_S8_NS0_8equal_toIS6_EEEE10hipError_tPvRmT2_T3_mT4_T5_T6_T7_T8_P12ihipStream_tbENKUlT_T0_E_clISt17integral_constantIbLb0EES10_IbLb1EEEEDaSW_SX_EUlSW_E_NS1_11comp_targetILNS1_3genE3ELNS1_11target_archE908ELNS1_3gpuE7ELNS1_3repE0EEENS1_30default_config_static_selectorELNS0_4arch9wavefront6targetE1EEEvT1_, .Lfunc_end886-_ZN7rocprim17ROCPRIM_400000_NS6detail17trampoline_kernelINS0_14default_configENS1_33run_length_encode_config_selectorIN3c108BFloat16EjNS0_4plusIjEEEEZZNS1_33reduce_by_key_impl_wrapped_configILNS1_25lookback_scan_determinismE0ES3_S9_PKS6_NS0_17constant_iteratorIjlEEPS6_PlSH_S8_NS0_8equal_toIS6_EEEE10hipError_tPvRmT2_T3_mT4_T5_T6_T7_T8_P12ihipStream_tbENKUlT_T0_E_clISt17integral_constantIbLb0EES10_IbLb1EEEEDaSW_SX_EUlSW_E_NS1_11comp_targetILNS1_3genE3ELNS1_11target_archE908ELNS1_3gpuE7ELNS1_3repE0EEENS1_30default_config_static_selectorELNS0_4arch9wavefront6targetE1EEEvT1_
                                        ; -- End function
	.section	.AMDGPU.csdata,"",@progbits
; Kernel info:
; codeLenInByte = 0
; NumSgprs: 4
; NumVgprs: 0
; NumAgprs: 0
; TotalNumVgprs: 0
; ScratchSize: 0
; MemoryBound: 0
; FloatMode: 240
; IeeeMode: 1
; LDSByteSize: 0 bytes/workgroup (compile time only)
; SGPRBlocks: 0
; VGPRBlocks: 0
; NumSGPRsForWavesPerEU: 4
; NumVGPRsForWavesPerEU: 1
; AccumOffset: 4
; Occupancy: 8
; WaveLimiterHint : 0
; COMPUTE_PGM_RSRC2:SCRATCH_EN: 0
; COMPUTE_PGM_RSRC2:USER_SGPR: 6
; COMPUTE_PGM_RSRC2:TRAP_HANDLER: 0
; COMPUTE_PGM_RSRC2:TGID_X_EN: 1
; COMPUTE_PGM_RSRC2:TGID_Y_EN: 0
; COMPUTE_PGM_RSRC2:TGID_Z_EN: 0
; COMPUTE_PGM_RSRC2:TIDIG_COMP_CNT: 0
; COMPUTE_PGM_RSRC3_GFX90A:ACCUM_OFFSET: 0
; COMPUTE_PGM_RSRC3_GFX90A:TG_SPLIT: 0
	.section	.text._ZN7rocprim17ROCPRIM_400000_NS6detail17trampoline_kernelINS0_14default_configENS1_33run_length_encode_config_selectorIN3c108BFloat16EjNS0_4plusIjEEEEZZNS1_33reduce_by_key_impl_wrapped_configILNS1_25lookback_scan_determinismE0ES3_S9_PKS6_NS0_17constant_iteratorIjlEEPS6_PlSH_S8_NS0_8equal_toIS6_EEEE10hipError_tPvRmT2_T3_mT4_T5_T6_T7_T8_P12ihipStream_tbENKUlT_T0_E_clISt17integral_constantIbLb0EES10_IbLb1EEEEDaSW_SX_EUlSW_E_NS1_11comp_targetILNS1_3genE2ELNS1_11target_archE906ELNS1_3gpuE6ELNS1_3repE0EEENS1_30default_config_static_selectorELNS0_4arch9wavefront6targetE1EEEvT1_,"axG",@progbits,_ZN7rocprim17ROCPRIM_400000_NS6detail17trampoline_kernelINS0_14default_configENS1_33run_length_encode_config_selectorIN3c108BFloat16EjNS0_4plusIjEEEEZZNS1_33reduce_by_key_impl_wrapped_configILNS1_25lookback_scan_determinismE0ES3_S9_PKS6_NS0_17constant_iteratorIjlEEPS6_PlSH_S8_NS0_8equal_toIS6_EEEE10hipError_tPvRmT2_T3_mT4_T5_T6_T7_T8_P12ihipStream_tbENKUlT_T0_E_clISt17integral_constantIbLb0EES10_IbLb1EEEEDaSW_SX_EUlSW_E_NS1_11comp_targetILNS1_3genE2ELNS1_11target_archE906ELNS1_3gpuE6ELNS1_3repE0EEENS1_30default_config_static_selectorELNS0_4arch9wavefront6targetE1EEEvT1_,comdat
	.protected	_ZN7rocprim17ROCPRIM_400000_NS6detail17trampoline_kernelINS0_14default_configENS1_33run_length_encode_config_selectorIN3c108BFloat16EjNS0_4plusIjEEEEZZNS1_33reduce_by_key_impl_wrapped_configILNS1_25lookback_scan_determinismE0ES3_S9_PKS6_NS0_17constant_iteratorIjlEEPS6_PlSH_S8_NS0_8equal_toIS6_EEEE10hipError_tPvRmT2_T3_mT4_T5_T6_T7_T8_P12ihipStream_tbENKUlT_T0_E_clISt17integral_constantIbLb0EES10_IbLb1EEEEDaSW_SX_EUlSW_E_NS1_11comp_targetILNS1_3genE2ELNS1_11target_archE906ELNS1_3gpuE6ELNS1_3repE0EEENS1_30default_config_static_selectorELNS0_4arch9wavefront6targetE1EEEvT1_ ; -- Begin function _ZN7rocprim17ROCPRIM_400000_NS6detail17trampoline_kernelINS0_14default_configENS1_33run_length_encode_config_selectorIN3c108BFloat16EjNS0_4plusIjEEEEZZNS1_33reduce_by_key_impl_wrapped_configILNS1_25lookback_scan_determinismE0ES3_S9_PKS6_NS0_17constant_iteratorIjlEEPS6_PlSH_S8_NS0_8equal_toIS6_EEEE10hipError_tPvRmT2_T3_mT4_T5_T6_T7_T8_P12ihipStream_tbENKUlT_T0_E_clISt17integral_constantIbLb0EES10_IbLb1EEEEDaSW_SX_EUlSW_E_NS1_11comp_targetILNS1_3genE2ELNS1_11target_archE906ELNS1_3gpuE6ELNS1_3repE0EEENS1_30default_config_static_selectorELNS0_4arch9wavefront6targetE1EEEvT1_
	.globl	_ZN7rocprim17ROCPRIM_400000_NS6detail17trampoline_kernelINS0_14default_configENS1_33run_length_encode_config_selectorIN3c108BFloat16EjNS0_4plusIjEEEEZZNS1_33reduce_by_key_impl_wrapped_configILNS1_25lookback_scan_determinismE0ES3_S9_PKS6_NS0_17constant_iteratorIjlEEPS6_PlSH_S8_NS0_8equal_toIS6_EEEE10hipError_tPvRmT2_T3_mT4_T5_T6_T7_T8_P12ihipStream_tbENKUlT_T0_E_clISt17integral_constantIbLb0EES10_IbLb1EEEEDaSW_SX_EUlSW_E_NS1_11comp_targetILNS1_3genE2ELNS1_11target_archE906ELNS1_3gpuE6ELNS1_3repE0EEENS1_30default_config_static_selectorELNS0_4arch9wavefront6targetE1EEEvT1_
	.p2align	8
	.type	_ZN7rocprim17ROCPRIM_400000_NS6detail17trampoline_kernelINS0_14default_configENS1_33run_length_encode_config_selectorIN3c108BFloat16EjNS0_4plusIjEEEEZZNS1_33reduce_by_key_impl_wrapped_configILNS1_25lookback_scan_determinismE0ES3_S9_PKS6_NS0_17constant_iteratorIjlEEPS6_PlSH_S8_NS0_8equal_toIS6_EEEE10hipError_tPvRmT2_T3_mT4_T5_T6_T7_T8_P12ihipStream_tbENKUlT_T0_E_clISt17integral_constantIbLb0EES10_IbLb1EEEEDaSW_SX_EUlSW_E_NS1_11comp_targetILNS1_3genE2ELNS1_11target_archE906ELNS1_3gpuE6ELNS1_3repE0EEENS1_30default_config_static_selectorELNS0_4arch9wavefront6targetE1EEEvT1_,@function
_ZN7rocprim17ROCPRIM_400000_NS6detail17trampoline_kernelINS0_14default_configENS1_33run_length_encode_config_selectorIN3c108BFloat16EjNS0_4plusIjEEEEZZNS1_33reduce_by_key_impl_wrapped_configILNS1_25lookback_scan_determinismE0ES3_S9_PKS6_NS0_17constant_iteratorIjlEEPS6_PlSH_S8_NS0_8equal_toIS6_EEEE10hipError_tPvRmT2_T3_mT4_T5_T6_T7_T8_P12ihipStream_tbENKUlT_T0_E_clISt17integral_constantIbLb0EES10_IbLb1EEEEDaSW_SX_EUlSW_E_NS1_11comp_targetILNS1_3genE2ELNS1_11target_archE906ELNS1_3gpuE6ELNS1_3repE0EEENS1_30default_config_static_selectorELNS0_4arch9wavefront6targetE1EEEvT1_: ; @_ZN7rocprim17ROCPRIM_400000_NS6detail17trampoline_kernelINS0_14default_configENS1_33run_length_encode_config_selectorIN3c108BFloat16EjNS0_4plusIjEEEEZZNS1_33reduce_by_key_impl_wrapped_configILNS1_25lookback_scan_determinismE0ES3_S9_PKS6_NS0_17constant_iteratorIjlEEPS6_PlSH_S8_NS0_8equal_toIS6_EEEE10hipError_tPvRmT2_T3_mT4_T5_T6_T7_T8_P12ihipStream_tbENKUlT_T0_E_clISt17integral_constantIbLb0EES10_IbLb1EEEEDaSW_SX_EUlSW_E_NS1_11comp_targetILNS1_3genE2ELNS1_11target_archE906ELNS1_3gpuE6ELNS1_3repE0EEENS1_30default_config_static_selectorELNS0_4arch9wavefront6targetE1EEEvT1_
; %bb.0:
	.section	.rodata,"a",@progbits
	.p2align	6, 0x0
	.amdhsa_kernel _ZN7rocprim17ROCPRIM_400000_NS6detail17trampoline_kernelINS0_14default_configENS1_33run_length_encode_config_selectorIN3c108BFloat16EjNS0_4plusIjEEEEZZNS1_33reduce_by_key_impl_wrapped_configILNS1_25lookback_scan_determinismE0ES3_S9_PKS6_NS0_17constant_iteratorIjlEEPS6_PlSH_S8_NS0_8equal_toIS6_EEEE10hipError_tPvRmT2_T3_mT4_T5_T6_T7_T8_P12ihipStream_tbENKUlT_T0_E_clISt17integral_constantIbLb0EES10_IbLb1EEEEDaSW_SX_EUlSW_E_NS1_11comp_targetILNS1_3genE2ELNS1_11target_archE906ELNS1_3gpuE6ELNS1_3repE0EEENS1_30default_config_static_selectorELNS0_4arch9wavefront6targetE1EEEvT1_
		.amdhsa_group_segment_fixed_size 0
		.amdhsa_private_segment_fixed_size 0
		.amdhsa_kernarg_size 128
		.amdhsa_user_sgpr_count 6
		.amdhsa_user_sgpr_private_segment_buffer 1
		.amdhsa_user_sgpr_dispatch_ptr 0
		.amdhsa_user_sgpr_queue_ptr 0
		.amdhsa_user_sgpr_kernarg_segment_ptr 1
		.amdhsa_user_sgpr_dispatch_id 0
		.amdhsa_user_sgpr_flat_scratch_init 0
		.amdhsa_user_sgpr_kernarg_preload_length 0
		.amdhsa_user_sgpr_kernarg_preload_offset 0
		.amdhsa_user_sgpr_private_segment_size 0
		.amdhsa_uses_dynamic_stack 0
		.amdhsa_system_sgpr_private_segment_wavefront_offset 0
		.amdhsa_system_sgpr_workgroup_id_x 1
		.amdhsa_system_sgpr_workgroup_id_y 0
		.amdhsa_system_sgpr_workgroup_id_z 0
		.amdhsa_system_sgpr_workgroup_info 0
		.amdhsa_system_vgpr_workitem_id 0
		.amdhsa_next_free_vgpr 1
		.amdhsa_next_free_sgpr 0
		.amdhsa_accum_offset 4
		.amdhsa_reserve_vcc 0
		.amdhsa_reserve_flat_scratch 0
		.amdhsa_float_round_mode_32 0
		.amdhsa_float_round_mode_16_64 0
		.amdhsa_float_denorm_mode_32 3
		.amdhsa_float_denorm_mode_16_64 3
		.amdhsa_dx10_clamp 1
		.amdhsa_ieee_mode 1
		.amdhsa_fp16_overflow 0
		.amdhsa_tg_split 0
		.amdhsa_exception_fp_ieee_invalid_op 0
		.amdhsa_exception_fp_denorm_src 0
		.amdhsa_exception_fp_ieee_div_zero 0
		.amdhsa_exception_fp_ieee_overflow 0
		.amdhsa_exception_fp_ieee_underflow 0
		.amdhsa_exception_fp_ieee_inexact 0
		.amdhsa_exception_int_div_zero 0
	.end_amdhsa_kernel
	.section	.text._ZN7rocprim17ROCPRIM_400000_NS6detail17trampoline_kernelINS0_14default_configENS1_33run_length_encode_config_selectorIN3c108BFloat16EjNS0_4plusIjEEEEZZNS1_33reduce_by_key_impl_wrapped_configILNS1_25lookback_scan_determinismE0ES3_S9_PKS6_NS0_17constant_iteratorIjlEEPS6_PlSH_S8_NS0_8equal_toIS6_EEEE10hipError_tPvRmT2_T3_mT4_T5_T6_T7_T8_P12ihipStream_tbENKUlT_T0_E_clISt17integral_constantIbLb0EES10_IbLb1EEEEDaSW_SX_EUlSW_E_NS1_11comp_targetILNS1_3genE2ELNS1_11target_archE906ELNS1_3gpuE6ELNS1_3repE0EEENS1_30default_config_static_selectorELNS0_4arch9wavefront6targetE1EEEvT1_,"axG",@progbits,_ZN7rocprim17ROCPRIM_400000_NS6detail17trampoline_kernelINS0_14default_configENS1_33run_length_encode_config_selectorIN3c108BFloat16EjNS0_4plusIjEEEEZZNS1_33reduce_by_key_impl_wrapped_configILNS1_25lookback_scan_determinismE0ES3_S9_PKS6_NS0_17constant_iteratorIjlEEPS6_PlSH_S8_NS0_8equal_toIS6_EEEE10hipError_tPvRmT2_T3_mT4_T5_T6_T7_T8_P12ihipStream_tbENKUlT_T0_E_clISt17integral_constantIbLb0EES10_IbLb1EEEEDaSW_SX_EUlSW_E_NS1_11comp_targetILNS1_3genE2ELNS1_11target_archE906ELNS1_3gpuE6ELNS1_3repE0EEENS1_30default_config_static_selectorELNS0_4arch9wavefront6targetE1EEEvT1_,comdat
.Lfunc_end887:
	.size	_ZN7rocprim17ROCPRIM_400000_NS6detail17trampoline_kernelINS0_14default_configENS1_33run_length_encode_config_selectorIN3c108BFloat16EjNS0_4plusIjEEEEZZNS1_33reduce_by_key_impl_wrapped_configILNS1_25lookback_scan_determinismE0ES3_S9_PKS6_NS0_17constant_iteratorIjlEEPS6_PlSH_S8_NS0_8equal_toIS6_EEEE10hipError_tPvRmT2_T3_mT4_T5_T6_T7_T8_P12ihipStream_tbENKUlT_T0_E_clISt17integral_constantIbLb0EES10_IbLb1EEEEDaSW_SX_EUlSW_E_NS1_11comp_targetILNS1_3genE2ELNS1_11target_archE906ELNS1_3gpuE6ELNS1_3repE0EEENS1_30default_config_static_selectorELNS0_4arch9wavefront6targetE1EEEvT1_, .Lfunc_end887-_ZN7rocprim17ROCPRIM_400000_NS6detail17trampoline_kernelINS0_14default_configENS1_33run_length_encode_config_selectorIN3c108BFloat16EjNS0_4plusIjEEEEZZNS1_33reduce_by_key_impl_wrapped_configILNS1_25lookback_scan_determinismE0ES3_S9_PKS6_NS0_17constant_iteratorIjlEEPS6_PlSH_S8_NS0_8equal_toIS6_EEEE10hipError_tPvRmT2_T3_mT4_T5_T6_T7_T8_P12ihipStream_tbENKUlT_T0_E_clISt17integral_constantIbLb0EES10_IbLb1EEEEDaSW_SX_EUlSW_E_NS1_11comp_targetILNS1_3genE2ELNS1_11target_archE906ELNS1_3gpuE6ELNS1_3repE0EEENS1_30default_config_static_selectorELNS0_4arch9wavefront6targetE1EEEvT1_
                                        ; -- End function
	.section	.AMDGPU.csdata,"",@progbits
; Kernel info:
; codeLenInByte = 0
; NumSgprs: 4
; NumVgprs: 0
; NumAgprs: 0
; TotalNumVgprs: 0
; ScratchSize: 0
; MemoryBound: 0
; FloatMode: 240
; IeeeMode: 1
; LDSByteSize: 0 bytes/workgroup (compile time only)
; SGPRBlocks: 0
; VGPRBlocks: 0
; NumSGPRsForWavesPerEU: 4
; NumVGPRsForWavesPerEU: 1
; AccumOffset: 4
; Occupancy: 8
; WaveLimiterHint : 0
; COMPUTE_PGM_RSRC2:SCRATCH_EN: 0
; COMPUTE_PGM_RSRC2:USER_SGPR: 6
; COMPUTE_PGM_RSRC2:TRAP_HANDLER: 0
; COMPUTE_PGM_RSRC2:TGID_X_EN: 1
; COMPUTE_PGM_RSRC2:TGID_Y_EN: 0
; COMPUTE_PGM_RSRC2:TGID_Z_EN: 0
; COMPUTE_PGM_RSRC2:TIDIG_COMP_CNT: 0
; COMPUTE_PGM_RSRC3_GFX90A:ACCUM_OFFSET: 0
; COMPUTE_PGM_RSRC3_GFX90A:TG_SPLIT: 0
	.section	.text._ZN7rocprim17ROCPRIM_400000_NS6detail17trampoline_kernelINS0_14default_configENS1_33run_length_encode_config_selectorIN3c108BFloat16EjNS0_4plusIjEEEEZZNS1_33reduce_by_key_impl_wrapped_configILNS1_25lookback_scan_determinismE0ES3_S9_PKS6_NS0_17constant_iteratorIjlEEPS6_PlSH_S8_NS0_8equal_toIS6_EEEE10hipError_tPvRmT2_T3_mT4_T5_T6_T7_T8_P12ihipStream_tbENKUlT_T0_E_clISt17integral_constantIbLb0EES10_IbLb1EEEEDaSW_SX_EUlSW_E_NS1_11comp_targetILNS1_3genE10ELNS1_11target_archE1201ELNS1_3gpuE5ELNS1_3repE0EEENS1_30default_config_static_selectorELNS0_4arch9wavefront6targetE1EEEvT1_,"axG",@progbits,_ZN7rocprim17ROCPRIM_400000_NS6detail17trampoline_kernelINS0_14default_configENS1_33run_length_encode_config_selectorIN3c108BFloat16EjNS0_4plusIjEEEEZZNS1_33reduce_by_key_impl_wrapped_configILNS1_25lookback_scan_determinismE0ES3_S9_PKS6_NS0_17constant_iteratorIjlEEPS6_PlSH_S8_NS0_8equal_toIS6_EEEE10hipError_tPvRmT2_T3_mT4_T5_T6_T7_T8_P12ihipStream_tbENKUlT_T0_E_clISt17integral_constantIbLb0EES10_IbLb1EEEEDaSW_SX_EUlSW_E_NS1_11comp_targetILNS1_3genE10ELNS1_11target_archE1201ELNS1_3gpuE5ELNS1_3repE0EEENS1_30default_config_static_selectorELNS0_4arch9wavefront6targetE1EEEvT1_,comdat
	.protected	_ZN7rocprim17ROCPRIM_400000_NS6detail17trampoline_kernelINS0_14default_configENS1_33run_length_encode_config_selectorIN3c108BFloat16EjNS0_4plusIjEEEEZZNS1_33reduce_by_key_impl_wrapped_configILNS1_25lookback_scan_determinismE0ES3_S9_PKS6_NS0_17constant_iteratorIjlEEPS6_PlSH_S8_NS0_8equal_toIS6_EEEE10hipError_tPvRmT2_T3_mT4_T5_T6_T7_T8_P12ihipStream_tbENKUlT_T0_E_clISt17integral_constantIbLb0EES10_IbLb1EEEEDaSW_SX_EUlSW_E_NS1_11comp_targetILNS1_3genE10ELNS1_11target_archE1201ELNS1_3gpuE5ELNS1_3repE0EEENS1_30default_config_static_selectorELNS0_4arch9wavefront6targetE1EEEvT1_ ; -- Begin function _ZN7rocprim17ROCPRIM_400000_NS6detail17trampoline_kernelINS0_14default_configENS1_33run_length_encode_config_selectorIN3c108BFloat16EjNS0_4plusIjEEEEZZNS1_33reduce_by_key_impl_wrapped_configILNS1_25lookback_scan_determinismE0ES3_S9_PKS6_NS0_17constant_iteratorIjlEEPS6_PlSH_S8_NS0_8equal_toIS6_EEEE10hipError_tPvRmT2_T3_mT4_T5_T6_T7_T8_P12ihipStream_tbENKUlT_T0_E_clISt17integral_constantIbLb0EES10_IbLb1EEEEDaSW_SX_EUlSW_E_NS1_11comp_targetILNS1_3genE10ELNS1_11target_archE1201ELNS1_3gpuE5ELNS1_3repE0EEENS1_30default_config_static_selectorELNS0_4arch9wavefront6targetE1EEEvT1_
	.globl	_ZN7rocprim17ROCPRIM_400000_NS6detail17trampoline_kernelINS0_14default_configENS1_33run_length_encode_config_selectorIN3c108BFloat16EjNS0_4plusIjEEEEZZNS1_33reduce_by_key_impl_wrapped_configILNS1_25lookback_scan_determinismE0ES3_S9_PKS6_NS0_17constant_iteratorIjlEEPS6_PlSH_S8_NS0_8equal_toIS6_EEEE10hipError_tPvRmT2_T3_mT4_T5_T6_T7_T8_P12ihipStream_tbENKUlT_T0_E_clISt17integral_constantIbLb0EES10_IbLb1EEEEDaSW_SX_EUlSW_E_NS1_11comp_targetILNS1_3genE10ELNS1_11target_archE1201ELNS1_3gpuE5ELNS1_3repE0EEENS1_30default_config_static_selectorELNS0_4arch9wavefront6targetE1EEEvT1_
	.p2align	8
	.type	_ZN7rocprim17ROCPRIM_400000_NS6detail17trampoline_kernelINS0_14default_configENS1_33run_length_encode_config_selectorIN3c108BFloat16EjNS0_4plusIjEEEEZZNS1_33reduce_by_key_impl_wrapped_configILNS1_25lookback_scan_determinismE0ES3_S9_PKS6_NS0_17constant_iteratorIjlEEPS6_PlSH_S8_NS0_8equal_toIS6_EEEE10hipError_tPvRmT2_T3_mT4_T5_T6_T7_T8_P12ihipStream_tbENKUlT_T0_E_clISt17integral_constantIbLb0EES10_IbLb1EEEEDaSW_SX_EUlSW_E_NS1_11comp_targetILNS1_3genE10ELNS1_11target_archE1201ELNS1_3gpuE5ELNS1_3repE0EEENS1_30default_config_static_selectorELNS0_4arch9wavefront6targetE1EEEvT1_,@function
_ZN7rocprim17ROCPRIM_400000_NS6detail17trampoline_kernelINS0_14default_configENS1_33run_length_encode_config_selectorIN3c108BFloat16EjNS0_4plusIjEEEEZZNS1_33reduce_by_key_impl_wrapped_configILNS1_25lookback_scan_determinismE0ES3_S9_PKS6_NS0_17constant_iteratorIjlEEPS6_PlSH_S8_NS0_8equal_toIS6_EEEE10hipError_tPvRmT2_T3_mT4_T5_T6_T7_T8_P12ihipStream_tbENKUlT_T0_E_clISt17integral_constantIbLb0EES10_IbLb1EEEEDaSW_SX_EUlSW_E_NS1_11comp_targetILNS1_3genE10ELNS1_11target_archE1201ELNS1_3gpuE5ELNS1_3repE0EEENS1_30default_config_static_selectorELNS0_4arch9wavefront6targetE1EEEvT1_: ; @_ZN7rocprim17ROCPRIM_400000_NS6detail17trampoline_kernelINS0_14default_configENS1_33run_length_encode_config_selectorIN3c108BFloat16EjNS0_4plusIjEEEEZZNS1_33reduce_by_key_impl_wrapped_configILNS1_25lookback_scan_determinismE0ES3_S9_PKS6_NS0_17constant_iteratorIjlEEPS6_PlSH_S8_NS0_8equal_toIS6_EEEE10hipError_tPvRmT2_T3_mT4_T5_T6_T7_T8_P12ihipStream_tbENKUlT_T0_E_clISt17integral_constantIbLb0EES10_IbLb1EEEEDaSW_SX_EUlSW_E_NS1_11comp_targetILNS1_3genE10ELNS1_11target_archE1201ELNS1_3gpuE5ELNS1_3repE0EEENS1_30default_config_static_selectorELNS0_4arch9wavefront6targetE1EEEvT1_
; %bb.0:
	.section	.rodata,"a",@progbits
	.p2align	6, 0x0
	.amdhsa_kernel _ZN7rocprim17ROCPRIM_400000_NS6detail17trampoline_kernelINS0_14default_configENS1_33run_length_encode_config_selectorIN3c108BFloat16EjNS0_4plusIjEEEEZZNS1_33reduce_by_key_impl_wrapped_configILNS1_25lookback_scan_determinismE0ES3_S9_PKS6_NS0_17constant_iteratorIjlEEPS6_PlSH_S8_NS0_8equal_toIS6_EEEE10hipError_tPvRmT2_T3_mT4_T5_T6_T7_T8_P12ihipStream_tbENKUlT_T0_E_clISt17integral_constantIbLb0EES10_IbLb1EEEEDaSW_SX_EUlSW_E_NS1_11comp_targetILNS1_3genE10ELNS1_11target_archE1201ELNS1_3gpuE5ELNS1_3repE0EEENS1_30default_config_static_selectorELNS0_4arch9wavefront6targetE1EEEvT1_
		.amdhsa_group_segment_fixed_size 0
		.amdhsa_private_segment_fixed_size 0
		.amdhsa_kernarg_size 128
		.amdhsa_user_sgpr_count 6
		.amdhsa_user_sgpr_private_segment_buffer 1
		.amdhsa_user_sgpr_dispatch_ptr 0
		.amdhsa_user_sgpr_queue_ptr 0
		.amdhsa_user_sgpr_kernarg_segment_ptr 1
		.amdhsa_user_sgpr_dispatch_id 0
		.amdhsa_user_sgpr_flat_scratch_init 0
		.amdhsa_user_sgpr_kernarg_preload_length 0
		.amdhsa_user_sgpr_kernarg_preload_offset 0
		.amdhsa_user_sgpr_private_segment_size 0
		.amdhsa_uses_dynamic_stack 0
		.amdhsa_system_sgpr_private_segment_wavefront_offset 0
		.amdhsa_system_sgpr_workgroup_id_x 1
		.amdhsa_system_sgpr_workgroup_id_y 0
		.amdhsa_system_sgpr_workgroup_id_z 0
		.amdhsa_system_sgpr_workgroup_info 0
		.amdhsa_system_vgpr_workitem_id 0
		.amdhsa_next_free_vgpr 1
		.amdhsa_next_free_sgpr 0
		.amdhsa_accum_offset 4
		.amdhsa_reserve_vcc 0
		.amdhsa_reserve_flat_scratch 0
		.amdhsa_float_round_mode_32 0
		.amdhsa_float_round_mode_16_64 0
		.amdhsa_float_denorm_mode_32 3
		.amdhsa_float_denorm_mode_16_64 3
		.amdhsa_dx10_clamp 1
		.amdhsa_ieee_mode 1
		.amdhsa_fp16_overflow 0
		.amdhsa_tg_split 0
		.amdhsa_exception_fp_ieee_invalid_op 0
		.amdhsa_exception_fp_denorm_src 0
		.amdhsa_exception_fp_ieee_div_zero 0
		.amdhsa_exception_fp_ieee_overflow 0
		.amdhsa_exception_fp_ieee_underflow 0
		.amdhsa_exception_fp_ieee_inexact 0
		.amdhsa_exception_int_div_zero 0
	.end_amdhsa_kernel
	.section	.text._ZN7rocprim17ROCPRIM_400000_NS6detail17trampoline_kernelINS0_14default_configENS1_33run_length_encode_config_selectorIN3c108BFloat16EjNS0_4plusIjEEEEZZNS1_33reduce_by_key_impl_wrapped_configILNS1_25lookback_scan_determinismE0ES3_S9_PKS6_NS0_17constant_iteratorIjlEEPS6_PlSH_S8_NS0_8equal_toIS6_EEEE10hipError_tPvRmT2_T3_mT4_T5_T6_T7_T8_P12ihipStream_tbENKUlT_T0_E_clISt17integral_constantIbLb0EES10_IbLb1EEEEDaSW_SX_EUlSW_E_NS1_11comp_targetILNS1_3genE10ELNS1_11target_archE1201ELNS1_3gpuE5ELNS1_3repE0EEENS1_30default_config_static_selectorELNS0_4arch9wavefront6targetE1EEEvT1_,"axG",@progbits,_ZN7rocprim17ROCPRIM_400000_NS6detail17trampoline_kernelINS0_14default_configENS1_33run_length_encode_config_selectorIN3c108BFloat16EjNS0_4plusIjEEEEZZNS1_33reduce_by_key_impl_wrapped_configILNS1_25lookback_scan_determinismE0ES3_S9_PKS6_NS0_17constant_iteratorIjlEEPS6_PlSH_S8_NS0_8equal_toIS6_EEEE10hipError_tPvRmT2_T3_mT4_T5_T6_T7_T8_P12ihipStream_tbENKUlT_T0_E_clISt17integral_constantIbLb0EES10_IbLb1EEEEDaSW_SX_EUlSW_E_NS1_11comp_targetILNS1_3genE10ELNS1_11target_archE1201ELNS1_3gpuE5ELNS1_3repE0EEENS1_30default_config_static_selectorELNS0_4arch9wavefront6targetE1EEEvT1_,comdat
.Lfunc_end888:
	.size	_ZN7rocprim17ROCPRIM_400000_NS6detail17trampoline_kernelINS0_14default_configENS1_33run_length_encode_config_selectorIN3c108BFloat16EjNS0_4plusIjEEEEZZNS1_33reduce_by_key_impl_wrapped_configILNS1_25lookback_scan_determinismE0ES3_S9_PKS6_NS0_17constant_iteratorIjlEEPS6_PlSH_S8_NS0_8equal_toIS6_EEEE10hipError_tPvRmT2_T3_mT4_T5_T6_T7_T8_P12ihipStream_tbENKUlT_T0_E_clISt17integral_constantIbLb0EES10_IbLb1EEEEDaSW_SX_EUlSW_E_NS1_11comp_targetILNS1_3genE10ELNS1_11target_archE1201ELNS1_3gpuE5ELNS1_3repE0EEENS1_30default_config_static_selectorELNS0_4arch9wavefront6targetE1EEEvT1_, .Lfunc_end888-_ZN7rocprim17ROCPRIM_400000_NS6detail17trampoline_kernelINS0_14default_configENS1_33run_length_encode_config_selectorIN3c108BFloat16EjNS0_4plusIjEEEEZZNS1_33reduce_by_key_impl_wrapped_configILNS1_25lookback_scan_determinismE0ES3_S9_PKS6_NS0_17constant_iteratorIjlEEPS6_PlSH_S8_NS0_8equal_toIS6_EEEE10hipError_tPvRmT2_T3_mT4_T5_T6_T7_T8_P12ihipStream_tbENKUlT_T0_E_clISt17integral_constantIbLb0EES10_IbLb1EEEEDaSW_SX_EUlSW_E_NS1_11comp_targetILNS1_3genE10ELNS1_11target_archE1201ELNS1_3gpuE5ELNS1_3repE0EEENS1_30default_config_static_selectorELNS0_4arch9wavefront6targetE1EEEvT1_
                                        ; -- End function
	.section	.AMDGPU.csdata,"",@progbits
; Kernel info:
; codeLenInByte = 0
; NumSgprs: 4
; NumVgprs: 0
; NumAgprs: 0
; TotalNumVgprs: 0
; ScratchSize: 0
; MemoryBound: 0
; FloatMode: 240
; IeeeMode: 1
; LDSByteSize: 0 bytes/workgroup (compile time only)
; SGPRBlocks: 0
; VGPRBlocks: 0
; NumSGPRsForWavesPerEU: 4
; NumVGPRsForWavesPerEU: 1
; AccumOffset: 4
; Occupancy: 8
; WaveLimiterHint : 0
; COMPUTE_PGM_RSRC2:SCRATCH_EN: 0
; COMPUTE_PGM_RSRC2:USER_SGPR: 6
; COMPUTE_PGM_RSRC2:TRAP_HANDLER: 0
; COMPUTE_PGM_RSRC2:TGID_X_EN: 1
; COMPUTE_PGM_RSRC2:TGID_Y_EN: 0
; COMPUTE_PGM_RSRC2:TGID_Z_EN: 0
; COMPUTE_PGM_RSRC2:TIDIG_COMP_CNT: 0
; COMPUTE_PGM_RSRC3_GFX90A:ACCUM_OFFSET: 0
; COMPUTE_PGM_RSRC3_GFX90A:TG_SPLIT: 0
	.section	.text._ZN7rocprim17ROCPRIM_400000_NS6detail17trampoline_kernelINS0_14default_configENS1_33run_length_encode_config_selectorIN3c108BFloat16EjNS0_4plusIjEEEEZZNS1_33reduce_by_key_impl_wrapped_configILNS1_25lookback_scan_determinismE0ES3_S9_PKS6_NS0_17constant_iteratorIjlEEPS6_PlSH_S8_NS0_8equal_toIS6_EEEE10hipError_tPvRmT2_T3_mT4_T5_T6_T7_T8_P12ihipStream_tbENKUlT_T0_E_clISt17integral_constantIbLb0EES10_IbLb1EEEEDaSW_SX_EUlSW_E_NS1_11comp_targetILNS1_3genE10ELNS1_11target_archE1200ELNS1_3gpuE4ELNS1_3repE0EEENS1_30default_config_static_selectorELNS0_4arch9wavefront6targetE1EEEvT1_,"axG",@progbits,_ZN7rocprim17ROCPRIM_400000_NS6detail17trampoline_kernelINS0_14default_configENS1_33run_length_encode_config_selectorIN3c108BFloat16EjNS0_4plusIjEEEEZZNS1_33reduce_by_key_impl_wrapped_configILNS1_25lookback_scan_determinismE0ES3_S9_PKS6_NS0_17constant_iteratorIjlEEPS6_PlSH_S8_NS0_8equal_toIS6_EEEE10hipError_tPvRmT2_T3_mT4_T5_T6_T7_T8_P12ihipStream_tbENKUlT_T0_E_clISt17integral_constantIbLb0EES10_IbLb1EEEEDaSW_SX_EUlSW_E_NS1_11comp_targetILNS1_3genE10ELNS1_11target_archE1200ELNS1_3gpuE4ELNS1_3repE0EEENS1_30default_config_static_selectorELNS0_4arch9wavefront6targetE1EEEvT1_,comdat
	.protected	_ZN7rocprim17ROCPRIM_400000_NS6detail17trampoline_kernelINS0_14default_configENS1_33run_length_encode_config_selectorIN3c108BFloat16EjNS0_4plusIjEEEEZZNS1_33reduce_by_key_impl_wrapped_configILNS1_25lookback_scan_determinismE0ES3_S9_PKS6_NS0_17constant_iteratorIjlEEPS6_PlSH_S8_NS0_8equal_toIS6_EEEE10hipError_tPvRmT2_T3_mT4_T5_T6_T7_T8_P12ihipStream_tbENKUlT_T0_E_clISt17integral_constantIbLb0EES10_IbLb1EEEEDaSW_SX_EUlSW_E_NS1_11comp_targetILNS1_3genE10ELNS1_11target_archE1200ELNS1_3gpuE4ELNS1_3repE0EEENS1_30default_config_static_selectorELNS0_4arch9wavefront6targetE1EEEvT1_ ; -- Begin function _ZN7rocprim17ROCPRIM_400000_NS6detail17trampoline_kernelINS0_14default_configENS1_33run_length_encode_config_selectorIN3c108BFloat16EjNS0_4plusIjEEEEZZNS1_33reduce_by_key_impl_wrapped_configILNS1_25lookback_scan_determinismE0ES3_S9_PKS6_NS0_17constant_iteratorIjlEEPS6_PlSH_S8_NS0_8equal_toIS6_EEEE10hipError_tPvRmT2_T3_mT4_T5_T6_T7_T8_P12ihipStream_tbENKUlT_T0_E_clISt17integral_constantIbLb0EES10_IbLb1EEEEDaSW_SX_EUlSW_E_NS1_11comp_targetILNS1_3genE10ELNS1_11target_archE1200ELNS1_3gpuE4ELNS1_3repE0EEENS1_30default_config_static_selectorELNS0_4arch9wavefront6targetE1EEEvT1_
	.globl	_ZN7rocprim17ROCPRIM_400000_NS6detail17trampoline_kernelINS0_14default_configENS1_33run_length_encode_config_selectorIN3c108BFloat16EjNS0_4plusIjEEEEZZNS1_33reduce_by_key_impl_wrapped_configILNS1_25lookback_scan_determinismE0ES3_S9_PKS6_NS0_17constant_iteratorIjlEEPS6_PlSH_S8_NS0_8equal_toIS6_EEEE10hipError_tPvRmT2_T3_mT4_T5_T6_T7_T8_P12ihipStream_tbENKUlT_T0_E_clISt17integral_constantIbLb0EES10_IbLb1EEEEDaSW_SX_EUlSW_E_NS1_11comp_targetILNS1_3genE10ELNS1_11target_archE1200ELNS1_3gpuE4ELNS1_3repE0EEENS1_30default_config_static_selectorELNS0_4arch9wavefront6targetE1EEEvT1_
	.p2align	8
	.type	_ZN7rocprim17ROCPRIM_400000_NS6detail17trampoline_kernelINS0_14default_configENS1_33run_length_encode_config_selectorIN3c108BFloat16EjNS0_4plusIjEEEEZZNS1_33reduce_by_key_impl_wrapped_configILNS1_25lookback_scan_determinismE0ES3_S9_PKS6_NS0_17constant_iteratorIjlEEPS6_PlSH_S8_NS0_8equal_toIS6_EEEE10hipError_tPvRmT2_T3_mT4_T5_T6_T7_T8_P12ihipStream_tbENKUlT_T0_E_clISt17integral_constantIbLb0EES10_IbLb1EEEEDaSW_SX_EUlSW_E_NS1_11comp_targetILNS1_3genE10ELNS1_11target_archE1200ELNS1_3gpuE4ELNS1_3repE0EEENS1_30default_config_static_selectorELNS0_4arch9wavefront6targetE1EEEvT1_,@function
_ZN7rocprim17ROCPRIM_400000_NS6detail17trampoline_kernelINS0_14default_configENS1_33run_length_encode_config_selectorIN3c108BFloat16EjNS0_4plusIjEEEEZZNS1_33reduce_by_key_impl_wrapped_configILNS1_25lookback_scan_determinismE0ES3_S9_PKS6_NS0_17constant_iteratorIjlEEPS6_PlSH_S8_NS0_8equal_toIS6_EEEE10hipError_tPvRmT2_T3_mT4_T5_T6_T7_T8_P12ihipStream_tbENKUlT_T0_E_clISt17integral_constantIbLb0EES10_IbLb1EEEEDaSW_SX_EUlSW_E_NS1_11comp_targetILNS1_3genE10ELNS1_11target_archE1200ELNS1_3gpuE4ELNS1_3repE0EEENS1_30default_config_static_selectorELNS0_4arch9wavefront6targetE1EEEvT1_: ; @_ZN7rocprim17ROCPRIM_400000_NS6detail17trampoline_kernelINS0_14default_configENS1_33run_length_encode_config_selectorIN3c108BFloat16EjNS0_4plusIjEEEEZZNS1_33reduce_by_key_impl_wrapped_configILNS1_25lookback_scan_determinismE0ES3_S9_PKS6_NS0_17constant_iteratorIjlEEPS6_PlSH_S8_NS0_8equal_toIS6_EEEE10hipError_tPvRmT2_T3_mT4_T5_T6_T7_T8_P12ihipStream_tbENKUlT_T0_E_clISt17integral_constantIbLb0EES10_IbLb1EEEEDaSW_SX_EUlSW_E_NS1_11comp_targetILNS1_3genE10ELNS1_11target_archE1200ELNS1_3gpuE4ELNS1_3repE0EEENS1_30default_config_static_selectorELNS0_4arch9wavefront6targetE1EEEvT1_
; %bb.0:
	.section	.rodata,"a",@progbits
	.p2align	6, 0x0
	.amdhsa_kernel _ZN7rocprim17ROCPRIM_400000_NS6detail17trampoline_kernelINS0_14default_configENS1_33run_length_encode_config_selectorIN3c108BFloat16EjNS0_4plusIjEEEEZZNS1_33reduce_by_key_impl_wrapped_configILNS1_25lookback_scan_determinismE0ES3_S9_PKS6_NS0_17constant_iteratorIjlEEPS6_PlSH_S8_NS0_8equal_toIS6_EEEE10hipError_tPvRmT2_T3_mT4_T5_T6_T7_T8_P12ihipStream_tbENKUlT_T0_E_clISt17integral_constantIbLb0EES10_IbLb1EEEEDaSW_SX_EUlSW_E_NS1_11comp_targetILNS1_3genE10ELNS1_11target_archE1200ELNS1_3gpuE4ELNS1_3repE0EEENS1_30default_config_static_selectorELNS0_4arch9wavefront6targetE1EEEvT1_
		.amdhsa_group_segment_fixed_size 0
		.amdhsa_private_segment_fixed_size 0
		.amdhsa_kernarg_size 128
		.amdhsa_user_sgpr_count 6
		.amdhsa_user_sgpr_private_segment_buffer 1
		.amdhsa_user_sgpr_dispatch_ptr 0
		.amdhsa_user_sgpr_queue_ptr 0
		.amdhsa_user_sgpr_kernarg_segment_ptr 1
		.amdhsa_user_sgpr_dispatch_id 0
		.amdhsa_user_sgpr_flat_scratch_init 0
		.amdhsa_user_sgpr_kernarg_preload_length 0
		.amdhsa_user_sgpr_kernarg_preload_offset 0
		.amdhsa_user_sgpr_private_segment_size 0
		.amdhsa_uses_dynamic_stack 0
		.amdhsa_system_sgpr_private_segment_wavefront_offset 0
		.amdhsa_system_sgpr_workgroup_id_x 1
		.amdhsa_system_sgpr_workgroup_id_y 0
		.amdhsa_system_sgpr_workgroup_id_z 0
		.amdhsa_system_sgpr_workgroup_info 0
		.amdhsa_system_vgpr_workitem_id 0
		.amdhsa_next_free_vgpr 1
		.amdhsa_next_free_sgpr 0
		.amdhsa_accum_offset 4
		.amdhsa_reserve_vcc 0
		.amdhsa_reserve_flat_scratch 0
		.amdhsa_float_round_mode_32 0
		.amdhsa_float_round_mode_16_64 0
		.amdhsa_float_denorm_mode_32 3
		.amdhsa_float_denorm_mode_16_64 3
		.amdhsa_dx10_clamp 1
		.amdhsa_ieee_mode 1
		.amdhsa_fp16_overflow 0
		.amdhsa_tg_split 0
		.amdhsa_exception_fp_ieee_invalid_op 0
		.amdhsa_exception_fp_denorm_src 0
		.amdhsa_exception_fp_ieee_div_zero 0
		.amdhsa_exception_fp_ieee_overflow 0
		.amdhsa_exception_fp_ieee_underflow 0
		.amdhsa_exception_fp_ieee_inexact 0
		.amdhsa_exception_int_div_zero 0
	.end_amdhsa_kernel
	.section	.text._ZN7rocprim17ROCPRIM_400000_NS6detail17trampoline_kernelINS0_14default_configENS1_33run_length_encode_config_selectorIN3c108BFloat16EjNS0_4plusIjEEEEZZNS1_33reduce_by_key_impl_wrapped_configILNS1_25lookback_scan_determinismE0ES3_S9_PKS6_NS0_17constant_iteratorIjlEEPS6_PlSH_S8_NS0_8equal_toIS6_EEEE10hipError_tPvRmT2_T3_mT4_T5_T6_T7_T8_P12ihipStream_tbENKUlT_T0_E_clISt17integral_constantIbLb0EES10_IbLb1EEEEDaSW_SX_EUlSW_E_NS1_11comp_targetILNS1_3genE10ELNS1_11target_archE1200ELNS1_3gpuE4ELNS1_3repE0EEENS1_30default_config_static_selectorELNS0_4arch9wavefront6targetE1EEEvT1_,"axG",@progbits,_ZN7rocprim17ROCPRIM_400000_NS6detail17trampoline_kernelINS0_14default_configENS1_33run_length_encode_config_selectorIN3c108BFloat16EjNS0_4plusIjEEEEZZNS1_33reduce_by_key_impl_wrapped_configILNS1_25lookback_scan_determinismE0ES3_S9_PKS6_NS0_17constant_iteratorIjlEEPS6_PlSH_S8_NS0_8equal_toIS6_EEEE10hipError_tPvRmT2_T3_mT4_T5_T6_T7_T8_P12ihipStream_tbENKUlT_T0_E_clISt17integral_constantIbLb0EES10_IbLb1EEEEDaSW_SX_EUlSW_E_NS1_11comp_targetILNS1_3genE10ELNS1_11target_archE1200ELNS1_3gpuE4ELNS1_3repE0EEENS1_30default_config_static_selectorELNS0_4arch9wavefront6targetE1EEEvT1_,comdat
.Lfunc_end889:
	.size	_ZN7rocprim17ROCPRIM_400000_NS6detail17trampoline_kernelINS0_14default_configENS1_33run_length_encode_config_selectorIN3c108BFloat16EjNS0_4plusIjEEEEZZNS1_33reduce_by_key_impl_wrapped_configILNS1_25lookback_scan_determinismE0ES3_S9_PKS6_NS0_17constant_iteratorIjlEEPS6_PlSH_S8_NS0_8equal_toIS6_EEEE10hipError_tPvRmT2_T3_mT4_T5_T6_T7_T8_P12ihipStream_tbENKUlT_T0_E_clISt17integral_constantIbLb0EES10_IbLb1EEEEDaSW_SX_EUlSW_E_NS1_11comp_targetILNS1_3genE10ELNS1_11target_archE1200ELNS1_3gpuE4ELNS1_3repE0EEENS1_30default_config_static_selectorELNS0_4arch9wavefront6targetE1EEEvT1_, .Lfunc_end889-_ZN7rocprim17ROCPRIM_400000_NS6detail17trampoline_kernelINS0_14default_configENS1_33run_length_encode_config_selectorIN3c108BFloat16EjNS0_4plusIjEEEEZZNS1_33reduce_by_key_impl_wrapped_configILNS1_25lookback_scan_determinismE0ES3_S9_PKS6_NS0_17constant_iteratorIjlEEPS6_PlSH_S8_NS0_8equal_toIS6_EEEE10hipError_tPvRmT2_T3_mT4_T5_T6_T7_T8_P12ihipStream_tbENKUlT_T0_E_clISt17integral_constantIbLb0EES10_IbLb1EEEEDaSW_SX_EUlSW_E_NS1_11comp_targetILNS1_3genE10ELNS1_11target_archE1200ELNS1_3gpuE4ELNS1_3repE0EEENS1_30default_config_static_selectorELNS0_4arch9wavefront6targetE1EEEvT1_
                                        ; -- End function
	.section	.AMDGPU.csdata,"",@progbits
; Kernel info:
; codeLenInByte = 0
; NumSgprs: 4
; NumVgprs: 0
; NumAgprs: 0
; TotalNumVgprs: 0
; ScratchSize: 0
; MemoryBound: 0
; FloatMode: 240
; IeeeMode: 1
; LDSByteSize: 0 bytes/workgroup (compile time only)
; SGPRBlocks: 0
; VGPRBlocks: 0
; NumSGPRsForWavesPerEU: 4
; NumVGPRsForWavesPerEU: 1
; AccumOffset: 4
; Occupancy: 8
; WaveLimiterHint : 0
; COMPUTE_PGM_RSRC2:SCRATCH_EN: 0
; COMPUTE_PGM_RSRC2:USER_SGPR: 6
; COMPUTE_PGM_RSRC2:TRAP_HANDLER: 0
; COMPUTE_PGM_RSRC2:TGID_X_EN: 1
; COMPUTE_PGM_RSRC2:TGID_Y_EN: 0
; COMPUTE_PGM_RSRC2:TGID_Z_EN: 0
; COMPUTE_PGM_RSRC2:TIDIG_COMP_CNT: 0
; COMPUTE_PGM_RSRC3_GFX90A:ACCUM_OFFSET: 0
; COMPUTE_PGM_RSRC3_GFX90A:TG_SPLIT: 0
	.section	.text._ZN7rocprim17ROCPRIM_400000_NS6detail17trampoline_kernelINS0_14default_configENS1_33run_length_encode_config_selectorIN3c108BFloat16EjNS0_4plusIjEEEEZZNS1_33reduce_by_key_impl_wrapped_configILNS1_25lookback_scan_determinismE0ES3_S9_PKS6_NS0_17constant_iteratorIjlEEPS6_PlSH_S8_NS0_8equal_toIS6_EEEE10hipError_tPvRmT2_T3_mT4_T5_T6_T7_T8_P12ihipStream_tbENKUlT_T0_E_clISt17integral_constantIbLb0EES10_IbLb1EEEEDaSW_SX_EUlSW_E_NS1_11comp_targetILNS1_3genE9ELNS1_11target_archE1100ELNS1_3gpuE3ELNS1_3repE0EEENS1_30default_config_static_selectorELNS0_4arch9wavefront6targetE1EEEvT1_,"axG",@progbits,_ZN7rocprim17ROCPRIM_400000_NS6detail17trampoline_kernelINS0_14default_configENS1_33run_length_encode_config_selectorIN3c108BFloat16EjNS0_4plusIjEEEEZZNS1_33reduce_by_key_impl_wrapped_configILNS1_25lookback_scan_determinismE0ES3_S9_PKS6_NS0_17constant_iteratorIjlEEPS6_PlSH_S8_NS0_8equal_toIS6_EEEE10hipError_tPvRmT2_T3_mT4_T5_T6_T7_T8_P12ihipStream_tbENKUlT_T0_E_clISt17integral_constantIbLb0EES10_IbLb1EEEEDaSW_SX_EUlSW_E_NS1_11comp_targetILNS1_3genE9ELNS1_11target_archE1100ELNS1_3gpuE3ELNS1_3repE0EEENS1_30default_config_static_selectorELNS0_4arch9wavefront6targetE1EEEvT1_,comdat
	.protected	_ZN7rocprim17ROCPRIM_400000_NS6detail17trampoline_kernelINS0_14default_configENS1_33run_length_encode_config_selectorIN3c108BFloat16EjNS0_4plusIjEEEEZZNS1_33reduce_by_key_impl_wrapped_configILNS1_25lookback_scan_determinismE0ES3_S9_PKS6_NS0_17constant_iteratorIjlEEPS6_PlSH_S8_NS0_8equal_toIS6_EEEE10hipError_tPvRmT2_T3_mT4_T5_T6_T7_T8_P12ihipStream_tbENKUlT_T0_E_clISt17integral_constantIbLb0EES10_IbLb1EEEEDaSW_SX_EUlSW_E_NS1_11comp_targetILNS1_3genE9ELNS1_11target_archE1100ELNS1_3gpuE3ELNS1_3repE0EEENS1_30default_config_static_selectorELNS0_4arch9wavefront6targetE1EEEvT1_ ; -- Begin function _ZN7rocprim17ROCPRIM_400000_NS6detail17trampoline_kernelINS0_14default_configENS1_33run_length_encode_config_selectorIN3c108BFloat16EjNS0_4plusIjEEEEZZNS1_33reduce_by_key_impl_wrapped_configILNS1_25lookback_scan_determinismE0ES3_S9_PKS6_NS0_17constant_iteratorIjlEEPS6_PlSH_S8_NS0_8equal_toIS6_EEEE10hipError_tPvRmT2_T3_mT4_T5_T6_T7_T8_P12ihipStream_tbENKUlT_T0_E_clISt17integral_constantIbLb0EES10_IbLb1EEEEDaSW_SX_EUlSW_E_NS1_11comp_targetILNS1_3genE9ELNS1_11target_archE1100ELNS1_3gpuE3ELNS1_3repE0EEENS1_30default_config_static_selectorELNS0_4arch9wavefront6targetE1EEEvT1_
	.globl	_ZN7rocprim17ROCPRIM_400000_NS6detail17trampoline_kernelINS0_14default_configENS1_33run_length_encode_config_selectorIN3c108BFloat16EjNS0_4plusIjEEEEZZNS1_33reduce_by_key_impl_wrapped_configILNS1_25lookback_scan_determinismE0ES3_S9_PKS6_NS0_17constant_iteratorIjlEEPS6_PlSH_S8_NS0_8equal_toIS6_EEEE10hipError_tPvRmT2_T3_mT4_T5_T6_T7_T8_P12ihipStream_tbENKUlT_T0_E_clISt17integral_constantIbLb0EES10_IbLb1EEEEDaSW_SX_EUlSW_E_NS1_11comp_targetILNS1_3genE9ELNS1_11target_archE1100ELNS1_3gpuE3ELNS1_3repE0EEENS1_30default_config_static_selectorELNS0_4arch9wavefront6targetE1EEEvT1_
	.p2align	8
	.type	_ZN7rocprim17ROCPRIM_400000_NS6detail17trampoline_kernelINS0_14default_configENS1_33run_length_encode_config_selectorIN3c108BFloat16EjNS0_4plusIjEEEEZZNS1_33reduce_by_key_impl_wrapped_configILNS1_25lookback_scan_determinismE0ES3_S9_PKS6_NS0_17constant_iteratorIjlEEPS6_PlSH_S8_NS0_8equal_toIS6_EEEE10hipError_tPvRmT2_T3_mT4_T5_T6_T7_T8_P12ihipStream_tbENKUlT_T0_E_clISt17integral_constantIbLb0EES10_IbLb1EEEEDaSW_SX_EUlSW_E_NS1_11comp_targetILNS1_3genE9ELNS1_11target_archE1100ELNS1_3gpuE3ELNS1_3repE0EEENS1_30default_config_static_selectorELNS0_4arch9wavefront6targetE1EEEvT1_,@function
_ZN7rocprim17ROCPRIM_400000_NS6detail17trampoline_kernelINS0_14default_configENS1_33run_length_encode_config_selectorIN3c108BFloat16EjNS0_4plusIjEEEEZZNS1_33reduce_by_key_impl_wrapped_configILNS1_25lookback_scan_determinismE0ES3_S9_PKS6_NS0_17constant_iteratorIjlEEPS6_PlSH_S8_NS0_8equal_toIS6_EEEE10hipError_tPvRmT2_T3_mT4_T5_T6_T7_T8_P12ihipStream_tbENKUlT_T0_E_clISt17integral_constantIbLb0EES10_IbLb1EEEEDaSW_SX_EUlSW_E_NS1_11comp_targetILNS1_3genE9ELNS1_11target_archE1100ELNS1_3gpuE3ELNS1_3repE0EEENS1_30default_config_static_selectorELNS0_4arch9wavefront6targetE1EEEvT1_: ; @_ZN7rocprim17ROCPRIM_400000_NS6detail17trampoline_kernelINS0_14default_configENS1_33run_length_encode_config_selectorIN3c108BFloat16EjNS0_4plusIjEEEEZZNS1_33reduce_by_key_impl_wrapped_configILNS1_25lookback_scan_determinismE0ES3_S9_PKS6_NS0_17constant_iteratorIjlEEPS6_PlSH_S8_NS0_8equal_toIS6_EEEE10hipError_tPvRmT2_T3_mT4_T5_T6_T7_T8_P12ihipStream_tbENKUlT_T0_E_clISt17integral_constantIbLb0EES10_IbLb1EEEEDaSW_SX_EUlSW_E_NS1_11comp_targetILNS1_3genE9ELNS1_11target_archE1100ELNS1_3gpuE3ELNS1_3repE0EEENS1_30default_config_static_selectorELNS0_4arch9wavefront6targetE1EEEvT1_
; %bb.0:
	.section	.rodata,"a",@progbits
	.p2align	6, 0x0
	.amdhsa_kernel _ZN7rocprim17ROCPRIM_400000_NS6detail17trampoline_kernelINS0_14default_configENS1_33run_length_encode_config_selectorIN3c108BFloat16EjNS0_4plusIjEEEEZZNS1_33reduce_by_key_impl_wrapped_configILNS1_25lookback_scan_determinismE0ES3_S9_PKS6_NS0_17constant_iteratorIjlEEPS6_PlSH_S8_NS0_8equal_toIS6_EEEE10hipError_tPvRmT2_T3_mT4_T5_T6_T7_T8_P12ihipStream_tbENKUlT_T0_E_clISt17integral_constantIbLb0EES10_IbLb1EEEEDaSW_SX_EUlSW_E_NS1_11comp_targetILNS1_3genE9ELNS1_11target_archE1100ELNS1_3gpuE3ELNS1_3repE0EEENS1_30default_config_static_selectorELNS0_4arch9wavefront6targetE1EEEvT1_
		.amdhsa_group_segment_fixed_size 0
		.amdhsa_private_segment_fixed_size 0
		.amdhsa_kernarg_size 128
		.amdhsa_user_sgpr_count 6
		.amdhsa_user_sgpr_private_segment_buffer 1
		.amdhsa_user_sgpr_dispatch_ptr 0
		.amdhsa_user_sgpr_queue_ptr 0
		.amdhsa_user_sgpr_kernarg_segment_ptr 1
		.amdhsa_user_sgpr_dispatch_id 0
		.amdhsa_user_sgpr_flat_scratch_init 0
		.amdhsa_user_sgpr_kernarg_preload_length 0
		.amdhsa_user_sgpr_kernarg_preload_offset 0
		.amdhsa_user_sgpr_private_segment_size 0
		.amdhsa_uses_dynamic_stack 0
		.amdhsa_system_sgpr_private_segment_wavefront_offset 0
		.amdhsa_system_sgpr_workgroup_id_x 1
		.amdhsa_system_sgpr_workgroup_id_y 0
		.amdhsa_system_sgpr_workgroup_id_z 0
		.amdhsa_system_sgpr_workgroup_info 0
		.amdhsa_system_vgpr_workitem_id 0
		.amdhsa_next_free_vgpr 1
		.amdhsa_next_free_sgpr 0
		.amdhsa_accum_offset 4
		.amdhsa_reserve_vcc 0
		.amdhsa_reserve_flat_scratch 0
		.amdhsa_float_round_mode_32 0
		.amdhsa_float_round_mode_16_64 0
		.amdhsa_float_denorm_mode_32 3
		.amdhsa_float_denorm_mode_16_64 3
		.amdhsa_dx10_clamp 1
		.amdhsa_ieee_mode 1
		.amdhsa_fp16_overflow 0
		.amdhsa_tg_split 0
		.amdhsa_exception_fp_ieee_invalid_op 0
		.amdhsa_exception_fp_denorm_src 0
		.amdhsa_exception_fp_ieee_div_zero 0
		.amdhsa_exception_fp_ieee_overflow 0
		.amdhsa_exception_fp_ieee_underflow 0
		.amdhsa_exception_fp_ieee_inexact 0
		.amdhsa_exception_int_div_zero 0
	.end_amdhsa_kernel
	.section	.text._ZN7rocprim17ROCPRIM_400000_NS6detail17trampoline_kernelINS0_14default_configENS1_33run_length_encode_config_selectorIN3c108BFloat16EjNS0_4plusIjEEEEZZNS1_33reduce_by_key_impl_wrapped_configILNS1_25lookback_scan_determinismE0ES3_S9_PKS6_NS0_17constant_iteratorIjlEEPS6_PlSH_S8_NS0_8equal_toIS6_EEEE10hipError_tPvRmT2_T3_mT4_T5_T6_T7_T8_P12ihipStream_tbENKUlT_T0_E_clISt17integral_constantIbLb0EES10_IbLb1EEEEDaSW_SX_EUlSW_E_NS1_11comp_targetILNS1_3genE9ELNS1_11target_archE1100ELNS1_3gpuE3ELNS1_3repE0EEENS1_30default_config_static_selectorELNS0_4arch9wavefront6targetE1EEEvT1_,"axG",@progbits,_ZN7rocprim17ROCPRIM_400000_NS6detail17trampoline_kernelINS0_14default_configENS1_33run_length_encode_config_selectorIN3c108BFloat16EjNS0_4plusIjEEEEZZNS1_33reduce_by_key_impl_wrapped_configILNS1_25lookback_scan_determinismE0ES3_S9_PKS6_NS0_17constant_iteratorIjlEEPS6_PlSH_S8_NS0_8equal_toIS6_EEEE10hipError_tPvRmT2_T3_mT4_T5_T6_T7_T8_P12ihipStream_tbENKUlT_T0_E_clISt17integral_constantIbLb0EES10_IbLb1EEEEDaSW_SX_EUlSW_E_NS1_11comp_targetILNS1_3genE9ELNS1_11target_archE1100ELNS1_3gpuE3ELNS1_3repE0EEENS1_30default_config_static_selectorELNS0_4arch9wavefront6targetE1EEEvT1_,comdat
.Lfunc_end890:
	.size	_ZN7rocprim17ROCPRIM_400000_NS6detail17trampoline_kernelINS0_14default_configENS1_33run_length_encode_config_selectorIN3c108BFloat16EjNS0_4plusIjEEEEZZNS1_33reduce_by_key_impl_wrapped_configILNS1_25lookback_scan_determinismE0ES3_S9_PKS6_NS0_17constant_iteratorIjlEEPS6_PlSH_S8_NS0_8equal_toIS6_EEEE10hipError_tPvRmT2_T3_mT4_T5_T6_T7_T8_P12ihipStream_tbENKUlT_T0_E_clISt17integral_constantIbLb0EES10_IbLb1EEEEDaSW_SX_EUlSW_E_NS1_11comp_targetILNS1_3genE9ELNS1_11target_archE1100ELNS1_3gpuE3ELNS1_3repE0EEENS1_30default_config_static_selectorELNS0_4arch9wavefront6targetE1EEEvT1_, .Lfunc_end890-_ZN7rocprim17ROCPRIM_400000_NS6detail17trampoline_kernelINS0_14default_configENS1_33run_length_encode_config_selectorIN3c108BFloat16EjNS0_4plusIjEEEEZZNS1_33reduce_by_key_impl_wrapped_configILNS1_25lookback_scan_determinismE0ES3_S9_PKS6_NS0_17constant_iteratorIjlEEPS6_PlSH_S8_NS0_8equal_toIS6_EEEE10hipError_tPvRmT2_T3_mT4_T5_T6_T7_T8_P12ihipStream_tbENKUlT_T0_E_clISt17integral_constantIbLb0EES10_IbLb1EEEEDaSW_SX_EUlSW_E_NS1_11comp_targetILNS1_3genE9ELNS1_11target_archE1100ELNS1_3gpuE3ELNS1_3repE0EEENS1_30default_config_static_selectorELNS0_4arch9wavefront6targetE1EEEvT1_
                                        ; -- End function
	.section	.AMDGPU.csdata,"",@progbits
; Kernel info:
; codeLenInByte = 0
; NumSgprs: 4
; NumVgprs: 0
; NumAgprs: 0
; TotalNumVgprs: 0
; ScratchSize: 0
; MemoryBound: 0
; FloatMode: 240
; IeeeMode: 1
; LDSByteSize: 0 bytes/workgroup (compile time only)
; SGPRBlocks: 0
; VGPRBlocks: 0
; NumSGPRsForWavesPerEU: 4
; NumVGPRsForWavesPerEU: 1
; AccumOffset: 4
; Occupancy: 8
; WaveLimiterHint : 0
; COMPUTE_PGM_RSRC2:SCRATCH_EN: 0
; COMPUTE_PGM_RSRC2:USER_SGPR: 6
; COMPUTE_PGM_RSRC2:TRAP_HANDLER: 0
; COMPUTE_PGM_RSRC2:TGID_X_EN: 1
; COMPUTE_PGM_RSRC2:TGID_Y_EN: 0
; COMPUTE_PGM_RSRC2:TGID_Z_EN: 0
; COMPUTE_PGM_RSRC2:TIDIG_COMP_CNT: 0
; COMPUTE_PGM_RSRC3_GFX90A:ACCUM_OFFSET: 0
; COMPUTE_PGM_RSRC3_GFX90A:TG_SPLIT: 0
	.section	.text._ZN7rocprim17ROCPRIM_400000_NS6detail17trampoline_kernelINS0_14default_configENS1_33run_length_encode_config_selectorIN3c108BFloat16EjNS0_4plusIjEEEEZZNS1_33reduce_by_key_impl_wrapped_configILNS1_25lookback_scan_determinismE0ES3_S9_PKS6_NS0_17constant_iteratorIjlEEPS6_PlSH_S8_NS0_8equal_toIS6_EEEE10hipError_tPvRmT2_T3_mT4_T5_T6_T7_T8_P12ihipStream_tbENKUlT_T0_E_clISt17integral_constantIbLb0EES10_IbLb1EEEEDaSW_SX_EUlSW_E_NS1_11comp_targetILNS1_3genE8ELNS1_11target_archE1030ELNS1_3gpuE2ELNS1_3repE0EEENS1_30default_config_static_selectorELNS0_4arch9wavefront6targetE1EEEvT1_,"axG",@progbits,_ZN7rocprim17ROCPRIM_400000_NS6detail17trampoline_kernelINS0_14default_configENS1_33run_length_encode_config_selectorIN3c108BFloat16EjNS0_4plusIjEEEEZZNS1_33reduce_by_key_impl_wrapped_configILNS1_25lookback_scan_determinismE0ES3_S9_PKS6_NS0_17constant_iteratorIjlEEPS6_PlSH_S8_NS0_8equal_toIS6_EEEE10hipError_tPvRmT2_T3_mT4_T5_T6_T7_T8_P12ihipStream_tbENKUlT_T0_E_clISt17integral_constantIbLb0EES10_IbLb1EEEEDaSW_SX_EUlSW_E_NS1_11comp_targetILNS1_3genE8ELNS1_11target_archE1030ELNS1_3gpuE2ELNS1_3repE0EEENS1_30default_config_static_selectorELNS0_4arch9wavefront6targetE1EEEvT1_,comdat
	.protected	_ZN7rocprim17ROCPRIM_400000_NS6detail17trampoline_kernelINS0_14default_configENS1_33run_length_encode_config_selectorIN3c108BFloat16EjNS0_4plusIjEEEEZZNS1_33reduce_by_key_impl_wrapped_configILNS1_25lookback_scan_determinismE0ES3_S9_PKS6_NS0_17constant_iteratorIjlEEPS6_PlSH_S8_NS0_8equal_toIS6_EEEE10hipError_tPvRmT2_T3_mT4_T5_T6_T7_T8_P12ihipStream_tbENKUlT_T0_E_clISt17integral_constantIbLb0EES10_IbLb1EEEEDaSW_SX_EUlSW_E_NS1_11comp_targetILNS1_3genE8ELNS1_11target_archE1030ELNS1_3gpuE2ELNS1_3repE0EEENS1_30default_config_static_selectorELNS0_4arch9wavefront6targetE1EEEvT1_ ; -- Begin function _ZN7rocprim17ROCPRIM_400000_NS6detail17trampoline_kernelINS0_14default_configENS1_33run_length_encode_config_selectorIN3c108BFloat16EjNS0_4plusIjEEEEZZNS1_33reduce_by_key_impl_wrapped_configILNS1_25lookback_scan_determinismE0ES3_S9_PKS6_NS0_17constant_iteratorIjlEEPS6_PlSH_S8_NS0_8equal_toIS6_EEEE10hipError_tPvRmT2_T3_mT4_T5_T6_T7_T8_P12ihipStream_tbENKUlT_T0_E_clISt17integral_constantIbLb0EES10_IbLb1EEEEDaSW_SX_EUlSW_E_NS1_11comp_targetILNS1_3genE8ELNS1_11target_archE1030ELNS1_3gpuE2ELNS1_3repE0EEENS1_30default_config_static_selectorELNS0_4arch9wavefront6targetE1EEEvT1_
	.globl	_ZN7rocprim17ROCPRIM_400000_NS6detail17trampoline_kernelINS0_14default_configENS1_33run_length_encode_config_selectorIN3c108BFloat16EjNS0_4plusIjEEEEZZNS1_33reduce_by_key_impl_wrapped_configILNS1_25lookback_scan_determinismE0ES3_S9_PKS6_NS0_17constant_iteratorIjlEEPS6_PlSH_S8_NS0_8equal_toIS6_EEEE10hipError_tPvRmT2_T3_mT4_T5_T6_T7_T8_P12ihipStream_tbENKUlT_T0_E_clISt17integral_constantIbLb0EES10_IbLb1EEEEDaSW_SX_EUlSW_E_NS1_11comp_targetILNS1_3genE8ELNS1_11target_archE1030ELNS1_3gpuE2ELNS1_3repE0EEENS1_30default_config_static_selectorELNS0_4arch9wavefront6targetE1EEEvT1_
	.p2align	8
	.type	_ZN7rocprim17ROCPRIM_400000_NS6detail17trampoline_kernelINS0_14default_configENS1_33run_length_encode_config_selectorIN3c108BFloat16EjNS0_4plusIjEEEEZZNS1_33reduce_by_key_impl_wrapped_configILNS1_25lookback_scan_determinismE0ES3_S9_PKS6_NS0_17constant_iteratorIjlEEPS6_PlSH_S8_NS0_8equal_toIS6_EEEE10hipError_tPvRmT2_T3_mT4_T5_T6_T7_T8_P12ihipStream_tbENKUlT_T0_E_clISt17integral_constantIbLb0EES10_IbLb1EEEEDaSW_SX_EUlSW_E_NS1_11comp_targetILNS1_3genE8ELNS1_11target_archE1030ELNS1_3gpuE2ELNS1_3repE0EEENS1_30default_config_static_selectorELNS0_4arch9wavefront6targetE1EEEvT1_,@function
_ZN7rocprim17ROCPRIM_400000_NS6detail17trampoline_kernelINS0_14default_configENS1_33run_length_encode_config_selectorIN3c108BFloat16EjNS0_4plusIjEEEEZZNS1_33reduce_by_key_impl_wrapped_configILNS1_25lookback_scan_determinismE0ES3_S9_PKS6_NS0_17constant_iteratorIjlEEPS6_PlSH_S8_NS0_8equal_toIS6_EEEE10hipError_tPvRmT2_T3_mT4_T5_T6_T7_T8_P12ihipStream_tbENKUlT_T0_E_clISt17integral_constantIbLb0EES10_IbLb1EEEEDaSW_SX_EUlSW_E_NS1_11comp_targetILNS1_3genE8ELNS1_11target_archE1030ELNS1_3gpuE2ELNS1_3repE0EEENS1_30default_config_static_selectorELNS0_4arch9wavefront6targetE1EEEvT1_: ; @_ZN7rocprim17ROCPRIM_400000_NS6detail17trampoline_kernelINS0_14default_configENS1_33run_length_encode_config_selectorIN3c108BFloat16EjNS0_4plusIjEEEEZZNS1_33reduce_by_key_impl_wrapped_configILNS1_25lookback_scan_determinismE0ES3_S9_PKS6_NS0_17constant_iteratorIjlEEPS6_PlSH_S8_NS0_8equal_toIS6_EEEE10hipError_tPvRmT2_T3_mT4_T5_T6_T7_T8_P12ihipStream_tbENKUlT_T0_E_clISt17integral_constantIbLb0EES10_IbLb1EEEEDaSW_SX_EUlSW_E_NS1_11comp_targetILNS1_3genE8ELNS1_11target_archE1030ELNS1_3gpuE2ELNS1_3repE0EEENS1_30default_config_static_selectorELNS0_4arch9wavefront6targetE1EEEvT1_
; %bb.0:
	.section	.rodata,"a",@progbits
	.p2align	6, 0x0
	.amdhsa_kernel _ZN7rocprim17ROCPRIM_400000_NS6detail17trampoline_kernelINS0_14default_configENS1_33run_length_encode_config_selectorIN3c108BFloat16EjNS0_4plusIjEEEEZZNS1_33reduce_by_key_impl_wrapped_configILNS1_25lookback_scan_determinismE0ES3_S9_PKS6_NS0_17constant_iteratorIjlEEPS6_PlSH_S8_NS0_8equal_toIS6_EEEE10hipError_tPvRmT2_T3_mT4_T5_T6_T7_T8_P12ihipStream_tbENKUlT_T0_E_clISt17integral_constantIbLb0EES10_IbLb1EEEEDaSW_SX_EUlSW_E_NS1_11comp_targetILNS1_3genE8ELNS1_11target_archE1030ELNS1_3gpuE2ELNS1_3repE0EEENS1_30default_config_static_selectorELNS0_4arch9wavefront6targetE1EEEvT1_
		.amdhsa_group_segment_fixed_size 0
		.amdhsa_private_segment_fixed_size 0
		.amdhsa_kernarg_size 128
		.amdhsa_user_sgpr_count 6
		.amdhsa_user_sgpr_private_segment_buffer 1
		.amdhsa_user_sgpr_dispatch_ptr 0
		.amdhsa_user_sgpr_queue_ptr 0
		.amdhsa_user_sgpr_kernarg_segment_ptr 1
		.amdhsa_user_sgpr_dispatch_id 0
		.amdhsa_user_sgpr_flat_scratch_init 0
		.amdhsa_user_sgpr_kernarg_preload_length 0
		.amdhsa_user_sgpr_kernarg_preload_offset 0
		.amdhsa_user_sgpr_private_segment_size 0
		.amdhsa_uses_dynamic_stack 0
		.amdhsa_system_sgpr_private_segment_wavefront_offset 0
		.amdhsa_system_sgpr_workgroup_id_x 1
		.amdhsa_system_sgpr_workgroup_id_y 0
		.amdhsa_system_sgpr_workgroup_id_z 0
		.amdhsa_system_sgpr_workgroup_info 0
		.amdhsa_system_vgpr_workitem_id 0
		.amdhsa_next_free_vgpr 1
		.amdhsa_next_free_sgpr 0
		.amdhsa_accum_offset 4
		.amdhsa_reserve_vcc 0
		.amdhsa_reserve_flat_scratch 0
		.amdhsa_float_round_mode_32 0
		.amdhsa_float_round_mode_16_64 0
		.amdhsa_float_denorm_mode_32 3
		.amdhsa_float_denorm_mode_16_64 3
		.amdhsa_dx10_clamp 1
		.amdhsa_ieee_mode 1
		.amdhsa_fp16_overflow 0
		.amdhsa_tg_split 0
		.amdhsa_exception_fp_ieee_invalid_op 0
		.amdhsa_exception_fp_denorm_src 0
		.amdhsa_exception_fp_ieee_div_zero 0
		.amdhsa_exception_fp_ieee_overflow 0
		.amdhsa_exception_fp_ieee_underflow 0
		.amdhsa_exception_fp_ieee_inexact 0
		.amdhsa_exception_int_div_zero 0
	.end_amdhsa_kernel
	.section	.text._ZN7rocprim17ROCPRIM_400000_NS6detail17trampoline_kernelINS0_14default_configENS1_33run_length_encode_config_selectorIN3c108BFloat16EjNS0_4plusIjEEEEZZNS1_33reduce_by_key_impl_wrapped_configILNS1_25lookback_scan_determinismE0ES3_S9_PKS6_NS0_17constant_iteratorIjlEEPS6_PlSH_S8_NS0_8equal_toIS6_EEEE10hipError_tPvRmT2_T3_mT4_T5_T6_T7_T8_P12ihipStream_tbENKUlT_T0_E_clISt17integral_constantIbLb0EES10_IbLb1EEEEDaSW_SX_EUlSW_E_NS1_11comp_targetILNS1_3genE8ELNS1_11target_archE1030ELNS1_3gpuE2ELNS1_3repE0EEENS1_30default_config_static_selectorELNS0_4arch9wavefront6targetE1EEEvT1_,"axG",@progbits,_ZN7rocprim17ROCPRIM_400000_NS6detail17trampoline_kernelINS0_14default_configENS1_33run_length_encode_config_selectorIN3c108BFloat16EjNS0_4plusIjEEEEZZNS1_33reduce_by_key_impl_wrapped_configILNS1_25lookback_scan_determinismE0ES3_S9_PKS6_NS0_17constant_iteratorIjlEEPS6_PlSH_S8_NS0_8equal_toIS6_EEEE10hipError_tPvRmT2_T3_mT4_T5_T6_T7_T8_P12ihipStream_tbENKUlT_T0_E_clISt17integral_constantIbLb0EES10_IbLb1EEEEDaSW_SX_EUlSW_E_NS1_11comp_targetILNS1_3genE8ELNS1_11target_archE1030ELNS1_3gpuE2ELNS1_3repE0EEENS1_30default_config_static_selectorELNS0_4arch9wavefront6targetE1EEEvT1_,comdat
.Lfunc_end891:
	.size	_ZN7rocprim17ROCPRIM_400000_NS6detail17trampoline_kernelINS0_14default_configENS1_33run_length_encode_config_selectorIN3c108BFloat16EjNS0_4plusIjEEEEZZNS1_33reduce_by_key_impl_wrapped_configILNS1_25lookback_scan_determinismE0ES3_S9_PKS6_NS0_17constant_iteratorIjlEEPS6_PlSH_S8_NS0_8equal_toIS6_EEEE10hipError_tPvRmT2_T3_mT4_T5_T6_T7_T8_P12ihipStream_tbENKUlT_T0_E_clISt17integral_constantIbLb0EES10_IbLb1EEEEDaSW_SX_EUlSW_E_NS1_11comp_targetILNS1_3genE8ELNS1_11target_archE1030ELNS1_3gpuE2ELNS1_3repE0EEENS1_30default_config_static_selectorELNS0_4arch9wavefront6targetE1EEEvT1_, .Lfunc_end891-_ZN7rocprim17ROCPRIM_400000_NS6detail17trampoline_kernelINS0_14default_configENS1_33run_length_encode_config_selectorIN3c108BFloat16EjNS0_4plusIjEEEEZZNS1_33reduce_by_key_impl_wrapped_configILNS1_25lookback_scan_determinismE0ES3_S9_PKS6_NS0_17constant_iteratorIjlEEPS6_PlSH_S8_NS0_8equal_toIS6_EEEE10hipError_tPvRmT2_T3_mT4_T5_T6_T7_T8_P12ihipStream_tbENKUlT_T0_E_clISt17integral_constantIbLb0EES10_IbLb1EEEEDaSW_SX_EUlSW_E_NS1_11comp_targetILNS1_3genE8ELNS1_11target_archE1030ELNS1_3gpuE2ELNS1_3repE0EEENS1_30default_config_static_selectorELNS0_4arch9wavefront6targetE1EEEvT1_
                                        ; -- End function
	.section	.AMDGPU.csdata,"",@progbits
; Kernel info:
; codeLenInByte = 0
; NumSgprs: 4
; NumVgprs: 0
; NumAgprs: 0
; TotalNumVgprs: 0
; ScratchSize: 0
; MemoryBound: 0
; FloatMode: 240
; IeeeMode: 1
; LDSByteSize: 0 bytes/workgroup (compile time only)
; SGPRBlocks: 0
; VGPRBlocks: 0
; NumSGPRsForWavesPerEU: 4
; NumVGPRsForWavesPerEU: 1
; AccumOffset: 4
; Occupancy: 8
; WaveLimiterHint : 0
; COMPUTE_PGM_RSRC2:SCRATCH_EN: 0
; COMPUTE_PGM_RSRC2:USER_SGPR: 6
; COMPUTE_PGM_RSRC2:TRAP_HANDLER: 0
; COMPUTE_PGM_RSRC2:TGID_X_EN: 1
; COMPUTE_PGM_RSRC2:TGID_Y_EN: 0
; COMPUTE_PGM_RSRC2:TGID_Z_EN: 0
; COMPUTE_PGM_RSRC2:TIDIG_COMP_CNT: 0
; COMPUTE_PGM_RSRC3_GFX90A:ACCUM_OFFSET: 0
; COMPUTE_PGM_RSRC3_GFX90A:TG_SPLIT: 0
	.section	.text._ZN2at6native8internal12_GLOBAL__N_126adjacent_difference_kernelIPKN3c104HalfEEEvlT_Pi,"axG",@progbits,_ZN2at6native8internal12_GLOBAL__N_126adjacent_difference_kernelIPKN3c104HalfEEEvlT_Pi,comdat
	.globl	_ZN2at6native8internal12_GLOBAL__N_126adjacent_difference_kernelIPKN3c104HalfEEEvlT_Pi ; -- Begin function _ZN2at6native8internal12_GLOBAL__N_126adjacent_difference_kernelIPKN3c104HalfEEEvlT_Pi
	.p2align	8
	.type	_ZN2at6native8internal12_GLOBAL__N_126adjacent_difference_kernelIPKN3c104HalfEEEvlT_Pi,@function
_ZN2at6native8internal12_GLOBAL__N_126adjacent_difference_kernelIPKN3c104HalfEEEvlT_Pi: ; @_ZN2at6native8internal12_GLOBAL__N_126adjacent_difference_kernelIPKN3c104HalfEEEvlT_Pi
; %bb.0:
	s_load_dword s7, s[4:5], 0x24
	s_load_dwordx4 s[0:3], s[4:5], 0x0
	s_add_u32 s10, s4, 24
	s_addc_u32 s11, s5, 0
	v_mov_b32_e32 v1, 0
	s_waitcnt lgkmcnt(0)
	s_and_b32 s7, s7, 0xffff
	v_mov_b32_e32 v2, s6
	v_mad_u64_u32 v[4:5], s[8:9], s7, v2, v[0:1]
	v_cmp_gt_i64_e32 vcc, s[0:1], v[4:5]
	s_and_saveexec_b64 s[8:9], vcc
	s_cbranch_execz .LBB892_5
; %bb.1:
	s_load_dword s12, s[10:11], 0x0
	s_load_dwordx2 s[8:9], s[4:5], 0x10
	s_mul_hi_u32 s13, s7, s6
	s_mul_i32 s10, s7, s6
	s_mov_b32 s6, 0
	s_waitcnt lgkmcnt(0)
	s_mul_i32 s11, s12, s7
	v_mov_b32_e32 v2, v1
	v_mov_b32_e32 v3, v4
	s_mov_b64 s[4:5], 0
	v_mov_b32_e32 v6, s9
	v_mov_b32_e32 v7, s6
	;; [unrolled: 1-line block ×4, first 2 shown]
	v_pk_mov_b32 v[4:5], v[0:1], v[0:1] op_sel:[0,1]
	s_branch .LBB892_3
.LBB892_2:                              ;   in Loop: Header=BB892_3 Depth=1
	s_or_b64 exec, exec, s[6:7]
	v_ashrrev_i64 v[10:11], 30, v[2:3]
	v_add_co_u32_e32 v10, vcc, s8, v10
	v_addc_co_u32_e32 v11, vcc, v6, v11, vcc
	v_add_co_u32_e32 v4, vcc, s11, v4
	v_addc_co_u32_e32 v5, vcc, v5, v7, vcc
	global_store_dword v[10:11], v0, off
	v_add_co_u32_e32 v10, vcc, s10, v4
	v_addc_co_u32_e32 v11, vcc, v8, v5, vcc
	v_cmp_le_i64_e32 vcc, s[0:1], v[10:11]
	s_or_b64 s[4:5], vcc, s[4:5]
	v_add_co_u32_e32 v2, vcc, 0, v2
	v_addc_co_u32_e32 v3, vcc, v3, v9, vcc
	s_andn2_b64 exec, exec, s[4:5]
	s_cbranch_execz .LBB892_5
.LBB892_3:                              ; =>This Inner Loop Header: Depth=1
	v_add_u32_e32 v0, s10, v4
	v_cmp_lt_i32_e32 vcc, 0, v0
	v_mov_b32_e32 v0, 0
	s_and_saveexec_b64 s[6:7], vcc
	s_cbranch_execz .LBB892_2
; %bb.4:                                ;   in Loop: Header=BB892_3 Depth=1
	v_add_u32_e32 v0, s10, v4
	v_lshlrev_b32_e32 v12, 1, v0
	v_add_u32_e32 v0, -1, v0
	v_lshlrev_b64 v[10:11], 1, v[0:1]
	v_mov_b32_e32 v0, s3
	v_add_co_u32_e32 v10, vcc, s2, v10
	v_addc_co_u32_e32 v11, vcc, v0, v11, vcc
	global_load_ushort v0, v12, s[2:3]
	global_load_ushort v13, v[10:11], off
	s_waitcnt vmcnt(0)
	v_cmp_neq_f16_e32 vcc, v0, v13
	v_cndmask_b32_e64 v0, 0, 1, vcc
	s_branch .LBB892_2
.LBB892_5:
	s_endpgm
	.section	.rodata,"a",@progbits
	.p2align	6, 0x0
	.amdhsa_kernel _ZN2at6native8internal12_GLOBAL__N_126adjacent_difference_kernelIPKN3c104HalfEEEvlT_Pi
		.amdhsa_group_segment_fixed_size 0
		.amdhsa_private_segment_fixed_size 0
		.amdhsa_kernarg_size 280
		.amdhsa_user_sgpr_count 6
		.amdhsa_user_sgpr_private_segment_buffer 1
		.amdhsa_user_sgpr_dispatch_ptr 0
		.amdhsa_user_sgpr_queue_ptr 0
		.amdhsa_user_sgpr_kernarg_segment_ptr 1
		.amdhsa_user_sgpr_dispatch_id 0
		.amdhsa_user_sgpr_flat_scratch_init 0
		.amdhsa_user_sgpr_kernarg_preload_length 0
		.amdhsa_user_sgpr_kernarg_preload_offset 0
		.amdhsa_user_sgpr_private_segment_size 0
		.amdhsa_uses_dynamic_stack 0
		.amdhsa_system_sgpr_private_segment_wavefront_offset 0
		.amdhsa_system_sgpr_workgroup_id_x 1
		.amdhsa_system_sgpr_workgroup_id_y 0
		.amdhsa_system_sgpr_workgroup_id_z 0
		.amdhsa_system_sgpr_workgroup_info 0
		.amdhsa_system_vgpr_workitem_id 0
		.amdhsa_next_free_vgpr 14
		.amdhsa_next_free_sgpr 14
		.amdhsa_accum_offset 16
		.amdhsa_reserve_vcc 1
		.amdhsa_reserve_flat_scratch 0
		.amdhsa_float_round_mode_32 0
		.amdhsa_float_round_mode_16_64 0
		.amdhsa_float_denorm_mode_32 3
		.amdhsa_float_denorm_mode_16_64 3
		.amdhsa_dx10_clamp 1
		.amdhsa_ieee_mode 1
		.amdhsa_fp16_overflow 0
		.amdhsa_tg_split 0
		.amdhsa_exception_fp_ieee_invalid_op 0
		.amdhsa_exception_fp_denorm_src 0
		.amdhsa_exception_fp_ieee_div_zero 0
		.amdhsa_exception_fp_ieee_overflow 0
		.amdhsa_exception_fp_ieee_underflow 0
		.amdhsa_exception_fp_ieee_inexact 0
		.amdhsa_exception_int_div_zero 0
	.end_amdhsa_kernel
	.section	.text._ZN2at6native8internal12_GLOBAL__N_126adjacent_difference_kernelIPKN3c104HalfEEEvlT_Pi,"axG",@progbits,_ZN2at6native8internal12_GLOBAL__N_126adjacent_difference_kernelIPKN3c104HalfEEEvlT_Pi,comdat
.Lfunc_end892:
	.size	_ZN2at6native8internal12_GLOBAL__N_126adjacent_difference_kernelIPKN3c104HalfEEEvlT_Pi, .Lfunc_end892-_ZN2at6native8internal12_GLOBAL__N_126adjacent_difference_kernelIPKN3c104HalfEEEvlT_Pi
                                        ; -- End function
	.section	.AMDGPU.csdata,"",@progbits
; Kernel info:
; codeLenInByte = 300
; NumSgprs: 18
; NumVgprs: 14
; NumAgprs: 0
; TotalNumVgprs: 14
; ScratchSize: 0
; MemoryBound: 0
; FloatMode: 240
; IeeeMode: 1
; LDSByteSize: 0 bytes/workgroup (compile time only)
; SGPRBlocks: 2
; VGPRBlocks: 1
; NumSGPRsForWavesPerEU: 18
; NumVGPRsForWavesPerEU: 14
; AccumOffset: 16
; Occupancy: 8
; WaveLimiterHint : 0
; COMPUTE_PGM_RSRC2:SCRATCH_EN: 0
; COMPUTE_PGM_RSRC2:USER_SGPR: 6
; COMPUTE_PGM_RSRC2:TRAP_HANDLER: 0
; COMPUTE_PGM_RSRC2:TGID_X_EN: 1
; COMPUTE_PGM_RSRC2:TGID_Y_EN: 0
; COMPUTE_PGM_RSRC2:TGID_Z_EN: 0
; COMPUTE_PGM_RSRC2:TIDIG_COMP_CNT: 0
; COMPUTE_PGM_RSRC3_GFX90A:ACCUM_OFFSET: 3
; COMPUTE_PGM_RSRC3_GFX90A:TG_SPLIT: 0
	.section	.text._ZN7rocprim17ROCPRIM_400000_NS6detail17trampoline_kernelINS0_14default_configENS1_25partition_config_selectorILNS1_17partition_subalgoE8EN3c104HalfENS0_10empty_typeEbEEZZNS1_14partition_implILS5_8ELb0ES3_jPKS7_PS8_PKS8_NS0_5tupleIJPS7_S8_EEENSG_IJSD_SD_EEENS0_18inequality_wrapperIN6hipcub16HIPCUB_304000_NS8EqualityEEEPlJS8_EEE10hipError_tPvRmT3_T4_T5_T6_T7_T9_mT8_P12ihipStream_tbDpT10_ENKUlT_T0_E_clISt17integral_constantIbLb0EES19_EEDaS14_S15_EUlS14_E_NS1_11comp_targetILNS1_3genE0ELNS1_11target_archE4294967295ELNS1_3gpuE0ELNS1_3repE0EEENS1_30default_config_static_selectorELNS0_4arch9wavefront6targetE1EEEvT1_,"axG",@progbits,_ZN7rocprim17ROCPRIM_400000_NS6detail17trampoline_kernelINS0_14default_configENS1_25partition_config_selectorILNS1_17partition_subalgoE8EN3c104HalfENS0_10empty_typeEbEEZZNS1_14partition_implILS5_8ELb0ES3_jPKS7_PS8_PKS8_NS0_5tupleIJPS7_S8_EEENSG_IJSD_SD_EEENS0_18inequality_wrapperIN6hipcub16HIPCUB_304000_NS8EqualityEEEPlJS8_EEE10hipError_tPvRmT3_T4_T5_T6_T7_T9_mT8_P12ihipStream_tbDpT10_ENKUlT_T0_E_clISt17integral_constantIbLb0EES19_EEDaS14_S15_EUlS14_E_NS1_11comp_targetILNS1_3genE0ELNS1_11target_archE4294967295ELNS1_3gpuE0ELNS1_3repE0EEENS1_30default_config_static_selectorELNS0_4arch9wavefront6targetE1EEEvT1_,comdat
	.protected	_ZN7rocprim17ROCPRIM_400000_NS6detail17trampoline_kernelINS0_14default_configENS1_25partition_config_selectorILNS1_17partition_subalgoE8EN3c104HalfENS0_10empty_typeEbEEZZNS1_14partition_implILS5_8ELb0ES3_jPKS7_PS8_PKS8_NS0_5tupleIJPS7_S8_EEENSG_IJSD_SD_EEENS0_18inequality_wrapperIN6hipcub16HIPCUB_304000_NS8EqualityEEEPlJS8_EEE10hipError_tPvRmT3_T4_T5_T6_T7_T9_mT8_P12ihipStream_tbDpT10_ENKUlT_T0_E_clISt17integral_constantIbLb0EES19_EEDaS14_S15_EUlS14_E_NS1_11comp_targetILNS1_3genE0ELNS1_11target_archE4294967295ELNS1_3gpuE0ELNS1_3repE0EEENS1_30default_config_static_selectorELNS0_4arch9wavefront6targetE1EEEvT1_ ; -- Begin function _ZN7rocprim17ROCPRIM_400000_NS6detail17trampoline_kernelINS0_14default_configENS1_25partition_config_selectorILNS1_17partition_subalgoE8EN3c104HalfENS0_10empty_typeEbEEZZNS1_14partition_implILS5_8ELb0ES3_jPKS7_PS8_PKS8_NS0_5tupleIJPS7_S8_EEENSG_IJSD_SD_EEENS0_18inequality_wrapperIN6hipcub16HIPCUB_304000_NS8EqualityEEEPlJS8_EEE10hipError_tPvRmT3_T4_T5_T6_T7_T9_mT8_P12ihipStream_tbDpT10_ENKUlT_T0_E_clISt17integral_constantIbLb0EES19_EEDaS14_S15_EUlS14_E_NS1_11comp_targetILNS1_3genE0ELNS1_11target_archE4294967295ELNS1_3gpuE0ELNS1_3repE0EEENS1_30default_config_static_selectorELNS0_4arch9wavefront6targetE1EEEvT1_
	.globl	_ZN7rocprim17ROCPRIM_400000_NS6detail17trampoline_kernelINS0_14default_configENS1_25partition_config_selectorILNS1_17partition_subalgoE8EN3c104HalfENS0_10empty_typeEbEEZZNS1_14partition_implILS5_8ELb0ES3_jPKS7_PS8_PKS8_NS0_5tupleIJPS7_S8_EEENSG_IJSD_SD_EEENS0_18inequality_wrapperIN6hipcub16HIPCUB_304000_NS8EqualityEEEPlJS8_EEE10hipError_tPvRmT3_T4_T5_T6_T7_T9_mT8_P12ihipStream_tbDpT10_ENKUlT_T0_E_clISt17integral_constantIbLb0EES19_EEDaS14_S15_EUlS14_E_NS1_11comp_targetILNS1_3genE0ELNS1_11target_archE4294967295ELNS1_3gpuE0ELNS1_3repE0EEENS1_30default_config_static_selectorELNS0_4arch9wavefront6targetE1EEEvT1_
	.p2align	8
	.type	_ZN7rocprim17ROCPRIM_400000_NS6detail17trampoline_kernelINS0_14default_configENS1_25partition_config_selectorILNS1_17partition_subalgoE8EN3c104HalfENS0_10empty_typeEbEEZZNS1_14partition_implILS5_8ELb0ES3_jPKS7_PS8_PKS8_NS0_5tupleIJPS7_S8_EEENSG_IJSD_SD_EEENS0_18inequality_wrapperIN6hipcub16HIPCUB_304000_NS8EqualityEEEPlJS8_EEE10hipError_tPvRmT3_T4_T5_T6_T7_T9_mT8_P12ihipStream_tbDpT10_ENKUlT_T0_E_clISt17integral_constantIbLb0EES19_EEDaS14_S15_EUlS14_E_NS1_11comp_targetILNS1_3genE0ELNS1_11target_archE4294967295ELNS1_3gpuE0ELNS1_3repE0EEENS1_30default_config_static_selectorELNS0_4arch9wavefront6targetE1EEEvT1_,@function
_ZN7rocprim17ROCPRIM_400000_NS6detail17trampoline_kernelINS0_14default_configENS1_25partition_config_selectorILNS1_17partition_subalgoE8EN3c104HalfENS0_10empty_typeEbEEZZNS1_14partition_implILS5_8ELb0ES3_jPKS7_PS8_PKS8_NS0_5tupleIJPS7_S8_EEENSG_IJSD_SD_EEENS0_18inequality_wrapperIN6hipcub16HIPCUB_304000_NS8EqualityEEEPlJS8_EEE10hipError_tPvRmT3_T4_T5_T6_T7_T9_mT8_P12ihipStream_tbDpT10_ENKUlT_T0_E_clISt17integral_constantIbLb0EES19_EEDaS14_S15_EUlS14_E_NS1_11comp_targetILNS1_3genE0ELNS1_11target_archE4294967295ELNS1_3gpuE0ELNS1_3repE0EEENS1_30default_config_static_selectorELNS0_4arch9wavefront6targetE1EEEvT1_: ; @_ZN7rocprim17ROCPRIM_400000_NS6detail17trampoline_kernelINS0_14default_configENS1_25partition_config_selectorILNS1_17partition_subalgoE8EN3c104HalfENS0_10empty_typeEbEEZZNS1_14partition_implILS5_8ELb0ES3_jPKS7_PS8_PKS8_NS0_5tupleIJPS7_S8_EEENSG_IJSD_SD_EEENS0_18inequality_wrapperIN6hipcub16HIPCUB_304000_NS8EqualityEEEPlJS8_EEE10hipError_tPvRmT3_T4_T5_T6_T7_T9_mT8_P12ihipStream_tbDpT10_ENKUlT_T0_E_clISt17integral_constantIbLb0EES19_EEDaS14_S15_EUlS14_E_NS1_11comp_targetILNS1_3genE0ELNS1_11target_archE4294967295ELNS1_3gpuE0ELNS1_3repE0EEENS1_30default_config_static_selectorELNS0_4arch9wavefront6targetE1EEEvT1_
; %bb.0:
	.section	.rodata,"a",@progbits
	.p2align	6, 0x0
	.amdhsa_kernel _ZN7rocprim17ROCPRIM_400000_NS6detail17trampoline_kernelINS0_14default_configENS1_25partition_config_selectorILNS1_17partition_subalgoE8EN3c104HalfENS0_10empty_typeEbEEZZNS1_14partition_implILS5_8ELb0ES3_jPKS7_PS8_PKS8_NS0_5tupleIJPS7_S8_EEENSG_IJSD_SD_EEENS0_18inequality_wrapperIN6hipcub16HIPCUB_304000_NS8EqualityEEEPlJS8_EEE10hipError_tPvRmT3_T4_T5_T6_T7_T9_mT8_P12ihipStream_tbDpT10_ENKUlT_T0_E_clISt17integral_constantIbLb0EES19_EEDaS14_S15_EUlS14_E_NS1_11comp_targetILNS1_3genE0ELNS1_11target_archE4294967295ELNS1_3gpuE0ELNS1_3repE0EEENS1_30default_config_static_selectorELNS0_4arch9wavefront6targetE1EEEvT1_
		.amdhsa_group_segment_fixed_size 0
		.amdhsa_private_segment_fixed_size 0
		.amdhsa_kernarg_size 112
		.amdhsa_user_sgpr_count 6
		.amdhsa_user_sgpr_private_segment_buffer 1
		.amdhsa_user_sgpr_dispatch_ptr 0
		.amdhsa_user_sgpr_queue_ptr 0
		.amdhsa_user_sgpr_kernarg_segment_ptr 1
		.amdhsa_user_sgpr_dispatch_id 0
		.amdhsa_user_sgpr_flat_scratch_init 0
		.amdhsa_user_sgpr_kernarg_preload_length 0
		.amdhsa_user_sgpr_kernarg_preload_offset 0
		.amdhsa_user_sgpr_private_segment_size 0
		.amdhsa_uses_dynamic_stack 0
		.amdhsa_system_sgpr_private_segment_wavefront_offset 0
		.amdhsa_system_sgpr_workgroup_id_x 1
		.amdhsa_system_sgpr_workgroup_id_y 0
		.amdhsa_system_sgpr_workgroup_id_z 0
		.amdhsa_system_sgpr_workgroup_info 0
		.amdhsa_system_vgpr_workitem_id 0
		.amdhsa_next_free_vgpr 1
		.amdhsa_next_free_sgpr 0
		.amdhsa_accum_offset 4
		.amdhsa_reserve_vcc 0
		.amdhsa_reserve_flat_scratch 0
		.amdhsa_float_round_mode_32 0
		.amdhsa_float_round_mode_16_64 0
		.amdhsa_float_denorm_mode_32 3
		.amdhsa_float_denorm_mode_16_64 3
		.amdhsa_dx10_clamp 1
		.amdhsa_ieee_mode 1
		.amdhsa_fp16_overflow 0
		.amdhsa_tg_split 0
		.amdhsa_exception_fp_ieee_invalid_op 0
		.amdhsa_exception_fp_denorm_src 0
		.amdhsa_exception_fp_ieee_div_zero 0
		.amdhsa_exception_fp_ieee_overflow 0
		.amdhsa_exception_fp_ieee_underflow 0
		.amdhsa_exception_fp_ieee_inexact 0
		.amdhsa_exception_int_div_zero 0
	.end_amdhsa_kernel
	.section	.text._ZN7rocprim17ROCPRIM_400000_NS6detail17trampoline_kernelINS0_14default_configENS1_25partition_config_selectorILNS1_17partition_subalgoE8EN3c104HalfENS0_10empty_typeEbEEZZNS1_14partition_implILS5_8ELb0ES3_jPKS7_PS8_PKS8_NS0_5tupleIJPS7_S8_EEENSG_IJSD_SD_EEENS0_18inequality_wrapperIN6hipcub16HIPCUB_304000_NS8EqualityEEEPlJS8_EEE10hipError_tPvRmT3_T4_T5_T6_T7_T9_mT8_P12ihipStream_tbDpT10_ENKUlT_T0_E_clISt17integral_constantIbLb0EES19_EEDaS14_S15_EUlS14_E_NS1_11comp_targetILNS1_3genE0ELNS1_11target_archE4294967295ELNS1_3gpuE0ELNS1_3repE0EEENS1_30default_config_static_selectorELNS0_4arch9wavefront6targetE1EEEvT1_,"axG",@progbits,_ZN7rocprim17ROCPRIM_400000_NS6detail17trampoline_kernelINS0_14default_configENS1_25partition_config_selectorILNS1_17partition_subalgoE8EN3c104HalfENS0_10empty_typeEbEEZZNS1_14partition_implILS5_8ELb0ES3_jPKS7_PS8_PKS8_NS0_5tupleIJPS7_S8_EEENSG_IJSD_SD_EEENS0_18inequality_wrapperIN6hipcub16HIPCUB_304000_NS8EqualityEEEPlJS8_EEE10hipError_tPvRmT3_T4_T5_T6_T7_T9_mT8_P12ihipStream_tbDpT10_ENKUlT_T0_E_clISt17integral_constantIbLb0EES19_EEDaS14_S15_EUlS14_E_NS1_11comp_targetILNS1_3genE0ELNS1_11target_archE4294967295ELNS1_3gpuE0ELNS1_3repE0EEENS1_30default_config_static_selectorELNS0_4arch9wavefront6targetE1EEEvT1_,comdat
.Lfunc_end893:
	.size	_ZN7rocprim17ROCPRIM_400000_NS6detail17trampoline_kernelINS0_14default_configENS1_25partition_config_selectorILNS1_17partition_subalgoE8EN3c104HalfENS0_10empty_typeEbEEZZNS1_14partition_implILS5_8ELb0ES3_jPKS7_PS8_PKS8_NS0_5tupleIJPS7_S8_EEENSG_IJSD_SD_EEENS0_18inequality_wrapperIN6hipcub16HIPCUB_304000_NS8EqualityEEEPlJS8_EEE10hipError_tPvRmT3_T4_T5_T6_T7_T9_mT8_P12ihipStream_tbDpT10_ENKUlT_T0_E_clISt17integral_constantIbLb0EES19_EEDaS14_S15_EUlS14_E_NS1_11comp_targetILNS1_3genE0ELNS1_11target_archE4294967295ELNS1_3gpuE0ELNS1_3repE0EEENS1_30default_config_static_selectorELNS0_4arch9wavefront6targetE1EEEvT1_, .Lfunc_end893-_ZN7rocprim17ROCPRIM_400000_NS6detail17trampoline_kernelINS0_14default_configENS1_25partition_config_selectorILNS1_17partition_subalgoE8EN3c104HalfENS0_10empty_typeEbEEZZNS1_14partition_implILS5_8ELb0ES3_jPKS7_PS8_PKS8_NS0_5tupleIJPS7_S8_EEENSG_IJSD_SD_EEENS0_18inequality_wrapperIN6hipcub16HIPCUB_304000_NS8EqualityEEEPlJS8_EEE10hipError_tPvRmT3_T4_T5_T6_T7_T9_mT8_P12ihipStream_tbDpT10_ENKUlT_T0_E_clISt17integral_constantIbLb0EES19_EEDaS14_S15_EUlS14_E_NS1_11comp_targetILNS1_3genE0ELNS1_11target_archE4294967295ELNS1_3gpuE0ELNS1_3repE0EEENS1_30default_config_static_selectorELNS0_4arch9wavefront6targetE1EEEvT1_
                                        ; -- End function
	.section	.AMDGPU.csdata,"",@progbits
; Kernel info:
; codeLenInByte = 0
; NumSgprs: 4
; NumVgprs: 0
; NumAgprs: 0
; TotalNumVgprs: 0
; ScratchSize: 0
; MemoryBound: 0
; FloatMode: 240
; IeeeMode: 1
; LDSByteSize: 0 bytes/workgroup (compile time only)
; SGPRBlocks: 0
; VGPRBlocks: 0
; NumSGPRsForWavesPerEU: 4
; NumVGPRsForWavesPerEU: 1
; AccumOffset: 4
; Occupancy: 8
; WaveLimiterHint : 0
; COMPUTE_PGM_RSRC2:SCRATCH_EN: 0
; COMPUTE_PGM_RSRC2:USER_SGPR: 6
; COMPUTE_PGM_RSRC2:TRAP_HANDLER: 0
; COMPUTE_PGM_RSRC2:TGID_X_EN: 1
; COMPUTE_PGM_RSRC2:TGID_Y_EN: 0
; COMPUTE_PGM_RSRC2:TGID_Z_EN: 0
; COMPUTE_PGM_RSRC2:TIDIG_COMP_CNT: 0
; COMPUTE_PGM_RSRC3_GFX90A:ACCUM_OFFSET: 0
; COMPUTE_PGM_RSRC3_GFX90A:TG_SPLIT: 0
	.section	.text._ZN7rocprim17ROCPRIM_400000_NS6detail17trampoline_kernelINS0_14default_configENS1_25partition_config_selectorILNS1_17partition_subalgoE8EN3c104HalfENS0_10empty_typeEbEEZZNS1_14partition_implILS5_8ELb0ES3_jPKS7_PS8_PKS8_NS0_5tupleIJPS7_S8_EEENSG_IJSD_SD_EEENS0_18inequality_wrapperIN6hipcub16HIPCUB_304000_NS8EqualityEEEPlJS8_EEE10hipError_tPvRmT3_T4_T5_T6_T7_T9_mT8_P12ihipStream_tbDpT10_ENKUlT_T0_E_clISt17integral_constantIbLb0EES19_EEDaS14_S15_EUlS14_E_NS1_11comp_targetILNS1_3genE5ELNS1_11target_archE942ELNS1_3gpuE9ELNS1_3repE0EEENS1_30default_config_static_selectorELNS0_4arch9wavefront6targetE1EEEvT1_,"axG",@progbits,_ZN7rocprim17ROCPRIM_400000_NS6detail17trampoline_kernelINS0_14default_configENS1_25partition_config_selectorILNS1_17partition_subalgoE8EN3c104HalfENS0_10empty_typeEbEEZZNS1_14partition_implILS5_8ELb0ES3_jPKS7_PS8_PKS8_NS0_5tupleIJPS7_S8_EEENSG_IJSD_SD_EEENS0_18inequality_wrapperIN6hipcub16HIPCUB_304000_NS8EqualityEEEPlJS8_EEE10hipError_tPvRmT3_T4_T5_T6_T7_T9_mT8_P12ihipStream_tbDpT10_ENKUlT_T0_E_clISt17integral_constantIbLb0EES19_EEDaS14_S15_EUlS14_E_NS1_11comp_targetILNS1_3genE5ELNS1_11target_archE942ELNS1_3gpuE9ELNS1_3repE0EEENS1_30default_config_static_selectorELNS0_4arch9wavefront6targetE1EEEvT1_,comdat
	.protected	_ZN7rocprim17ROCPRIM_400000_NS6detail17trampoline_kernelINS0_14default_configENS1_25partition_config_selectorILNS1_17partition_subalgoE8EN3c104HalfENS0_10empty_typeEbEEZZNS1_14partition_implILS5_8ELb0ES3_jPKS7_PS8_PKS8_NS0_5tupleIJPS7_S8_EEENSG_IJSD_SD_EEENS0_18inequality_wrapperIN6hipcub16HIPCUB_304000_NS8EqualityEEEPlJS8_EEE10hipError_tPvRmT3_T4_T5_T6_T7_T9_mT8_P12ihipStream_tbDpT10_ENKUlT_T0_E_clISt17integral_constantIbLb0EES19_EEDaS14_S15_EUlS14_E_NS1_11comp_targetILNS1_3genE5ELNS1_11target_archE942ELNS1_3gpuE9ELNS1_3repE0EEENS1_30default_config_static_selectorELNS0_4arch9wavefront6targetE1EEEvT1_ ; -- Begin function _ZN7rocprim17ROCPRIM_400000_NS6detail17trampoline_kernelINS0_14default_configENS1_25partition_config_selectorILNS1_17partition_subalgoE8EN3c104HalfENS0_10empty_typeEbEEZZNS1_14partition_implILS5_8ELb0ES3_jPKS7_PS8_PKS8_NS0_5tupleIJPS7_S8_EEENSG_IJSD_SD_EEENS0_18inequality_wrapperIN6hipcub16HIPCUB_304000_NS8EqualityEEEPlJS8_EEE10hipError_tPvRmT3_T4_T5_T6_T7_T9_mT8_P12ihipStream_tbDpT10_ENKUlT_T0_E_clISt17integral_constantIbLb0EES19_EEDaS14_S15_EUlS14_E_NS1_11comp_targetILNS1_3genE5ELNS1_11target_archE942ELNS1_3gpuE9ELNS1_3repE0EEENS1_30default_config_static_selectorELNS0_4arch9wavefront6targetE1EEEvT1_
	.globl	_ZN7rocprim17ROCPRIM_400000_NS6detail17trampoline_kernelINS0_14default_configENS1_25partition_config_selectorILNS1_17partition_subalgoE8EN3c104HalfENS0_10empty_typeEbEEZZNS1_14partition_implILS5_8ELb0ES3_jPKS7_PS8_PKS8_NS0_5tupleIJPS7_S8_EEENSG_IJSD_SD_EEENS0_18inequality_wrapperIN6hipcub16HIPCUB_304000_NS8EqualityEEEPlJS8_EEE10hipError_tPvRmT3_T4_T5_T6_T7_T9_mT8_P12ihipStream_tbDpT10_ENKUlT_T0_E_clISt17integral_constantIbLb0EES19_EEDaS14_S15_EUlS14_E_NS1_11comp_targetILNS1_3genE5ELNS1_11target_archE942ELNS1_3gpuE9ELNS1_3repE0EEENS1_30default_config_static_selectorELNS0_4arch9wavefront6targetE1EEEvT1_
	.p2align	8
	.type	_ZN7rocprim17ROCPRIM_400000_NS6detail17trampoline_kernelINS0_14default_configENS1_25partition_config_selectorILNS1_17partition_subalgoE8EN3c104HalfENS0_10empty_typeEbEEZZNS1_14partition_implILS5_8ELb0ES3_jPKS7_PS8_PKS8_NS0_5tupleIJPS7_S8_EEENSG_IJSD_SD_EEENS0_18inequality_wrapperIN6hipcub16HIPCUB_304000_NS8EqualityEEEPlJS8_EEE10hipError_tPvRmT3_T4_T5_T6_T7_T9_mT8_P12ihipStream_tbDpT10_ENKUlT_T0_E_clISt17integral_constantIbLb0EES19_EEDaS14_S15_EUlS14_E_NS1_11comp_targetILNS1_3genE5ELNS1_11target_archE942ELNS1_3gpuE9ELNS1_3repE0EEENS1_30default_config_static_selectorELNS0_4arch9wavefront6targetE1EEEvT1_,@function
_ZN7rocprim17ROCPRIM_400000_NS6detail17trampoline_kernelINS0_14default_configENS1_25partition_config_selectorILNS1_17partition_subalgoE8EN3c104HalfENS0_10empty_typeEbEEZZNS1_14partition_implILS5_8ELb0ES3_jPKS7_PS8_PKS8_NS0_5tupleIJPS7_S8_EEENSG_IJSD_SD_EEENS0_18inequality_wrapperIN6hipcub16HIPCUB_304000_NS8EqualityEEEPlJS8_EEE10hipError_tPvRmT3_T4_T5_T6_T7_T9_mT8_P12ihipStream_tbDpT10_ENKUlT_T0_E_clISt17integral_constantIbLb0EES19_EEDaS14_S15_EUlS14_E_NS1_11comp_targetILNS1_3genE5ELNS1_11target_archE942ELNS1_3gpuE9ELNS1_3repE0EEENS1_30default_config_static_selectorELNS0_4arch9wavefront6targetE1EEEvT1_: ; @_ZN7rocprim17ROCPRIM_400000_NS6detail17trampoline_kernelINS0_14default_configENS1_25partition_config_selectorILNS1_17partition_subalgoE8EN3c104HalfENS0_10empty_typeEbEEZZNS1_14partition_implILS5_8ELb0ES3_jPKS7_PS8_PKS8_NS0_5tupleIJPS7_S8_EEENSG_IJSD_SD_EEENS0_18inequality_wrapperIN6hipcub16HIPCUB_304000_NS8EqualityEEEPlJS8_EEE10hipError_tPvRmT3_T4_T5_T6_T7_T9_mT8_P12ihipStream_tbDpT10_ENKUlT_T0_E_clISt17integral_constantIbLb0EES19_EEDaS14_S15_EUlS14_E_NS1_11comp_targetILNS1_3genE5ELNS1_11target_archE942ELNS1_3gpuE9ELNS1_3repE0EEENS1_30default_config_static_selectorELNS0_4arch9wavefront6targetE1EEEvT1_
; %bb.0:
	.section	.rodata,"a",@progbits
	.p2align	6, 0x0
	.amdhsa_kernel _ZN7rocprim17ROCPRIM_400000_NS6detail17trampoline_kernelINS0_14default_configENS1_25partition_config_selectorILNS1_17partition_subalgoE8EN3c104HalfENS0_10empty_typeEbEEZZNS1_14partition_implILS5_8ELb0ES3_jPKS7_PS8_PKS8_NS0_5tupleIJPS7_S8_EEENSG_IJSD_SD_EEENS0_18inequality_wrapperIN6hipcub16HIPCUB_304000_NS8EqualityEEEPlJS8_EEE10hipError_tPvRmT3_T4_T5_T6_T7_T9_mT8_P12ihipStream_tbDpT10_ENKUlT_T0_E_clISt17integral_constantIbLb0EES19_EEDaS14_S15_EUlS14_E_NS1_11comp_targetILNS1_3genE5ELNS1_11target_archE942ELNS1_3gpuE9ELNS1_3repE0EEENS1_30default_config_static_selectorELNS0_4arch9wavefront6targetE1EEEvT1_
		.amdhsa_group_segment_fixed_size 0
		.amdhsa_private_segment_fixed_size 0
		.amdhsa_kernarg_size 112
		.amdhsa_user_sgpr_count 6
		.amdhsa_user_sgpr_private_segment_buffer 1
		.amdhsa_user_sgpr_dispatch_ptr 0
		.amdhsa_user_sgpr_queue_ptr 0
		.amdhsa_user_sgpr_kernarg_segment_ptr 1
		.amdhsa_user_sgpr_dispatch_id 0
		.amdhsa_user_sgpr_flat_scratch_init 0
		.amdhsa_user_sgpr_kernarg_preload_length 0
		.amdhsa_user_sgpr_kernarg_preload_offset 0
		.amdhsa_user_sgpr_private_segment_size 0
		.amdhsa_uses_dynamic_stack 0
		.amdhsa_system_sgpr_private_segment_wavefront_offset 0
		.amdhsa_system_sgpr_workgroup_id_x 1
		.amdhsa_system_sgpr_workgroup_id_y 0
		.amdhsa_system_sgpr_workgroup_id_z 0
		.amdhsa_system_sgpr_workgroup_info 0
		.amdhsa_system_vgpr_workitem_id 0
		.amdhsa_next_free_vgpr 1
		.amdhsa_next_free_sgpr 0
		.amdhsa_accum_offset 4
		.amdhsa_reserve_vcc 0
		.amdhsa_reserve_flat_scratch 0
		.amdhsa_float_round_mode_32 0
		.amdhsa_float_round_mode_16_64 0
		.amdhsa_float_denorm_mode_32 3
		.amdhsa_float_denorm_mode_16_64 3
		.amdhsa_dx10_clamp 1
		.amdhsa_ieee_mode 1
		.amdhsa_fp16_overflow 0
		.amdhsa_tg_split 0
		.amdhsa_exception_fp_ieee_invalid_op 0
		.amdhsa_exception_fp_denorm_src 0
		.amdhsa_exception_fp_ieee_div_zero 0
		.amdhsa_exception_fp_ieee_overflow 0
		.amdhsa_exception_fp_ieee_underflow 0
		.amdhsa_exception_fp_ieee_inexact 0
		.amdhsa_exception_int_div_zero 0
	.end_amdhsa_kernel
	.section	.text._ZN7rocprim17ROCPRIM_400000_NS6detail17trampoline_kernelINS0_14default_configENS1_25partition_config_selectorILNS1_17partition_subalgoE8EN3c104HalfENS0_10empty_typeEbEEZZNS1_14partition_implILS5_8ELb0ES3_jPKS7_PS8_PKS8_NS0_5tupleIJPS7_S8_EEENSG_IJSD_SD_EEENS0_18inequality_wrapperIN6hipcub16HIPCUB_304000_NS8EqualityEEEPlJS8_EEE10hipError_tPvRmT3_T4_T5_T6_T7_T9_mT8_P12ihipStream_tbDpT10_ENKUlT_T0_E_clISt17integral_constantIbLb0EES19_EEDaS14_S15_EUlS14_E_NS1_11comp_targetILNS1_3genE5ELNS1_11target_archE942ELNS1_3gpuE9ELNS1_3repE0EEENS1_30default_config_static_selectorELNS0_4arch9wavefront6targetE1EEEvT1_,"axG",@progbits,_ZN7rocprim17ROCPRIM_400000_NS6detail17trampoline_kernelINS0_14default_configENS1_25partition_config_selectorILNS1_17partition_subalgoE8EN3c104HalfENS0_10empty_typeEbEEZZNS1_14partition_implILS5_8ELb0ES3_jPKS7_PS8_PKS8_NS0_5tupleIJPS7_S8_EEENSG_IJSD_SD_EEENS0_18inequality_wrapperIN6hipcub16HIPCUB_304000_NS8EqualityEEEPlJS8_EEE10hipError_tPvRmT3_T4_T5_T6_T7_T9_mT8_P12ihipStream_tbDpT10_ENKUlT_T0_E_clISt17integral_constantIbLb0EES19_EEDaS14_S15_EUlS14_E_NS1_11comp_targetILNS1_3genE5ELNS1_11target_archE942ELNS1_3gpuE9ELNS1_3repE0EEENS1_30default_config_static_selectorELNS0_4arch9wavefront6targetE1EEEvT1_,comdat
.Lfunc_end894:
	.size	_ZN7rocprim17ROCPRIM_400000_NS6detail17trampoline_kernelINS0_14default_configENS1_25partition_config_selectorILNS1_17partition_subalgoE8EN3c104HalfENS0_10empty_typeEbEEZZNS1_14partition_implILS5_8ELb0ES3_jPKS7_PS8_PKS8_NS0_5tupleIJPS7_S8_EEENSG_IJSD_SD_EEENS0_18inequality_wrapperIN6hipcub16HIPCUB_304000_NS8EqualityEEEPlJS8_EEE10hipError_tPvRmT3_T4_T5_T6_T7_T9_mT8_P12ihipStream_tbDpT10_ENKUlT_T0_E_clISt17integral_constantIbLb0EES19_EEDaS14_S15_EUlS14_E_NS1_11comp_targetILNS1_3genE5ELNS1_11target_archE942ELNS1_3gpuE9ELNS1_3repE0EEENS1_30default_config_static_selectorELNS0_4arch9wavefront6targetE1EEEvT1_, .Lfunc_end894-_ZN7rocprim17ROCPRIM_400000_NS6detail17trampoline_kernelINS0_14default_configENS1_25partition_config_selectorILNS1_17partition_subalgoE8EN3c104HalfENS0_10empty_typeEbEEZZNS1_14partition_implILS5_8ELb0ES3_jPKS7_PS8_PKS8_NS0_5tupleIJPS7_S8_EEENSG_IJSD_SD_EEENS0_18inequality_wrapperIN6hipcub16HIPCUB_304000_NS8EqualityEEEPlJS8_EEE10hipError_tPvRmT3_T4_T5_T6_T7_T9_mT8_P12ihipStream_tbDpT10_ENKUlT_T0_E_clISt17integral_constantIbLb0EES19_EEDaS14_S15_EUlS14_E_NS1_11comp_targetILNS1_3genE5ELNS1_11target_archE942ELNS1_3gpuE9ELNS1_3repE0EEENS1_30default_config_static_selectorELNS0_4arch9wavefront6targetE1EEEvT1_
                                        ; -- End function
	.section	.AMDGPU.csdata,"",@progbits
; Kernel info:
; codeLenInByte = 0
; NumSgprs: 4
; NumVgprs: 0
; NumAgprs: 0
; TotalNumVgprs: 0
; ScratchSize: 0
; MemoryBound: 0
; FloatMode: 240
; IeeeMode: 1
; LDSByteSize: 0 bytes/workgroup (compile time only)
; SGPRBlocks: 0
; VGPRBlocks: 0
; NumSGPRsForWavesPerEU: 4
; NumVGPRsForWavesPerEU: 1
; AccumOffset: 4
; Occupancy: 8
; WaveLimiterHint : 0
; COMPUTE_PGM_RSRC2:SCRATCH_EN: 0
; COMPUTE_PGM_RSRC2:USER_SGPR: 6
; COMPUTE_PGM_RSRC2:TRAP_HANDLER: 0
; COMPUTE_PGM_RSRC2:TGID_X_EN: 1
; COMPUTE_PGM_RSRC2:TGID_Y_EN: 0
; COMPUTE_PGM_RSRC2:TGID_Z_EN: 0
; COMPUTE_PGM_RSRC2:TIDIG_COMP_CNT: 0
; COMPUTE_PGM_RSRC3_GFX90A:ACCUM_OFFSET: 0
; COMPUTE_PGM_RSRC3_GFX90A:TG_SPLIT: 0
	.section	.text._ZN7rocprim17ROCPRIM_400000_NS6detail17trampoline_kernelINS0_14default_configENS1_25partition_config_selectorILNS1_17partition_subalgoE8EN3c104HalfENS0_10empty_typeEbEEZZNS1_14partition_implILS5_8ELb0ES3_jPKS7_PS8_PKS8_NS0_5tupleIJPS7_S8_EEENSG_IJSD_SD_EEENS0_18inequality_wrapperIN6hipcub16HIPCUB_304000_NS8EqualityEEEPlJS8_EEE10hipError_tPvRmT3_T4_T5_T6_T7_T9_mT8_P12ihipStream_tbDpT10_ENKUlT_T0_E_clISt17integral_constantIbLb0EES19_EEDaS14_S15_EUlS14_E_NS1_11comp_targetILNS1_3genE4ELNS1_11target_archE910ELNS1_3gpuE8ELNS1_3repE0EEENS1_30default_config_static_selectorELNS0_4arch9wavefront6targetE1EEEvT1_,"axG",@progbits,_ZN7rocprim17ROCPRIM_400000_NS6detail17trampoline_kernelINS0_14default_configENS1_25partition_config_selectorILNS1_17partition_subalgoE8EN3c104HalfENS0_10empty_typeEbEEZZNS1_14partition_implILS5_8ELb0ES3_jPKS7_PS8_PKS8_NS0_5tupleIJPS7_S8_EEENSG_IJSD_SD_EEENS0_18inequality_wrapperIN6hipcub16HIPCUB_304000_NS8EqualityEEEPlJS8_EEE10hipError_tPvRmT3_T4_T5_T6_T7_T9_mT8_P12ihipStream_tbDpT10_ENKUlT_T0_E_clISt17integral_constantIbLb0EES19_EEDaS14_S15_EUlS14_E_NS1_11comp_targetILNS1_3genE4ELNS1_11target_archE910ELNS1_3gpuE8ELNS1_3repE0EEENS1_30default_config_static_selectorELNS0_4arch9wavefront6targetE1EEEvT1_,comdat
	.protected	_ZN7rocprim17ROCPRIM_400000_NS6detail17trampoline_kernelINS0_14default_configENS1_25partition_config_selectorILNS1_17partition_subalgoE8EN3c104HalfENS0_10empty_typeEbEEZZNS1_14partition_implILS5_8ELb0ES3_jPKS7_PS8_PKS8_NS0_5tupleIJPS7_S8_EEENSG_IJSD_SD_EEENS0_18inequality_wrapperIN6hipcub16HIPCUB_304000_NS8EqualityEEEPlJS8_EEE10hipError_tPvRmT3_T4_T5_T6_T7_T9_mT8_P12ihipStream_tbDpT10_ENKUlT_T0_E_clISt17integral_constantIbLb0EES19_EEDaS14_S15_EUlS14_E_NS1_11comp_targetILNS1_3genE4ELNS1_11target_archE910ELNS1_3gpuE8ELNS1_3repE0EEENS1_30default_config_static_selectorELNS0_4arch9wavefront6targetE1EEEvT1_ ; -- Begin function _ZN7rocprim17ROCPRIM_400000_NS6detail17trampoline_kernelINS0_14default_configENS1_25partition_config_selectorILNS1_17partition_subalgoE8EN3c104HalfENS0_10empty_typeEbEEZZNS1_14partition_implILS5_8ELb0ES3_jPKS7_PS8_PKS8_NS0_5tupleIJPS7_S8_EEENSG_IJSD_SD_EEENS0_18inequality_wrapperIN6hipcub16HIPCUB_304000_NS8EqualityEEEPlJS8_EEE10hipError_tPvRmT3_T4_T5_T6_T7_T9_mT8_P12ihipStream_tbDpT10_ENKUlT_T0_E_clISt17integral_constantIbLb0EES19_EEDaS14_S15_EUlS14_E_NS1_11comp_targetILNS1_3genE4ELNS1_11target_archE910ELNS1_3gpuE8ELNS1_3repE0EEENS1_30default_config_static_selectorELNS0_4arch9wavefront6targetE1EEEvT1_
	.globl	_ZN7rocprim17ROCPRIM_400000_NS6detail17trampoline_kernelINS0_14default_configENS1_25partition_config_selectorILNS1_17partition_subalgoE8EN3c104HalfENS0_10empty_typeEbEEZZNS1_14partition_implILS5_8ELb0ES3_jPKS7_PS8_PKS8_NS0_5tupleIJPS7_S8_EEENSG_IJSD_SD_EEENS0_18inequality_wrapperIN6hipcub16HIPCUB_304000_NS8EqualityEEEPlJS8_EEE10hipError_tPvRmT3_T4_T5_T6_T7_T9_mT8_P12ihipStream_tbDpT10_ENKUlT_T0_E_clISt17integral_constantIbLb0EES19_EEDaS14_S15_EUlS14_E_NS1_11comp_targetILNS1_3genE4ELNS1_11target_archE910ELNS1_3gpuE8ELNS1_3repE0EEENS1_30default_config_static_selectorELNS0_4arch9wavefront6targetE1EEEvT1_
	.p2align	8
	.type	_ZN7rocprim17ROCPRIM_400000_NS6detail17trampoline_kernelINS0_14default_configENS1_25partition_config_selectorILNS1_17partition_subalgoE8EN3c104HalfENS0_10empty_typeEbEEZZNS1_14partition_implILS5_8ELb0ES3_jPKS7_PS8_PKS8_NS0_5tupleIJPS7_S8_EEENSG_IJSD_SD_EEENS0_18inequality_wrapperIN6hipcub16HIPCUB_304000_NS8EqualityEEEPlJS8_EEE10hipError_tPvRmT3_T4_T5_T6_T7_T9_mT8_P12ihipStream_tbDpT10_ENKUlT_T0_E_clISt17integral_constantIbLb0EES19_EEDaS14_S15_EUlS14_E_NS1_11comp_targetILNS1_3genE4ELNS1_11target_archE910ELNS1_3gpuE8ELNS1_3repE0EEENS1_30default_config_static_selectorELNS0_4arch9wavefront6targetE1EEEvT1_,@function
_ZN7rocprim17ROCPRIM_400000_NS6detail17trampoline_kernelINS0_14default_configENS1_25partition_config_selectorILNS1_17partition_subalgoE8EN3c104HalfENS0_10empty_typeEbEEZZNS1_14partition_implILS5_8ELb0ES3_jPKS7_PS8_PKS8_NS0_5tupleIJPS7_S8_EEENSG_IJSD_SD_EEENS0_18inequality_wrapperIN6hipcub16HIPCUB_304000_NS8EqualityEEEPlJS8_EEE10hipError_tPvRmT3_T4_T5_T6_T7_T9_mT8_P12ihipStream_tbDpT10_ENKUlT_T0_E_clISt17integral_constantIbLb0EES19_EEDaS14_S15_EUlS14_E_NS1_11comp_targetILNS1_3genE4ELNS1_11target_archE910ELNS1_3gpuE8ELNS1_3repE0EEENS1_30default_config_static_selectorELNS0_4arch9wavefront6targetE1EEEvT1_: ; @_ZN7rocprim17ROCPRIM_400000_NS6detail17trampoline_kernelINS0_14default_configENS1_25partition_config_selectorILNS1_17partition_subalgoE8EN3c104HalfENS0_10empty_typeEbEEZZNS1_14partition_implILS5_8ELb0ES3_jPKS7_PS8_PKS8_NS0_5tupleIJPS7_S8_EEENSG_IJSD_SD_EEENS0_18inequality_wrapperIN6hipcub16HIPCUB_304000_NS8EqualityEEEPlJS8_EEE10hipError_tPvRmT3_T4_T5_T6_T7_T9_mT8_P12ihipStream_tbDpT10_ENKUlT_T0_E_clISt17integral_constantIbLb0EES19_EEDaS14_S15_EUlS14_E_NS1_11comp_targetILNS1_3genE4ELNS1_11target_archE910ELNS1_3gpuE8ELNS1_3repE0EEENS1_30default_config_static_selectorELNS0_4arch9wavefront6targetE1EEEvT1_
; %bb.0:
	s_load_dwordx2 s[8:9], s[4:5], 0x50
	s_load_dwordx4 s[0:3], s[4:5], 0x8
	s_load_dwordx4 s[20:23], s[4:5], 0x40
	s_load_dword s7, s[4:5], 0x68
	s_waitcnt lgkmcnt(0)
	v_mov_b32_e32 v3, s9
	s_lshl_b64 s[10:11], s[2:3], 1
	s_add_u32 s12, s0, s10
	s_mul_i32 s9, s7, 0x1600
	s_addc_u32 s13, s1, s11
	s_add_i32 s1, s9, s2
	s_add_i32 s10, s7, -1
	s_sub_i32 s7, s8, s1
	v_mov_b32_e32 v2, s8
	s_add_u32 s8, s2, s9
	s_addc_u32 s9, s3, 0
	s_cmp_eq_u32 s6, s10
	s_load_dwordx2 s[22:23], s[22:23], 0x0
	v_cmp_ge_u64_e32 vcc, s[8:9], v[2:3]
	s_cselect_b64 s[24:25], -1, 0
	s_mul_i32 s0, s6, 0x1600
	s_mov_b32 s1, 0
	s_and_b64 s[8:9], s[24:25], vcc
	s_xor_b64 s[26:27], s[8:9], -1
	s_lshl_b64 s[0:1], s[0:1], 1
	s_add_u32 s0, s12, s0
	s_mov_b64 s[10:11], -1
	s_addc_u32 s1, s13, s1
	s_and_b64 vcc, exec, s[26:27]
	s_cbranch_vccz .LBB895_2
; %bb.1:
	v_lshlrev_b32_e32 v1, 1, v0
	v_mov_b32_e32 v2, s1
	v_add_co_u32_e32 v4, vcc, s0, v1
	v_addc_co_u32_e32 v5, vcc, 0, v2, vcc
	v_add_co_u32_e32 v2, vcc, 0x1000, v4
	v_addc_co_u32_e32 v3, vcc, 0, v5, vcc
	global_load_ushort v6, v1, s[0:1]
	global_load_ushort v7, v1, s[0:1] offset:512
	global_load_ushort v8, v1, s[0:1] offset:1024
	;; [unrolled: 1-line block ×7, first 2 shown]
	global_load_ushort v14, v[2:3], off
	global_load_ushort v15, v[2:3], off offset:512
	global_load_ushort v16, v[2:3], off offset:1024
	;; [unrolled: 1-line block ×7, first 2 shown]
	v_add_co_u32_e32 v2, vcc, 0x2000, v4
	v_addc_co_u32_e32 v3, vcc, 0, v5, vcc
	global_load_ushort v4, v[2:3], off
	global_load_ushort v5, v[2:3], off offset:512
	global_load_ushort v22, v[2:3], off offset:1024
	;; [unrolled: 1-line block ×5, first 2 shown]
	s_mov_b64 s[10:11], 0
	s_waitcnt vmcnt(21)
	ds_write_b16 v1, v6
	s_waitcnt vmcnt(20)
	ds_write_b16 v1, v7 offset:512
	s_waitcnt vmcnt(19)
	ds_write_b16 v1, v8 offset:1024
	;; [unrolled: 2-line block ×21, first 2 shown]
	s_waitcnt lgkmcnt(0)
	s_barrier
.LBB895_2:
	s_andn2_b64 vcc, exec, s[10:11]
	s_addk_i32 s7, 0x1600
	s_cbranch_vccnz .LBB895_48
; %bb.3:
	v_cmp_gt_u32_e32 vcc, s7, v0
                                        ; implicit-def: $vgpr1
	s_and_saveexec_b64 s[10:11], vcc
	s_cbranch_execz .LBB895_5
; %bb.4:
	v_lshlrev_b32_e32 v1, 1, v0
	global_load_ushort v1, v1, s[0:1]
.LBB895_5:
	s_or_b64 exec, exec, s[10:11]
	v_or_b32_e32 v2, 0x100, v0
	v_cmp_gt_u32_e32 vcc, s7, v2
                                        ; implicit-def: $vgpr2
	s_and_saveexec_b64 s[10:11], vcc
	s_cbranch_execz .LBB895_7
; %bb.6:
	v_lshlrev_b32_e32 v2, 1, v0
	global_load_ushort v2, v2, s[0:1] offset:512
.LBB895_7:
	s_or_b64 exec, exec, s[10:11]
	v_or_b32_e32 v3, 0x200, v0
	v_cmp_gt_u32_e32 vcc, s7, v3
                                        ; implicit-def: $vgpr3
	s_and_saveexec_b64 s[10:11], vcc
	s_cbranch_execz .LBB895_9
; %bb.8:
	v_lshlrev_b32_e32 v3, 1, v0
	global_load_ushort v3, v3, s[0:1] offset:1024
.LBB895_9:
	s_or_b64 exec, exec, s[10:11]
	v_or_b32_e32 v4, 0x300, v0
	v_cmp_gt_u32_e32 vcc, s7, v4
                                        ; implicit-def: $vgpr4
	s_and_saveexec_b64 s[10:11], vcc
	s_cbranch_execz .LBB895_11
; %bb.10:
	v_lshlrev_b32_e32 v4, 1, v0
	global_load_ushort v4, v4, s[0:1] offset:1536
.LBB895_11:
	s_or_b64 exec, exec, s[10:11]
	v_or_b32_e32 v5, 0x400, v0
	v_cmp_gt_u32_e32 vcc, s7, v5
                                        ; implicit-def: $vgpr5
	s_and_saveexec_b64 s[10:11], vcc
	s_cbranch_execz .LBB895_13
; %bb.12:
	v_lshlrev_b32_e32 v5, 1, v0
	global_load_ushort v5, v5, s[0:1] offset:2048
.LBB895_13:
	s_or_b64 exec, exec, s[10:11]
	v_or_b32_e32 v6, 0x500, v0
	v_cmp_gt_u32_e32 vcc, s7, v6
                                        ; implicit-def: $vgpr6
	s_and_saveexec_b64 s[10:11], vcc
	s_cbranch_execz .LBB895_15
; %bb.14:
	v_lshlrev_b32_e32 v6, 1, v0
	global_load_ushort v6, v6, s[0:1] offset:2560
.LBB895_15:
	s_or_b64 exec, exec, s[10:11]
	v_or_b32_e32 v7, 0x600, v0
	v_cmp_gt_u32_e32 vcc, s7, v7
                                        ; implicit-def: $vgpr7
	s_and_saveexec_b64 s[10:11], vcc
	s_cbranch_execz .LBB895_17
; %bb.16:
	v_lshlrev_b32_e32 v7, 1, v0
	global_load_ushort v7, v7, s[0:1] offset:3072
.LBB895_17:
	s_or_b64 exec, exec, s[10:11]
	v_or_b32_e32 v8, 0x700, v0
	v_cmp_gt_u32_e32 vcc, s7, v8
                                        ; implicit-def: $vgpr8
	s_and_saveexec_b64 s[10:11], vcc
	s_cbranch_execz .LBB895_19
; %bb.18:
	v_lshlrev_b32_e32 v8, 1, v0
	global_load_ushort v8, v8, s[0:1] offset:3584
.LBB895_19:
	s_or_b64 exec, exec, s[10:11]
	v_or_b32_e32 v10, 0x800, v0
	v_cmp_gt_u32_e32 vcc, s7, v10
                                        ; implicit-def: $vgpr9
	s_and_saveexec_b64 s[10:11], vcc
	s_cbranch_execz .LBB895_21
; %bb.20:
	v_lshlrev_b32_e32 v9, 1, v10
	global_load_ushort v9, v9, s[0:1]
.LBB895_21:
	s_or_b64 exec, exec, s[10:11]
	v_or_b32_e32 v11, 0x900, v0
	v_cmp_gt_u32_e32 vcc, s7, v11
                                        ; implicit-def: $vgpr10
	s_and_saveexec_b64 s[10:11], vcc
	s_cbranch_execz .LBB895_23
; %bb.22:
	v_lshlrev_b32_e32 v10, 1, v11
	global_load_ushort v10, v10, s[0:1]
.LBB895_23:
	s_or_b64 exec, exec, s[10:11]
	v_or_b32_e32 v12, 0xa00, v0
	v_cmp_gt_u32_e32 vcc, s7, v12
                                        ; implicit-def: $vgpr11
	s_and_saveexec_b64 s[10:11], vcc
	s_cbranch_execz .LBB895_25
; %bb.24:
	v_lshlrev_b32_e32 v11, 1, v12
	global_load_ushort v11, v11, s[0:1]
.LBB895_25:
	s_or_b64 exec, exec, s[10:11]
	v_or_b32_e32 v13, 0xb00, v0
	v_cmp_gt_u32_e32 vcc, s7, v13
                                        ; implicit-def: $vgpr12
	s_and_saveexec_b64 s[10:11], vcc
	s_cbranch_execz .LBB895_27
; %bb.26:
	v_lshlrev_b32_e32 v12, 1, v13
	global_load_ushort v12, v12, s[0:1]
.LBB895_27:
	s_or_b64 exec, exec, s[10:11]
	v_or_b32_e32 v14, 0xc00, v0
	v_cmp_gt_u32_e32 vcc, s7, v14
                                        ; implicit-def: $vgpr13
	s_and_saveexec_b64 s[10:11], vcc
	s_cbranch_execz .LBB895_29
; %bb.28:
	v_lshlrev_b32_e32 v13, 1, v14
	global_load_ushort v13, v13, s[0:1]
.LBB895_29:
	s_or_b64 exec, exec, s[10:11]
	v_or_b32_e32 v15, 0xd00, v0
	v_cmp_gt_u32_e32 vcc, s7, v15
                                        ; implicit-def: $vgpr14
	s_and_saveexec_b64 s[10:11], vcc
	s_cbranch_execz .LBB895_31
; %bb.30:
	v_lshlrev_b32_e32 v14, 1, v15
	global_load_ushort v14, v14, s[0:1]
.LBB895_31:
	s_or_b64 exec, exec, s[10:11]
	v_or_b32_e32 v16, 0xe00, v0
	v_cmp_gt_u32_e32 vcc, s7, v16
                                        ; implicit-def: $vgpr15
	s_and_saveexec_b64 s[10:11], vcc
	s_cbranch_execz .LBB895_33
; %bb.32:
	v_lshlrev_b32_e32 v15, 1, v16
	global_load_ushort v15, v15, s[0:1]
.LBB895_33:
	s_or_b64 exec, exec, s[10:11]
	v_or_b32_e32 v17, 0xf00, v0
	v_cmp_gt_u32_e32 vcc, s7, v17
                                        ; implicit-def: $vgpr16
	s_and_saveexec_b64 s[10:11], vcc
	s_cbranch_execz .LBB895_35
; %bb.34:
	v_lshlrev_b32_e32 v16, 1, v17
	global_load_ushort v16, v16, s[0:1]
.LBB895_35:
	s_or_b64 exec, exec, s[10:11]
	v_or_b32_e32 v18, 0x1000, v0
	v_cmp_gt_u32_e32 vcc, s7, v18
                                        ; implicit-def: $vgpr17
	s_and_saveexec_b64 s[10:11], vcc
	s_cbranch_execz .LBB895_37
; %bb.36:
	v_lshlrev_b32_e32 v17, 1, v18
	global_load_ushort v17, v17, s[0:1]
.LBB895_37:
	s_or_b64 exec, exec, s[10:11]
	v_or_b32_e32 v19, 0x1100, v0
	v_cmp_gt_u32_e32 vcc, s7, v19
                                        ; implicit-def: $vgpr18
	s_and_saveexec_b64 s[10:11], vcc
	s_cbranch_execz .LBB895_39
; %bb.38:
	v_lshlrev_b32_e32 v18, 1, v19
	global_load_ushort v18, v18, s[0:1]
.LBB895_39:
	s_or_b64 exec, exec, s[10:11]
	v_or_b32_e32 v20, 0x1200, v0
	v_cmp_gt_u32_e32 vcc, s7, v20
                                        ; implicit-def: $vgpr19
	s_and_saveexec_b64 s[10:11], vcc
	s_cbranch_execz .LBB895_41
; %bb.40:
	v_lshlrev_b32_e32 v19, 1, v20
	global_load_ushort v19, v19, s[0:1]
.LBB895_41:
	s_or_b64 exec, exec, s[10:11]
	v_or_b32_e32 v21, 0x1300, v0
	v_cmp_gt_u32_e32 vcc, s7, v21
                                        ; implicit-def: $vgpr20
	s_and_saveexec_b64 s[10:11], vcc
	s_cbranch_execz .LBB895_43
; %bb.42:
	v_lshlrev_b32_e32 v20, 1, v21
	global_load_ushort v20, v20, s[0:1]
.LBB895_43:
	s_or_b64 exec, exec, s[10:11]
	v_or_b32_e32 v22, 0x1400, v0
	v_cmp_gt_u32_e32 vcc, s7, v22
                                        ; implicit-def: $vgpr21
	s_and_saveexec_b64 s[10:11], vcc
	s_cbranch_execz .LBB895_45
; %bb.44:
	v_lshlrev_b32_e32 v21, 1, v22
	global_load_ushort v21, v21, s[0:1]
.LBB895_45:
	s_or_b64 exec, exec, s[10:11]
	v_or_b32_e32 v23, 0x1500, v0
	v_cmp_gt_u32_e32 vcc, s7, v23
                                        ; implicit-def: $vgpr22
	s_and_saveexec_b64 s[10:11], vcc
	s_cbranch_execz .LBB895_47
; %bb.46:
	v_lshlrev_b32_e32 v22, 1, v23
	global_load_ushort v22, v22, s[0:1]
.LBB895_47:
	s_or_b64 exec, exec, s[10:11]
	v_lshlrev_b32_e32 v23, 1, v0
	s_waitcnt vmcnt(0)
	ds_write_b16 v23, v1
	ds_write_b16 v23, v2 offset:512
	ds_write_b16 v23, v3 offset:1024
	ds_write_b16 v23, v4 offset:1536
	ds_write_b16 v23, v5 offset:2048
	ds_write_b16 v23, v6 offset:2560
	ds_write_b16 v23, v7 offset:3072
	ds_write_b16 v23, v8 offset:3584
	ds_write_b16 v23, v9 offset:4096
	ds_write_b16 v23, v10 offset:4608
	ds_write_b16 v23, v11 offset:5120
	ds_write_b16 v23, v12 offset:5632
	ds_write_b16 v23, v13 offset:6144
	ds_write_b16 v23, v14 offset:6656
	ds_write_b16 v23, v15 offset:7168
	ds_write_b16 v23, v16 offset:7680
	ds_write_b16 v23, v17 offset:8192
	ds_write_b16 v23, v18 offset:8704
	ds_write_b16 v23, v19 offset:9216
	ds_write_b16 v23, v20 offset:9728
	ds_write_b16 v23, v21 offset:10240
	ds_write_b16 v23, v22 offset:10752
	s_waitcnt lgkmcnt(0)
	s_barrier
.LBB895_48:
	v_mul_u32_u24_e32 v20, 22, v0
	v_lshlrev_b32_e32 v34, 1, v20
	s_waitcnt lgkmcnt(0)
	ds_read_b32 v60, v34 offset:40
	ds_read2_b32 v[2:3], v34 offset0:8 offset1:9
	ds_read2_b32 v[10:11], v34 offset1:1
	ds_read2_b32 v[8:9], v34 offset0:2 offset1:3
	ds_read2_b32 v[4:5], v34 offset0:6 offset1:7
	;; [unrolled: 1-line block ×3, first 2 shown]
	s_cmp_lg_u32 s6, 0
	s_cselect_b64 s[16:17], -1, 0
	s_cmp_lg_u64 s[2:3], 0
	s_cselect_b64 s[2:3], -1, 0
	s_or_b64 s[2:3], s[16:17], s[2:3]
	v_mad_u32_u24 v12, v0, 22, 21
	v_mad_u32_u24 v13, v0, 22, 20
	s_waitcnt lgkmcnt(5)
	v_lshrrev_b32_e32 v1, 16, v60
	v_mad_u32_u24 v14, v0, 22, 19
	v_mad_u32_u24 v15, v0, 22, 18
	;; [unrolled: 1-line block ×6, first 2 shown]
	v_or_b32_e32 v32, 1, v20
	v_mad_u32_u24 v33, v0, 22, 2
	v_mad_u32_u24 v31, v0, 22, 3
	;; [unrolled: 1-line block ×12, first 2 shown]
	s_mov_b64 s[10:11], 0
	s_and_b64 vcc, exec, s[2:3]
	s_waitcnt lgkmcnt(0)
	s_barrier
	s_cbranch_vccz .LBB895_53
; %bb.49:
	v_mov_b32_e32 v35, 0
	global_load_ushort v35, v35, s[0:1] offset:-2
	v_lshlrev_b32_e32 v36, 1, v0
	s_and_b64 vcc, exec, s[26:27]
	ds_write_b16 v36, v1
	s_cbranch_vccz .LBB895_55
; %bb.50:
	v_cmp_ne_u32_e32 vcc, 0, v0
	s_waitcnt vmcnt(0)
	v_mov_b32_e32 v37, v35
	s_waitcnt lgkmcnt(0)
	s_barrier
	s_and_saveexec_b64 s[0:1], vcc
	s_cbranch_execz .LBB895_52
; %bb.51:
	v_add_u32_e32 v37, -2, v36
	ds_read_u16 v37, v37
.LBB895_52:
	s_or_b64 exec, exec, s[0:1]
	v_cmp_neq_f16_sdwa s[0:1], v3, v60 src0_sel:WORD_1 src1_sel:DWORD
	v_cndmask_b32_e64 v62, 0, 1, s[0:1]
	v_cmp_neq_f16_sdwa s[0:1], v3, v3 src0_sel:DWORD src1_sel:WORD_1
	v_cndmask_b32_e64 v63, 0, 1, s[0:1]
	v_cmp_neq_f16_sdwa s[0:1], v2, v3 src0_sel:WORD_1 src1_sel:DWORD
	v_cndmask_b32_e64 v64, 0, 1, s[0:1]
	v_cmp_neq_f16_sdwa s[0:1], v2, v2 src0_sel:DWORD src1_sel:WORD_1
	v_cndmask_b32_e64 v65, 0, 1, s[0:1]
	v_cmp_neq_f16_sdwa s[0:1], v5, v2 src0_sel:WORD_1 src1_sel:DWORD
	v_cndmask_b32_e64 v66, 0, 1, s[0:1]
	v_cmp_neq_f16_sdwa s[0:1], v5, v5 src0_sel:DWORD src1_sel:WORD_1
	v_cndmask_b32_e64 v67, 0, 1, s[0:1]
	v_cmp_neq_f16_sdwa s[0:1], v4, v5 src0_sel:WORD_1 src1_sel:DWORD
	v_cndmask_b32_e64 v68, 0, 1, s[0:1]
	v_cmp_neq_f16_sdwa s[0:1], v4, v4 src0_sel:DWORD src1_sel:WORD_1
	v_cndmask_b32_e64 v69, 0, 1, s[0:1]
	v_cmp_neq_f16_sdwa s[0:1], v7, v4 src0_sel:WORD_1 src1_sel:DWORD
	v_cndmask_b32_e64 v70, 0, 1, s[0:1]
	v_cmp_neq_f16_sdwa s[0:1], v7, v7 src0_sel:DWORD src1_sel:WORD_1
	v_cndmask_b32_e64 v71, 0, 1, s[0:1]
	v_cmp_neq_f16_sdwa s[0:1], v6, v7 src0_sel:WORD_1 src1_sel:DWORD
	v_cndmask_b32_e64 v72, 0, 1, s[0:1]
	v_cmp_neq_f16_sdwa s[0:1], v6, v6 src0_sel:DWORD src1_sel:WORD_1
	v_cndmask_b32_e64 v73, 0, 1, s[0:1]
	v_cmp_neq_f16_sdwa s[0:1], v9, v6 src0_sel:WORD_1 src1_sel:DWORD
	v_cndmask_b32_e64 v74, 0, 1, s[0:1]
	v_cmp_neq_f16_sdwa s[0:1], v9, v9 src0_sel:DWORD src1_sel:WORD_1
	v_cndmask_b32_e64 v75, 0, 1, s[0:1]
	v_cmp_neq_f16_sdwa s[0:1], v8, v9 src0_sel:WORD_1 src1_sel:DWORD
	v_cndmask_b32_e64 v76, 0, 1, s[0:1]
	v_cmp_neq_f16_sdwa s[0:1], v8, v8 src0_sel:DWORD src1_sel:WORD_1
	v_cndmask_b32_e64 v77, 0, 1, s[0:1]
	v_cmp_neq_f16_sdwa s[0:1], v11, v8 src0_sel:WORD_1 src1_sel:DWORD
	v_cndmask_b32_e64 v78, 0, 1, s[0:1]
	v_cmp_neq_f16_sdwa s[0:1], v11, v11 src0_sel:DWORD src1_sel:WORD_1
	v_cndmask_b32_e64 v79, 0, 1, s[0:1]
	v_cmp_neq_f16_sdwa s[0:1], v10, v11 src0_sel:WORD_1 src1_sel:DWORD
	v_cmp_neq_f16_e32 vcc, v60, v1
	v_cndmask_b32_e64 v80, 0, 1, s[0:1]
	v_cmp_neq_f16_sdwa s[0:1], v10, v10 src0_sel:DWORD src1_sel:WORD_1
	v_cndmask_b32_e64 v61, 0, 1, vcc
	v_cndmask_b32_e64 v81, 0, 1, s[0:1]
	s_waitcnt lgkmcnt(0)
	v_cmp_neq_f16_e64 s[0:1], v10, v37
	s_branch .LBB895_59
.LBB895_53:
                                        ; implicit-def: $sgpr0_sgpr1
                                        ; implicit-def: $vgpr81
                                        ; implicit-def: $vgpr80
                                        ; implicit-def: $vgpr79
                                        ; implicit-def: $vgpr78
                                        ; implicit-def: $vgpr77
                                        ; implicit-def: $vgpr76
                                        ; implicit-def: $vgpr75
                                        ; implicit-def: $vgpr74
                                        ; implicit-def: $vgpr73
                                        ; implicit-def: $vgpr72
                                        ; implicit-def: $vgpr71
                                        ; implicit-def: $vgpr70
                                        ; implicit-def: $vgpr69
                                        ; implicit-def: $vgpr68
                                        ; implicit-def: $vgpr67
                                        ; implicit-def: $vgpr66
                                        ; implicit-def: $vgpr65
                                        ; implicit-def: $vgpr64
                                        ; implicit-def: $vgpr63
                                        ; implicit-def: $vgpr62
                                        ; implicit-def: $vgpr61
	s_branch .LBB895_60
.LBB895_54:
                                        ; implicit-def: $sgpr12
	s_branch .LBB895_68
.LBB895_55:
                                        ; implicit-def: $sgpr0_sgpr1
                                        ; implicit-def: $vgpr81
                                        ; implicit-def: $vgpr80
                                        ; implicit-def: $vgpr79
                                        ; implicit-def: $vgpr78
                                        ; implicit-def: $vgpr77
                                        ; implicit-def: $vgpr76
                                        ; implicit-def: $vgpr75
                                        ; implicit-def: $vgpr74
                                        ; implicit-def: $vgpr73
                                        ; implicit-def: $vgpr72
                                        ; implicit-def: $vgpr71
                                        ; implicit-def: $vgpr70
                                        ; implicit-def: $vgpr69
                                        ; implicit-def: $vgpr68
                                        ; implicit-def: $vgpr67
                                        ; implicit-def: $vgpr66
                                        ; implicit-def: $vgpr65
                                        ; implicit-def: $vgpr64
                                        ; implicit-def: $vgpr63
                                        ; implicit-def: $vgpr62
                                        ; implicit-def: $vgpr61
	s_cbranch_execz .LBB895_59
; %bb.56:
	v_cmp_ne_u32_e32 vcc, 0, v0
	s_waitcnt lgkmcnt(0)
	s_barrier
	s_and_saveexec_b64 s[0:1], vcc
	s_cbranch_execz .LBB895_58
; %bb.57:
	s_waitcnt vmcnt(0)
	v_add_u32_e32 v35, -2, v36
	ds_read_u16 v35, v35
.LBB895_58:
	s_or_b64 exec, exec, s[0:1]
	v_cmp_gt_u32_e32 vcc, s7, v12
	v_cmp_neq_f16_e64 s[0:1], v60, v1
	s_and_b64 s[0:1], vcc, s[0:1]
	v_cndmask_b32_e64 v61, 0, 1, s[0:1]
	v_cmp_gt_u32_e32 vcc, s7, v13
	v_cmp_neq_f16_sdwa s[0:1], v3, v60 src0_sel:WORD_1 src1_sel:DWORD
	s_and_b64 s[0:1], vcc, s[0:1]
	v_cndmask_b32_e64 v62, 0, 1, s[0:1]
	v_cmp_gt_u32_e32 vcc, s7, v14
	v_cmp_neq_f16_sdwa s[0:1], v3, v3 src0_sel:DWORD src1_sel:WORD_1
	s_and_b64 s[0:1], vcc, s[0:1]
	v_cndmask_b32_e64 v63, 0, 1, s[0:1]
	v_cmp_gt_u32_e32 vcc, s7, v15
	v_cmp_neq_f16_sdwa s[0:1], v2, v3 src0_sel:WORD_1 src1_sel:DWORD
	s_and_b64 s[0:1], vcc, s[0:1]
	v_cndmask_b32_e64 v64, 0, 1, s[0:1]
	v_cmp_gt_u32_e32 vcc, s7, v16
	v_cmp_neq_f16_sdwa s[0:1], v2, v2 src0_sel:DWORD src1_sel:WORD_1
	;; [unrolled: 8-line block ×10, first 2 shown]
	s_and_b64 s[0:1], vcc, s[0:1]
	v_cndmask_b32_e64 v81, 0, 1, s[0:1]
	v_cmp_gt_u32_e32 vcc, s7, v20
	s_waitcnt vmcnt(0) lgkmcnt(0)
	v_cmp_neq_f16_e64 s[0:1], v10, v35
	s_and_b64 s[0:1], vcc, s[0:1]
.LBB895_59:
	s_mov_b64 s[10:11], -1
	s_cbranch_execnz .LBB895_54
.LBB895_60:
	s_movk_i32 s0, 0xffd6
	v_mad_i32_i24 v34, v0, s0, v34
	s_and_b64 vcc, exec, s[26:27]
	v_cmp_neq_f16_e64 s[0:1], v60, v1
	v_cmp_neq_f16_sdwa s[2:3], v3, v60 src0_sel:WORD_1 src1_sel:DWORD
	v_cmp_neq_f16_sdwa s[12:13], v3, v3 src0_sel:DWORD src1_sel:WORD_1
	v_cmp_neq_f16_sdwa s[14:15], v2, v3 src0_sel:WORD_1 src1_sel:DWORD
	v_cmp_neq_f16_sdwa s[18:19], v2, v2 src0_sel:DWORD src1_sel:WORD_1
	;; [unrolled: 2-line block ×10, first 2 shown]
	ds_write_b16 v34, v1
	s_cbranch_vccz .LBB895_64
; %bb.61:
	v_cndmask_b32_e64 v61, 0, 1, s[0:1]
	v_cndmask_b32_e64 v62, 0, 1, s[2:3]
	;; [unrolled: 1-line block ×21, first 2 shown]
	v_cmp_ne_u32_e32 vcc, 0, v0
	s_waitcnt lgkmcnt(0)
	s_barrier
	s_waitcnt lgkmcnt(0)
                                        ; implicit-def: $sgpr0_sgpr1
	s_and_saveexec_b64 s[2:3], vcc
	s_xor_b64 s[2:3], exec, s[2:3]
	s_cbranch_execz .LBB895_63
; %bb.62:
	s_waitcnt vmcnt(0)
	v_add_u32_e32 v35, -2, v34
	ds_read_u16 v35, v35
	s_or_b64 s[10:11], s[10:11], exec
	s_waitcnt lgkmcnt(0)
	v_cmp_neq_f16_e32 vcc, v35, v10
	s_and_b64 s[0:1], vcc, exec
.LBB895_63:
	s_or_b64 exec, exec, s[2:3]
	s_mov_b32 s12, 1
	s_branch .LBB895_68
.LBB895_64:
                                        ; implicit-def: $sgpr0_sgpr1
                                        ; implicit-def: $vgpr81
                                        ; implicit-def: $vgpr80
                                        ; implicit-def: $vgpr79
                                        ; implicit-def: $vgpr78
                                        ; implicit-def: $vgpr77
                                        ; implicit-def: $vgpr76
                                        ; implicit-def: $vgpr75
                                        ; implicit-def: $vgpr74
                                        ; implicit-def: $vgpr73
                                        ; implicit-def: $vgpr72
                                        ; implicit-def: $vgpr71
                                        ; implicit-def: $vgpr70
                                        ; implicit-def: $vgpr69
                                        ; implicit-def: $vgpr68
                                        ; implicit-def: $vgpr67
                                        ; implicit-def: $vgpr66
                                        ; implicit-def: $vgpr65
                                        ; implicit-def: $vgpr64
                                        ; implicit-def: $vgpr63
                                        ; implicit-def: $vgpr62
                                        ; implicit-def: $vgpr61
                                        ; implicit-def: $sgpr12
	s_cbranch_execz .LBB895_68
; %bb.65:
	v_cmp_gt_u32_e32 vcc, s7, v12
	v_cmp_neq_f16_e64 s[0:1], v60, v1
	s_and_b64 s[0:1], vcc, s[0:1]
	v_cndmask_b32_e64 v61, 0, 1, s[0:1]
	v_cmp_gt_u32_e32 vcc, s7, v13
	v_cmp_neq_f16_sdwa s[0:1], v3, v60 src0_sel:WORD_1 src1_sel:DWORD
	s_and_b64 s[0:1], vcc, s[0:1]
	v_cndmask_b32_e64 v62, 0, 1, s[0:1]
	v_cmp_gt_u32_e32 vcc, s7, v14
	v_cmp_neq_f16_sdwa s[0:1], v3, v3 src0_sel:DWORD src1_sel:WORD_1
	s_and_b64 s[0:1], vcc, s[0:1]
	v_cndmask_b32_e64 v63, 0, 1, s[0:1]
	v_cmp_gt_u32_e32 vcc, s7, v15
	v_cmp_neq_f16_sdwa s[0:1], v2, v3 src0_sel:WORD_1 src1_sel:DWORD
	s_and_b64 s[0:1], vcc, s[0:1]
	v_cndmask_b32_e64 v64, 0, 1, s[0:1]
	v_cmp_gt_u32_e32 vcc, s7, v16
	v_cmp_neq_f16_sdwa s[0:1], v2, v2 src0_sel:DWORD src1_sel:WORD_1
	;; [unrolled: 8-line block ×10, first 2 shown]
	s_and_b64 s[0:1], vcc, s[0:1]
	v_cndmask_b32_e64 v81, 0, 1, s[0:1]
	v_cmp_ne_u32_e32 vcc, 0, v0
	s_waitcnt lgkmcnt(0)
	s_barrier
	s_waitcnt lgkmcnt(0)
                                        ; implicit-def: $sgpr0_sgpr1
	s_and_saveexec_b64 s[2:3], vcc
	s_cbranch_execz .LBB895_67
; %bb.66:
	v_add_u32_e32 v34, -2, v34
	ds_read_u16 v34, v34
	v_cmp_gt_u32_e32 vcc, s7, v20
	s_or_b64 s[10:11], s[10:11], exec
	s_waitcnt lgkmcnt(0)
	v_cmp_neq_f16_e64 s[0:1], v34, v10
	s_and_b64 s[0:1], vcc, s[0:1]
	s_and_b64 s[0:1], s[0:1], exec
.LBB895_67:
	s_or_b64 exec, exec, s[2:3]
	s_mov_b32 s12, 1
.LBB895_68:
	v_mov_b32_e32 v82, s12
	s_and_saveexec_b64 s[2:3], s[10:11]
; %bb.69:
	v_cndmask_b32_e64 v82, 0, 1, s[0:1]
; %bb.70:
	s_or_b64 exec, exec, s[2:3]
	s_load_dwordx2 s[28:29], s[4:5], 0x60
	s_andn2_b64 vcc, exec, s[8:9]
	s_cbranch_vccnz .LBB895_72
; %bb.71:
	v_cmp_gt_u32_e32 vcc, s7, v20
	v_cndmask_b32_e32 v82, 0, v82, vcc
	v_cmp_gt_u32_e32 vcc, s7, v32
	v_cndmask_b32_e32 v81, 0, v81, vcc
	;; [unrolled: 2-line block ×22, first 2 shown]
.LBB895_72:
	v_and_b32_e32 v47, 0xff, v64
	v_and_b32_e32 v49, 0xff, v63
	v_add_u32_sdwa v12, v62, v61 dst_sel:DWORD dst_unused:UNUSED_PAD src0_sel:BYTE_0 src1_sel:BYTE_0
	v_and_b32_e32 v43, 0xff, v66
	v_and_b32_e32 v45, 0xff, v65
	v_add3_u32 v12, v12, v49, v47
	v_and_b32_e32 v39, 0xff, v68
	v_and_b32_e32 v41, 0xff, v67
	v_add3_u32 v12, v12, v45, v43
	s_waitcnt vmcnt(0)
	v_and_b32_e32 v35, 0xff, v70
	v_and_b32_e32 v37, 0xff, v69
	v_add3_u32 v12, v12, v41, v39
	v_and_b32_e32 v32, 0xff, v72
	v_and_b32_e32 v33, 0xff, v71
	v_add3_u32 v12, v12, v37, v35
	;; [unrolled: 3-line block ×7, first 2 shown]
	v_add3_u32 v38, v12, v23, v22
	v_mbcnt_lo_u32_b32 v12, -1, 0
	v_mbcnt_hi_u32_b32 v34, -1, v12
	v_and_b32_e32 v12, 15, v34
	v_cmp_eq_u32_e64 s[14:15], 0, v12
	v_cmp_lt_u32_e64 s[12:13], 1, v12
	v_cmp_lt_u32_e64 s[10:11], 3, v12
	;; [unrolled: 1-line block ×3, first 2 shown]
	v_and_b32_e32 v12, 16, v34
	v_cmp_eq_u32_e64 s[18:19], 0, v12
	v_or_b32_e32 v12, 63, v0
	v_cmp_lt_u32_e64 s[0:1], 31, v34
	v_lshrrev_b32_e32 v36, 6, v0
	v_cmp_eq_u32_e64 s[2:3], v12, v0
	s_and_b64 vcc, exec, s[16:17]
	s_waitcnt lgkmcnt(0)
	s_barrier
	s_cbranch_vccz .LBB895_99
; %bb.73:
	v_mov_b32_dpp v12, v38 row_shr:1 row_mask:0xf bank_mask:0xf
	v_cndmask_b32_e64 v12, v12, 0, s[14:15]
	v_add_u32_e32 v12, v12, v38
	s_nop 1
	v_mov_b32_dpp v13, v12 row_shr:2 row_mask:0xf bank_mask:0xf
	v_cndmask_b32_e64 v13, 0, v13, s[12:13]
	v_add_u32_e32 v12, v12, v13
	s_nop 1
	;; [unrolled: 4-line block ×4, first 2 shown]
	v_mov_b32_dpp v13, v12 row_bcast:15 row_mask:0xf bank_mask:0xf
	v_cndmask_b32_e64 v13, v13, 0, s[18:19]
	v_add_u32_e32 v12, v12, v13
	s_nop 1
	v_mov_b32_dpp v13, v12 row_bcast:31 row_mask:0xf bank_mask:0xf
	v_cndmask_b32_e64 v13, 0, v13, s[0:1]
	v_add_u32_e32 v12, v12, v13
	s_and_saveexec_b64 s[16:17], s[2:3]
	s_cbranch_execz .LBB895_75
; %bb.74:
	v_lshlrev_b32_e32 v13, 2, v36
	ds_write_b32 v13, v12
.LBB895_75:
	s_or_b64 exec, exec, s[16:17]
	v_cmp_gt_u32_e32 vcc, 4, v0
	s_waitcnt lgkmcnt(0)
	s_barrier
	s_and_saveexec_b64 s[16:17], vcc
	s_cbranch_execz .LBB895_77
; %bb.76:
	v_lshlrev_b32_e32 v13, 2, v0
	ds_read_b32 v14, v13
	v_and_b32_e32 v15, 3, v34
	v_cmp_ne_u32_e32 vcc, 0, v15
	s_waitcnt lgkmcnt(0)
	v_mov_b32_dpp v16, v14 row_shr:1 row_mask:0xf bank_mask:0xf
	v_cndmask_b32_e32 v16, 0, v16, vcc
	v_add_u32_e32 v14, v16, v14
	v_cmp_lt_u32_e32 vcc, 1, v15
	s_nop 0
	v_mov_b32_dpp v16, v14 row_shr:2 row_mask:0xf bank_mask:0xf
	v_cndmask_b32_e32 v15, 0, v16, vcc
	v_add_u32_e32 v14, v14, v15
	ds_write_b32 v13, v14
.LBB895_77:
	s_or_b64 exec, exec, s[16:17]
	v_cmp_gt_u32_e32 vcc, 64, v0
	v_cmp_lt_u32_e64 s[16:17], 63, v0
	s_waitcnt lgkmcnt(0)
	s_barrier
	s_waitcnt lgkmcnt(0)
                                        ; implicit-def: $vgpr40
	s_and_saveexec_b64 s[30:31], s[16:17]
	s_cbranch_execz .LBB895_79
; %bb.78:
	v_lshl_add_u32 v13, v36, 2, -4
	ds_read_b32 v40, v13
	s_waitcnt lgkmcnt(0)
	v_add_u32_e32 v12, v40, v12
.LBB895_79:
	s_or_b64 exec, exec, s[30:31]
	v_add_u32_e32 v13, -1, v34
	v_and_b32_e32 v14, 64, v34
	v_cmp_lt_i32_e64 s[16:17], v13, v14
	v_cndmask_b32_e64 v13, v13, v34, s[16:17]
	v_lshlrev_b32_e32 v13, 2, v13
	ds_bpermute_b32 v42, v13, v12
	v_cmp_eq_u32_e64 s[16:17], 0, v34
	s_and_saveexec_b64 s[30:31], vcc
	s_cbranch_execz .LBB895_98
; %bb.80:
	v_mov_b32_e32 v19, 0
	ds_read_b32 v12, v19 offset:12
	s_and_saveexec_b64 s[34:35], s[16:17]
	s_cbranch_execz .LBB895_82
; %bb.81:
	s_add_i32 s36, s6, 64
	s_mov_b32 s37, 0
	s_lshl_b64 s[36:37], s[36:37], 3
	s_add_u32 s36, s28, s36
	v_mov_b32_e32 v13, 1
	s_addc_u32 s37, s29, s37
	s_waitcnt lgkmcnt(0)
	global_store_dwordx2 v19, v[12:13], s[36:37]
.LBB895_82:
	s_or_b64 exec, exec, s[34:35]
	v_xad_u32 v14, v34, -1, s6
	v_add_u32_e32 v18, 64, v14
	v_lshlrev_b64 v[16:17], 3, v[18:19]
	v_mov_b32_e32 v13, s29
	v_add_co_u32_e32 v20, vcc, s28, v16
	v_addc_co_u32_e32 v21, vcc, v13, v17, vcc
	global_load_dwordx2 v[16:17], v[20:21], off glc
	s_waitcnt vmcnt(0)
	v_cmp_eq_u16_sdwa s[36:37], v17, v19 src0_sel:BYTE_0 src1_sel:DWORD
	s_and_saveexec_b64 s[34:35], s[36:37]
	s_cbranch_execz .LBB895_86
; %bb.83:
	s_mov_b64 s[36:37], 0
	v_mov_b32_e32 v13, 0
.LBB895_84:                             ; =>This Inner Loop Header: Depth=1
	global_load_dwordx2 v[16:17], v[20:21], off glc
	s_waitcnt vmcnt(0)
	v_cmp_ne_u16_sdwa s[38:39], v17, v13 src0_sel:BYTE_0 src1_sel:DWORD
	s_or_b64 s[36:37], s[38:39], s[36:37]
	s_andn2_b64 exec, exec, s[36:37]
	s_cbranch_execnz .LBB895_84
; %bb.85:
	s_or_b64 exec, exec, s[36:37]
.LBB895_86:
	s_or_b64 exec, exec, s[34:35]
	v_and_b32_e32 v46, 63, v34
	v_mov_b32_e32 v44, 2
	v_cmp_ne_u32_e32 vcc, 63, v46
	v_cmp_eq_u16_sdwa s[34:35], v17, v44 src0_sel:BYTE_0 src1_sel:DWORD
	v_lshlrev_b64 v[18:19], v34, -1
	v_addc_co_u32_e32 v20, vcc, 0, v34, vcc
	v_and_b32_e32 v13, s35, v19
	v_lshlrev_b32_e32 v48, 2, v20
	v_or_b32_e32 v13, 0x80000000, v13
	ds_bpermute_b32 v20, v48, v16
	v_and_b32_e32 v15, s34, v18
	v_ffbl_b32_e32 v13, v13
	v_add_u32_e32 v13, 32, v13
	v_ffbl_b32_e32 v15, v15
	v_min_u32_e32 v13, v15, v13
	v_cmp_lt_u32_e32 vcc, v46, v13
	s_waitcnt lgkmcnt(0)
	v_cndmask_b32_e32 v15, 0, v20, vcc
	v_cmp_gt_u32_e32 vcc, 62, v46
	v_add_u32_e32 v15, v15, v16
	v_cndmask_b32_e64 v16, 0, 1, vcc
	v_lshlrev_b32_e32 v16, 1, v16
	v_add_lshl_u32 v50, v16, v34, 2
	ds_bpermute_b32 v16, v50, v15
	v_add_u32_e32 v51, 2, v46
	v_cmp_le_u32_e32 vcc, v51, v13
	v_add_u32_e32 v53, 4, v46
	v_add_u32_e32 v55, 8, v46
	s_waitcnt lgkmcnt(0)
	v_cndmask_b32_e32 v16, 0, v16, vcc
	v_cmp_gt_u32_e32 vcc, 60, v46
	v_add_u32_e32 v15, v15, v16
	v_cndmask_b32_e64 v16, 0, 1, vcc
	v_lshlrev_b32_e32 v16, 2, v16
	v_add_lshl_u32 v52, v16, v34, 2
	ds_bpermute_b32 v16, v52, v15
	v_cmp_le_u32_e32 vcc, v53, v13
	v_add_u32_e32 v57, 16, v46
	v_add_u32_e32 v59, 32, v46
	s_waitcnt lgkmcnt(0)
	v_cndmask_b32_e32 v16, 0, v16, vcc
	v_cmp_gt_u32_e32 vcc, 56, v46
	v_add_u32_e32 v15, v15, v16
	v_cndmask_b32_e64 v16, 0, 1, vcc
	v_lshlrev_b32_e32 v16, 3, v16
	v_add_lshl_u32 v54, v16, v34, 2
	ds_bpermute_b32 v16, v54, v15
	v_cmp_le_u32_e32 vcc, v55, v13
	s_waitcnt lgkmcnt(0)
	v_cndmask_b32_e32 v16, 0, v16, vcc
	v_cmp_gt_u32_e32 vcc, 48, v46
	v_add_u32_e32 v15, v15, v16
	v_cndmask_b32_e64 v16, 0, 1, vcc
	v_lshlrev_b32_e32 v16, 4, v16
	v_add_lshl_u32 v56, v16, v34, 2
	ds_bpermute_b32 v16, v56, v15
	v_cmp_le_u32_e32 vcc, v57, v13
	;; [unrolled: 9-line block ×3, first 2 shown]
	s_waitcnt lgkmcnt(0)
	v_cndmask_b32_e32 v13, 0, v16, vcc
	v_add_u32_e32 v16, v15, v13
	v_mov_b32_e32 v15, 0
	s_branch .LBB895_88
.LBB895_87:                             ;   in Loop: Header=BB895_88 Depth=1
	s_or_b64 exec, exec, s[34:35]
	v_cmp_eq_u16_sdwa s[34:35], v17, v44 src0_sel:BYTE_0 src1_sel:DWORD
	v_and_b32_e32 v20, s35, v19
	v_or_b32_e32 v20, 0x80000000, v20
	ds_bpermute_b32 v83, v48, v16
	v_and_b32_e32 v21, s34, v18
	v_ffbl_b32_e32 v20, v20
	v_add_u32_e32 v20, 32, v20
	v_ffbl_b32_e32 v21, v21
	v_min_u32_e32 v20, v21, v20
	v_cmp_lt_u32_e32 vcc, v46, v20
	s_waitcnt lgkmcnt(0)
	v_cndmask_b32_e32 v21, 0, v83, vcc
	v_add_u32_e32 v16, v21, v16
	ds_bpermute_b32 v21, v50, v16
	v_cmp_le_u32_e32 vcc, v51, v20
	v_subrev_u32_e32 v14, 64, v14
	s_waitcnt lgkmcnt(0)
	v_cndmask_b32_e32 v21, 0, v21, vcc
	v_add_u32_e32 v16, v16, v21
	ds_bpermute_b32 v21, v52, v16
	v_cmp_le_u32_e32 vcc, v53, v20
	s_waitcnt lgkmcnt(0)
	v_cndmask_b32_e32 v21, 0, v21, vcc
	v_add_u32_e32 v16, v16, v21
	ds_bpermute_b32 v21, v54, v16
	v_cmp_le_u32_e32 vcc, v55, v20
	;; [unrolled: 5-line block ×4, first 2 shown]
	s_waitcnt lgkmcnt(0)
	v_cndmask_b32_e32 v20, 0, v21, vcc
	v_add3_u32 v16, v20, v13, v16
.LBB895_88:                             ; =>This Loop Header: Depth=1
                                        ;     Child Loop BB895_91 Depth 2
	v_cmp_ne_u16_sdwa s[34:35], v17, v44 src0_sel:BYTE_0 src1_sel:DWORD
	v_cndmask_b32_e64 v13, 0, 1, s[34:35]
	;;#ASMSTART
	;;#ASMEND
	v_cmp_ne_u32_e32 vcc, 0, v13
	s_cmp_lg_u64 vcc, exec
	v_mov_b32_e32 v13, v16
	s_cbranch_scc1 .LBB895_93
; %bb.89:                               ;   in Loop: Header=BB895_88 Depth=1
	v_lshlrev_b64 v[16:17], 3, v[14:15]
	v_mov_b32_e32 v21, s29
	v_add_co_u32_e32 v20, vcc, s28, v16
	v_addc_co_u32_e32 v21, vcc, v21, v17, vcc
	global_load_dwordx2 v[16:17], v[20:21], off glc
	s_waitcnt vmcnt(0)
	v_cmp_eq_u16_sdwa s[36:37], v17, v15 src0_sel:BYTE_0 src1_sel:DWORD
	s_and_saveexec_b64 s[34:35], s[36:37]
	s_cbranch_execz .LBB895_87
; %bb.90:                               ;   in Loop: Header=BB895_88 Depth=1
	s_mov_b64 s[36:37], 0
.LBB895_91:                             ;   Parent Loop BB895_88 Depth=1
                                        ; =>  This Inner Loop Header: Depth=2
	global_load_dwordx2 v[16:17], v[20:21], off glc
	s_waitcnt vmcnt(0)
	v_cmp_ne_u16_sdwa s[38:39], v17, v15 src0_sel:BYTE_0 src1_sel:DWORD
	s_or_b64 s[36:37], s[38:39], s[36:37]
	s_andn2_b64 exec, exec, s[36:37]
	s_cbranch_execnz .LBB895_91
; %bb.92:                               ;   in Loop: Header=BB895_88 Depth=1
	s_or_b64 exec, exec, s[36:37]
	s_branch .LBB895_87
.LBB895_93:                             ;   in Loop: Header=BB895_88 Depth=1
                                        ; implicit-def: $vgpr16
                                        ; implicit-def: $vgpr17
	s_cbranch_execz .LBB895_88
; %bb.94:
	s_and_saveexec_b64 s[34:35], s[16:17]
	s_cbranch_execz .LBB895_96
; %bb.95:
	s_add_i32 s6, s6, 64
	s_mov_b32 s7, 0
	s_lshl_b64 s[6:7], s[6:7], 3
	s_add_u32 s6, s28, s6
	v_add_u32_e32 v14, v13, v12
	v_mov_b32_e32 v15, 2
	s_addc_u32 s7, s29, s7
	v_mov_b32_e32 v16, 0
	global_store_dwordx2 v16, v[14:15], s[6:7]
	ds_write_b64 v16, v[12:13] offset:11264
.LBB895_96:
	s_or_b64 exec, exec, s[34:35]
	v_cmp_eq_u32_e32 vcc, 0, v0
	s_and_b64 exec, exec, vcc
	s_cbranch_execz .LBB895_98
; %bb.97:
	v_mov_b32_e32 v12, 0
	ds_write_b32 v12, v13 offset:12
.LBB895_98:
	s_or_b64 exec, exec, s[30:31]
	v_mov_b32_e32 v12, 0
	s_waitcnt lgkmcnt(0)
	s_barrier
	ds_read_b32 v15, v12 offset:12
	s_waitcnt lgkmcnt(0)
	s_barrier
	ds_read_b64 v[12:13], v12 offset:11264
	v_cndmask_b32_e64 v14, v42, v40, s[16:17]
	v_cmp_ne_u32_e32 vcc, 0, v0
	v_cndmask_b32_e32 v14, 0, v14, vcc
	v_add_u32_e32 v52, v15, v14
	s_waitcnt lgkmcnt(0)
	v_mov_b32_e32 v14, v13
	s_load_dwordx2 s[4:5], s[4:5], 0x28
	s_branch .LBB895_109
.LBB895_99:
                                        ; implicit-def: $vgpr14
                                        ; implicit-def: $vgpr12
                                        ; implicit-def: $vgpr52
	s_load_dwordx2 s[4:5], s[4:5], 0x28
	s_cbranch_execz .LBB895_109
; %bb.100:
	v_mov_b32_dpp v12, v38 row_shr:1 row_mask:0xf bank_mask:0xf
	v_cndmask_b32_e64 v12, v12, 0, s[14:15]
	v_add_u32_e32 v12, v12, v38
	s_nop 1
	v_mov_b32_dpp v13, v12 row_shr:2 row_mask:0xf bank_mask:0xf
	v_cndmask_b32_e64 v13, 0, v13, s[12:13]
	v_add_u32_e32 v12, v12, v13
	s_nop 1
	;; [unrolled: 4-line block ×4, first 2 shown]
	v_mov_b32_dpp v13, v12 row_bcast:15 row_mask:0xf bank_mask:0xf
	v_cndmask_b32_e64 v13, v13, 0, s[18:19]
	v_add_u32_e32 v12, v12, v13
	s_nop 1
	v_mov_b32_dpp v13, v12 row_bcast:31 row_mask:0xf bank_mask:0xf
	v_cndmask_b32_e64 v13, 0, v13, s[0:1]
	v_add_u32_e32 v12, v12, v13
	s_and_saveexec_b64 s[0:1], s[2:3]
	s_cbranch_execz .LBB895_102
; %bb.101:
	v_lshlrev_b32_e32 v13, 2, v36
	ds_write_b32 v13, v12
.LBB895_102:
	s_or_b64 exec, exec, s[0:1]
	v_cmp_gt_u32_e32 vcc, 4, v0
	s_waitcnt lgkmcnt(0)
	s_barrier
	s_and_saveexec_b64 s[0:1], vcc
	s_cbranch_execz .LBB895_104
; %bb.103:
	v_lshlrev_b32_e32 v13, 2, v0
	ds_read_b32 v14, v13
	v_and_b32_e32 v15, 3, v34
	v_cmp_ne_u32_e32 vcc, 0, v15
	s_waitcnt lgkmcnt(0)
	v_mov_b32_dpp v16, v14 row_shr:1 row_mask:0xf bank_mask:0xf
	v_cndmask_b32_e32 v16, 0, v16, vcc
	v_add_u32_e32 v14, v16, v14
	v_cmp_lt_u32_e32 vcc, 1, v15
	s_nop 0
	v_mov_b32_dpp v16, v14 row_shr:2 row_mask:0xf bank_mask:0xf
	v_cndmask_b32_e32 v15, 0, v16, vcc
	v_add_u32_e32 v14, v14, v15
	ds_write_b32 v13, v14
.LBB895_104:
	s_or_b64 exec, exec, s[0:1]
	v_cmp_lt_u32_e32 vcc, 63, v0
	v_mov_b32_e32 v13, 0
	v_mov_b32_e32 v14, 0
	s_waitcnt lgkmcnt(0)
	s_barrier
	s_and_saveexec_b64 s[0:1], vcc
	s_cbranch_execz .LBB895_106
; %bb.105:
	v_lshl_add_u32 v14, v36, 2, -4
	ds_read_b32 v14, v14
.LBB895_106:
	s_or_b64 exec, exec, s[0:1]
	v_add_u32_e32 v15, -1, v34
	v_and_b32_e32 v16, 64, v34
	v_cmp_lt_i32_e32 vcc, v15, v16
	v_cndmask_b32_e32 v15, v15, v34, vcc
	s_waitcnt lgkmcnt(0)
	v_add_u32_e32 v12, v14, v12
	v_lshlrev_b32_e32 v15, 2, v15
	ds_bpermute_b32 v15, v15, v12
	ds_read_b32 v12, v13 offset:12
	v_cmp_eq_u32_e32 vcc, 0, v0
	s_and_saveexec_b64 s[0:1], vcc
	s_cbranch_execz .LBB895_108
; %bb.107:
	v_mov_b32_e32 v16, 0
	v_mov_b32_e32 v13, 2
	s_waitcnt lgkmcnt(0)
	global_store_dwordx2 v16, v[12:13], s[28:29] offset:512
.LBB895_108:
	s_or_b64 exec, exec, s[0:1]
	v_cmp_eq_u32_e64 s[0:1], 0, v34
	s_waitcnt lgkmcnt(1)
	v_cndmask_b32_e64 v13, v15, v14, s[0:1]
	v_mov_b32_e32 v14, 0
	v_cndmask_b32_e64 v52, v13, 0, vcc
	s_waitcnt lgkmcnt(0)
	s_barrier
.LBB895_109:
	v_add_u32_e32 v58, v52, v22
	v_add_u32_e32 v56, v58, v23
	;; [unrolled: 1-line block ×19, first 2 shown]
	s_movk_i32 s0, 0x101
	v_add_u32_e32 v18, v20, v49
	v_cmp_gt_u32_e32 vcc, s0, v12
	v_add_u32_sdwa v16, v18, v62 dst_sel:DWORD dst_unused:UNUSED_PAD src0_sel:DWORD src1_sel:BYTE_0
	s_mov_b64 s[0:1], -1
	s_cbranch_vccnz .LBB895_113
; %bb.110:
	s_and_b64 vcc, exec, s[0:1]
	s_cbranch_vccnz .LBB895_180
.LBB895_111:
	v_cmp_eq_u32_e32 vcc, 0, v0
	s_and_b64 s[0:1], vcc, s[24:25]
	s_and_saveexec_b64 s[2:3], s[0:1]
	s_cbranch_execnz .LBB895_240
.LBB895_112:
	s_endpgm
.LBB895_113:
	v_add_u32_e32 v13, v14, v12
	s_lshl_b64 s[0:1], s[22:23], 1
	s_waitcnt lgkmcnt(0)
	s_add_u32 s2, s4, s0
	v_cmp_lt_u32_e32 vcc, v52, v13
	s_addc_u32 s3, s5, s1
	s_or_b64 s[6:7], s[26:27], vcc
	s_and_saveexec_b64 s[0:1], s[6:7]
	s_cbranch_execz .LBB895_116
; %bb.114:
	v_and_b32_e32 v15, 1, v82
	v_cmp_eq_u32_e32 vcc, 1, v15
	s_and_b64 exec, exec, vcc
	s_cbranch_execz .LBB895_116
; %bb.115:
	v_mov_b32_e32 v53, 0
	v_lshlrev_b64 v[84:85], 1, v[52:53]
	v_mov_b32_e32 v15, s3
	v_add_co_u32_e32 v84, vcc, s2, v84
	v_addc_co_u32_e32 v85, vcc, v15, v85, vcc
	global_store_short v[84:85], v10, off
.LBB895_116:
	s_or_b64 exec, exec, s[0:1]
	v_cmp_lt_u32_e32 vcc, v58, v13
	s_or_b64 s[6:7], s[26:27], vcc
	s_and_saveexec_b64 s[0:1], s[6:7]
	s_cbranch_execz .LBB895_119
; %bb.117:
	v_and_b32_e32 v15, 1, v81
	v_cmp_eq_u32_e32 vcc, 1, v15
	s_and_b64 exec, exec, vcc
	s_cbranch_execz .LBB895_119
; %bb.118:
	v_mov_b32_e32 v59, 0
	v_lshlrev_b64 v[84:85], 1, v[58:59]
	v_mov_b32_e32 v15, s3
	v_add_co_u32_e32 v84, vcc, s2, v84
	v_addc_co_u32_e32 v85, vcc, v15, v85, vcc
	global_store_short_d16_hi v[84:85], v10, off
.LBB895_119:
	s_or_b64 exec, exec, s[0:1]
	v_cmp_lt_u32_e32 vcc, v56, v13
	s_or_b64 s[6:7], s[26:27], vcc
	s_and_saveexec_b64 s[0:1], s[6:7]
	s_cbranch_execz .LBB895_122
; %bb.120:
	v_and_b32_e32 v15, 1, v80
	v_cmp_eq_u32_e32 vcc, 1, v15
	s_and_b64 exec, exec, vcc
	s_cbranch_execz .LBB895_122
; %bb.121:
	v_mov_b32_e32 v57, 0
	v_lshlrev_b64 v[84:85], 1, v[56:57]
	v_mov_b32_e32 v15, s3
	v_add_co_u32_e32 v84, vcc, s2, v84
	v_addc_co_u32_e32 v85, vcc, v15, v85, vcc
	global_store_short v[84:85], v11, off
.LBB895_122:
	s_or_b64 exec, exec, s[0:1]
	v_cmp_lt_u32_e32 vcc, v54, v13
	s_or_b64 s[6:7], s[26:27], vcc
	s_and_saveexec_b64 s[0:1], s[6:7]
	s_cbranch_execz .LBB895_125
; %bb.123:
	v_and_b32_e32 v15, 1, v79
	v_cmp_eq_u32_e32 vcc, 1, v15
	s_and_b64 exec, exec, vcc
	s_cbranch_execz .LBB895_125
; %bb.124:
	v_mov_b32_e32 v55, 0
	v_lshlrev_b64 v[84:85], 1, v[54:55]
	v_mov_b32_e32 v15, s3
	v_add_co_u32_e32 v84, vcc, s2, v84
	v_addc_co_u32_e32 v85, vcc, v15, v85, vcc
	global_store_short_d16_hi v[84:85], v11, off
.LBB895_125:
	s_or_b64 exec, exec, s[0:1]
	v_cmp_lt_u32_e32 vcc, v50, v13
	;; [unrolled: 36-line block ×10, first 2 shown]
	s_or_b64 s[6:7], s[26:27], vcc
	s_and_saveexec_b64 s[0:1], s[6:7]
	s_cbranch_execz .LBB895_176
; %bb.174:
	v_and_b32_e32 v15, 1, v62
	v_cmp_eq_u32_e32 vcc, 1, v15
	s_and_b64 exec, exec, vcc
	s_cbranch_execz .LBB895_176
; %bb.175:
	v_mov_b32_e32 v19, 0
	v_lshlrev_b64 v[84:85], 1, v[18:19]
	v_mov_b32_e32 v15, s3
	v_add_co_u32_e32 v84, vcc, s2, v84
	v_addc_co_u32_e32 v85, vcc, v15, v85, vcc
	global_store_short v[84:85], v60, off
.LBB895_176:
	s_or_b64 exec, exec, s[0:1]
	v_cmp_lt_u32_e32 vcc, v16, v13
	s_or_b64 s[6:7], s[26:27], vcc
	s_and_saveexec_b64 s[0:1], s[6:7]
	s_cbranch_execz .LBB895_179
; %bb.177:
	v_and_b32_e32 v13, 1, v61
	v_cmp_eq_u32_e32 vcc, 1, v13
	s_and_b64 exec, exec, vcc
	s_cbranch_execz .LBB895_179
; %bb.178:
	v_mov_b32_e32 v17, 0
	v_lshlrev_b64 v[84:85], 1, v[16:17]
	v_mov_b32_e32 v13, s3
	v_add_co_u32_e32 v84, vcc, s2, v84
	v_addc_co_u32_e32 v85, vcc, v13, v85, vcc
	global_store_short v[84:85], v1, off
.LBB895_179:
	s_or_b64 exec, exec, s[0:1]
	s_branch .LBB895_111
.LBB895_180:
	v_and_b32_e32 v13, 1, v82
	v_cmp_eq_u32_e32 vcc, 1, v13
	s_and_saveexec_b64 s[0:1], vcc
	s_cbranch_execz .LBB895_182
; %bb.181:
	v_sub_u32_e32 v13, v52, v14
	v_lshlrev_b32_e32 v13, 1, v13
	ds_write_b16 v13, v10
.LBB895_182:
	s_or_b64 exec, exec, s[0:1]
	v_and_b32_e32 v13, 1, v81
	v_cmp_eq_u32_e32 vcc, 1, v13
	s_and_saveexec_b64 s[0:1], vcc
	s_cbranch_execz .LBB895_184
; %bb.183:
	v_sub_u32_e32 v13, v58, v14
	v_lshlrev_b32_e32 v13, 1, v13
	ds_write_b16_d16_hi v13, v10
.LBB895_184:
	s_or_b64 exec, exec, s[0:1]
	v_and_b32_e32 v10, 1, v80
	v_cmp_eq_u32_e32 vcc, 1, v10
	s_and_saveexec_b64 s[0:1], vcc
	s_cbranch_execz .LBB895_186
; %bb.185:
	v_sub_u32_e32 v10, v56, v14
	v_lshlrev_b32_e32 v10, 1, v10
	ds_write_b16 v10, v11
.LBB895_186:
	s_or_b64 exec, exec, s[0:1]
	v_and_b32_e32 v10, 1, v79
	v_cmp_eq_u32_e32 vcc, 1, v10
	s_and_saveexec_b64 s[0:1], vcc
	s_cbranch_execz .LBB895_188
; %bb.187:
	v_sub_u32_e32 v10, v54, v14
	v_lshlrev_b32_e32 v10, 1, v10
	ds_write_b16_d16_hi v10, v11
.LBB895_188:
	s_or_b64 exec, exec, s[0:1]
	;; [unrolled: 20-line block ×10, first 2 shown]
	v_and_b32_e32 v2, 1, v62
	v_cmp_eq_u32_e32 vcc, 1, v2
	s_and_saveexec_b64 s[0:1], vcc
	s_cbranch_execz .LBB895_222
; %bb.221:
	v_sub_u32_e32 v2, v18, v14
	v_lshlrev_b32_e32 v2, 1, v2
	ds_write_b16 v2, v60
.LBB895_222:
	s_or_b64 exec, exec, s[0:1]
	v_and_b32_e32 v2, 1, v61
	v_cmp_eq_u32_e32 vcc, 1, v2
	s_and_saveexec_b64 s[0:1], vcc
	s_cbranch_execz .LBB895_224
; %bb.223:
	v_sub_u32_e32 v2, v16, v14
	v_lshlrev_b32_e32 v2, 1, v2
	ds_write_b16 v2, v1
.LBB895_224:
	s_or_b64 exec, exec, s[0:1]
	v_cmp_lt_u32_e32 vcc, v0, v12
	s_waitcnt lgkmcnt(0)
	s_barrier
	s_and_saveexec_b64 s[6:7], vcc
	s_cbranch_execz .LBB895_239
; %bb.225:
	s_lshl_b64 s[0:1], s[22:23], 1
	v_mov_b32_e32 v15, 0
	s_add_u32 s0, s4, s0
	s_addc_u32 s1, s5, s1
	v_lshlrev_b64 v[2:3], 1, v[14:15]
	v_mov_b32_e32 v1, s1
	v_add_co_u32_e32 v10, vcc, s0, v2
	v_addc_co_u32_e32 v11, vcc, v1, v3, vcc
	v_xad_u32 v1, v0, -1, v12
	s_movk_i32 s0, 0x1700
	v_cmp_gt_u32_e32 vcc, s0, v1
	s_movk_i32 s0, 0x16ff
	v_cmp_lt_u32_e64 s[0:1], s0, v1
	v_mov_b32_e32 v2, v0
	s_and_saveexec_b64 s[4:5], s[0:1]
	s_cbranch_execz .LBB895_236
; %bb.226:
	v_sub_u32_e32 v2, v0, v12
	v_or_b32_e32 v2, 0xff, v2
	v_cmp_ge_u32_e64 s[0:1], v2, v0
	s_mov_b64 s[2:3], -1
	v_mov_b32_e32 v2, v0
	s_and_saveexec_b64 s[8:9], s[0:1]
	s_cbranch_execz .LBB895_235
; %bb.227:
	v_lshrrev_b32_e32 v13, 8, v1
	v_add_u32_e32 v4, -3, v13
	v_or_b32_e32 v3, 0x300, v0
	v_or_b32_e32 v2, 0x200, v0
	v_lshrrev_b32_e32 v5, 2, v4
	v_or_b32_e32 v1, 0x100, v0
	v_add_u32_e32 v16, 1, v5
	v_cmp_lt_u32_e64 s[0:1], 11, v4
	v_pk_mov_b32 v[6:7], v[2:3], v[2:3] op_sel:[0,1]
	v_mov_b32_e32 v19, 0
	v_lshlrev_b32_e32 v15, 1, v0
	v_pk_mov_b32 v[4:5], v[0:1], v[0:1] op_sel:[0,1]
	s_and_saveexec_b64 s[10:11], s[0:1]
	s_cbranch_execz .LBB895_231
; %bb.228:
	v_pk_mov_b32 v[6:7], v[2:3], v[2:3] op_sel:[0,1]
	v_and_b32_e32 v17, 0x7ffffffc, v16
	s_mov_b32 s14, 0
	s_mov_b64 s[12:13], 0
	v_mov_b32_e32 v9, 0
	v_mov_b32_e32 v18, v15
	v_pk_mov_b32 v[4:5], v[0:1], v[0:1] op_sel:[0,1]
.LBB895_229:                            ; =>This Inner Loop Header: Depth=1
	v_mov_b32_e32 v8, v4
	v_lshlrev_b64 v[36:37], 1, v[8:9]
	v_add_u32_e32 v22, 0x400, v5
	v_mov_b32_e32 v23, v9
	v_add_co_u32_e64 v36, s[2:3], v10, v36
	v_lshlrev_b64 v[22:23], 1, v[22:23]
	v_addc_co_u32_e64 v37, s[2:3], v11, v37, s[2:3]
	v_add_u32_e32 v20, 0x400, v6
	v_mov_b32_e32 v21, v9
	v_add_co_u32_e64 v22, s[2:3], v10, v22
	v_lshlrev_b64 v[20:21], 1, v[20:21]
	v_addc_co_u32_e64 v23, s[2:3], v11, v23, s[2:3]
	v_add_u32_e32 v2, 0x400, v7
	v_mov_b32_e32 v3, v9
	v_add_co_u32_e64 v20, s[2:3], v10, v20
	v_add_u32_e32 v17, -4, v17
	v_mov_b32_e32 v8, v5
	v_lshlrev_b64 v[2:3], 1, v[2:3]
	v_addc_co_u32_e64 v21, s[2:3], v11, v21, s[2:3]
	v_add_u32_e32 v28, 0x800, v5
	v_mov_b32_e32 v29, v9
	s_add_i32 s14, s14, 16
	v_cmp_eq_u32_e64 s[0:1], 0, v17
	v_lshlrev_b64 v[38:39], 1, v[8:9]
	v_add_co_u32_e64 v2, s[2:3], v10, v2
	v_lshlrev_b64 v[28:29], 1, v[28:29]
	v_mov_b32_e32 v8, v6
	v_addc_co_u32_e64 v3, s[2:3], v11, v3, s[2:3]
	s_or_b64 s[12:13], s[0:1], s[12:13]
	v_add_co_u32_e64 v38, s[0:1], v10, v38
	v_add_u32_e32 v26, 0x800, v6
	v_mov_b32_e32 v27, v9
	v_add_co_u32_e64 v28, s[2:3], v10, v28
	v_addc_co_u32_e64 v39, s[0:1], v11, v39, s[0:1]
	v_lshlrev_b64 v[40:41], 1, v[8:9]
	v_lshlrev_b64 v[26:27], 1, v[26:27]
	v_addc_co_u32_e64 v29, s[2:3], v11, v29, s[2:3]
	v_mov_b32_e32 v8, v7
	v_add_co_u32_e64 v40, s[0:1], v10, v40
	ds_read_u16 v1, v18
	ds_read_u16 v44, v18 offset:512
	ds_read_u16 v45, v18 offset:1024
	;; [unrolled: 1-line block ×7, first 2 shown]
	v_add_u32_e32 v24, 0x800, v7
	v_mov_b32_e32 v25, v9
	v_add_co_u32_e64 v26, s[2:3], v10, v26
	v_addc_co_u32_e64 v41, s[0:1], v11, v41, s[0:1]
	v_lshlrev_b64 v[42:43], 1, v[8:9]
	v_lshlrev_b64 v[24:25], 1, v[24:25]
	v_addc_co_u32_e64 v27, s[2:3], v11, v27, s[2:3]
	v_add_u32_e32 v8, 0x400, v4
	v_add_co_u32_e64 v42, s[0:1], v10, v42
	v_add_u32_e32 v34, 0xc00, v5
	v_mov_b32_e32 v35, v9
	ds_read_u16 v51, v18 offset:4096
	ds_read_u16 v52, v18 offset:4608
	;; [unrolled: 1-line block ×8, first 2 shown]
	v_add_co_u32_e64 v24, s[2:3], v10, v24
	v_addc_co_u32_e64 v43, s[0:1], v11, v43, s[0:1]
	s_waitcnt lgkmcnt(14)
	global_store_short v[36:37], v1, off
	global_store_short v[38:39], v44, off
	s_waitcnt lgkmcnt(13)
	global_store_short v[40:41], v45, off
	v_lshlrev_b64 v[36:37], 1, v[8:9]
	v_lshlrev_b64 v[34:35], 1, v[34:35]
	v_addc_co_u32_e64 v25, s[2:3], v11, v25, s[2:3]
	v_add_u32_e32 v8, 0x800, v4
	v_add_co_u32_e64 v36, s[0:1], v10, v36
	v_add_u32_e32 v32, 0xc00, v6
	v_mov_b32_e32 v33, v9
	v_add_co_u32_e64 v34, s[2:3], v10, v34
	v_addc_co_u32_e64 v37, s[0:1], v11, v37, s[0:1]
	v_lshlrev_b64 v[38:39], 1, v[8:9]
	v_lshlrev_b64 v[32:33], 1, v[32:33]
	v_addc_co_u32_e64 v35, s[2:3], v11, v35, s[2:3]
	s_waitcnt lgkmcnt(12)
	global_store_short v[42:43], v46, off
	v_add_u32_e32 v8, 0xc00, v4
	s_waitcnt lgkmcnt(11)
	global_store_short v[36:37], v47, off
	s_waitcnt lgkmcnt(10)
	global_store_short v[22:23], v48, off
	;; [unrolled: 2-line block ×4, first 2 shown]
	v_add_co_u32_e64 v2, s[0:1], v10, v38
	v_add_u32_e32 v30, 0xc00, v7
	v_mov_b32_e32 v31, v9
	v_add_co_u32_e64 v32, s[2:3], v10, v32
	v_addc_co_u32_e64 v3, s[0:1], v11, v39, s[0:1]
	v_lshlrev_b64 v[20:21], 1, v[8:9]
	v_lshlrev_b64 v[30:31], 1, v[30:31]
	v_addc_co_u32_e64 v33, s[2:3], v11, v33, s[2:3]
	s_waitcnt lgkmcnt(7)
	global_store_short v[2:3], v51, off
	s_waitcnt lgkmcnt(6)
	global_store_short v[28:29], v52, off
	;; [unrolled: 2-line block ×4, first 2 shown]
	v_add_co_u32_e64 v2, s[0:1], v10, v20
	v_add_u32_e32 v18, 0x2000, v18
	v_add_u32_e32 v5, 0x1000, v5
	v_mov_b32_e32 v19, s14
	v_add_co_u32_e64 v30, s[2:3], v10, v30
	v_add_u32_e32 v6, 0x1000, v6
	v_add_u32_e32 v7, 0x1000, v7
	;; [unrolled: 1-line block ×3, first 2 shown]
	v_addc_co_u32_e64 v3, s[0:1], v11, v21, s[0:1]
	v_addc_co_u32_e64 v31, s[2:3], v11, v31, s[2:3]
	s_waitcnt lgkmcnt(3)
	global_store_short v[2:3], v55, off
	s_waitcnt lgkmcnt(2)
	global_store_short v[34:35], v56, off
	;; [unrolled: 2-line block ×4, first 2 shown]
	s_andn2_b64 exec, exec, s[12:13]
	s_cbranch_execnz .LBB895_229
; %bb.230:
	s_or_b64 exec, exec, s[12:13]
.LBB895_231:
	s_or_b64 exec, exec, s[10:11]
	v_and_b32_e32 v1, 3, v16
	v_cmp_ne_u32_e64 s[0:1], 0, v1
	s_and_saveexec_b64 s[10:11], s[0:1]
	s_cbranch_execz .LBB895_234
; %bb.232:
	v_lshl_or_b32 v8, v19, 9, v15
	s_mov_b64 s[12:13], 0
	v_mov_b32_e32 v3, 0
.LBB895_233:                            ; =>This Inner Loop Header: Depth=1
	v_mov_b32_e32 v2, v4
	v_add_u32_e32 v1, -1, v1
	v_lshlrev_b64 v[16:17], 1, v[2:3]
	v_mov_b32_e32 v2, v5
	v_cmp_eq_u32_e64 s[0:1], 0, v1
	v_lshlrev_b64 v[18:19], 1, v[2:3]
	ds_read_u16 v9, v8
	ds_read_u16 v15, v8 offset:512
	ds_read_u16 v24, v8 offset:1024
	;; [unrolled: 1-line block ×3, first 2 shown]
	v_mov_b32_e32 v2, v6
	s_or_b64 s[12:13], s[0:1], s[12:13]
	v_add_co_u32_e64 v18, s[0:1], v10, v18
	v_addc_co_u32_e64 v19, s[0:1], v11, v19, s[0:1]
	v_lshlrev_b64 v[20:21], 1, v[2:3]
	v_mov_b32_e32 v2, v7
	v_add_co_u32_e64 v20, s[0:1], v10, v20
	v_add_co_u32_e64 v16, s[2:3], v10, v16
	v_addc_co_u32_e64 v21, s[0:1], v11, v21, s[0:1]
	v_lshlrev_b64 v[22:23], 1, v[2:3]
	v_add_u32_e32 v4, 0x400, v4
	v_add_u32_e32 v8, 0x800, v8
	;; [unrolled: 1-line block ×3, first 2 shown]
	v_addc_co_u32_e64 v17, s[2:3], v11, v17, s[2:3]
	v_add_u32_e32 v6, 0x400, v6
	v_add_u32_e32 v7, 0x400, v7
	v_add_co_u32_e64 v22, s[0:1], v10, v22
	v_addc_co_u32_e64 v23, s[0:1], v11, v23, s[0:1]
	s_waitcnt lgkmcnt(3)
	global_store_short v[16:17], v9, off
	s_waitcnt lgkmcnt(2)
	global_store_short v[18:19], v15, off
	;; [unrolled: 2-line block ×4, first 2 shown]
	s_andn2_b64 exec, exec, s[12:13]
	s_cbranch_execnz .LBB895_233
.LBB895_234:
	s_or_b64 exec, exec, s[10:11]
	v_add_u32_e32 v1, 1, v13
	v_and_b32_e32 v3, 0x1fffffc, v1
	v_cmp_ne_u32_e64 s[0:1], v1, v3
	v_lshl_or_b32 v2, v3, 8, v0
	s_orn2_b64 s[2:3], s[0:1], exec
.LBB895_235:
	s_or_b64 exec, exec, s[8:9]
	s_andn2_b64 s[0:1], vcc, exec
	s_and_b64 s[2:3], s[2:3], exec
	s_or_b64 vcc, s[0:1], s[2:3]
.LBB895_236:
	s_or_b64 exec, exec, s[4:5]
	s_and_b64 exec, exec, vcc
	s_cbranch_execz .LBB895_239
; %bb.237:
	v_lshlrev_b32_e32 v1, 1, v2
	s_mov_b64 s[0:1], 0
	v_mov_b32_e32 v3, 0
.LBB895_238:                            ; =>This Inner Loop Header: Depth=1
	v_lshlrev_b64 v[4:5], 1, v[2:3]
	ds_read_u16 v6, v1
	v_add_co_u32_e32 v4, vcc, v10, v4
	v_add_u32_e32 v2, 0x100, v2
	v_addc_co_u32_e32 v5, vcc, v11, v5, vcc
	v_cmp_ge_u32_e32 vcc, v2, v12
	v_add_u32_e32 v1, 0x200, v1
	s_or_b64 s[0:1], vcc, s[0:1]
	s_waitcnt lgkmcnt(0)
	global_store_short v[4:5], v6, off
	s_andn2_b64 exec, exec, s[0:1]
	s_cbranch_execnz .LBB895_238
.LBB895_239:
	s_or_b64 exec, exec, s[6:7]
	v_cmp_eq_u32_e32 vcc, 0, v0
	s_and_b64 s[0:1], vcc, s[24:25]
	s_and_saveexec_b64 s[2:3], s[0:1]
	s_cbranch_execz .LBB895_112
.LBB895_240:
	v_mov_b32_e32 v0, s23
	v_add_co_u32_e32 v1, vcc, s22, v12
	v_addc_co_u32_e32 v3, vcc, 0, v0, vcc
	v_add_co_u32_e32 v0, vcc, v1, v14
	v_mov_b32_e32 v2, 0
	v_addc_co_u32_e32 v1, vcc, 0, v3, vcc
	global_store_dwordx2 v2, v[0:1], s[20:21]
	s_endpgm
	.section	.rodata,"a",@progbits
	.p2align	6, 0x0
	.amdhsa_kernel _ZN7rocprim17ROCPRIM_400000_NS6detail17trampoline_kernelINS0_14default_configENS1_25partition_config_selectorILNS1_17partition_subalgoE8EN3c104HalfENS0_10empty_typeEbEEZZNS1_14partition_implILS5_8ELb0ES3_jPKS7_PS8_PKS8_NS0_5tupleIJPS7_S8_EEENSG_IJSD_SD_EEENS0_18inequality_wrapperIN6hipcub16HIPCUB_304000_NS8EqualityEEEPlJS8_EEE10hipError_tPvRmT3_T4_T5_T6_T7_T9_mT8_P12ihipStream_tbDpT10_ENKUlT_T0_E_clISt17integral_constantIbLb0EES19_EEDaS14_S15_EUlS14_E_NS1_11comp_targetILNS1_3genE4ELNS1_11target_archE910ELNS1_3gpuE8ELNS1_3repE0EEENS1_30default_config_static_selectorELNS0_4arch9wavefront6targetE1EEEvT1_
		.amdhsa_group_segment_fixed_size 11272
		.amdhsa_private_segment_fixed_size 0
		.amdhsa_kernarg_size 112
		.amdhsa_user_sgpr_count 6
		.amdhsa_user_sgpr_private_segment_buffer 1
		.amdhsa_user_sgpr_dispatch_ptr 0
		.amdhsa_user_sgpr_queue_ptr 0
		.amdhsa_user_sgpr_kernarg_segment_ptr 1
		.amdhsa_user_sgpr_dispatch_id 0
		.amdhsa_user_sgpr_flat_scratch_init 0
		.amdhsa_user_sgpr_kernarg_preload_length 0
		.amdhsa_user_sgpr_kernarg_preload_offset 0
		.amdhsa_user_sgpr_private_segment_size 0
		.amdhsa_uses_dynamic_stack 0
		.amdhsa_system_sgpr_private_segment_wavefront_offset 0
		.amdhsa_system_sgpr_workgroup_id_x 1
		.amdhsa_system_sgpr_workgroup_id_y 0
		.amdhsa_system_sgpr_workgroup_id_z 0
		.amdhsa_system_sgpr_workgroup_info 0
		.amdhsa_system_vgpr_workitem_id 0
		.amdhsa_next_free_vgpr 86
		.amdhsa_next_free_sgpr 62
		.amdhsa_accum_offset 88
		.amdhsa_reserve_vcc 1
		.amdhsa_reserve_flat_scratch 0
		.amdhsa_float_round_mode_32 0
		.amdhsa_float_round_mode_16_64 0
		.amdhsa_float_denorm_mode_32 3
		.amdhsa_float_denorm_mode_16_64 3
		.amdhsa_dx10_clamp 1
		.amdhsa_ieee_mode 1
		.amdhsa_fp16_overflow 0
		.amdhsa_tg_split 0
		.amdhsa_exception_fp_ieee_invalid_op 0
		.amdhsa_exception_fp_denorm_src 0
		.amdhsa_exception_fp_ieee_div_zero 0
		.amdhsa_exception_fp_ieee_overflow 0
		.amdhsa_exception_fp_ieee_underflow 0
		.amdhsa_exception_fp_ieee_inexact 0
		.amdhsa_exception_int_div_zero 0
	.end_amdhsa_kernel
	.section	.text._ZN7rocprim17ROCPRIM_400000_NS6detail17trampoline_kernelINS0_14default_configENS1_25partition_config_selectorILNS1_17partition_subalgoE8EN3c104HalfENS0_10empty_typeEbEEZZNS1_14partition_implILS5_8ELb0ES3_jPKS7_PS8_PKS8_NS0_5tupleIJPS7_S8_EEENSG_IJSD_SD_EEENS0_18inequality_wrapperIN6hipcub16HIPCUB_304000_NS8EqualityEEEPlJS8_EEE10hipError_tPvRmT3_T4_T5_T6_T7_T9_mT8_P12ihipStream_tbDpT10_ENKUlT_T0_E_clISt17integral_constantIbLb0EES19_EEDaS14_S15_EUlS14_E_NS1_11comp_targetILNS1_3genE4ELNS1_11target_archE910ELNS1_3gpuE8ELNS1_3repE0EEENS1_30default_config_static_selectorELNS0_4arch9wavefront6targetE1EEEvT1_,"axG",@progbits,_ZN7rocprim17ROCPRIM_400000_NS6detail17trampoline_kernelINS0_14default_configENS1_25partition_config_selectorILNS1_17partition_subalgoE8EN3c104HalfENS0_10empty_typeEbEEZZNS1_14partition_implILS5_8ELb0ES3_jPKS7_PS8_PKS8_NS0_5tupleIJPS7_S8_EEENSG_IJSD_SD_EEENS0_18inequality_wrapperIN6hipcub16HIPCUB_304000_NS8EqualityEEEPlJS8_EEE10hipError_tPvRmT3_T4_T5_T6_T7_T9_mT8_P12ihipStream_tbDpT10_ENKUlT_T0_E_clISt17integral_constantIbLb0EES19_EEDaS14_S15_EUlS14_E_NS1_11comp_targetILNS1_3genE4ELNS1_11target_archE910ELNS1_3gpuE8ELNS1_3repE0EEENS1_30default_config_static_selectorELNS0_4arch9wavefront6targetE1EEEvT1_,comdat
.Lfunc_end895:
	.size	_ZN7rocprim17ROCPRIM_400000_NS6detail17trampoline_kernelINS0_14default_configENS1_25partition_config_selectorILNS1_17partition_subalgoE8EN3c104HalfENS0_10empty_typeEbEEZZNS1_14partition_implILS5_8ELb0ES3_jPKS7_PS8_PKS8_NS0_5tupleIJPS7_S8_EEENSG_IJSD_SD_EEENS0_18inequality_wrapperIN6hipcub16HIPCUB_304000_NS8EqualityEEEPlJS8_EEE10hipError_tPvRmT3_T4_T5_T6_T7_T9_mT8_P12ihipStream_tbDpT10_ENKUlT_T0_E_clISt17integral_constantIbLb0EES19_EEDaS14_S15_EUlS14_E_NS1_11comp_targetILNS1_3genE4ELNS1_11target_archE910ELNS1_3gpuE8ELNS1_3repE0EEENS1_30default_config_static_selectorELNS0_4arch9wavefront6targetE1EEEvT1_, .Lfunc_end895-_ZN7rocprim17ROCPRIM_400000_NS6detail17trampoline_kernelINS0_14default_configENS1_25partition_config_selectorILNS1_17partition_subalgoE8EN3c104HalfENS0_10empty_typeEbEEZZNS1_14partition_implILS5_8ELb0ES3_jPKS7_PS8_PKS8_NS0_5tupleIJPS7_S8_EEENSG_IJSD_SD_EEENS0_18inequality_wrapperIN6hipcub16HIPCUB_304000_NS8EqualityEEEPlJS8_EEE10hipError_tPvRmT3_T4_T5_T6_T7_T9_mT8_P12ihipStream_tbDpT10_ENKUlT_T0_E_clISt17integral_constantIbLb0EES19_EEDaS14_S15_EUlS14_E_NS1_11comp_targetILNS1_3genE4ELNS1_11target_archE910ELNS1_3gpuE8ELNS1_3repE0EEENS1_30default_config_static_selectorELNS0_4arch9wavefront6targetE1EEEvT1_
                                        ; -- End function
	.section	.AMDGPU.csdata,"",@progbits
; Kernel info:
; codeLenInByte = 10436
; NumSgprs: 66
; NumVgprs: 86
; NumAgprs: 0
; TotalNumVgprs: 86
; ScratchSize: 0
; MemoryBound: 0
; FloatMode: 240
; IeeeMode: 1
; LDSByteSize: 11272 bytes/workgroup (compile time only)
; SGPRBlocks: 8
; VGPRBlocks: 10
; NumSGPRsForWavesPerEU: 66
; NumVGPRsForWavesPerEU: 86
; AccumOffset: 88
; Occupancy: 5
; WaveLimiterHint : 1
; COMPUTE_PGM_RSRC2:SCRATCH_EN: 0
; COMPUTE_PGM_RSRC2:USER_SGPR: 6
; COMPUTE_PGM_RSRC2:TRAP_HANDLER: 0
; COMPUTE_PGM_RSRC2:TGID_X_EN: 1
; COMPUTE_PGM_RSRC2:TGID_Y_EN: 0
; COMPUTE_PGM_RSRC2:TGID_Z_EN: 0
; COMPUTE_PGM_RSRC2:TIDIG_COMP_CNT: 0
; COMPUTE_PGM_RSRC3_GFX90A:ACCUM_OFFSET: 21
; COMPUTE_PGM_RSRC3_GFX90A:TG_SPLIT: 0
	.section	.text._ZN7rocprim17ROCPRIM_400000_NS6detail17trampoline_kernelINS0_14default_configENS1_25partition_config_selectorILNS1_17partition_subalgoE8EN3c104HalfENS0_10empty_typeEbEEZZNS1_14partition_implILS5_8ELb0ES3_jPKS7_PS8_PKS8_NS0_5tupleIJPS7_S8_EEENSG_IJSD_SD_EEENS0_18inequality_wrapperIN6hipcub16HIPCUB_304000_NS8EqualityEEEPlJS8_EEE10hipError_tPvRmT3_T4_T5_T6_T7_T9_mT8_P12ihipStream_tbDpT10_ENKUlT_T0_E_clISt17integral_constantIbLb0EES19_EEDaS14_S15_EUlS14_E_NS1_11comp_targetILNS1_3genE3ELNS1_11target_archE908ELNS1_3gpuE7ELNS1_3repE0EEENS1_30default_config_static_selectorELNS0_4arch9wavefront6targetE1EEEvT1_,"axG",@progbits,_ZN7rocprim17ROCPRIM_400000_NS6detail17trampoline_kernelINS0_14default_configENS1_25partition_config_selectorILNS1_17partition_subalgoE8EN3c104HalfENS0_10empty_typeEbEEZZNS1_14partition_implILS5_8ELb0ES3_jPKS7_PS8_PKS8_NS0_5tupleIJPS7_S8_EEENSG_IJSD_SD_EEENS0_18inequality_wrapperIN6hipcub16HIPCUB_304000_NS8EqualityEEEPlJS8_EEE10hipError_tPvRmT3_T4_T5_T6_T7_T9_mT8_P12ihipStream_tbDpT10_ENKUlT_T0_E_clISt17integral_constantIbLb0EES19_EEDaS14_S15_EUlS14_E_NS1_11comp_targetILNS1_3genE3ELNS1_11target_archE908ELNS1_3gpuE7ELNS1_3repE0EEENS1_30default_config_static_selectorELNS0_4arch9wavefront6targetE1EEEvT1_,comdat
	.protected	_ZN7rocprim17ROCPRIM_400000_NS6detail17trampoline_kernelINS0_14default_configENS1_25partition_config_selectorILNS1_17partition_subalgoE8EN3c104HalfENS0_10empty_typeEbEEZZNS1_14partition_implILS5_8ELb0ES3_jPKS7_PS8_PKS8_NS0_5tupleIJPS7_S8_EEENSG_IJSD_SD_EEENS0_18inequality_wrapperIN6hipcub16HIPCUB_304000_NS8EqualityEEEPlJS8_EEE10hipError_tPvRmT3_T4_T5_T6_T7_T9_mT8_P12ihipStream_tbDpT10_ENKUlT_T0_E_clISt17integral_constantIbLb0EES19_EEDaS14_S15_EUlS14_E_NS1_11comp_targetILNS1_3genE3ELNS1_11target_archE908ELNS1_3gpuE7ELNS1_3repE0EEENS1_30default_config_static_selectorELNS0_4arch9wavefront6targetE1EEEvT1_ ; -- Begin function _ZN7rocprim17ROCPRIM_400000_NS6detail17trampoline_kernelINS0_14default_configENS1_25partition_config_selectorILNS1_17partition_subalgoE8EN3c104HalfENS0_10empty_typeEbEEZZNS1_14partition_implILS5_8ELb0ES3_jPKS7_PS8_PKS8_NS0_5tupleIJPS7_S8_EEENSG_IJSD_SD_EEENS0_18inequality_wrapperIN6hipcub16HIPCUB_304000_NS8EqualityEEEPlJS8_EEE10hipError_tPvRmT3_T4_T5_T6_T7_T9_mT8_P12ihipStream_tbDpT10_ENKUlT_T0_E_clISt17integral_constantIbLb0EES19_EEDaS14_S15_EUlS14_E_NS1_11comp_targetILNS1_3genE3ELNS1_11target_archE908ELNS1_3gpuE7ELNS1_3repE0EEENS1_30default_config_static_selectorELNS0_4arch9wavefront6targetE1EEEvT1_
	.globl	_ZN7rocprim17ROCPRIM_400000_NS6detail17trampoline_kernelINS0_14default_configENS1_25partition_config_selectorILNS1_17partition_subalgoE8EN3c104HalfENS0_10empty_typeEbEEZZNS1_14partition_implILS5_8ELb0ES3_jPKS7_PS8_PKS8_NS0_5tupleIJPS7_S8_EEENSG_IJSD_SD_EEENS0_18inequality_wrapperIN6hipcub16HIPCUB_304000_NS8EqualityEEEPlJS8_EEE10hipError_tPvRmT3_T4_T5_T6_T7_T9_mT8_P12ihipStream_tbDpT10_ENKUlT_T0_E_clISt17integral_constantIbLb0EES19_EEDaS14_S15_EUlS14_E_NS1_11comp_targetILNS1_3genE3ELNS1_11target_archE908ELNS1_3gpuE7ELNS1_3repE0EEENS1_30default_config_static_selectorELNS0_4arch9wavefront6targetE1EEEvT1_
	.p2align	8
	.type	_ZN7rocprim17ROCPRIM_400000_NS6detail17trampoline_kernelINS0_14default_configENS1_25partition_config_selectorILNS1_17partition_subalgoE8EN3c104HalfENS0_10empty_typeEbEEZZNS1_14partition_implILS5_8ELb0ES3_jPKS7_PS8_PKS8_NS0_5tupleIJPS7_S8_EEENSG_IJSD_SD_EEENS0_18inequality_wrapperIN6hipcub16HIPCUB_304000_NS8EqualityEEEPlJS8_EEE10hipError_tPvRmT3_T4_T5_T6_T7_T9_mT8_P12ihipStream_tbDpT10_ENKUlT_T0_E_clISt17integral_constantIbLb0EES19_EEDaS14_S15_EUlS14_E_NS1_11comp_targetILNS1_3genE3ELNS1_11target_archE908ELNS1_3gpuE7ELNS1_3repE0EEENS1_30default_config_static_selectorELNS0_4arch9wavefront6targetE1EEEvT1_,@function
_ZN7rocprim17ROCPRIM_400000_NS6detail17trampoline_kernelINS0_14default_configENS1_25partition_config_selectorILNS1_17partition_subalgoE8EN3c104HalfENS0_10empty_typeEbEEZZNS1_14partition_implILS5_8ELb0ES3_jPKS7_PS8_PKS8_NS0_5tupleIJPS7_S8_EEENSG_IJSD_SD_EEENS0_18inequality_wrapperIN6hipcub16HIPCUB_304000_NS8EqualityEEEPlJS8_EEE10hipError_tPvRmT3_T4_T5_T6_T7_T9_mT8_P12ihipStream_tbDpT10_ENKUlT_T0_E_clISt17integral_constantIbLb0EES19_EEDaS14_S15_EUlS14_E_NS1_11comp_targetILNS1_3genE3ELNS1_11target_archE908ELNS1_3gpuE7ELNS1_3repE0EEENS1_30default_config_static_selectorELNS0_4arch9wavefront6targetE1EEEvT1_: ; @_ZN7rocprim17ROCPRIM_400000_NS6detail17trampoline_kernelINS0_14default_configENS1_25partition_config_selectorILNS1_17partition_subalgoE8EN3c104HalfENS0_10empty_typeEbEEZZNS1_14partition_implILS5_8ELb0ES3_jPKS7_PS8_PKS8_NS0_5tupleIJPS7_S8_EEENSG_IJSD_SD_EEENS0_18inequality_wrapperIN6hipcub16HIPCUB_304000_NS8EqualityEEEPlJS8_EEE10hipError_tPvRmT3_T4_T5_T6_T7_T9_mT8_P12ihipStream_tbDpT10_ENKUlT_T0_E_clISt17integral_constantIbLb0EES19_EEDaS14_S15_EUlS14_E_NS1_11comp_targetILNS1_3genE3ELNS1_11target_archE908ELNS1_3gpuE7ELNS1_3repE0EEENS1_30default_config_static_selectorELNS0_4arch9wavefront6targetE1EEEvT1_
; %bb.0:
	.section	.rodata,"a",@progbits
	.p2align	6, 0x0
	.amdhsa_kernel _ZN7rocprim17ROCPRIM_400000_NS6detail17trampoline_kernelINS0_14default_configENS1_25partition_config_selectorILNS1_17partition_subalgoE8EN3c104HalfENS0_10empty_typeEbEEZZNS1_14partition_implILS5_8ELb0ES3_jPKS7_PS8_PKS8_NS0_5tupleIJPS7_S8_EEENSG_IJSD_SD_EEENS0_18inequality_wrapperIN6hipcub16HIPCUB_304000_NS8EqualityEEEPlJS8_EEE10hipError_tPvRmT3_T4_T5_T6_T7_T9_mT8_P12ihipStream_tbDpT10_ENKUlT_T0_E_clISt17integral_constantIbLb0EES19_EEDaS14_S15_EUlS14_E_NS1_11comp_targetILNS1_3genE3ELNS1_11target_archE908ELNS1_3gpuE7ELNS1_3repE0EEENS1_30default_config_static_selectorELNS0_4arch9wavefront6targetE1EEEvT1_
		.amdhsa_group_segment_fixed_size 0
		.amdhsa_private_segment_fixed_size 0
		.amdhsa_kernarg_size 112
		.amdhsa_user_sgpr_count 6
		.amdhsa_user_sgpr_private_segment_buffer 1
		.amdhsa_user_sgpr_dispatch_ptr 0
		.amdhsa_user_sgpr_queue_ptr 0
		.amdhsa_user_sgpr_kernarg_segment_ptr 1
		.amdhsa_user_sgpr_dispatch_id 0
		.amdhsa_user_sgpr_flat_scratch_init 0
		.amdhsa_user_sgpr_kernarg_preload_length 0
		.amdhsa_user_sgpr_kernarg_preload_offset 0
		.amdhsa_user_sgpr_private_segment_size 0
		.amdhsa_uses_dynamic_stack 0
		.amdhsa_system_sgpr_private_segment_wavefront_offset 0
		.amdhsa_system_sgpr_workgroup_id_x 1
		.amdhsa_system_sgpr_workgroup_id_y 0
		.amdhsa_system_sgpr_workgroup_id_z 0
		.amdhsa_system_sgpr_workgroup_info 0
		.amdhsa_system_vgpr_workitem_id 0
		.amdhsa_next_free_vgpr 1
		.amdhsa_next_free_sgpr 0
		.amdhsa_accum_offset 4
		.amdhsa_reserve_vcc 0
		.amdhsa_reserve_flat_scratch 0
		.amdhsa_float_round_mode_32 0
		.amdhsa_float_round_mode_16_64 0
		.amdhsa_float_denorm_mode_32 3
		.amdhsa_float_denorm_mode_16_64 3
		.amdhsa_dx10_clamp 1
		.amdhsa_ieee_mode 1
		.amdhsa_fp16_overflow 0
		.amdhsa_tg_split 0
		.amdhsa_exception_fp_ieee_invalid_op 0
		.amdhsa_exception_fp_denorm_src 0
		.amdhsa_exception_fp_ieee_div_zero 0
		.amdhsa_exception_fp_ieee_overflow 0
		.amdhsa_exception_fp_ieee_underflow 0
		.amdhsa_exception_fp_ieee_inexact 0
		.amdhsa_exception_int_div_zero 0
	.end_amdhsa_kernel
	.section	.text._ZN7rocprim17ROCPRIM_400000_NS6detail17trampoline_kernelINS0_14default_configENS1_25partition_config_selectorILNS1_17partition_subalgoE8EN3c104HalfENS0_10empty_typeEbEEZZNS1_14partition_implILS5_8ELb0ES3_jPKS7_PS8_PKS8_NS0_5tupleIJPS7_S8_EEENSG_IJSD_SD_EEENS0_18inequality_wrapperIN6hipcub16HIPCUB_304000_NS8EqualityEEEPlJS8_EEE10hipError_tPvRmT3_T4_T5_T6_T7_T9_mT8_P12ihipStream_tbDpT10_ENKUlT_T0_E_clISt17integral_constantIbLb0EES19_EEDaS14_S15_EUlS14_E_NS1_11comp_targetILNS1_3genE3ELNS1_11target_archE908ELNS1_3gpuE7ELNS1_3repE0EEENS1_30default_config_static_selectorELNS0_4arch9wavefront6targetE1EEEvT1_,"axG",@progbits,_ZN7rocprim17ROCPRIM_400000_NS6detail17trampoline_kernelINS0_14default_configENS1_25partition_config_selectorILNS1_17partition_subalgoE8EN3c104HalfENS0_10empty_typeEbEEZZNS1_14partition_implILS5_8ELb0ES3_jPKS7_PS8_PKS8_NS0_5tupleIJPS7_S8_EEENSG_IJSD_SD_EEENS0_18inequality_wrapperIN6hipcub16HIPCUB_304000_NS8EqualityEEEPlJS8_EEE10hipError_tPvRmT3_T4_T5_T6_T7_T9_mT8_P12ihipStream_tbDpT10_ENKUlT_T0_E_clISt17integral_constantIbLb0EES19_EEDaS14_S15_EUlS14_E_NS1_11comp_targetILNS1_3genE3ELNS1_11target_archE908ELNS1_3gpuE7ELNS1_3repE0EEENS1_30default_config_static_selectorELNS0_4arch9wavefront6targetE1EEEvT1_,comdat
.Lfunc_end896:
	.size	_ZN7rocprim17ROCPRIM_400000_NS6detail17trampoline_kernelINS0_14default_configENS1_25partition_config_selectorILNS1_17partition_subalgoE8EN3c104HalfENS0_10empty_typeEbEEZZNS1_14partition_implILS5_8ELb0ES3_jPKS7_PS8_PKS8_NS0_5tupleIJPS7_S8_EEENSG_IJSD_SD_EEENS0_18inequality_wrapperIN6hipcub16HIPCUB_304000_NS8EqualityEEEPlJS8_EEE10hipError_tPvRmT3_T4_T5_T6_T7_T9_mT8_P12ihipStream_tbDpT10_ENKUlT_T0_E_clISt17integral_constantIbLb0EES19_EEDaS14_S15_EUlS14_E_NS1_11comp_targetILNS1_3genE3ELNS1_11target_archE908ELNS1_3gpuE7ELNS1_3repE0EEENS1_30default_config_static_selectorELNS0_4arch9wavefront6targetE1EEEvT1_, .Lfunc_end896-_ZN7rocprim17ROCPRIM_400000_NS6detail17trampoline_kernelINS0_14default_configENS1_25partition_config_selectorILNS1_17partition_subalgoE8EN3c104HalfENS0_10empty_typeEbEEZZNS1_14partition_implILS5_8ELb0ES3_jPKS7_PS8_PKS8_NS0_5tupleIJPS7_S8_EEENSG_IJSD_SD_EEENS0_18inequality_wrapperIN6hipcub16HIPCUB_304000_NS8EqualityEEEPlJS8_EEE10hipError_tPvRmT3_T4_T5_T6_T7_T9_mT8_P12ihipStream_tbDpT10_ENKUlT_T0_E_clISt17integral_constantIbLb0EES19_EEDaS14_S15_EUlS14_E_NS1_11comp_targetILNS1_3genE3ELNS1_11target_archE908ELNS1_3gpuE7ELNS1_3repE0EEENS1_30default_config_static_selectorELNS0_4arch9wavefront6targetE1EEEvT1_
                                        ; -- End function
	.section	.AMDGPU.csdata,"",@progbits
; Kernel info:
; codeLenInByte = 0
; NumSgprs: 4
; NumVgprs: 0
; NumAgprs: 0
; TotalNumVgprs: 0
; ScratchSize: 0
; MemoryBound: 0
; FloatMode: 240
; IeeeMode: 1
; LDSByteSize: 0 bytes/workgroup (compile time only)
; SGPRBlocks: 0
; VGPRBlocks: 0
; NumSGPRsForWavesPerEU: 4
; NumVGPRsForWavesPerEU: 1
; AccumOffset: 4
; Occupancy: 8
; WaveLimiterHint : 0
; COMPUTE_PGM_RSRC2:SCRATCH_EN: 0
; COMPUTE_PGM_RSRC2:USER_SGPR: 6
; COMPUTE_PGM_RSRC2:TRAP_HANDLER: 0
; COMPUTE_PGM_RSRC2:TGID_X_EN: 1
; COMPUTE_PGM_RSRC2:TGID_Y_EN: 0
; COMPUTE_PGM_RSRC2:TGID_Z_EN: 0
; COMPUTE_PGM_RSRC2:TIDIG_COMP_CNT: 0
; COMPUTE_PGM_RSRC3_GFX90A:ACCUM_OFFSET: 0
; COMPUTE_PGM_RSRC3_GFX90A:TG_SPLIT: 0
	.section	.text._ZN7rocprim17ROCPRIM_400000_NS6detail17trampoline_kernelINS0_14default_configENS1_25partition_config_selectorILNS1_17partition_subalgoE8EN3c104HalfENS0_10empty_typeEbEEZZNS1_14partition_implILS5_8ELb0ES3_jPKS7_PS8_PKS8_NS0_5tupleIJPS7_S8_EEENSG_IJSD_SD_EEENS0_18inequality_wrapperIN6hipcub16HIPCUB_304000_NS8EqualityEEEPlJS8_EEE10hipError_tPvRmT3_T4_T5_T6_T7_T9_mT8_P12ihipStream_tbDpT10_ENKUlT_T0_E_clISt17integral_constantIbLb0EES19_EEDaS14_S15_EUlS14_E_NS1_11comp_targetILNS1_3genE2ELNS1_11target_archE906ELNS1_3gpuE6ELNS1_3repE0EEENS1_30default_config_static_selectorELNS0_4arch9wavefront6targetE1EEEvT1_,"axG",@progbits,_ZN7rocprim17ROCPRIM_400000_NS6detail17trampoline_kernelINS0_14default_configENS1_25partition_config_selectorILNS1_17partition_subalgoE8EN3c104HalfENS0_10empty_typeEbEEZZNS1_14partition_implILS5_8ELb0ES3_jPKS7_PS8_PKS8_NS0_5tupleIJPS7_S8_EEENSG_IJSD_SD_EEENS0_18inequality_wrapperIN6hipcub16HIPCUB_304000_NS8EqualityEEEPlJS8_EEE10hipError_tPvRmT3_T4_T5_T6_T7_T9_mT8_P12ihipStream_tbDpT10_ENKUlT_T0_E_clISt17integral_constantIbLb0EES19_EEDaS14_S15_EUlS14_E_NS1_11comp_targetILNS1_3genE2ELNS1_11target_archE906ELNS1_3gpuE6ELNS1_3repE0EEENS1_30default_config_static_selectorELNS0_4arch9wavefront6targetE1EEEvT1_,comdat
	.protected	_ZN7rocprim17ROCPRIM_400000_NS6detail17trampoline_kernelINS0_14default_configENS1_25partition_config_selectorILNS1_17partition_subalgoE8EN3c104HalfENS0_10empty_typeEbEEZZNS1_14partition_implILS5_8ELb0ES3_jPKS7_PS8_PKS8_NS0_5tupleIJPS7_S8_EEENSG_IJSD_SD_EEENS0_18inequality_wrapperIN6hipcub16HIPCUB_304000_NS8EqualityEEEPlJS8_EEE10hipError_tPvRmT3_T4_T5_T6_T7_T9_mT8_P12ihipStream_tbDpT10_ENKUlT_T0_E_clISt17integral_constantIbLb0EES19_EEDaS14_S15_EUlS14_E_NS1_11comp_targetILNS1_3genE2ELNS1_11target_archE906ELNS1_3gpuE6ELNS1_3repE0EEENS1_30default_config_static_selectorELNS0_4arch9wavefront6targetE1EEEvT1_ ; -- Begin function _ZN7rocprim17ROCPRIM_400000_NS6detail17trampoline_kernelINS0_14default_configENS1_25partition_config_selectorILNS1_17partition_subalgoE8EN3c104HalfENS0_10empty_typeEbEEZZNS1_14partition_implILS5_8ELb0ES3_jPKS7_PS8_PKS8_NS0_5tupleIJPS7_S8_EEENSG_IJSD_SD_EEENS0_18inequality_wrapperIN6hipcub16HIPCUB_304000_NS8EqualityEEEPlJS8_EEE10hipError_tPvRmT3_T4_T5_T6_T7_T9_mT8_P12ihipStream_tbDpT10_ENKUlT_T0_E_clISt17integral_constantIbLb0EES19_EEDaS14_S15_EUlS14_E_NS1_11comp_targetILNS1_3genE2ELNS1_11target_archE906ELNS1_3gpuE6ELNS1_3repE0EEENS1_30default_config_static_selectorELNS0_4arch9wavefront6targetE1EEEvT1_
	.globl	_ZN7rocprim17ROCPRIM_400000_NS6detail17trampoline_kernelINS0_14default_configENS1_25partition_config_selectorILNS1_17partition_subalgoE8EN3c104HalfENS0_10empty_typeEbEEZZNS1_14partition_implILS5_8ELb0ES3_jPKS7_PS8_PKS8_NS0_5tupleIJPS7_S8_EEENSG_IJSD_SD_EEENS0_18inequality_wrapperIN6hipcub16HIPCUB_304000_NS8EqualityEEEPlJS8_EEE10hipError_tPvRmT3_T4_T5_T6_T7_T9_mT8_P12ihipStream_tbDpT10_ENKUlT_T0_E_clISt17integral_constantIbLb0EES19_EEDaS14_S15_EUlS14_E_NS1_11comp_targetILNS1_3genE2ELNS1_11target_archE906ELNS1_3gpuE6ELNS1_3repE0EEENS1_30default_config_static_selectorELNS0_4arch9wavefront6targetE1EEEvT1_
	.p2align	8
	.type	_ZN7rocprim17ROCPRIM_400000_NS6detail17trampoline_kernelINS0_14default_configENS1_25partition_config_selectorILNS1_17partition_subalgoE8EN3c104HalfENS0_10empty_typeEbEEZZNS1_14partition_implILS5_8ELb0ES3_jPKS7_PS8_PKS8_NS0_5tupleIJPS7_S8_EEENSG_IJSD_SD_EEENS0_18inequality_wrapperIN6hipcub16HIPCUB_304000_NS8EqualityEEEPlJS8_EEE10hipError_tPvRmT3_T4_T5_T6_T7_T9_mT8_P12ihipStream_tbDpT10_ENKUlT_T0_E_clISt17integral_constantIbLb0EES19_EEDaS14_S15_EUlS14_E_NS1_11comp_targetILNS1_3genE2ELNS1_11target_archE906ELNS1_3gpuE6ELNS1_3repE0EEENS1_30default_config_static_selectorELNS0_4arch9wavefront6targetE1EEEvT1_,@function
_ZN7rocprim17ROCPRIM_400000_NS6detail17trampoline_kernelINS0_14default_configENS1_25partition_config_selectorILNS1_17partition_subalgoE8EN3c104HalfENS0_10empty_typeEbEEZZNS1_14partition_implILS5_8ELb0ES3_jPKS7_PS8_PKS8_NS0_5tupleIJPS7_S8_EEENSG_IJSD_SD_EEENS0_18inequality_wrapperIN6hipcub16HIPCUB_304000_NS8EqualityEEEPlJS8_EEE10hipError_tPvRmT3_T4_T5_T6_T7_T9_mT8_P12ihipStream_tbDpT10_ENKUlT_T0_E_clISt17integral_constantIbLb0EES19_EEDaS14_S15_EUlS14_E_NS1_11comp_targetILNS1_3genE2ELNS1_11target_archE906ELNS1_3gpuE6ELNS1_3repE0EEENS1_30default_config_static_selectorELNS0_4arch9wavefront6targetE1EEEvT1_: ; @_ZN7rocprim17ROCPRIM_400000_NS6detail17trampoline_kernelINS0_14default_configENS1_25partition_config_selectorILNS1_17partition_subalgoE8EN3c104HalfENS0_10empty_typeEbEEZZNS1_14partition_implILS5_8ELb0ES3_jPKS7_PS8_PKS8_NS0_5tupleIJPS7_S8_EEENSG_IJSD_SD_EEENS0_18inequality_wrapperIN6hipcub16HIPCUB_304000_NS8EqualityEEEPlJS8_EEE10hipError_tPvRmT3_T4_T5_T6_T7_T9_mT8_P12ihipStream_tbDpT10_ENKUlT_T0_E_clISt17integral_constantIbLb0EES19_EEDaS14_S15_EUlS14_E_NS1_11comp_targetILNS1_3genE2ELNS1_11target_archE906ELNS1_3gpuE6ELNS1_3repE0EEENS1_30default_config_static_selectorELNS0_4arch9wavefront6targetE1EEEvT1_
; %bb.0:
	.section	.rodata,"a",@progbits
	.p2align	6, 0x0
	.amdhsa_kernel _ZN7rocprim17ROCPRIM_400000_NS6detail17trampoline_kernelINS0_14default_configENS1_25partition_config_selectorILNS1_17partition_subalgoE8EN3c104HalfENS0_10empty_typeEbEEZZNS1_14partition_implILS5_8ELb0ES3_jPKS7_PS8_PKS8_NS0_5tupleIJPS7_S8_EEENSG_IJSD_SD_EEENS0_18inequality_wrapperIN6hipcub16HIPCUB_304000_NS8EqualityEEEPlJS8_EEE10hipError_tPvRmT3_T4_T5_T6_T7_T9_mT8_P12ihipStream_tbDpT10_ENKUlT_T0_E_clISt17integral_constantIbLb0EES19_EEDaS14_S15_EUlS14_E_NS1_11comp_targetILNS1_3genE2ELNS1_11target_archE906ELNS1_3gpuE6ELNS1_3repE0EEENS1_30default_config_static_selectorELNS0_4arch9wavefront6targetE1EEEvT1_
		.amdhsa_group_segment_fixed_size 0
		.amdhsa_private_segment_fixed_size 0
		.amdhsa_kernarg_size 112
		.amdhsa_user_sgpr_count 6
		.amdhsa_user_sgpr_private_segment_buffer 1
		.amdhsa_user_sgpr_dispatch_ptr 0
		.amdhsa_user_sgpr_queue_ptr 0
		.amdhsa_user_sgpr_kernarg_segment_ptr 1
		.amdhsa_user_sgpr_dispatch_id 0
		.amdhsa_user_sgpr_flat_scratch_init 0
		.amdhsa_user_sgpr_kernarg_preload_length 0
		.amdhsa_user_sgpr_kernarg_preload_offset 0
		.amdhsa_user_sgpr_private_segment_size 0
		.amdhsa_uses_dynamic_stack 0
		.amdhsa_system_sgpr_private_segment_wavefront_offset 0
		.amdhsa_system_sgpr_workgroup_id_x 1
		.amdhsa_system_sgpr_workgroup_id_y 0
		.amdhsa_system_sgpr_workgroup_id_z 0
		.amdhsa_system_sgpr_workgroup_info 0
		.amdhsa_system_vgpr_workitem_id 0
		.amdhsa_next_free_vgpr 1
		.amdhsa_next_free_sgpr 0
		.amdhsa_accum_offset 4
		.amdhsa_reserve_vcc 0
		.amdhsa_reserve_flat_scratch 0
		.amdhsa_float_round_mode_32 0
		.amdhsa_float_round_mode_16_64 0
		.amdhsa_float_denorm_mode_32 3
		.amdhsa_float_denorm_mode_16_64 3
		.amdhsa_dx10_clamp 1
		.amdhsa_ieee_mode 1
		.amdhsa_fp16_overflow 0
		.amdhsa_tg_split 0
		.amdhsa_exception_fp_ieee_invalid_op 0
		.amdhsa_exception_fp_denorm_src 0
		.amdhsa_exception_fp_ieee_div_zero 0
		.amdhsa_exception_fp_ieee_overflow 0
		.amdhsa_exception_fp_ieee_underflow 0
		.amdhsa_exception_fp_ieee_inexact 0
		.amdhsa_exception_int_div_zero 0
	.end_amdhsa_kernel
	.section	.text._ZN7rocprim17ROCPRIM_400000_NS6detail17trampoline_kernelINS0_14default_configENS1_25partition_config_selectorILNS1_17partition_subalgoE8EN3c104HalfENS0_10empty_typeEbEEZZNS1_14partition_implILS5_8ELb0ES3_jPKS7_PS8_PKS8_NS0_5tupleIJPS7_S8_EEENSG_IJSD_SD_EEENS0_18inequality_wrapperIN6hipcub16HIPCUB_304000_NS8EqualityEEEPlJS8_EEE10hipError_tPvRmT3_T4_T5_T6_T7_T9_mT8_P12ihipStream_tbDpT10_ENKUlT_T0_E_clISt17integral_constantIbLb0EES19_EEDaS14_S15_EUlS14_E_NS1_11comp_targetILNS1_3genE2ELNS1_11target_archE906ELNS1_3gpuE6ELNS1_3repE0EEENS1_30default_config_static_selectorELNS0_4arch9wavefront6targetE1EEEvT1_,"axG",@progbits,_ZN7rocprim17ROCPRIM_400000_NS6detail17trampoline_kernelINS0_14default_configENS1_25partition_config_selectorILNS1_17partition_subalgoE8EN3c104HalfENS0_10empty_typeEbEEZZNS1_14partition_implILS5_8ELb0ES3_jPKS7_PS8_PKS8_NS0_5tupleIJPS7_S8_EEENSG_IJSD_SD_EEENS0_18inequality_wrapperIN6hipcub16HIPCUB_304000_NS8EqualityEEEPlJS8_EEE10hipError_tPvRmT3_T4_T5_T6_T7_T9_mT8_P12ihipStream_tbDpT10_ENKUlT_T0_E_clISt17integral_constantIbLb0EES19_EEDaS14_S15_EUlS14_E_NS1_11comp_targetILNS1_3genE2ELNS1_11target_archE906ELNS1_3gpuE6ELNS1_3repE0EEENS1_30default_config_static_selectorELNS0_4arch9wavefront6targetE1EEEvT1_,comdat
.Lfunc_end897:
	.size	_ZN7rocprim17ROCPRIM_400000_NS6detail17trampoline_kernelINS0_14default_configENS1_25partition_config_selectorILNS1_17partition_subalgoE8EN3c104HalfENS0_10empty_typeEbEEZZNS1_14partition_implILS5_8ELb0ES3_jPKS7_PS8_PKS8_NS0_5tupleIJPS7_S8_EEENSG_IJSD_SD_EEENS0_18inequality_wrapperIN6hipcub16HIPCUB_304000_NS8EqualityEEEPlJS8_EEE10hipError_tPvRmT3_T4_T5_T6_T7_T9_mT8_P12ihipStream_tbDpT10_ENKUlT_T0_E_clISt17integral_constantIbLb0EES19_EEDaS14_S15_EUlS14_E_NS1_11comp_targetILNS1_3genE2ELNS1_11target_archE906ELNS1_3gpuE6ELNS1_3repE0EEENS1_30default_config_static_selectorELNS0_4arch9wavefront6targetE1EEEvT1_, .Lfunc_end897-_ZN7rocprim17ROCPRIM_400000_NS6detail17trampoline_kernelINS0_14default_configENS1_25partition_config_selectorILNS1_17partition_subalgoE8EN3c104HalfENS0_10empty_typeEbEEZZNS1_14partition_implILS5_8ELb0ES3_jPKS7_PS8_PKS8_NS0_5tupleIJPS7_S8_EEENSG_IJSD_SD_EEENS0_18inequality_wrapperIN6hipcub16HIPCUB_304000_NS8EqualityEEEPlJS8_EEE10hipError_tPvRmT3_T4_T5_T6_T7_T9_mT8_P12ihipStream_tbDpT10_ENKUlT_T0_E_clISt17integral_constantIbLb0EES19_EEDaS14_S15_EUlS14_E_NS1_11comp_targetILNS1_3genE2ELNS1_11target_archE906ELNS1_3gpuE6ELNS1_3repE0EEENS1_30default_config_static_selectorELNS0_4arch9wavefront6targetE1EEEvT1_
                                        ; -- End function
	.section	.AMDGPU.csdata,"",@progbits
; Kernel info:
; codeLenInByte = 0
; NumSgprs: 4
; NumVgprs: 0
; NumAgprs: 0
; TotalNumVgprs: 0
; ScratchSize: 0
; MemoryBound: 0
; FloatMode: 240
; IeeeMode: 1
; LDSByteSize: 0 bytes/workgroup (compile time only)
; SGPRBlocks: 0
; VGPRBlocks: 0
; NumSGPRsForWavesPerEU: 4
; NumVGPRsForWavesPerEU: 1
; AccumOffset: 4
; Occupancy: 8
; WaveLimiterHint : 0
; COMPUTE_PGM_RSRC2:SCRATCH_EN: 0
; COMPUTE_PGM_RSRC2:USER_SGPR: 6
; COMPUTE_PGM_RSRC2:TRAP_HANDLER: 0
; COMPUTE_PGM_RSRC2:TGID_X_EN: 1
; COMPUTE_PGM_RSRC2:TGID_Y_EN: 0
; COMPUTE_PGM_RSRC2:TGID_Z_EN: 0
; COMPUTE_PGM_RSRC2:TIDIG_COMP_CNT: 0
; COMPUTE_PGM_RSRC3_GFX90A:ACCUM_OFFSET: 0
; COMPUTE_PGM_RSRC3_GFX90A:TG_SPLIT: 0
	.section	.text._ZN7rocprim17ROCPRIM_400000_NS6detail17trampoline_kernelINS0_14default_configENS1_25partition_config_selectorILNS1_17partition_subalgoE8EN3c104HalfENS0_10empty_typeEbEEZZNS1_14partition_implILS5_8ELb0ES3_jPKS7_PS8_PKS8_NS0_5tupleIJPS7_S8_EEENSG_IJSD_SD_EEENS0_18inequality_wrapperIN6hipcub16HIPCUB_304000_NS8EqualityEEEPlJS8_EEE10hipError_tPvRmT3_T4_T5_T6_T7_T9_mT8_P12ihipStream_tbDpT10_ENKUlT_T0_E_clISt17integral_constantIbLb0EES19_EEDaS14_S15_EUlS14_E_NS1_11comp_targetILNS1_3genE10ELNS1_11target_archE1200ELNS1_3gpuE4ELNS1_3repE0EEENS1_30default_config_static_selectorELNS0_4arch9wavefront6targetE1EEEvT1_,"axG",@progbits,_ZN7rocprim17ROCPRIM_400000_NS6detail17trampoline_kernelINS0_14default_configENS1_25partition_config_selectorILNS1_17partition_subalgoE8EN3c104HalfENS0_10empty_typeEbEEZZNS1_14partition_implILS5_8ELb0ES3_jPKS7_PS8_PKS8_NS0_5tupleIJPS7_S8_EEENSG_IJSD_SD_EEENS0_18inequality_wrapperIN6hipcub16HIPCUB_304000_NS8EqualityEEEPlJS8_EEE10hipError_tPvRmT3_T4_T5_T6_T7_T9_mT8_P12ihipStream_tbDpT10_ENKUlT_T0_E_clISt17integral_constantIbLb0EES19_EEDaS14_S15_EUlS14_E_NS1_11comp_targetILNS1_3genE10ELNS1_11target_archE1200ELNS1_3gpuE4ELNS1_3repE0EEENS1_30default_config_static_selectorELNS0_4arch9wavefront6targetE1EEEvT1_,comdat
	.protected	_ZN7rocprim17ROCPRIM_400000_NS6detail17trampoline_kernelINS0_14default_configENS1_25partition_config_selectorILNS1_17partition_subalgoE8EN3c104HalfENS0_10empty_typeEbEEZZNS1_14partition_implILS5_8ELb0ES3_jPKS7_PS8_PKS8_NS0_5tupleIJPS7_S8_EEENSG_IJSD_SD_EEENS0_18inequality_wrapperIN6hipcub16HIPCUB_304000_NS8EqualityEEEPlJS8_EEE10hipError_tPvRmT3_T4_T5_T6_T7_T9_mT8_P12ihipStream_tbDpT10_ENKUlT_T0_E_clISt17integral_constantIbLb0EES19_EEDaS14_S15_EUlS14_E_NS1_11comp_targetILNS1_3genE10ELNS1_11target_archE1200ELNS1_3gpuE4ELNS1_3repE0EEENS1_30default_config_static_selectorELNS0_4arch9wavefront6targetE1EEEvT1_ ; -- Begin function _ZN7rocprim17ROCPRIM_400000_NS6detail17trampoline_kernelINS0_14default_configENS1_25partition_config_selectorILNS1_17partition_subalgoE8EN3c104HalfENS0_10empty_typeEbEEZZNS1_14partition_implILS5_8ELb0ES3_jPKS7_PS8_PKS8_NS0_5tupleIJPS7_S8_EEENSG_IJSD_SD_EEENS0_18inequality_wrapperIN6hipcub16HIPCUB_304000_NS8EqualityEEEPlJS8_EEE10hipError_tPvRmT3_T4_T5_T6_T7_T9_mT8_P12ihipStream_tbDpT10_ENKUlT_T0_E_clISt17integral_constantIbLb0EES19_EEDaS14_S15_EUlS14_E_NS1_11comp_targetILNS1_3genE10ELNS1_11target_archE1200ELNS1_3gpuE4ELNS1_3repE0EEENS1_30default_config_static_selectorELNS0_4arch9wavefront6targetE1EEEvT1_
	.globl	_ZN7rocprim17ROCPRIM_400000_NS6detail17trampoline_kernelINS0_14default_configENS1_25partition_config_selectorILNS1_17partition_subalgoE8EN3c104HalfENS0_10empty_typeEbEEZZNS1_14partition_implILS5_8ELb0ES3_jPKS7_PS8_PKS8_NS0_5tupleIJPS7_S8_EEENSG_IJSD_SD_EEENS0_18inequality_wrapperIN6hipcub16HIPCUB_304000_NS8EqualityEEEPlJS8_EEE10hipError_tPvRmT3_T4_T5_T6_T7_T9_mT8_P12ihipStream_tbDpT10_ENKUlT_T0_E_clISt17integral_constantIbLb0EES19_EEDaS14_S15_EUlS14_E_NS1_11comp_targetILNS1_3genE10ELNS1_11target_archE1200ELNS1_3gpuE4ELNS1_3repE0EEENS1_30default_config_static_selectorELNS0_4arch9wavefront6targetE1EEEvT1_
	.p2align	8
	.type	_ZN7rocprim17ROCPRIM_400000_NS6detail17trampoline_kernelINS0_14default_configENS1_25partition_config_selectorILNS1_17partition_subalgoE8EN3c104HalfENS0_10empty_typeEbEEZZNS1_14partition_implILS5_8ELb0ES3_jPKS7_PS8_PKS8_NS0_5tupleIJPS7_S8_EEENSG_IJSD_SD_EEENS0_18inequality_wrapperIN6hipcub16HIPCUB_304000_NS8EqualityEEEPlJS8_EEE10hipError_tPvRmT3_T4_T5_T6_T7_T9_mT8_P12ihipStream_tbDpT10_ENKUlT_T0_E_clISt17integral_constantIbLb0EES19_EEDaS14_S15_EUlS14_E_NS1_11comp_targetILNS1_3genE10ELNS1_11target_archE1200ELNS1_3gpuE4ELNS1_3repE0EEENS1_30default_config_static_selectorELNS0_4arch9wavefront6targetE1EEEvT1_,@function
_ZN7rocprim17ROCPRIM_400000_NS6detail17trampoline_kernelINS0_14default_configENS1_25partition_config_selectorILNS1_17partition_subalgoE8EN3c104HalfENS0_10empty_typeEbEEZZNS1_14partition_implILS5_8ELb0ES3_jPKS7_PS8_PKS8_NS0_5tupleIJPS7_S8_EEENSG_IJSD_SD_EEENS0_18inequality_wrapperIN6hipcub16HIPCUB_304000_NS8EqualityEEEPlJS8_EEE10hipError_tPvRmT3_T4_T5_T6_T7_T9_mT8_P12ihipStream_tbDpT10_ENKUlT_T0_E_clISt17integral_constantIbLb0EES19_EEDaS14_S15_EUlS14_E_NS1_11comp_targetILNS1_3genE10ELNS1_11target_archE1200ELNS1_3gpuE4ELNS1_3repE0EEENS1_30default_config_static_selectorELNS0_4arch9wavefront6targetE1EEEvT1_: ; @_ZN7rocprim17ROCPRIM_400000_NS6detail17trampoline_kernelINS0_14default_configENS1_25partition_config_selectorILNS1_17partition_subalgoE8EN3c104HalfENS0_10empty_typeEbEEZZNS1_14partition_implILS5_8ELb0ES3_jPKS7_PS8_PKS8_NS0_5tupleIJPS7_S8_EEENSG_IJSD_SD_EEENS0_18inequality_wrapperIN6hipcub16HIPCUB_304000_NS8EqualityEEEPlJS8_EEE10hipError_tPvRmT3_T4_T5_T6_T7_T9_mT8_P12ihipStream_tbDpT10_ENKUlT_T0_E_clISt17integral_constantIbLb0EES19_EEDaS14_S15_EUlS14_E_NS1_11comp_targetILNS1_3genE10ELNS1_11target_archE1200ELNS1_3gpuE4ELNS1_3repE0EEENS1_30default_config_static_selectorELNS0_4arch9wavefront6targetE1EEEvT1_
; %bb.0:
	.section	.rodata,"a",@progbits
	.p2align	6, 0x0
	.amdhsa_kernel _ZN7rocprim17ROCPRIM_400000_NS6detail17trampoline_kernelINS0_14default_configENS1_25partition_config_selectorILNS1_17partition_subalgoE8EN3c104HalfENS0_10empty_typeEbEEZZNS1_14partition_implILS5_8ELb0ES3_jPKS7_PS8_PKS8_NS0_5tupleIJPS7_S8_EEENSG_IJSD_SD_EEENS0_18inequality_wrapperIN6hipcub16HIPCUB_304000_NS8EqualityEEEPlJS8_EEE10hipError_tPvRmT3_T4_T5_T6_T7_T9_mT8_P12ihipStream_tbDpT10_ENKUlT_T0_E_clISt17integral_constantIbLb0EES19_EEDaS14_S15_EUlS14_E_NS1_11comp_targetILNS1_3genE10ELNS1_11target_archE1200ELNS1_3gpuE4ELNS1_3repE0EEENS1_30default_config_static_selectorELNS0_4arch9wavefront6targetE1EEEvT1_
		.amdhsa_group_segment_fixed_size 0
		.amdhsa_private_segment_fixed_size 0
		.amdhsa_kernarg_size 112
		.amdhsa_user_sgpr_count 6
		.amdhsa_user_sgpr_private_segment_buffer 1
		.amdhsa_user_sgpr_dispatch_ptr 0
		.amdhsa_user_sgpr_queue_ptr 0
		.amdhsa_user_sgpr_kernarg_segment_ptr 1
		.amdhsa_user_sgpr_dispatch_id 0
		.amdhsa_user_sgpr_flat_scratch_init 0
		.amdhsa_user_sgpr_kernarg_preload_length 0
		.amdhsa_user_sgpr_kernarg_preload_offset 0
		.amdhsa_user_sgpr_private_segment_size 0
		.amdhsa_uses_dynamic_stack 0
		.amdhsa_system_sgpr_private_segment_wavefront_offset 0
		.amdhsa_system_sgpr_workgroup_id_x 1
		.amdhsa_system_sgpr_workgroup_id_y 0
		.amdhsa_system_sgpr_workgroup_id_z 0
		.amdhsa_system_sgpr_workgroup_info 0
		.amdhsa_system_vgpr_workitem_id 0
		.amdhsa_next_free_vgpr 1
		.amdhsa_next_free_sgpr 0
		.amdhsa_accum_offset 4
		.amdhsa_reserve_vcc 0
		.amdhsa_reserve_flat_scratch 0
		.amdhsa_float_round_mode_32 0
		.amdhsa_float_round_mode_16_64 0
		.amdhsa_float_denorm_mode_32 3
		.amdhsa_float_denorm_mode_16_64 3
		.amdhsa_dx10_clamp 1
		.amdhsa_ieee_mode 1
		.amdhsa_fp16_overflow 0
		.amdhsa_tg_split 0
		.amdhsa_exception_fp_ieee_invalid_op 0
		.amdhsa_exception_fp_denorm_src 0
		.amdhsa_exception_fp_ieee_div_zero 0
		.amdhsa_exception_fp_ieee_overflow 0
		.amdhsa_exception_fp_ieee_underflow 0
		.amdhsa_exception_fp_ieee_inexact 0
		.amdhsa_exception_int_div_zero 0
	.end_amdhsa_kernel
	.section	.text._ZN7rocprim17ROCPRIM_400000_NS6detail17trampoline_kernelINS0_14default_configENS1_25partition_config_selectorILNS1_17partition_subalgoE8EN3c104HalfENS0_10empty_typeEbEEZZNS1_14partition_implILS5_8ELb0ES3_jPKS7_PS8_PKS8_NS0_5tupleIJPS7_S8_EEENSG_IJSD_SD_EEENS0_18inequality_wrapperIN6hipcub16HIPCUB_304000_NS8EqualityEEEPlJS8_EEE10hipError_tPvRmT3_T4_T5_T6_T7_T9_mT8_P12ihipStream_tbDpT10_ENKUlT_T0_E_clISt17integral_constantIbLb0EES19_EEDaS14_S15_EUlS14_E_NS1_11comp_targetILNS1_3genE10ELNS1_11target_archE1200ELNS1_3gpuE4ELNS1_3repE0EEENS1_30default_config_static_selectorELNS0_4arch9wavefront6targetE1EEEvT1_,"axG",@progbits,_ZN7rocprim17ROCPRIM_400000_NS6detail17trampoline_kernelINS0_14default_configENS1_25partition_config_selectorILNS1_17partition_subalgoE8EN3c104HalfENS0_10empty_typeEbEEZZNS1_14partition_implILS5_8ELb0ES3_jPKS7_PS8_PKS8_NS0_5tupleIJPS7_S8_EEENSG_IJSD_SD_EEENS0_18inequality_wrapperIN6hipcub16HIPCUB_304000_NS8EqualityEEEPlJS8_EEE10hipError_tPvRmT3_T4_T5_T6_T7_T9_mT8_P12ihipStream_tbDpT10_ENKUlT_T0_E_clISt17integral_constantIbLb0EES19_EEDaS14_S15_EUlS14_E_NS1_11comp_targetILNS1_3genE10ELNS1_11target_archE1200ELNS1_3gpuE4ELNS1_3repE0EEENS1_30default_config_static_selectorELNS0_4arch9wavefront6targetE1EEEvT1_,comdat
.Lfunc_end898:
	.size	_ZN7rocprim17ROCPRIM_400000_NS6detail17trampoline_kernelINS0_14default_configENS1_25partition_config_selectorILNS1_17partition_subalgoE8EN3c104HalfENS0_10empty_typeEbEEZZNS1_14partition_implILS5_8ELb0ES3_jPKS7_PS8_PKS8_NS0_5tupleIJPS7_S8_EEENSG_IJSD_SD_EEENS0_18inequality_wrapperIN6hipcub16HIPCUB_304000_NS8EqualityEEEPlJS8_EEE10hipError_tPvRmT3_T4_T5_T6_T7_T9_mT8_P12ihipStream_tbDpT10_ENKUlT_T0_E_clISt17integral_constantIbLb0EES19_EEDaS14_S15_EUlS14_E_NS1_11comp_targetILNS1_3genE10ELNS1_11target_archE1200ELNS1_3gpuE4ELNS1_3repE0EEENS1_30default_config_static_selectorELNS0_4arch9wavefront6targetE1EEEvT1_, .Lfunc_end898-_ZN7rocprim17ROCPRIM_400000_NS6detail17trampoline_kernelINS0_14default_configENS1_25partition_config_selectorILNS1_17partition_subalgoE8EN3c104HalfENS0_10empty_typeEbEEZZNS1_14partition_implILS5_8ELb0ES3_jPKS7_PS8_PKS8_NS0_5tupleIJPS7_S8_EEENSG_IJSD_SD_EEENS0_18inequality_wrapperIN6hipcub16HIPCUB_304000_NS8EqualityEEEPlJS8_EEE10hipError_tPvRmT3_T4_T5_T6_T7_T9_mT8_P12ihipStream_tbDpT10_ENKUlT_T0_E_clISt17integral_constantIbLb0EES19_EEDaS14_S15_EUlS14_E_NS1_11comp_targetILNS1_3genE10ELNS1_11target_archE1200ELNS1_3gpuE4ELNS1_3repE0EEENS1_30default_config_static_selectorELNS0_4arch9wavefront6targetE1EEEvT1_
                                        ; -- End function
	.section	.AMDGPU.csdata,"",@progbits
; Kernel info:
; codeLenInByte = 0
; NumSgprs: 4
; NumVgprs: 0
; NumAgprs: 0
; TotalNumVgprs: 0
; ScratchSize: 0
; MemoryBound: 0
; FloatMode: 240
; IeeeMode: 1
; LDSByteSize: 0 bytes/workgroup (compile time only)
; SGPRBlocks: 0
; VGPRBlocks: 0
; NumSGPRsForWavesPerEU: 4
; NumVGPRsForWavesPerEU: 1
; AccumOffset: 4
; Occupancy: 8
; WaveLimiterHint : 0
; COMPUTE_PGM_RSRC2:SCRATCH_EN: 0
; COMPUTE_PGM_RSRC2:USER_SGPR: 6
; COMPUTE_PGM_RSRC2:TRAP_HANDLER: 0
; COMPUTE_PGM_RSRC2:TGID_X_EN: 1
; COMPUTE_PGM_RSRC2:TGID_Y_EN: 0
; COMPUTE_PGM_RSRC2:TGID_Z_EN: 0
; COMPUTE_PGM_RSRC2:TIDIG_COMP_CNT: 0
; COMPUTE_PGM_RSRC3_GFX90A:ACCUM_OFFSET: 0
; COMPUTE_PGM_RSRC3_GFX90A:TG_SPLIT: 0
	.section	.text._ZN7rocprim17ROCPRIM_400000_NS6detail17trampoline_kernelINS0_14default_configENS1_25partition_config_selectorILNS1_17partition_subalgoE8EN3c104HalfENS0_10empty_typeEbEEZZNS1_14partition_implILS5_8ELb0ES3_jPKS7_PS8_PKS8_NS0_5tupleIJPS7_S8_EEENSG_IJSD_SD_EEENS0_18inequality_wrapperIN6hipcub16HIPCUB_304000_NS8EqualityEEEPlJS8_EEE10hipError_tPvRmT3_T4_T5_T6_T7_T9_mT8_P12ihipStream_tbDpT10_ENKUlT_T0_E_clISt17integral_constantIbLb0EES19_EEDaS14_S15_EUlS14_E_NS1_11comp_targetILNS1_3genE9ELNS1_11target_archE1100ELNS1_3gpuE3ELNS1_3repE0EEENS1_30default_config_static_selectorELNS0_4arch9wavefront6targetE1EEEvT1_,"axG",@progbits,_ZN7rocprim17ROCPRIM_400000_NS6detail17trampoline_kernelINS0_14default_configENS1_25partition_config_selectorILNS1_17partition_subalgoE8EN3c104HalfENS0_10empty_typeEbEEZZNS1_14partition_implILS5_8ELb0ES3_jPKS7_PS8_PKS8_NS0_5tupleIJPS7_S8_EEENSG_IJSD_SD_EEENS0_18inequality_wrapperIN6hipcub16HIPCUB_304000_NS8EqualityEEEPlJS8_EEE10hipError_tPvRmT3_T4_T5_T6_T7_T9_mT8_P12ihipStream_tbDpT10_ENKUlT_T0_E_clISt17integral_constantIbLb0EES19_EEDaS14_S15_EUlS14_E_NS1_11comp_targetILNS1_3genE9ELNS1_11target_archE1100ELNS1_3gpuE3ELNS1_3repE0EEENS1_30default_config_static_selectorELNS0_4arch9wavefront6targetE1EEEvT1_,comdat
	.protected	_ZN7rocprim17ROCPRIM_400000_NS6detail17trampoline_kernelINS0_14default_configENS1_25partition_config_selectorILNS1_17partition_subalgoE8EN3c104HalfENS0_10empty_typeEbEEZZNS1_14partition_implILS5_8ELb0ES3_jPKS7_PS8_PKS8_NS0_5tupleIJPS7_S8_EEENSG_IJSD_SD_EEENS0_18inequality_wrapperIN6hipcub16HIPCUB_304000_NS8EqualityEEEPlJS8_EEE10hipError_tPvRmT3_T4_T5_T6_T7_T9_mT8_P12ihipStream_tbDpT10_ENKUlT_T0_E_clISt17integral_constantIbLb0EES19_EEDaS14_S15_EUlS14_E_NS1_11comp_targetILNS1_3genE9ELNS1_11target_archE1100ELNS1_3gpuE3ELNS1_3repE0EEENS1_30default_config_static_selectorELNS0_4arch9wavefront6targetE1EEEvT1_ ; -- Begin function _ZN7rocprim17ROCPRIM_400000_NS6detail17trampoline_kernelINS0_14default_configENS1_25partition_config_selectorILNS1_17partition_subalgoE8EN3c104HalfENS0_10empty_typeEbEEZZNS1_14partition_implILS5_8ELb0ES3_jPKS7_PS8_PKS8_NS0_5tupleIJPS7_S8_EEENSG_IJSD_SD_EEENS0_18inequality_wrapperIN6hipcub16HIPCUB_304000_NS8EqualityEEEPlJS8_EEE10hipError_tPvRmT3_T4_T5_T6_T7_T9_mT8_P12ihipStream_tbDpT10_ENKUlT_T0_E_clISt17integral_constantIbLb0EES19_EEDaS14_S15_EUlS14_E_NS1_11comp_targetILNS1_3genE9ELNS1_11target_archE1100ELNS1_3gpuE3ELNS1_3repE0EEENS1_30default_config_static_selectorELNS0_4arch9wavefront6targetE1EEEvT1_
	.globl	_ZN7rocprim17ROCPRIM_400000_NS6detail17trampoline_kernelINS0_14default_configENS1_25partition_config_selectorILNS1_17partition_subalgoE8EN3c104HalfENS0_10empty_typeEbEEZZNS1_14partition_implILS5_8ELb0ES3_jPKS7_PS8_PKS8_NS0_5tupleIJPS7_S8_EEENSG_IJSD_SD_EEENS0_18inequality_wrapperIN6hipcub16HIPCUB_304000_NS8EqualityEEEPlJS8_EEE10hipError_tPvRmT3_T4_T5_T6_T7_T9_mT8_P12ihipStream_tbDpT10_ENKUlT_T0_E_clISt17integral_constantIbLb0EES19_EEDaS14_S15_EUlS14_E_NS1_11comp_targetILNS1_3genE9ELNS1_11target_archE1100ELNS1_3gpuE3ELNS1_3repE0EEENS1_30default_config_static_selectorELNS0_4arch9wavefront6targetE1EEEvT1_
	.p2align	8
	.type	_ZN7rocprim17ROCPRIM_400000_NS6detail17trampoline_kernelINS0_14default_configENS1_25partition_config_selectorILNS1_17partition_subalgoE8EN3c104HalfENS0_10empty_typeEbEEZZNS1_14partition_implILS5_8ELb0ES3_jPKS7_PS8_PKS8_NS0_5tupleIJPS7_S8_EEENSG_IJSD_SD_EEENS0_18inequality_wrapperIN6hipcub16HIPCUB_304000_NS8EqualityEEEPlJS8_EEE10hipError_tPvRmT3_T4_T5_T6_T7_T9_mT8_P12ihipStream_tbDpT10_ENKUlT_T0_E_clISt17integral_constantIbLb0EES19_EEDaS14_S15_EUlS14_E_NS1_11comp_targetILNS1_3genE9ELNS1_11target_archE1100ELNS1_3gpuE3ELNS1_3repE0EEENS1_30default_config_static_selectorELNS0_4arch9wavefront6targetE1EEEvT1_,@function
_ZN7rocprim17ROCPRIM_400000_NS6detail17trampoline_kernelINS0_14default_configENS1_25partition_config_selectorILNS1_17partition_subalgoE8EN3c104HalfENS0_10empty_typeEbEEZZNS1_14partition_implILS5_8ELb0ES3_jPKS7_PS8_PKS8_NS0_5tupleIJPS7_S8_EEENSG_IJSD_SD_EEENS0_18inequality_wrapperIN6hipcub16HIPCUB_304000_NS8EqualityEEEPlJS8_EEE10hipError_tPvRmT3_T4_T5_T6_T7_T9_mT8_P12ihipStream_tbDpT10_ENKUlT_T0_E_clISt17integral_constantIbLb0EES19_EEDaS14_S15_EUlS14_E_NS1_11comp_targetILNS1_3genE9ELNS1_11target_archE1100ELNS1_3gpuE3ELNS1_3repE0EEENS1_30default_config_static_selectorELNS0_4arch9wavefront6targetE1EEEvT1_: ; @_ZN7rocprim17ROCPRIM_400000_NS6detail17trampoline_kernelINS0_14default_configENS1_25partition_config_selectorILNS1_17partition_subalgoE8EN3c104HalfENS0_10empty_typeEbEEZZNS1_14partition_implILS5_8ELb0ES3_jPKS7_PS8_PKS8_NS0_5tupleIJPS7_S8_EEENSG_IJSD_SD_EEENS0_18inequality_wrapperIN6hipcub16HIPCUB_304000_NS8EqualityEEEPlJS8_EEE10hipError_tPvRmT3_T4_T5_T6_T7_T9_mT8_P12ihipStream_tbDpT10_ENKUlT_T0_E_clISt17integral_constantIbLb0EES19_EEDaS14_S15_EUlS14_E_NS1_11comp_targetILNS1_3genE9ELNS1_11target_archE1100ELNS1_3gpuE3ELNS1_3repE0EEENS1_30default_config_static_selectorELNS0_4arch9wavefront6targetE1EEEvT1_
; %bb.0:
	.section	.rodata,"a",@progbits
	.p2align	6, 0x0
	.amdhsa_kernel _ZN7rocprim17ROCPRIM_400000_NS6detail17trampoline_kernelINS0_14default_configENS1_25partition_config_selectorILNS1_17partition_subalgoE8EN3c104HalfENS0_10empty_typeEbEEZZNS1_14partition_implILS5_8ELb0ES3_jPKS7_PS8_PKS8_NS0_5tupleIJPS7_S8_EEENSG_IJSD_SD_EEENS0_18inequality_wrapperIN6hipcub16HIPCUB_304000_NS8EqualityEEEPlJS8_EEE10hipError_tPvRmT3_T4_T5_T6_T7_T9_mT8_P12ihipStream_tbDpT10_ENKUlT_T0_E_clISt17integral_constantIbLb0EES19_EEDaS14_S15_EUlS14_E_NS1_11comp_targetILNS1_3genE9ELNS1_11target_archE1100ELNS1_3gpuE3ELNS1_3repE0EEENS1_30default_config_static_selectorELNS0_4arch9wavefront6targetE1EEEvT1_
		.amdhsa_group_segment_fixed_size 0
		.amdhsa_private_segment_fixed_size 0
		.amdhsa_kernarg_size 112
		.amdhsa_user_sgpr_count 6
		.amdhsa_user_sgpr_private_segment_buffer 1
		.amdhsa_user_sgpr_dispatch_ptr 0
		.amdhsa_user_sgpr_queue_ptr 0
		.amdhsa_user_sgpr_kernarg_segment_ptr 1
		.amdhsa_user_sgpr_dispatch_id 0
		.amdhsa_user_sgpr_flat_scratch_init 0
		.amdhsa_user_sgpr_kernarg_preload_length 0
		.amdhsa_user_sgpr_kernarg_preload_offset 0
		.amdhsa_user_sgpr_private_segment_size 0
		.amdhsa_uses_dynamic_stack 0
		.amdhsa_system_sgpr_private_segment_wavefront_offset 0
		.amdhsa_system_sgpr_workgroup_id_x 1
		.amdhsa_system_sgpr_workgroup_id_y 0
		.amdhsa_system_sgpr_workgroup_id_z 0
		.amdhsa_system_sgpr_workgroup_info 0
		.amdhsa_system_vgpr_workitem_id 0
		.amdhsa_next_free_vgpr 1
		.amdhsa_next_free_sgpr 0
		.amdhsa_accum_offset 4
		.amdhsa_reserve_vcc 0
		.amdhsa_reserve_flat_scratch 0
		.amdhsa_float_round_mode_32 0
		.amdhsa_float_round_mode_16_64 0
		.amdhsa_float_denorm_mode_32 3
		.amdhsa_float_denorm_mode_16_64 3
		.amdhsa_dx10_clamp 1
		.amdhsa_ieee_mode 1
		.amdhsa_fp16_overflow 0
		.amdhsa_tg_split 0
		.amdhsa_exception_fp_ieee_invalid_op 0
		.amdhsa_exception_fp_denorm_src 0
		.amdhsa_exception_fp_ieee_div_zero 0
		.amdhsa_exception_fp_ieee_overflow 0
		.amdhsa_exception_fp_ieee_underflow 0
		.amdhsa_exception_fp_ieee_inexact 0
		.amdhsa_exception_int_div_zero 0
	.end_amdhsa_kernel
	.section	.text._ZN7rocprim17ROCPRIM_400000_NS6detail17trampoline_kernelINS0_14default_configENS1_25partition_config_selectorILNS1_17partition_subalgoE8EN3c104HalfENS0_10empty_typeEbEEZZNS1_14partition_implILS5_8ELb0ES3_jPKS7_PS8_PKS8_NS0_5tupleIJPS7_S8_EEENSG_IJSD_SD_EEENS0_18inequality_wrapperIN6hipcub16HIPCUB_304000_NS8EqualityEEEPlJS8_EEE10hipError_tPvRmT3_T4_T5_T6_T7_T9_mT8_P12ihipStream_tbDpT10_ENKUlT_T0_E_clISt17integral_constantIbLb0EES19_EEDaS14_S15_EUlS14_E_NS1_11comp_targetILNS1_3genE9ELNS1_11target_archE1100ELNS1_3gpuE3ELNS1_3repE0EEENS1_30default_config_static_selectorELNS0_4arch9wavefront6targetE1EEEvT1_,"axG",@progbits,_ZN7rocprim17ROCPRIM_400000_NS6detail17trampoline_kernelINS0_14default_configENS1_25partition_config_selectorILNS1_17partition_subalgoE8EN3c104HalfENS0_10empty_typeEbEEZZNS1_14partition_implILS5_8ELb0ES3_jPKS7_PS8_PKS8_NS0_5tupleIJPS7_S8_EEENSG_IJSD_SD_EEENS0_18inequality_wrapperIN6hipcub16HIPCUB_304000_NS8EqualityEEEPlJS8_EEE10hipError_tPvRmT3_T4_T5_T6_T7_T9_mT8_P12ihipStream_tbDpT10_ENKUlT_T0_E_clISt17integral_constantIbLb0EES19_EEDaS14_S15_EUlS14_E_NS1_11comp_targetILNS1_3genE9ELNS1_11target_archE1100ELNS1_3gpuE3ELNS1_3repE0EEENS1_30default_config_static_selectorELNS0_4arch9wavefront6targetE1EEEvT1_,comdat
.Lfunc_end899:
	.size	_ZN7rocprim17ROCPRIM_400000_NS6detail17trampoline_kernelINS0_14default_configENS1_25partition_config_selectorILNS1_17partition_subalgoE8EN3c104HalfENS0_10empty_typeEbEEZZNS1_14partition_implILS5_8ELb0ES3_jPKS7_PS8_PKS8_NS0_5tupleIJPS7_S8_EEENSG_IJSD_SD_EEENS0_18inequality_wrapperIN6hipcub16HIPCUB_304000_NS8EqualityEEEPlJS8_EEE10hipError_tPvRmT3_T4_T5_T6_T7_T9_mT8_P12ihipStream_tbDpT10_ENKUlT_T0_E_clISt17integral_constantIbLb0EES19_EEDaS14_S15_EUlS14_E_NS1_11comp_targetILNS1_3genE9ELNS1_11target_archE1100ELNS1_3gpuE3ELNS1_3repE0EEENS1_30default_config_static_selectorELNS0_4arch9wavefront6targetE1EEEvT1_, .Lfunc_end899-_ZN7rocprim17ROCPRIM_400000_NS6detail17trampoline_kernelINS0_14default_configENS1_25partition_config_selectorILNS1_17partition_subalgoE8EN3c104HalfENS0_10empty_typeEbEEZZNS1_14partition_implILS5_8ELb0ES3_jPKS7_PS8_PKS8_NS0_5tupleIJPS7_S8_EEENSG_IJSD_SD_EEENS0_18inequality_wrapperIN6hipcub16HIPCUB_304000_NS8EqualityEEEPlJS8_EEE10hipError_tPvRmT3_T4_T5_T6_T7_T9_mT8_P12ihipStream_tbDpT10_ENKUlT_T0_E_clISt17integral_constantIbLb0EES19_EEDaS14_S15_EUlS14_E_NS1_11comp_targetILNS1_3genE9ELNS1_11target_archE1100ELNS1_3gpuE3ELNS1_3repE0EEENS1_30default_config_static_selectorELNS0_4arch9wavefront6targetE1EEEvT1_
                                        ; -- End function
	.section	.AMDGPU.csdata,"",@progbits
; Kernel info:
; codeLenInByte = 0
; NumSgprs: 4
; NumVgprs: 0
; NumAgprs: 0
; TotalNumVgprs: 0
; ScratchSize: 0
; MemoryBound: 0
; FloatMode: 240
; IeeeMode: 1
; LDSByteSize: 0 bytes/workgroup (compile time only)
; SGPRBlocks: 0
; VGPRBlocks: 0
; NumSGPRsForWavesPerEU: 4
; NumVGPRsForWavesPerEU: 1
; AccumOffset: 4
; Occupancy: 8
; WaveLimiterHint : 0
; COMPUTE_PGM_RSRC2:SCRATCH_EN: 0
; COMPUTE_PGM_RSRC2:USER_SGPR: 6
; COMPUTE_PGM_RSRC2:TRAP_HANDLER: 0
; COMPUTE_PGM_RSRC2:TGID_X_EN: 1
; COMPUTE_PGM_RSRC2:TGID_Y_EN: 0
; COMPUTE_PGM_RSRC2:TGID_Z_EN: 0
; COMPUTE_PGM_RSRC2:TIDIG_COMP_CNT: 0
; COMPUTE_PGM_RSRC3_GFX90A:ACCUM_OFFSET: 0
; COMPUTE_PGM_RSRC3_GFX90A:TG_SPLIT: 0
	.section	.text._ZN7rocprim17ROCPRIM_400000_NS6detail17trampoline_kernelINS0_14default_configENS1_25partition_config_selectorILNS1_17partition_subalgoE8EN3c104HalfENS0_10empty_typeEbEEZZNS1_14partition_implILS5_8ELb0ES3_jPKS7_PS8_PKS8_NS0_5tupleIJPS7_S8_EEENSG_IJSD_SD_EEENS0_18inequality_wrapperIN6hipcub16HIPCUB_304000_NS8EqualityEEEPlJS8_EEE10hipError_tPvRmT3_T4_T5_T6_T7_T9_mT8_P12ihipStream_tbDpT10_ENKUlT_T0_E_clISt17integral_constantIbLb0EES19_EEDaS14_S15_EUlS14_E_NS1_11comp_targetILNS1_3genE8ELNS1_11target_archE1030ELNS1_3gpuE2ELNS1_3repE0EEENS1_30default_config_static_selectorELNS0_4arch9wavefront6targetE1EEEvT1_,"axG",@progbits,_ZN7rocprim17ROCPRIM_400000_NS6detail17trampoline_kernelINS0_14default_configENS1_25partition_config_selectorILNS1_17partition_subalgoE8EN3c104HalfENS0_10empty_typeEbEEZZNS1_14partition_implILS5_8ELb0ES3_jPKS7_PS8_PKS8_NS0_5tupleIJPS7_S8_EEENSG_IJSD_SD_EEENS0_18inequality_wrapperIN6hipcub16HIPCUB_304000_NS8EqualityEEEPlJS8_EEE10hipError_tPvRmT3_T4_T5_T6_T7_T9_mT8_P12ihipStream_tbDpT10_ENKUlT_T0_E_clISt17integral_constantIbLb0EES19_EEDaS14_S15_EUlS14_E_NS1_11comp_targetILNS1_3genE8ELNS1_11target_archE1030ELNS1_3gpuE2ELNS1_3repE0EEENS1_30default_config_static_selectorELNS0_4arch9wavefront6targetE1EEEvT1_,comdat
	.protected	_ZN7rocprim17ROCPRIM_400000_NS6detail17trampoline_kernelINS0_14default_configENS1_25partition_config_selectorILNS1_17partition_subalgoE8EN3c104HalfENS0_10empty_typeEbEEZZNS1_14partition_implILS5_8ELb0ES3_jPKS7_PS8_PKS8_NS0_5tupleIJPS7_S8_EEENSG_IJSD_SD_EEENS0_18inequality_wrapperIN6hipcub16HIPCUB_304000_NS8EqualityEEEPlJS8_EEE10hipError_tPvRmT3_T4_T5_T6_T7_T9_mT8_P12ihipStream_tbDpT10_ENKUlT_T0_E_clISt17integral_constantIbLb0EES19_EEDaS14_S15_EUlS14_E_NS1_11comp_targetILNS1_3genE8ELNS1_11target_archE1030ELNS1_3gpuE2ELNS1_3repE0EEENS1_30default_config_static_selectorELNS0_4arch9wavefront6targetE1EEEvT1_ ; -- Begin function _ZN7rocprim17ROCPRIM_400000_NS6detail17trampoline_kernelINS0_14default_configENS1_25partition_config_selectorILNS1_17partition_subalgoE8EN3c104HalfENS0_10empty_typeEbEEZZNS1_14partition_implILS5_8ELb0ES3_jPKS7_PS8_PKS8_NS0_5tupleIJPS7_S8_EEENSG_IJSD_SD_EEENS0_18inequality_wrapperIN6hipcub16HIPCUB_304000_NS8EqualityEEEPlJS8_EEE10hipError_tPvRmT3_T4_T5_T6_T7_T9_mT8_P12ihipStream_tbDpT10_ENKUlT_T0_E_clISt17integral_constantIbLb0EES19_EEDaS14_S15_EUlS14_E_NS1_11comp_targetILNS1_3genE8ELNS1_11target_archE1030ELNS1_3gpuE2ELNS1_3repE0EEENS1_30default_config_static_selectorELNS0_4arch9wavefront6targetE1EEEvT1_
	.globl	_ZN7rocprim17ROCPRIM_400000_NS6detail17trampoline_kernelINS0_14default_configENS1_25partition_config_selectorILNS1_17partition_subalgoE8EN3c104HalfENS0_10empty_typeEbEEZZNS1_14partition_implILS5_8ELb0ES3_jPKS7_PS8_PKS8_NS0_5tupleIJPS7_S8_EEENSG_IJSD_SD_EEENS0_18inequality_wrapperIN6hipcub16HIPCUB_304000_NS8EqualityEEEPlJS8_EEE10hipError_tPvRmT3_T4_T5_T6_T7_T9_mT8_P12ihipStream_tbDpT10_ENKUlT_T0_E_clISt17integral_constantIbLb0EES19_EEDaS14_S15_EUlS14_E_NS1_11comp_targetILNS1_3genE8ELNS1_11target_archE1030ELNS1_3gpuE2ELNS1_3repE0EEENS1_30default_config_static_selectorELNS0_4arch9wavefront6targetE1EEEvT1_
	.p2align	8
	.type	_ZN7rocprim17ROCPRIM_400000_NS6detail17trampoline_kernelINS0_14default_configENS1_25partition_config_selectorILNS1_17partition_subalgoE8EN3c104HalfENS0_10empty_typeEbEEZZNS1_14partition_implILS5_8ELb0ES3_jPKS7_PS8_PKS8_NS0_5tupleIJPS7_S8_EEENSG_IJSD_SD_EEENS0_18inequality_wrapperIN6hipcub16HIPCUB_304000_NS8EqualityEEEPlJS8_EEE10hipError_tPvRmT3_T4_T5_T6_T7_T9_mT8_P12ihipStream_tbDpT10_ENKUlT_T0_E_clISt17integral_constantIbLb0EES19_EEDaS14_S15_EUlS14_E_NS1_11comp_targetILNS1_3genE8ELNS1_11target_archE1030ELNS1_3gpuE2ELNS1_3repE0EEENS1_30default_config_static_selectorELNS0_4arch9wavefront6targetE1EEEvT1_,@function
_ZN7rocprim17ROCPRIM_400000_NS6detail17trampoline_kernelINS0_14default_configENS1_25partition_config_selectorILNS1_17partition_subalgoE8EN3c104HalfENS0_10empty_typeEbEEZZNS1_14partition_implILS5_8ELb0ES3_jPKS7_PS8_PKS8_NS0_5tupleIJPS7_S8_EEENSG_IJSD_SD_EEENS0_18inequality_wrapperIN6hipcub16HIPCUB_304000_NS8EqualityEEEPlJS8_EEE10hipError_tPvRmT3_T4_T5_T6_T7_T9_mT8_P12ihipStream_tbDpT10_ENKUlT_T0_E_clISt17integral_constantIbLb0EES19_EEDaS14_S15_EUlS14_E_NS1_11comp_targetILNS1_3genE8ELNS1_11target_archE1030ELNS1_3gpuE2ELNS1_3repE0EEENS1_30default_config_static_selectorELNS0_4arch9wavefront6targetE1EEEvT1_: ; @_ZN7rocprim17ROCPRIM_400000_NS6detail17trampoline_kernelINS0_14default_configENS1_25partition_config_selectorILNS1_17partition_subalgoE8EN3c104HalfENS0_10empty_typeEbEEZZNS1_14partition_implILS5_8ELb0ES3_jPKS7_PS8_PKS8_NS0_5tupleIJPS7_S8_EEENSG_IJSD_SD_EEENS0_18inequality_wrapperIN6hipcub16HIPCUB_304000_NS8EqualityEEEPlJS8_EEE10hipError_tPvRmT3_T4_T5_T6_T7_T9_mT8_P12ihipStream_tbDpT10_ENKUlT_T0_E_clISt17integral_constantIbLb0EES19_EEDaS14_S15_EUlS14_E_NS1_11comp_targetILNS1_3genE8ELNS1_11target_archE1030ELNS1_3gpuE2ELNS1_3repE0EEENS1_30default_config_static_selectorELNS0_4arch9wavefront6targetE1EEEvT1_
; %bb.0:
	.section	.rodata,"a",@progbits
	.p2align	6, 0x0
	.amdhsa_kernel _ZN7rocprim17ROCPRIM_400000_NS6detail17trampoline_kernelINS0_14default_configENS1_25partition_config_selectorILNS1_17partition_subalgoE8EN3c104HalfENS0_10empty_typeEbEEZZNS1_14partition_implILS5_8ELb0ES3_jPKS7_PS8_PKS8_NS0_5tupleIJPS7_S8_EEENSG_IJSD_SD_EEENS0_18inequality_wrapperIN6hipcub16HIPCUB_304000_NS8EqualityEEEPlJS8_EEE10hipError_tPvRmT3_T4_T5_T6_T7_T9_mT8_P12ihipStream_tbDpT10_ENKUlT_T0_E_clISt17integral_constantIbLb0EES19_EEDaS14_S15_EUlS14_E_NS1_11comp_targetILNS1_3genE8ELNS1_11target_archE1030ELNS1_3gpuE2ELNS1_3repE0EEENS1_30default_config_static_selectorELNS0_4arch9wavefront6targetE1EEEvT1_
		.amdhsa_group_segment_fixed_size 0
		.amdhsa_private_segment_fixed_size 0
		.amdhsa_kernarg_size 112
		.amdhsa_user_sgpr_count 6
		.amdhsa_user_sgpr_private_segment_buffer 1
		.amdhsa_user_sgpr_dispatch_ptr 0
		.amdhsa_user_sgpr_queue_ptr 0
		.amdhsa_user_sgpr_kernarg_segment_ptr 1
		.amdhsa_user_sgpr_dispatch_id 0
		.amdhsa_user_sgpr_flat_scratch_init 0
		.amdhsa_user_sgpr_kernarg_preload_length 0
		.amdhsa_user_sgpr_kernarg_preload_offset 0
		.amdhsa_user_sgpr_private_segment_size 0
		.amdhsa_uses_dynamic_stack 0
		.amdhsa_system_sgpr_private_segment_wavefront_offset 0
		.amdhsa_system_sgpr_workgroup_id_x 1
		.amdhsa_system_sgpr_workgroup_id_y 0
		.amdhsa_system_sgpr_workgroup_id_z 0
		.amdhsa_system_sgpr_workgroup_info 0
		.amdhsa_system_vgpr_workitem_id 0
		.amdhsa_next_free_vgpr 1
		.amdhsa_next_free_sgpr 0
		.amdhsa_accum_offset 4
		.amdhsa_reserve_vcc 0
		.amdhsa_reserve_flat_scratch 0
		.amdhsa_float_round_mode_32 0
		.amdhsa_float_round_mode_16_64 0
		.amdhsa_float_denorm_mode_32 3
		.amdhsa_float_denorm_mode_16_64 3
		.amdhsa_dx10_clamp 1
		.amdhsa_ieee_mode 1
		.amdhsa_fp16_overflow 0
		.amdhsa_tg_split 0
		.amdhsa_exception_fp_ieee_invalid_op 0
		.amdhsa_exception_fp_denorm_src 0
		.amdhsa_exception_fp_ieee_div_zero 0
		.amdhsa_exception_fp_ieee_overflow 0
		.amdhsa_exception_fp_ieee_underflow 0
		.amdhsa_exception_fp_ieee_inexact 0
		.amdhsa_exception_int_div_zero 0
	.end_amdhsa_kernel
	.section	.text._ZN7rocprim17ROCPRIM_400000_NS6detail17trampoline_kernelINS0_14default_configENS1_25partition_config_selectorILNS1_17partition_subalgoE8EN3c104HalfENS0_10empty_typeEbEEZZNS1_14partition_implILS5_8ELb0ES3_jPKS7_PS8_PKS8_NS0_5tupleIJPS7_S8_EEENSG_IJSD_SD_EEENS0_18inequality_wrapperIN6hipcub16HIPCUB_304000_NS8EqualityEEEPlJS8_EEE10hipError_tPvRmT3_T4_T5_T6_T7_T9_mT8_P12ihipStream_tbDpT10_ENKUlT_T0_E_clISt17integral_constantIbLb0EES19_EEDaS14_S15_EUlS14_E_NS1_11comp_targetILNS1_3genE8ELNS1_11target_archE1030ELNS1_3gpuE2ELNS1_3repE0EEENS1_30default_config_static_selectorELNS0_4arch9wavefront6targetE1EEEvT1_,"axG",@progbits,_ZN7rocprim17ROCPRIM_400000_NS6detail17trampoline_kernelINS0_14default_configENS1_25partition_config_selectorILNS1_17partition_subalgoE8EN3c104HalfENS0_10empty_typeEbEEZZNS1_14partition_implILS5_8ELb0ES3_jPKS7_PS8_PKS8_NS0_5tupleIJPS7_S8_EEENSG_IJSD_SD_EEENS0_18inequality_wrapperIN6hipcub16HIPCUB_304000_NS8EqualityEEEPlJS8_EEE10hipError_tPvRmT3_T4_T5_T6_T7_T9_mT8_P12ihipStream_tbDpT10_ENKUlT_T0_E_clISt17integral_constantIbLb0EES19_EEDaS14_S15_EUlS14_E_NS1_11comp_targetILNS1_3genE8ELNS1_11target_archE1030ELNS1_3gpuE2ELNS1_3repE0EEENS1_30default_config_static_selectorELNS0_4arch9wavefront6targetE1EEEvT1_,comdat
.Lfunc_end900:
	.size	_ZN7rocprim17ROCPRIM_400000_NS6detail17trampoline_kernelINS0_14default_configENS1_25partition_config_selectorILNS1_17partition_subalgoE8EN3c104HalfENS0_10empty_typeEbEEZZNS1_14partition_implILS5_8ELb0ES3_jPKS7_PS8_PKS8_NS0_5tupleIJPS7_S8_EEENSG_IJSD_SD_EEENS0_18inequality_wrapperIN6hipcub16HIPCUB_304000_NS8EqualityEEEPlJS8_EEE10hipError_tPvRmT3_T4_T5_T6_T7_T9_mT8_P12ihipStream_tbDpT10_ENKUlT_T0_E_clISt17integral_constantIbLb0EES19_EEDaS14_S15_EUlS14_E_NS1_11comp_targetILNS1_3genE8ELNS1_11target_archE1030ELNS1_3gpuE2ELNS1_3repE0EEENS1_30default_config_static_selectorELNS0_4arch9wavefront6targetE1EEEvT1_, .Lfunc_end900-_ZN7rocprim17ROCPRIM_400000_NS6detail17trampoline_kernelINS0_14default_configENS1_25partition_config_selectorILNS1_17partition_subalgoE8EN3c104HalfENS0_10empty_typeEbEEZZNS1_14partition_implILS5_8ELb0ES3_jPKS7_PS8_PKS8_NS0_5tupleIJPS7_S8_EEENSG_IJSD_SD_EEENS0_18inequality_wrapperIN6hipcub16HIPCUB_304000_NS8EqualityEEEPlJS8_EEE10hipError_tPvRmT3_T4_T5_T6_T7_T9_mT8_P12ihipStream_tbDpT10_ENKUlT_T0_E_clISt17integral_constantIbLb0EES19_EEDaS14_S15_EUlS14_E_NS1_11comp_targetILNS1_3genE8ELNS1_11target_archE1030ELNS1_3gpuE2ELNS1_3repE0EEENS1_30default_config_static_selectorELNS0_4arch9wavefront6targetE1EEEvT1_
                                        ; -- End function
	.section	.AMDGPU.csdata,"",@progbits
; Kernel info:
; codeLenInByte = 0
; NumSgprs: 4
; NumVgprs: 0
; NumAgprs: 0
; TotalNumVgprs: 0
; ScratchSize: 0
; MemoryBound: 0
; FloatMode: 240
; IeeeMode: 1
; LDSByteSize: 0 bytes/workgroup (compile time only)
; SGPRBlocks: 0
; VGPRBlocks: 0
; NumSGPRsForWavesPerEU: 4
; NumVGPRsForWavesPerEU: 1
; AccumOffset: 4
; Occupancy: 8
; WaveLimiterHint : 0
; COMPUTE_PGM_RSRC2:SCRATCH_EN: 0
; COMPUTE_PGM_RSRC2:USER_SGPR: 6
; COMPUTE_PGM_RSRC2:TRAP_HANDLER: 0
; COMPUTE_PGM_RSRC2:TGID_X_EN: 1
; COMPUTE_PGM_RSRC2:TGID_Y_EN: 0
; COMPUTE_PGM_RSRC2:TGID_Z_EN: 0
; COMPUTE_PGM_RSRC2:TIDIG_COMP_CNT: 0
; COMPUTE_PGM_RSRC3_GFX90A:ACCUM_OFFSET: 0
; COMPUTE_PGM_RSRC3_GFX90A:TG_SPLIT: 0
	.section	.text._ZN7rocprim17ROCPRIM_400000_NS6detail17trampoline_kernelINS0_14default_configENS1_25partition_config_selectorILNS1_17partition_subalgoE8EN3c104HalfENS0_10empty_typeEbEEZZNS1_14partition_implILS5_8ELb0ES3_jPKS7_PS8_PKS8_NS0_5tupleIJPS7_S8_EEENSG_IJSD_SD_EEENS0_18inequality_wrapperIN6hipcub16HIPCUB_304000_NS8EqualityEEEPlJS8_EEE10hipError_tPvRmT3_T4_T5_T6_T7_T9_mT8_P12ihipStream_tbDpT10_ENKUlT_T0_E_clISt17integral_constantIbLb1EES19_EEDaS14_S15_EUlS14_E_NS1_11comp_targetILNS1_3genE0ELNS1_11target_archE4294967295ELNS1_3gpuE0ELNS1_3repE0EEENS1_30default_config_static_selectorELNS0_4arch9wavefront6targetE1EEEvT1_,"axG",@progbits,_ZN7rocprim17ROCPRIM_400000_NS6detail17trampoline_kernelINS0_14default_configENS1_25partition_config_selectorILNS1_17partition_subalgoE8EN3c104HalfENS0_10empty_typeEbEEZZNS1_14partition_implILS5_8ELb0ES3_jPKS7_PS8_PKS8_NS0_5tupleIJPS7_S8_EEENSG_IJSD_SD_EEENS0_18inequality_wrapperIN6hipcub16HIPCUB_304000_NS8EqualityEEEPlJS8_EEE10hipError_tPvRmT3_T4_T5_T6_T7_T9_mT8_P12ihipStream_tbDpT10_ENKUlT_T0_E_clISt17integral_constantIbLb1EES19_EEDaS14_S15_EUlS14_E_NS1_11comp_targetILNS1_3genE0ELNS1_11target_archE4294967295ELNS1_3gpuE0ELNS1_3repE0EEENS1_30default_config_static_selectorELNS0_4arch9wavefront6targetE1EEEvT1_,comdat
	.protected	_ZN7rocprim17ROCPRIM_400000_NS6detail17trampoline_kernelINS0_14default_configENS1_25partition_config_selectorILNS1_17partition_subalgoE8EN3c104HalfENS0_10empty_typeEbEEZZNS1_14partition_implILS5_8ELb0ES3_jPKS7_PS8_PKS8_NS0_5tupleIJPS7_S8_EEENSG_IJSD_SD_EEENS0_18inequality_wrapperIN6hipcub16HIPCUB_304000_NS8EqualityEEEPlJS8_EEE10hipError_tPvRmT3_T4_T5_T6_T7_T9_mT8_P12ihipStream_tbDpT10_ENKUlT_T0_E_clISt17integral_constantIbLb1EES19_EEDaS14_S15_EUlS14_E_NS1_11comp_targetILNS1_3genE0ELNS1_11target_archE4294967295ELNS1_3gpuE0ELNS1_3repE0EEENS1_30default_config_static_selectorELNS0_4arch9wavefront6targetE1EEEvT1_ ; -- Begin function _ZN7rocprim17ROCPRIM_400000_NS6detail17trampoline_kernelINS0_14default_configENS1_25partition_config_selectorILNS1_17partition_subalgoE8EN3c104HalfENS0_10empty_typeEbEEZZNS1_14partition_implILS5_8ELb0ES3_jPKS7_PS8_PKS8_NS0_5tupleIJPS7_S8_EEENSG_IJSD_SD_EEENS0_18inequality_wrapperIN6hipcub16HIPCUB_304000_NS8EqualityEEEPlJS8_EEE10hipError_tPvRmT3_T4_T5_T6_T7_T9_mT8_P12ihipStream_tbDpT10_ENKUlT_T0_E_clISt17integral_constantIbLb1EES19_EEDaS14_S15_EUlS14_E_NS1_11comp_targetILNS1_3genE0ELNS1_11target_archE4294967295ELNS1_3gpuE0ELNS1_3repE0EEENS1_30default_config_static_selectorELNS0_4arch9wavefront6targetE1EEEvT1_
	.globl	_ZN7rocprim17ROCPRIM_400000_NS6detail17trampoline_kernelINS0_14default_configENS1_25partition_config_selectorILNS1_17partition_subalgoE8EN3c104HalfENS0_10empty_typeEbEEZZNS1_14partition_implILS5_8ELb0ES3_jPKS7_PS8_PKS8_NS0_5tupleIJPS7_S8_EEENSG_IJSD_SD_EEENS0_18inequality_wrapperIN6hipcub16HIPCUB_304000_NS8EqualityEEEPlJS8_EEE10hipError_tPvRmT3_T4_T5_T6_T7_T9_mT8_P12ihipStream_tbDpT10_ENKUlT_T0_E_clISt17integral_constantIbLb1EES19_EEDaS14_S15_EUlS14_E_NS1_11comp_targetILNS1_3genE0ELNS1_11target_archE4294967295ELNS1_3gpuE0ELNS1_3repE0EEENS1_30default_config_static_selectorELNS0_4arch9wavefront6targetE1EEEvT1_
	.p2align	8
	.type	_ZN7rocprim17ROCPRIM_400000_NS6detail17trampoline_kernelINS0_14default_configENS1_25partition_config_selectorILNS1_17partition_subalgoE8EN3c104HalfENS0_10empty_typeEbEEZZNS1_14partition_implILS5_8ELb0ES3_jPKS7_PS8_PKS8_NS0_5tupleIJPS7_S8_EEENSG_IJSD_SD_EEENS0_18inequality_wrapperIN6hipcub16HIPCUB_304000_NS8EqualityEEEPlJS8_EEE10hipError_tPvRmT3_T4_T5_T6_T7_T9_mT8_P12ihipStream_tbDpT10_ENKUlT_T0_E_clISt17integral_constantIbLb1EES19_EEDaS14_S15_EUlS14_E_NS1_11comp_targetILNS1_3genE0ELNS1_11target_archE4294967295ELNS1_3gpuE0ELNS1_3repE0EEENS1_30default_config_static_selectorELNS0_4arch9wavefront6targetE1EEEvT1_,@function
_ZN7rocprim17ROCPRIM_400000_NS6detail17trampoline_kernelINS0_14default_configENS1_25partition_config_selectorILNS1_17partition_subalgoE8EN3c104HalfENS0_10empty_typeEbEEZZNS1_14partition_implILS5_8ELb0ES3_jPKS7_PS8_PKS8_NS0_5tupleIJPS7_S8_EEENSG_IJSD_SD_EEENS0_18inequality_wrapperIN6hipcub16HIPCUB_304000_NS8EqualityEEEPlJS8_EEE10hipError_tPvRmT3_T4_T5_T6_T7_T9_mT8_P12ihipStream_tbDpT10_ENKUlT_T0_E_clISt17integral_constantIbLb1EES19_EEDaS14_S15_EUlS14_E_NS1_11comp_targetILNS1_3genE0ELNS1_11target_archE4294967295ELNS1_3gpuE0ELNS1_3repE0EEENS1_30default_config_static_selectorELNS0_4arch9wavefront6targetE1EEEvT1_: ; @_ZN7rocprim17ROCPRIM_400000_NS6detail17trampoline_kernelINS0_14default_configENS1_25partition_config_selectorILNS1_17partition_subalgoE8EN3c104HalfENS0_10empty_typeEbEEZZNS1_14partition_implILS5_8ELb0ES3_jPKS7_PS8_PKS8_NS0_5tupleIJPS7_S8_EEENSG_IJSD_SD_EEENS0_18inequality_wrapperIN6hipcub16HIPCUB_304000_NS8EqualityEEEPlJS8_EEE10hipError_tPvRmT3_T4_T5_T6_T7_T9_mT8_P12ihipStream_tbDpT10_ENKUlT_T0_E_clISt17integral_constantIbLb1EES19_EEDaS14_S15_EUlS14_E_NS1_11comp_targetILNS1_3genE0ELNS1_11target_archE4294967295ELNS1_3gpuE0ELNS1_3repE0EEENS1_30default_config_static_selectorELNS0_4arch9wavefront6targetE1EEEvT1_
; %bb.0:
	.section	.rodata,"a",@progbits
	.p2align	6, 0x0
	.amdhsa_kernel _ZN7rocprim17ROCPRIM_400000_NS6detail17trampoline_kernelINS0_14default_configENS1_25partition_config_selectorILNS1_17partition_subalgoE8EN3c104HalfENS0_10empty_typeEbEEZZNS1_14partition_implILS5_8ELb0ES3_jPKS7_PS8_PKS8_NS0_5tupleIJPS7_S8_EEENSG_IJSD_SD_EEENS0_18inequality_wrapperIN6hipcub16HIPCUB_304000_NS8EqualityEEEPlJS8_EEE10hipError_tPvRmT3_T4_T5_T6_T7_T9_mT8_P12ihipStream_tbDpT10_ENKUlT_T0_E_clISt17integral_constantIbLb1EES19_EEDaS14_S15_EUlS14_E_NS1_11comp_targetILNS1_3genE0ELNS1_11target_archE4294967295ELNS1_3gpuE0ELNS1_3repE0EEENS1_30default_config_static_selectorELNS0_4arch9wavefront6targetE1EEEvT1_
		.amdhsa_group_segment_fixed_size 0
		.amdhsa_private_segment_fixed_size 0
		.amdhsa_kernarg_size 128
		.amdhsa_user_sgpr_count 6
		.amdhsa_user_sgpr_private_segment_buffer 1
		.amdhsa_user_sgpr_dispatch_ptr 0
		.amdhsa_user_sgpr_queue_ptr 0
		.amdhsa_user_sgpr_kernarg_segment_ptr 1
		.amdhsa_user_sgpr_dispatch_id 0
		.amdhsa_user_sgpr_flat_scratch_init 0
		.amdhsa_user_sgpr_kernarg_preload_length 0
		.amdhsa_user_sgpr_kernarg_preload_offset 0
		.amdhsa_user_sgpr_private_segment_size 0
		.amdhsa_uses_dynamic_stack 0
		.amdhsa_system_sgpr_private_segment_wavefront_offset 0
		.amdhsa_system_sgpr_workgroup_id_x 1
		.amdhsa_system_sgpr_workgroup_id_y 0
		.amdhsa_system_sgpr_workgroup_id_z 0
		.amdhsa_system_sgpr_workgroup_info 0
		.amdhsa_system_vgpr_workitem_id 0
		.amdhsa_next_free_vgpr 1
		.amdhsa_next_free_sgpr 0
		.amdhsa_accum_offset 4
		.amdhsa_reserve_vcc 0
		.amdhsa_reserve_flat_scratch 0
		.amdhsa_float_round_mode_32 0
		.amdhsa_float_round_mode_16_64 0
		.amdhsa_float_denorm_mode_32 3
		.amdhsa_float_denorm_mode_16_64 3
		.amdhsa_dx10_clamp 1
		.amdhsa_ieee_mode 1
		.amdhsa_fp16_overflow 0
		.amdhsa_tg_split 0
		.amdhsa_exception_fp_ieee_invalid_op 0
		.amdhsa_exception_fp_denorm_src 0
		.amdhsa_exception_fp_ieee_div_zero 0
		.amdhsa_exception_fp_ieee_overflow 0
		.amdhsa_exception_fp_ieee_underflow 0
		.amdhsa_exception_fp_ieee_inexact 0
		.amdhsa_exception_int_div_zero 0
	.end_amdhsa_kernel
	.section	.text._ZN7rocprim17ROCPRIM_400000_NS6detail17trampoline_kernelINS0_14default_configENS1_25partition_config_selectorILNS1_17partition_subalgoE8EN3c104HalfENS0_10empty_typeEbEEZZNS1_14partition_implILS5_8ELb0ES3_jPKS7_PS8_PKS8_NS0_5tupleIJPS7_S8_EEENSG_IJSD_SD_EEENS0_18inequality_wrapperIN6hipcub16HIPCUB_304000_NS8EqualityEEEPlJS8_EEE10hipError_tPvRmT3_T4_T5_T6_T7_T9_mT8_P12ihipStream_tbDpT10_ENKUlT_T0_E_clISt17integral_constantIbLb1EES19_EEDaS14_S15_EUlS14_E_NS1_11comp_targetILNS1_3genE0ELNS1_11target_archE4294967295ELNS1_3gpuE0ELNS1_3repE0EEENS1_30default_config_static_selectorELNS0_4arch9wavefront6targetE1EEEvT1_,"axG",@progbits,_ZN7rocprim17ROCPRIM_400000_NS6detail17trampoline_kernelINS0_14default_configENS1_25partition_config_selectorILNS1_17partition_subalgoE8EN3c104HalfENS0_10empty_typeEbEEZZNS1_14partition_implILS5_8ELb0ES3_jPKS7_PS8_PKS8_NS0_5tupleIJPS7_S8_EEENSG_IJSD_SD_EEENS0_18inequality_wrapperIN6hipcub16HIPCUB_304000_NS8EqualityEEEPlJS8_EEE10hipError_tPvRmT3_T4_T5_T6_T7_T9_mT8_P12ihipStream_tbDpT10_ENKUlT_T0_E_clISt17integral_constantIbLb1EES19_EEDaS14_S15_EUlS14_E_NS1_11comp_targetILNS1_3genE0ELNS1_11target_archE4294967295ELNS1_3gpuE0ELNS1_3repE0EEENS1_30default_config_static_selectorELNS0_4arch9wavefront6targetE1EEEvT1_,comdat
.Lfunc_end901:
	.size	_ZN7rocprim17ROCPRIM_400000_NS6detail17trampoline_kernelINS0_14default_configENS1_25partition_config_selectorILNS1_17partition_subalgoE8EN3c104HalfENS0_10empty_typeEbEEZZNS1_14partition_implILS5_8ELb0ES3_jPKS7_PS8_PKS8_NS0_5tupleIJPS7_S8_EEENSG_IJSD_SD_EEENS0_18inequality_wrapperIN6hipcub16HIPCUB_304000_NS8EqualityEEEPlJS8_EEE10hipError_tPvRmT3_T4_T5_T6_T7_T9_mT8_P12ihipStream_tbDpT10_ENKUlT_T0_E_clISt17integral_constantIbLb1EES19_EEDaS14_S15_EUlS14_E_NS1_11comp_targetILNS1_3genE0ELNS1_11target_archE4294967295ELNS1_3gpuE0ELNS1_3repE0EEENS1_30default_config_static_selectorELNS0_4arch9wavefront6targetE1EEEvT1_, .Lfunc_end901-_ZN7rocprim17ROCPRIM_400000_NS6detail17trampoline_kernelINS0_14default_configENS1_25partition_config_selectorILNS1_17partition_subalgoE8EN3c104HalfENS0_10empty_typeEbEEZZNS1_14partition_implILS5_8ELb0ES3_jPKS7_PS8_PKS8_NS0_5tupleIJPS7_S8_EEENSG_IJSD_SD_EEENS0_18inequality_wrapperIN6hipcub16HIPCUB_304000_NS8EqualityEEEPlJS8_EEE10hipError_tPvRmT3_T4_T5_T6_T7_T9_mT8_P12ihipStream_tbDpT10_ENKUlT_T0_E_clISt17integral_constantIbLb1EES19_EEDaS14_S15_EUlS14_E_NS1_11comp_targetILNS1_3genE0ELNS1_11target_archE4294967295ELNS1_3gpuE0ELNS1_3repE0EEENS1_30default_config_static_selectorELNS0_4arch9wavefront6targetE1EEEvT1_
                                        ; -- End function
	.section	.AMDGPU.csdata,"",@progbits
; Kernel info:
; codeLenInByte = 0
; NumSgprs: 4
; NumVgprs: 0
; NumAgprs: 0
; TotalNumVgprs: 0
; ScratchSize: 0
; MemoryBound: 0
; FloatMode: 240
; IeeeMode: 1
; LDSByteSize: 0 bytes/workgroup (compile time only)
; SGPRBlocks: 0
; VGPRBlocks: 0
; NumSGPRsForWavesPerEU: 4
; NumVGPRsForWavesPerEU: 1
; AccumOffset: 4
; Occupancy: 8
; WaveLimiterHint : 0
; COMPUTE_PGM_RSRC2:SCRATCH_EN: 0
; COMPUTE_PGM_RSRC2:USER_SGPR: 6
; COMPUTE_PGM_RSRC2:TRAP_HANDLER: 0
; COMPUTE_PGM_RSRC2:TGID_X_EN: 1
; COMPUTE_PGM_RSRC2:TGID_Y_EN: 0
; COMPUTE_PGM_RSRC2:TGID_Z_EN: 0
; COMPUTE_PGM_RSRC2:TIDIG_COMP_CNT: 0
; COMPUTE_PGM_RSRC3_GFX90A:ACCUM_OFFSET: 0
; COMPUTE_PGM_RSRC3_GFX90A:TG_SPLIT: 0
	.section	.text._ZN7rocprim17ROCPRIM_400000_NS6detail17trampoline_kernelINS0_14default_configENS1_25partition_config_selectorILNS1_17partition_subalgoE8EN3c104HalfENS0_10empty_typeEbEEZZNS1_14partition_implILS5_8ELb0ES3_jPKS7_PS8_PKS8_NS0_5tupleIJPS7_S8_EEENSG_IJSD_SD_EEENS0_18inequality_wrapperIN6hipcub16HIPCUB_304000_NS8EqualityEEEPlJS8_EEE10hipError_tPvRmT3_T4_T5_T6_T7_T9_mT8_P12ihipStream_tbDpT10_ENKUlT_T0_E_clISt17integral_constantIbLb1EES19_EEDaS14_S15_EUlS14_E_NS1_11comp_targetILNS1_3genE5ELNS1_11target_archE942ELNS1_3gpuE9ELNS1_3repE0EEENS1_30default_config_static_selectorELNS0_4arch9wavefront6targetE1EEEvT1_,"axG",@progbits,_ZN7rocprim17ROCPRIM_400000_NS6detail17trampoline_kernelINS0_14default_configENS1_25partition_config_selectorILNS1_17partition_subalgoE8EN3c104HalfENS0_10empty_typeEbEEZZNS1_14partition_implILS5_8ELb0ES3_jPKS7_PS8_PKS8_NS0_5tupleIJPS7_S8_EEENSG_IJSD_SD_EEENS0_18inequality_wrapperIN6hipcub16HIPCUB_304000_NS8EqualityEEEPlJS8_EEE10hipError_tPvRmT3_T4_T5_T6_T7_T9_mT8_P12ihipStream_tbDpT10_ENKUlT_T0_E_clISt17integral_constantIbLb1EES19_EEDaS14_S15_EUlS14_E_NS1_11comp_targetILNS1_3genE5ELNS1_11target_archE942ELNS1_3gpuE9ELNS1_3repE0EEENS1_30default_config_static_selectorELNS0_4arch9wavefront6targetE1EEEvT1_,comdat
	.protected	_ZN7rocprim17ROCPRIM_400000_NS6detail17trampoline_kernelINS0_14default_configENS1_25partition_config_selectorILNS1_17partition_subalgoE8EN3c104HalfENS0_10empty_typeEbEEZZNS1_14partition_implILS5_8ELb0ES3_jPKS7_PS8_PKS8_NS0_5tupleIJPS7_S8_EEENSG_IJSD_SD_EEENS0_18inequality_wrapperIN6hipcub16HIPCUB_304000_NS8EqualityEEEPlJS8_EEE10hipError_tPvRmT3_T4_T5_T6_T7_T9_mT8_P12ihipStream_tbDpT10_ENKUlT_T0_E_clISt17integral_constantIbLb1EES19_EEDaS14_S15_EUlS14_E_NS1_11comp_targetILNS1_3genE5ELNS1_11target_archE942ELNS1_3gpuE9ELNS1_3repE0EEENS1_30default_config_static_selectorELNS0_4arch9wavefront6targetE1EEEvT1_ ; -- Begin function _ZN7rocprim17ROCPRIM_400000_NS6detail17trampoline_kernelINS0_14default_configENS1_25partition_config_selectorILNS1_17partition_subalgoE8EN3c104HalfENS0_10empty_typeEbEEZZNS1_14partition_implILS5_8ELb0ES3_jPKS7_PS8_PKS8_NS0_5tupleIJPS7_S8_EEENSG_IJSD_SD_EEENS0_18inequality_wrapperIN6hipcub16HIPCUB_304000_NS8EqualityEEEPlJS8_EEE10hipError_tPvRmT3_T4_T5_T6_T7_T9_mT8_P12ihipStream_tbDpT10_ENKUlT_T0_E_clISt17integral_constantIbLb1EES19_EEDaS14_S15_EUlS14_E_NS1_11comp_targetILNS1_3genE5ELNS1_11target_archE942ELNS1_3gpuE9ELNS1_3repE0EEENS1_30default_config_static_selectorELNS0_4arch9wavefront6targetE1EEEvT1_
	.globl	_ZN7rocprim17ROCPRIM_400000_NS6detail17trampoline_kernelINS0_14default_configENS1_25partition_config_selectorILNS1_17partition_subalgoE8EN3c104HalfENS0_10empty_typeEbEEZZNS1_14partition_implILS5_8ELb0ES3_jPKS7_PS8_PKS8_NS0_5tupleIJPS7_S8_EEENSG_IJSD_SD_EEENS0_18inequality_wrapperIN6hipcub16HIPCUB_304000_NS8EqualityEEEPlJS8_EEE10hipError_tPvRmT3_T4_T5_T6_T7_T9_mT8_P12ihipStream_tbDpT10_ENKUlT_T0_E_clISt17integral_constantIbLb1EES19_EEDaS14_S15_EUlS14_E_NS1_11comp_targetILNS1_3genE5ELNS1_11target_archE942ELNS1_3gpuE9ELNS1_3repE0EEENS1_30default_config_static_selectorELNS0_4arch9wavefront6targetE1EEEvT1_
	.p2align	8
	.type	_ZN7rocprim17ROCPRIM_400000_NS6detail17trampoline_kernelINS0_14default_configENS1_25partition_config_selectorILNS1_17partition_subalgoE8EN3c104HalfENS0_10empty_typeEbEEZZNS1_14partition_implILS5_8ELb0ES3_jPKS7_PS8_PKS8_NS0_5tupleIJPS7_S8_EEENSG_IJSD_SD_EEENS0_18inequality_wrapperIN6hipcub16HIPCUB_304000_NS8EqualityEEEPlJS8_EEE10hipError_tPvRmT3_T4_T5_T6_T7_T9_mT8_P12ihipStream_tbDpT10_ENKUlT_T0_E_clISt17integral_constantIbLb1EES19_EEDaS14_S15_EUlS14_E_NS1_11comp_targetILNS1_3genE5ELNS1_11target_archE942ELNS1_3gpuE9ELNS1_3repE0EEENS1_30default_config_static_selectorELNS0_4arch9wavefront6targetE1EEEvT1_,@function
_ZN7rocprim17ROCPRIM_400000_NS6detail17trampoline_kernelINS0_14default_configENS1_25partition_config_selectorILNS1_17partition_subalgoE8EN3c104HalfENS0_10empty_typeEbEEZZNS1_14partition_implILS5_8ELb0ES3_jPKS7_PS8_PKS8_NS0_5tupleIJPS7_S8_EEENSG_IJSD_SD_EEENS0_18inequality_wrapperIN6hipcub16HIPCUB_304000_NS8EqualityEEEPlJS8_EEE10hipError_tPvRmT3_T4_T5_T6_T7_T9_mT8_P12ihipStream_tbDpT10_ENKUlT_T0_E_clISt17integral_constantIbLb1EES19_EEDaS14_S15_EUlS14_E_NS1_11comp_targetILNS1_3genE5ELNS1_11target_archE942ELNS1_3gpuE9ELNS1_3repE0EEENS1_30default_config_static_selectorELNS0_4arch9wavefront6targetE1EEEvT1_: ; @_ZN7rocprim17ROCPRIM_400000_NS6detail17trampoline_kernelINS0_14default_configENS1_25partition_config_selectorILNS1_17partition_subalgoE8EN3c104HalfENS0_10empty_typeEbEEZZNS1_14partition_implILS5_8ELb0ES3_jPKS7_PS8_PKS8_NS0_5tupleIJPS7_S8_EEENSG_IJSD_SD_EEENS0_18inequality_wrapperIN6hipcub16HIPCUB_304000_NS8EqualityEEEPlJS8_EEE10hipError_tPvRmT3_T4_T5_T6_T7_T9_mT8_P12ihipStream_tbDpT10_ENKUlT_T0_E_clISt17integral_constantIbLb1EES19_EEDaS14_S15_EUlS14_E_NS1_11comp_targetILNS1_3genE5ELNS1_11target_archE942ELNS1_3gpuE9ELNS1_3repE0EEENS1_30default_config_static_selectorELNS0_4arch9wavefront6targetE1EEEvT1_
; %bb.0:
	.section	.rodata,"a",@progbits
	.p2align	6, 0x0
	.amdhsa_kernel _ZN7rocprim17ROCPRIM_400000_NS6detail17trampoline_kernelINS0_14default_configENS1_25partition_config_selectorILNS1_17partition_subalgoE8EN3c104HalfENS0_10empty_typeEbEEZZNS1_14partition_implILS5_8ELb0ES3_jPKS7_PS8_PKS8_NS0_5tupleIJPS7_S8_EEENSG_IJSD_SD_EEENS0_18inequality_wrapperIN6hipcub16HIPCUB_304000_NS8EqualityEEEPlJS8_EEE10hipError_tPvRmT3_T4_T5_T6_T7_T9_mT8_P12ihipStream_tbDpT10_ENKUlT_T0_E_clISt17integral_constantIbLb1EES19_EEDaS14_S15_EUlS14_E_NS1_11comp_targetILNS1_3genE5ELNS1_11target_archE942ELNS1_3gpuE9ELNS1_3repE0EEENS1_30default_config_static_selectorELNS0_4arch9wavefront6targetE1EEEvT1_
		.amdhsa_group_segment_fixed_size 0
		.amdhsa_private_segment_fixed_size 0
		.amdhsa_kernarg_size 128
		.amdhsa_user_sgpr_count 6
		.amdhsa_user_sgpr_private_segment_buffer 1
		.amdhsa_user_sgpr_dispatch_ptr 0
		.amdhsa_user_sgpr_queue_ptr 0
		.amdhsa_user_sgpr_kernarg_segment_ptr 1
		.amdhsa_user_sgpr_dispatch_id 0
		.amdhsa_user_sgpr_flat_scratch_init 0
		.amdhsa_user_sgpr_kernarg_preload_length 0
		.amdhsa_user_sgpr_kernarg_preload_offset 0
		.amdhsa_user_sgpr_private_segment_size 0
		.amdhsa_uses_dynamic_stack 0
		.amdhsa_system_sgpr_private_segment_wavefront_offset 0
		.amdhsa_system_sgpr_workgroup_id_x 1
		.amdhsa_system_sgpr_workgroup_id_y 0
		.amdhsa_system_sgpr_workgroup_id_z 0
		.amdhsa_system_sgpr_workgroup_info 0
		.amdhsa_system_vgpr_workitem_id 0
		.amdhsa_next_free_vgpr 1
		.amdhsa_next_free_sgpr 0
		.amdhsa_accum_offset 4
		.amdhsa_reserve_vcc 0
		.amdhsa_reserve_flat_scratch 0
		.amdhsa_float_round_mode_32 0
		.amdhsa_float_round_mode_16_64 0
		.amdhsa_float_denorm_mode_32 3
		.amdhsa_float_denorm_mode_16_64 3
		.amdhsa_dx10_clamp 1
		.amdhsa_ieee_mode 1
		.amdhsa_fp16_overflow 0
		.amdhsa_tg_split 0
		.amdhsa_exception_fp_ieee_invalid_op 0
		.amdhsa_exception_fp_denorm_src 0
		.amdhsa_exception_fp_ieee_div_zero 0
		.amdhsa_exception_fp_ieee_overflow 0
		.amdhsa_exception_fp_ieee_underflow 0
		.amdhsa_exception_fp_ieee_inexact 0
		.amdhsa_exception_int_div_zero 0
	.end_amdhsa_kernel
	.section	.text._ZN7rocprim17ROCPRIM_400000_NS6detail17trampoline_kernelINS0_14default_configENS1_25partition_config_selectorILNS1_17partition_subalgoE8EN3c104HalfENS0_10empty_typeEbEEZZNS1_14partition_implILS5_8ELb0ES3_jPKS7_PS8_PKS8_NS0_5tupleIJPS7_S8_EEENSG_IJSD_SD_EEENS0_18inequality_wrapperIN6hipcub16HIPCUB_304000_NS8EqualityEEEPlJS8_EEE10hipError_tPvRmT3_T4_T5_T6_T7_T9_mT8_P12ihipStream_tbDpT10_ENKUlT_T0_E_clISt17integral_constantIbLb1EES19_EEDaS14_S15_EUlS14_E_NS1_11comp_targetILNS1_3genE5ELNS1_11target_archE942ELNS1_3gpuE9ELNS1_3repE0EEENS1_30default_config_static_selectorELNS0_4arch9wavefront6targetE1EEEvT1_,"axG",@progbits,_ZN7rocprim17ROCPRIM_400000_NS6detail17trampoline_kernelINS0_14default_configENS1_25partition_config_selectorILNS1_17partition_subalgoE8EN3c104HalfENS0_10empty_typeEbEEZZNS1_14partition_implILS5_8ELb0ES3_jPKS7_PS8_PKS8_NS0_5tupleIJPS7_S8_EEENSG_IJSD_SD_EEENS0_18inequality_wrapperIN6hipcub16HIPCUB_304000_NS8EqualityEEEPlJS8_EEE10hipError_tPvRmT3_T4_T5_T6_T7_T9_mT8_P12ihipStream_tbDpT10_ENKUlT_T0_E_clISt17integral_constantIbLb1EES19_EEDaS14_S15_EUlS14_E_NS1_11comp_targetILNS1_3genE5ELNS1_11target_archE942ELNS1_3gpuE9ELNS1_3repE0EEENS1_30default_config_static_selectorELNS0_4arch9wavefront6targetE1EEEvT1_,comdat
.Lfunc_end902:
	.size	_ZN7rocprim17ROCPRIM_400000_NS6detail17trampoline_kernelINS0_14default_configENS1_25partition_config_selectorILNS1_17partition_subalgoE8EN3c104HalfENS0_10empty_typeEbEEZZNS1_14partition_implILS5_8ELb0ES3_jPKS7_PS8_PKS8_NS0_5tupleIJPS7_S8_EEENSG_IJSD_SD_EEENS0_18inequality_wrapperIN6hipcub16HIPCUB_304000_NS8EqualityEEEPlJS8_EEE10hipError_tPvRmT3_T4_T5_T6_T7_T9_mT8_P12ihipStream_tbDpT10_ENKUlT_T0_E_clISt17integral_constantIbLb1EES19_EEDaS14_S15_EUlS14_E_NS1_11comp_targetILNS1_3genE5ELNS1_11target_archE942ELNS1_3gpuE9ELNS1_3repE0EEENS1_30default_config_static_selectorELNS0_4arch9wavefront6targetE1EEEvT1_, .Lfunc_end902-_ZN7rocprim17ROCPRIM_400000_NS6detail17trampoline_kernelINS0_14default_configENS1_25partition_config_selectorILNS1_17partition_subalgoE8EN3c104HalfENS0_10empty_typeEbEEZZNS1_14partition_implILS5_8ELb0ES3_jPKS7_PS8_PKS8_NS0_5tupleIJPS7_S8_EEENSG_IJSD_SD_EEENS0_18inequality_wrapperIN6hipcub16HIPCUB_304000_NS8EqualityEEEPlJS8_EEE10hipError_tPvRmT3_T4_T5_T6_T7_T9_mT8_P12ihipStream_tbDpT10_ENKUlT_T0_E_clISt17integral_constantIbLb1EES19_EEDaS14_S15_EUlS14_E_NS1_11comp_targetILNS1_3genE5ELNS1_11target_archE942ELNS1_3gpuE9ELNS1_3repE0EEENS1_30default_config_static_selectorELNS0_4arch9wavefront6targetE1EEEvT1_
                                        ; -- End function
	.section	.AMDGPU.csdata,"",@progbits
; Kernel info:
; codeLenInByte = 0
; NumSgprs: 4
; NumVgprs: 0
; NumAgprs: 0
; TotalNumVgprs: 0
; ScratchSize: 0
; MemoryBound: 0
; FloatMode: 240
; IeeeMode: 1
; LDSByteSize: 0 bytes/workgroup (compile time only)
; SGPRBlocks: 0
; VGPRBlocks: 0
; NumSGPRsForWavesPerEU: 4
; NumVGPRsForWavesPerEU: 1
; AccumOffset: 4
; Occupancy: 8
; WaveLimiterHint : 0
; COMPUTE_PGM_RSRC2:SCRATCH_EN: 0
; COMPUTE_PGM_RSRC2:USER_SGPR: 6
; COMPUTE_PGM_RSRC2:TRAP_HANDLER: 0
; COMPUTE_PGM_RSRC2:TGID_X_EN: 1
; COMPUTE_PGM_RSRC2:TGID_Y_EN: 0
; COMPUTE_PGM_RSRC2:TGID_Z_EN: 0
; COMPUTE_PGM_RSRC2:TIDIG_COMP_CNT: 0
; COMPUTE_PGM_RSRC3_GFX90A:ACCUM_OFFSET: 0
; COMPUTE_PGM_RSRC3_GFX90A:TG_SPLIT: 0
	.section	.text._ZN7rocprim17ROCPRIM_400000_NS6detail17trampoline_kernelINS0_14default_configENS1_25partition_config_selectorILNS1_17partition_subalgoE8EN3c104HalfENS0_10empty_typeEbEEZZNS1_14partition_implILS5_8ELb0ES3_jPKS7_PS8_PKS8_NS0_5tupleIJPS7_S8_EEENSG_IJSD_SD_EEENS0_18inequality_wrapperIN6hipcub16HIPCUB_304000_NS8EqualityEEEPlJS8_EEE10hipError_tPvRmT3_T4_T5_T6_T7_T9_mT8_P12ihipStream_tbDpT10_ENKUlT_T0_E_clISt17integral_constantIbLb1EES19_EEDaS14_S15_EUlS14_E_NS1_11comp_targetILNS1_3genE4ELNS1_11target_archE910ELNS1_3gpuE8ELNS1_3repE0EEENS1_30default_config_static_selectorELNS0_4arch9wavefront6targetE1EEEvT1_,"axG",@progbits,_ZN7rocprim17ROCPRIM_400000_NS6detail17trampoline_kernelINS0_14default_configENS1_25partition_config_selectorILNS1_17partition_subalgoE8EN3c104HalfENS0_10empty_typeEbEEZZNS1_14partition_implILS5_8ELb0ES3_jPKS7_PS8_PKS8_NS0_5tupleIJPS7_S8_EEENSG_IJSD_SD_EEENS0_18inequality_wrapperIN6hipcub16HIPCUB_304000_NS8EqualityEEEPlJS8_EEE10hipError_tPvRmT3_T4_T5_T6_T7_T9_mT8_P12ihipStream_tbDpT10_ENKUlT_T0_E_clISt17integral_constantIbLb1EES19_EEDaS14_S15_EUlS14_E_NS1_11comp_targetILNS1_3genE4ELNS1_11target_archE910ELNS1_3gpuE8ELNS1_3repE0EEENS1_30default_config_static_selectorELNS0_4arch9wavefront6targetE1EEEvT1_,comdat
	.protected	_ZN7rocprim17ROCPRIM_400000_NS6detail17trampoline_kernelINS0_14default_configENS1_25partition_config_selectorILNS1_17partition_subalgoE8EN3c104HalfENS0_10empty_typeEbEEZZNS1_14partition_implILS5_8ELb0ES3_jPKS7_PS8_PKS8_NS0_5tupleIJPS7_S8_EEENSG_IJSD_SD_EEENS0_18inequality_wrapperIN6hipcub16HIPCUB_304000_NS8EqualityEEEPlJS8_EEE10hipError_tPvRmT3_T4_T5_T6_T7_T9_mT8_P12ihipStream_tbDpT10_ENKUlT_T0_E_clISt17integral_constantIbLb1EES19_EEDaS14_S15_EUlS14_E_NS1_11comp_targetILNS1_3genE4ELNS1_11target_archE910ELNS1_3gpuE8ELNS1_3repE0EEENS1_30default_config_static_selectorELNS0_4arch9wavefront6targetE1EEEvT1_ ; -- Begin function _ZN7rocprim17ROCPRIM_400000_NS6detail17trampoline_kernelINS0_14default_configENS1_25partition_config_selectorILNS1_17partition_subalgoE8EN3c104HalfENS0_10empty_typeEbEEZZNS1_14partition_implILS5_8ELb0ES3_jPKS7_PS8_PKS8_NS0_5tupleIJPS7_S8_EEENSG_IJSD_SD_EEENS0_18inequality_wrapperIN6hipcub16HIPCUB_304000_NS8EqualityEEEPlJS8_EEE10hipError_tPvRmT3_T4_T5_T6_T7_T9_mT8_P12ihipStream_tbDpT10_ENKUlT_T0_E_clISt17integral_constantIbLb1EES19_EEDaS14_S15_EUlS14_E_NS1_11comp_targetILNS1_3genE4ELNS1_11target_archE910ELNS1_3gpuE8ELNS1_3repE0EEENS1_30default_config_static_selectorELNS0_4arch9wavefront6targetE1EEEvT1_
	.globl	_ZN7rocprim17ROCPRIM_400000_NS6detail17trampoline_kernelINS0_14default_configENS1_25partition_config_selectorILNS1_17partition_subalgoE8EN3c104HalfENS0_10empty_typeEbEEZZNS1_14partition_implILS5_8ELb0ES3_jPKS7_PS8_PKS8_NS0_5tupleIJPS7_S8_EEENSG_IJSD_SD_EEENS0_18inequality_wrapperIN6hipcub16HIPCUB_304000_NS8EqualityEEEPlJS8_EEE10hipError_tPvRmT3_T4_T5_T6_T7_T9_mT8_P12ihipStream_tbDpT10_ENKUlT_T0_E_clISt17integral_constantIbLb1EES19_EEDaS14_S15_EUlS14_E_NS1_11comp_targetILNS1_3genE4ELNS1_11target_archE910ELNS1_3gpuE8ELNS1_3repE0EEENS1_30default_config_static_selectorELNS0_4arch9wavefront6targetE1EEEvT1_
	.p2align	8
	.type	_ZN7rocprim17ROCPRIM_400000_NS6detail17trampoline_kernelINS0_14default_configENS1_25partition_config_selectorILNS1_17partition_subalgoE8EN3c104HalfENS0_10empty_typeEbEEZZNS1_14partition_implILS5_8ELb0ES3_jPKS7_PS8_PKS8_NS0_5tupleIJPS7_S8_EEENSG_IJSD_SD_EEENS0_18inequality_wrapperIN6hipcub16HIPCUB_304000_NS8EqualityEEEPlJS8_EEE10hipError_tPvRmT3_T4_T5_T6_T7_T9_mT8_P12ihipStream_tbDpT10_ENKUlT_T0_E_clISt17integral_constantIbLb1EES19_EEDaS14_S15_EUlS14_E_NS1_11comp_targetILNS1_3genE4ELNS1_11target_archE910ELNS1_3gpuE8ELNS1_3repE0EEENS1_30default_config_static_selectorELNS0_4arch9wavefront6targetE1EEEvT1_,@function
_ZN7rocprim17ROCPRIM_400000_NS6detail17trampoline_kernelINS0_14default_configENS1_25partition_config_selectorILNS1_17partition_subalgoE8EN3c104HalfENS0_10empty_typeEbEEZZNS1_14partition_implILS5_8ELb0ES3_jPKS7_PS8_PKS8_NS0_5tupleIJPS7_S8_EEENSG_IJSD_SD_EEENS0_18inequality_wrapperIN6hipcub16HIPCUB_304000_NS8EqualityEEEPlJS8_EEE10hipError_tPvRmT3_T4_T5_T6_T7_T9_mT8_P12ihipStream_tbDpT10_ENKUlT_T0_E_clISt17integral_constantIbLb1EES19_EEDaS14_S15_EUlS14_E_NS1_11comp_targetILNS1_3genE4ELNS1_11target_archE910ELNS1_3gpuE8ELNS1_3repE0EEENS1_30default_config_static_selectorELNS0_4arch9wavefront6targetE1EEEvT1_: ; @_ZN7rocprim17ROCPRIM_400000_NS6detail17trampoline_kernelINS0_14default_configENS1_25partition_config_selectorILNS1_17partition_subalgoE8EN3c104HalfENS0_10empty_typeEbEEZZNS1_14partition_implILS5_8ELb0ES3_jPKS7_PS8_PKS8_NS0_5tupleIJPS7_S8_EEENSG_IJSD_SD_EEENS0_18inequality_wrapperIN6hipcub16HIPCUB_304000_NS8EqualityEEEPlJS8_EEE10hipError_tPvRmT3_T4_T5_T6_T7_T9_mT8_P12ihipStream_tbDpT10_ENKUlT_T0_E_clISt17integral_constantIbLb1EES19_EEDaS14_S15_EUlS14_E_NS1_11comp_targetILNS1_3genE4ELNS1_11target_archE910ELNS1_3gpuE8ELNS1_3repE0EEENS1_30default_config_static_selectorELNS0_4arch9wavefront6targetE1EEEvT1_
; %bb.0:
	s_load_dwordx2 s[24:25], s[4:5], 0x28
	s_load_dwordx4 s[20:23], s[4:5], 0x40
	s_load_dwordx2 s[6:7], s[4:5], 0x50
	s_load_dwordx2 s[26:27], s[4:5], 0x60
	v_cmp_ne_u32_e64 s[2:3], 0, v0
	v_cmp_eq_u32_e64 s[0:1], 0, v0
	s_and_saveexec_b64 s[8:9], s[0:1]
	s_cbranch_execz .LBB903_4
; %bb.1:
	s_mov_b64 s[12:13], exec
	v_mbcnt_lo_u32_b32 v1, s12, 0
	v_mbcnt_hi_u32_b32 v1, s13, v1
	v_cmp_eq_u32_e32 vcc, 0, v1
                                        ; implicit-def: $vgpr2
	s_and_saveexec_b64 s[10:11], vcc
	s_cbranch_execz .LBB903_3
; %bb.2:
	s_load_dwordx2 s[14:15], s[4:5], 0x70
	s_bcnt1_i32_b64 s12, s[12:13]
	v_mov_b32_e32 v2, 0
	v_mov_b32_e32 v3, s12
	s_waitcnt lgkmcnt(0)
	global_atomic_add v2, v2, v3, s[14:15] glc
.LBB903_3:
	s_or_b64 exec, exec, s[10:11]
	s_waitcnt vmcnt(0)
	v_readfirstlane_b32 s10, v2
	v_add_u32_e32 v1, s10, v1
	v_mov_b32_e32 v2, 0
	ds_write_b32 v2, v1
.LBB903_4:
	s_or_b64 exec, exec, s[8:9]
	v_mov_b32_e32 v3, 0
	s_load_dwordx4 s[8:11], s[4:5], 0x8
	s_load_dword s12, s[4:5], 0x68
	s_waitcnt lgkmcnt(0)
	s_barrier
	ds_read_b32 v1, v3
	s_waitcnt lgkmcnt(0)
	s_barrier
	global_load_dwordx2 v[8:9], v3, s[22:23]
	s_lshl_b64 s[4:5], s[10:11], 1
	s_add_u32 s8, s8, s4
	s_movk_i32 s4, 0x1600
	v_mul_lo_u32 v2, v1, s4
	s_mul_i32 s4, s12, 0x1600
	s_addc_u32 s9, s9, s5
	s_add_i32 s5, s4, s10
	v_mov_b32_e32 v5, s7
	s_add_i32 s7, s12, -1
	s_sub_i32 s64, s6, s5
	s_add_u32 s4, s10, s4
	v_readfirstlane_b32 s33, v1
	s_addc_u32 s5, s11, 0
	v_mov_b32_e32 v4, s6
	s_cmp_eq_u32 s33, s7
	v_cmp_ge_u64_e32 vcc, s[4:5], v[4:5]
	s_cselect_b64 s[18:19], -1, 0
	v_lshlrev_b64 v[2:3], 1, v[2:3]
	s_and_b64 s[6:7], vcc, s[18:19]
	v_mov_b32_e32 v1, s9
	v_add_co_u32_e32 v14, vcc, s8, v2
	s_xor_b64 s[22:23], s[6:7], -1
	v_addc_co_u32_e32 v15, vcc, v1, v3, vcc
	s_mov_b64 s[4:5], -1
	s_and_b64 vcc, exec, s[22:23]
	s_cbranch_vccz .LBB903_6
; %bb.5:
	v_lshlrev_b32_e32 v1, 1, v0
	v_add_co_u32_e32 v4, vcc, v14, v1
	v_addc_co_u32_e32 v5, vcc, 0, v15, vcc
	v_add_co_u32_e32 v2, vcc, 0x1000, v4
	v_readfirstlane_b32 s4, v14
	v_readfirstlane_b32 s5, v15
	v_addc_co_u32_e32 v3, vcc, 0, v5, vcc
	s_nop 3
	global_load_ushort v6, v1, s[4:5]
	global_load_ushort v7, v1, s[4:5] offset:512
	global_load_ushort v10, v1, s[4:5] offset:1024
	;; [unrolled: 1-line block ×7, first 2 shown]
	global_load_ushort v18, v[2:3], off
	global_load_ushort v19, v[2:3], off offset:512
	global_load_ushort v20, v[2:3], off offset:1024
	;; [unrolled: 1-line block ×7, first 2 shown]
	v_add_co_u32_e32 v2, vcc, 0x2000, v4
	v_addc_co_u32_e32 v3, vcc, 0, v5, vcc
	global_load_ushort v4, v[2:3], off
	global_load_ushort v5, v[2:3], off offset:512
	global_load_ushort v26, v[2:3], off offset:1024
	;; [unrolled: 1-line block ×5, first 2 shown]
	s_mov_b64 s[4:5], 0
	s_waitcnt vmcnt(21)
	ds_write_b16 v1, v6
	s_waitcnt vmcnt(20)
	ds_write_b16 v1, v7 offset:512
	s_waitcnt vmcnt(19)
	ds_write_b16 v1, v10 offset:1024
	;; [unrolled: 2-line block ×21, first 2 shown]
	s_waitcnt lgkmcnt(0)
	s_barrier
.LBB903_6:
	s_andn2_b64 vcc, exec, s[4:5]
	s_addk_i32 s64, 0x1600
	s_cbranch_vccnz .LBB903_52
; %bb.7:
	v_cmp_gt_u32_e32 vcc, s64, v0
                                        ; implicit-def: $vgpr1
	s_and_saveexec_b64 s[4:5], vcc
	s_cbranch_execz .LBB903_9
; %bb.8:
	v_lshlrev_b32_e32 v1, 1, v0
	v_readfirstlane_b32 s8, v14
	v_readfirstlane_b32 s9, v15
	s_nop 4
	global_load_ushort v1, v1, s[8:9]
.LBB903_9:
	s_or_b64 exec, exec, s[4:5]
	v_or_b32_e32 v2, 0x100, v0
	v_cmp_gt_u32_e32 vcc, s64, v2
                                        ; implicit-def: $vgpr2
	s_and_saveexec_b64 s[4:5], vcc
	s_cbranch_execz .LBB903_11
; %bb.10:
	v_lshlrev_b32_e32 v2, 1, v0
	v_readfirstlane_b32 s8, v14
	v_readfirstlane_b32 s9, v15
	s_nop 4
	global_load_ushort v2, v2, s[8:9] offset:512
.LBB903_11:
	s_or_b64 exec, exec, s[4:5]
	v_or_b32_e32 v3, 0x200, v0
	v_cmp_gt_u32_e32 vcc, s64, v3
                                        ; implicit-def: $vgpr3
	s_and_saveexec_b64 s[4:5], vcc
	s_cbranch_execz .LBB903_13
; %bb.12:
	v_lshlrev_b32_e32 v3, 1, v0
	v_readfirstlane_b32 s8, v14
	v_readfirstlane_b32 s9, v15
	s_nop 4
	global_load_ushort v3, v3, s[8:9] offset:1024
.LBB903_13:
	s_or_b64 exec, exec, s[4:5]
	v_or_b32_e32 v4, 0x300, v0
	v_cmp_gt_u32_e32 vcc, s64, v4
                                        ; implicit-def: $vgpr4
	s_and_saveexec_b64 s[4:5], vcc
	s_cbranch_execz .LBB903_15
; %bb.14:
	v_lshlrev_b32_e32 v4, 1, v0
	v_readfirstlane_b32 s8, v14
	v_readfirstlane_b32 s9, v15
	s_nop 4
	global_load_ushort v4, v4, s[8:9] offset:1536
.LBB903_15:
	s_or_b64 exec, exec, s[4:5]
	v_or_b32_e32 v5, 0x400, v0
	v_cmp_gt_u32_e32 vcc, s64, v5
                                        ; implicit-def: $vgpr5
	s_and_saveexec_b64 s[4:5], vcc
	s_cbranch_execz .LBB903_17
; %bb.16:
	v_lshlrev_b32_e32 v5, 1, v0
	v_readfirstlane_b32 s8, v14
	v_readfirstlane_b32 s9, v15
	s_nop 4
	global_load_ushort v5, v5, s[8:9] offset:2048
.LBB903_17:
	s_or_b64 exec, exec, s[4:5]
	v_or_b32_e32 v6, 0x500, v0
	v_cmp_gt_u32_e32 vcc, s64, v6
                                        ; implicit-def: $vgpr6
	s_and_saveexec_b64 s[4:5], vcc
	s_cbranch_execz .LBB903_19
; %bb.18:
	v_lshlrev_b32_e32 v6, 1, v0
	v_readfirstlane_b32 s8, v14
	v_readfirstlane_b32 s9, v15
	s_nop 4
	global_load_ushort v6, v6, s[8:9] offset:2560
.LBB903_19:
	s_or_b64 exec, exec, s[4:5]
	v_or_b32_e32 v7, 0x600, v0
	v_cmp_gt_u32_e32 vcc, s64, v7
                                        ; implicit-def: $vgpr7
	s_and_saveexec_b64 s[4:5], vcc
	s_cbranch_execz .LBB903_21
; %bb.20:
	v_lshlrev_b32_e32 v7, 1, v0
	v_readfirstlane_b32 s8, v14
	v_readfirstlane_b32 s9, v15
	s_nop 4
	global_load_ushort v7, v7, s[8:9] offset:3072
.LBB903_21:
	s_or_b64 exec, exec, s[4:5]
	v_or_b32_e32 v10, 0x700, v0
	v_cmp_gt_u32_e32 vcc, s64, v10
                                        ; implicit-def: $vgpr10
	s_and_saveexec_b64 s[4:5], vcc
	s_cbranch_execz .LBB903_23
; %bb.22:
	v_lshlrev_b32_e32 v10, 1, v0
	v_readfirstlane_b32 s8, v14
	v_readfirstlane_b32 s9, v15
	s_nop 4
	global_load_ushort v10, v10, s[8:9] offset:3584
.LBB903_23:
	s_or_b64 exec, exec, s[4:5]
	v_or_b32_e32 v12, 0x800, v0
	v_cmp_gt_u32_e32 vcc, s64, v12
                                        ; implicit-def: $vgpr11
	s_and_saveexec_b64 s[4:5], vcc
	s_cbranch_execz .LBB903_25
; %bb.24:
	v_lshlrev_b32_e32 v11, 1, v12
	v_readfirstlane_b32 s8, v14
	v_readfirstlane_b32 s9, v15
	s_nop 4
	global_load_ushort v11, v11, s[8:9]
.LBB903_25:
	s_or_b64 exec, exec, s[4:5]
	v_or_b32_e32 v13, 0x900, v0
	v_cmp_gt_u32_e32 vcc, s64, v13
                                        ; implicit-def: $vgpr12
	s_and_saveexec_b64 s[4:5], vcc
	s_cbranch_execz .LBB903_27
; %bb.26:
	v_lshlrev_b32_e32 v12, 1, v13
	v_readfirstlane_b32 s8, v14
	v_readfirstlane_b32 s9, v15
	s_nop 4
	global_load_ushort v12, v12, s[8:9]
.LBB903_27:
	s_or_b64 exec, exec, s[4:5]
	v_or_b32_e32 v16, 0xa00, v0
	v_cmp_gt_u32_e32 vcc, s64, v16
                                        ; implicit-def: $vgpr13
	s_and_saveexec_b64 s[4:5], vcc
	s_cbranch_execz .LBB903_29
; %bb.28:
	v_lshlrev_b32_e32 v13, 1, v16
	v_readfirstlane_b32 s8, v14
	v_readfirstlane_b32 s9, v15
	s_nop 4
	global_load_ushort v13, v13, s[8:9]
.LBB903_29:
	s_or_b64 exec, exec, s[4:5]
	v_or_b32_e32 v17, 0xb00, v0
	v_cmp_gt_u32_e32 vcc, s64, v17
                                        ; implicit-def: $vgpr16
	s_and_saveexec_b64 s[4:5], vcc
	s_cbranch_execz .LBB903_31
; %bb.30:
	v_lshlrev_b32_e32 v16, 1, v17
	v_readfirstlane_b32 s8, v14
	v_readfirstlane_b32 s9, v15
	s_nop 4
	global_load_ushort v16, v16, s[8:9]
.LBB903_31:
	s_or_b64 exec, exec, s[4:5]
	v_or_b32_e32 v18, 0xc00, v0
	v_cmp_gt_u32_e32 vcc, s64, v18
                                        ; implicit-def: $vgpr17
	s_and_saveexec_b64 s[4:5], vcc
	s_cbranch_execz .LBB903_33
; %bb.32:
	v_lshlrev_b32_e32 v17, 1, v18
	v_readfirstlane_b32 s8, v14
	v_readfirstlane_b32 s9, v15
	s_nop 4
	global_load_ushort v17, v17, s[8:9]
.LBB903_33:
	s_or_b64 exec, exec, s[4:5]
	v_or_b32_e32 v19, 0xd00, v0
	v_cmp_gt_u32_e32 vcc, s64, v19
                                        ; implicit-def: $vgpr18
	s_and_saveexec_b64 s[4:5], vcc
	s_cbranch_execz .LBB903_35
; %bb.34:
	v_lshlrev_b32_e32 v18, 1, v19
	v_readfirstlane_b32 s8, v14
	v_readfirstlane_b32 s9, v15
	s_nop 4
	global_load_ushort v18, v18, s[8:9]
.LBB903_35:
	s_or_b64 exec, exec, s[4:5]
	v_or_b32_e32 v20, 0xe00, v0
	v_cmp_gt_u32_e32 vcc, s64, v20
                                        ; implicit-def: $vgpr19
	s_and_saveexec_b64 s[4:5], vcc
	s_cbranch_execz .LBB903_37
; %bb.36:
	v_lshlrev_b32_e32 v19, 1, v20
	v_readfirstlane_b32 s8, v14
	v_readfirstlane_b32 s9, v15
	s_nop 4
	global_load_ushort v19, v19, s[8:9]
.LBB903_37:
	s_or_b64 exec, exec, s[4:5]
	v_or_b32_e32 v21, 0xf00, v0
	v_cmp_gt_u32_e32 vcc, s64, v21
                                        ; implicit-def: $vgpr20
	s_and_saveexec_b64 s[4:5], vcc
	s_cbranch_execz .LBB903_39
; %bb.38:
	v_lshlrev_b32_e32 v20, 1, v21
	v_readfirstlane_b32 s8, v14
	v_readfirstlane_b32 s9, v15
	s_nop 4
	global_load_ushort v20, v20, s[8:9]
.LBB903_39:
	s_or_b64 exec, exec, s[4:5]
	v_or_b32_e32 v22, 0x1000, v0
	v_cmp_gt_u32_e32 vcc, s64, v22
                                        ; implicit-def: $vgpr21
	s_and_saveexec_b64 s[4:5], vcc
	s_cbranch_execz .LBB903_41
; %bb.40:
	v_lshlrev_b32_e32 v21, 1, v22
	v_readfirstlane_b32 s8, v14
	v_readfirstlane_b32 s9, v15
	s_nop 4
	global_load_ushort v21, v21, s[8:9]
.LBB903_41:
	s_or_b64 exec, exec, s[4:5]
	v_or_b32_e32 v23, 0x1100, v0
	v_cmp_gt_u32_e32 vcc, s64, v23
                                        ; implicit-def: $vgpr22
	s_and_saveexec_b64 s[4:5], vcc
	s_cbranch_execz .LBB903_43
; %bb.42:
	v_lshlrev_b32_e32 v22, 1, v23
	v_readfirstlane_b32 s8, v14
	v_readfirstlane_b32 s9, v15
	s_nop 4
	global_load_ushort v22, v22, s[8:9]
.LBB903_43:
	s_or_b64 exec, exec, s[4:5]
	v_or_b32_e32 v24, 0x1200, v0
	v_cmp_gt_u32_e32 vcc, s64, v24
                                        ; implicit-def: $vgpr23
	s_and_saveexec_b64 s[4:5], vcc
	s_cbranch_execz .LBB903_45
; %bb.44:
	v_lshlrev_b32_e32 v23, 1, v24
	v_readfirstlane_b32 s8, v14
	v_readfirstlane_b32 s9, v15
	s_nop 4
	global_load_ushort v23, v23, s[8:9]
.LBB903_45:
	s_or_b64 exec, exec, s[4:5]
	v_or_b32_e32 v25, 0x1300, v0
	v_cmp_gt_u32_e32 vcc, s64, v25
                                        ; implicit-def: $vgpr24
	s_and_saveexec_b64 s[4:5], vcc
	s_cbranch_execz .LBB903_47
; %bb.46:
	v_lshlrev_b32_e32 v24, 1, v25
	v_readfirstlane_b32 s8, v14
	v_readfirstlane_b32 s9, v15
	s_nop 4
	global_load_ushort v24, v24, s[8:9]
.LBB903_47:
	s_or_b64 exec, exec, s[4:5]
	v_or_b32_e32 v26, 0x1400, v0
	v_cmp_gt_u32_e32 vcc, s64, v26
                                        ; implicit-def: $vgpr25
	s_and_saveexec_b64 s[4:5], vcc
	s_cbranch_execz .LBB903_49
; %bb.48:
	v_lshlrev_b32_e32 v25, 1, v26
	v_readfirstlane_b32 s8, v14
	v_readfirstlane_b32 s9, v15
	s_nop 4
	global_load_ushort v25, v25, s[8:9]
.LBB903_49:
	s_or_b64 exec, exec, s[4:5]
	v_or_b32_e32 v27, 0x1500, v0
	v_cmp_gt_u32_e32 vcc, s64, v27
                                        ; implicit-def: $vgpr26
	s_and_saveexec_b64 s[4:5], vcc
	s_cbranch_execz .LBB903_51
; %bb.50:
	v_lshlrev_b32_e32 v26, 1, v27
	v_readfirstlane_b32 s8, v14
	v_readfirstlane_b32 s9, v15
	s_nop 4
	global_load_ushort v26, v26, s[8:9]
.LBB903_51:
	s_or_b64 exec, exec, s[4:5]
	v_lshlrev_b32_e32 v27, 1, v0
	s_waitcnt vmcnt(0)
	ds_write_b16 v27, v1
	ds_write_b16 v27, v2 offset:512
	ds_write_b16 v27, v3 offset:1024
	;; [unrolled: 1-line block ×21, first 2 shown]
	s_waitcnt lgkmcnt(0)
	s_barrier
.LBB903_52:
	v_mul_u32_u24_e32 v24, 22, v0
	v_lshlrev_b32_e32 v38, 1, v24
	ds_read_b32 v62, v38 offset:40
	ds_read2_b32 v[2:3], v38 offset0:8 offset1:9
	ds_read2_b32 v[12:13], v38 offset1:1
	ds_read2_b32 v[10:11], v38 offset0:2 offset1:3
	ds_read2_b32 v[4:5], v38 offset0:6 offset1:7
	;; [unrolled: 1-line block ×3, first 2 shown]
	s_cmp_lg_u32 s33, 0
	s_cselect_b64 s[16:17], -1, 0
	s_cmp_lg_u64 s[10:11], 0
	s_cselect_b64 s[4:5], -1, 0
	s_or_b64 s[4:5], s[4:5], s[16:17]
	v_mad_u32_u24 v16, v0, 22, 21
	v_mad_u32_u24 v17, v0, 22, 20
	s_waitcnt lgkmcnt(5)
	v_lshrrev_b32_e32 v1, 16, v62
	v_mad_u32_u24 v18, v0, 22, 19
	v_mad_u32_u24 v19, v0, 22, 18
	v_mad_u32_u24 v20, v0, 22, 17
	v_mad_u32_u24 v21, v0, 22, 16
	v_mad_u32_u24 v22, v0, 22, 15
	v_mad_u32_u24 v23, v0, 22, 14
	v_or_b32_e32 v36, 1, v24
	v_mad_u32_u24 v37, v0, 22, 2
	v_mad_u32_u24 v35, v0, 22, 3
	;; [unrolled: 1-line block ×12, first 2 shown]
	s_mov_b64 s[8:9], 0
	s_and_b64 vcc, exec, s[4:5]
	s_waitcnt lgkmcnt(0)
	s_barrier
	s_cbranch_vccz .LBB903_57
; %bb.53:
	global_load_ushort v14, v[14:15], off offset:-2
	v_lshlrev_b32_e32 v15, 1, v0
	s_and_b64 vcc, exec, s[22:23]
	ds_write_b16 v15, v1
	s_cbranch_vccz .LBB903_59
; %bb.54:
	s_waitcnt vmcnt(0)
	v_mov_b32_e32 v39, v14
	s_waitcnt lgkmcnt(0)
	s_barrier
	s_and_saveexec_b64 s[4:5], s[2:3]
	s_cbranch_execz .LBB903_56
; %bb.55:
	v_add_u32_e32 v39, -2, v15
	ds_read_u16 v39, v39
.LBB903_56:
	s_or_b64 exec, exec, s[4:5]
	v_cmp_neq_f16_sdwa s[4:5], v3, v62 src0_sel:WORD_1 src1_sel:DWORD
	v_cndmask_b32_e64 v64, 0, 1, s[4:5]
	v_cmp_neq_f16_sdwa s[4:5], v3, v3 src0_sel:DWORD src1_sel:WORD_1
	v_cndmask_b32_e64 v65, 0, 1, s[4:5]
	v_cmp_neq_f16_sdwa s[4:5], v2, v3 src0_sel:WORD_1 src1_sel:DWORD
	v_cndmask_b32_e64 v66, 0, 1, s[4:5]
	v_cmp_neq_f16_sdwa s[4:5], v2, v2 src0_sel:DWORD src1_sel:WORD_1
	v_cndmask_b32_e64 v67, 0, 1, s[4:5]
	;; [unrolled: 4-line block ×9, first 2 shown]
	v_cmp_neq_f16_sdwa s[4:5], v12, v13 src0_sel:WORD_1 src1_sel:DWORD
	v_cmp_neq_f16_e32 vcc, v62, v1
	v_cndmask_b32_e64 v82, 0, 1, s[4:5]
	v_cmp_neq_f16_sdwa s[4:5], v12, v12 src0_sel:DWORD src1_sel:WORD_1
	v_cndmask_b32_e64 v63, 0, 1, vcc
	v_cndmask_b32_e64 v83, 0, 1, s[4:5]
	s_waitcnt lgkmcnt(0)
	v_cmp_neq_f16_e64 s[4:5], v12, v39
	s_and_b64 vcc, exec, s[8:9]
	s_cbranch_vccnz .LBB903_60
	s_branch .LBB903_63
.LBB903_57:
                                        ; implicit-def: $sgpr4_sgpr5
                                        ; implicit-def: $vgpr83
                                        ; implicit-def: $vgpr82
                                        ; implicit-def: $vgpr81
                                        ; implicit-def: $vgpr80
                                        ; implicit-def: $vgpr79
                                        ; implicit-def: $vgpr78
                                        ; implicit-def: $vgpr77
                                        ; implicit-def: $vgpr76
                                        ; implicit-def: $vgpr75
                                        ; implicit-def: $vgpr74
                                        ; implicit-def: $vgpr73
                                        ; implicit-def: $vgpr72
                                        ; implicit-def: $vgpr71
                                        ; implicit-def: $vgpr70
                                        ; implicit-def: $vgpr69
                                        ; implicit-def: $vgpr68
                                        ; implicit-def: $vgpr67
                                        ; implicit-def: $vgpr66
                                        ; implicit-def: $vgpr65
                                        ; implicit-def: $vgpr64
                                        ; implicit-def: $vgpr63
	s_branch .LBB903_64
.LBB903_58:
                                        ; implicit-def: $sgpr12
	s_branch .LBB903_72
.LBB903_59:
                                        ; implicit-def: $sgpr4_sgpr5
                                        ; implicit-def: $vgpr83
                                        ; implicit-def: $vgpr82
                                        ; implicit-def: $vgpr81
                                        ; implicit-def: $vgpr80
                                        ; implicit-def: $vgpr79
                                        ; implicit-def: $vgpr78
                                        ; implicit-def: $vgpr77
                                        ; implicit-def: $vgpr76
                                        ; implicit-def: $vgpr75
                                        ; implicit-def: $vgpr74
                                        ; implicit-def: $vgpr73
                                        ; implicit-def: $vgpr72
                                        ; implicit-def: $vgpr71
                                        ; implicit-def: $vgpr70
                                        ; implicit-def: $vgpr69
                                        ; implicit-def: $vgpr68
                                        ; implicit-def: $vgpr67
                                        ; implicit-def: $vgpr66
                                        ; implicit-def: $vgpr65
                                        ; implicit-def: $vgpr64
                                        ; implicit-def: $vgpr63
	s_cbranch_execz .LBB903_63
.LBB903_60:
	s_waitcnt lgkmcnt(0)
	s_barrier
	s_and_saveexec_b64 s[4:5], s[2:3]
	s_cbranch_execz .LBB903_62
; %bb.61:
	s_waitcnt vmcnt(0)
	v_add_u32_e32 v14, -2, v15
	ds_read_u16 v14, v14
.LBB903_62:
	s_or_b64 exec, exec, s[4:5]
	v_cmp_gt_u32_e32 vcc, s64, v16
	v_cmp_neq_f16_e64 s[4:5], v62, v1
	s_and_b64 s[4:5], vcc, s[4:5]
	v_cndmask_b32_e64 v63, 0, 1, s[4:5]
	v_cmp_gt_u32_e32 vcc, s64, v17
	v_cmp_neq_f16_sdwa s[4:5], v3, v62 src0_sel:WORD_1 src1_sel:DWORD
	s_and_b64 s[4:5], vcc, s[4:5]
	v_cndmask_b32_e64 v64, 0, 1, s[4:5]
	v_cmp_gt_u32_e32 vcc, s64, v18
	v_cmp_neq_f16_sdwa s[4:5], v3, v3 src0_sel:DWORD src1_sel:WORD_1
	s_and_b64 s[4:5], vcc, s[4:5]
	v_cndmask_b32_e64 v65, 0, 1, s[4:5]
	v_cmp_gt_u32_e32 vcc, s64, v19
	v_cmp_neq_f16_sdwa s[4:5], v2, v3 src0_sel:WORD_1 src1_sel:DWORD
	s_and_b64 s[4:5], vcc, s[4:5]
	v_cndmask_b32_e64 v66, 0, 1, s[4:5]
	v_cmp_gt_u32_e32 vcc, s64, v20
	v_cmp_neq_f16_sdwa s[4:5], v2, v2 src0_sel:DWORD src1_sel:WORD_1
	;; [unrolled: 8-line block ×10, first 2 shown]
	s_and_b64 s[4:5], vcc, s[4:5]
	v_cndmask_b32_e64 v83, 0, 1, s[4:5]
	v_cmp_gt_u32_e32 vcc, s64, v24
	s_waitcnt vmcnt(0) lgkmcnt(0)
	v_cmp_neq_f16_e64 s[4:5], v12, v14
	s_and_b64 s[4:5], vcc, s[4:5]
.LBB903_63:
	s_mov_b64 s[8:9], -1
	s_cbranch_execnz .LBB903_58
.LBB903_64:
	s_movk_i32 s4, 0xffd6
	s_waitcnt vmcnt(0)
	v_mad_i32_i24 v14, v0, s4, v38
	s_and_b64 vcc, exec, s[22:23]
	v_cmp_neq_f16_e64 s[4:5], v62, v1
	v_cmp_neq_f16_sdwa s[10:11], v3, v62 src0_sel:WORD_1 src1_sel:DWORD
	v_cmp_neq_f16_sdwa s[12:13], v3, v3 src0_sel:DWORD src1_sel:WORD_1
	v_cmp_neq_f16_sdwa s[14:15], v2, v3 src0_sel:WORD_1 src1_sel:DWORD
	v_cmp_neq_f16_sdwa s[28:29], v2, v2 src0_sel:DWORD src1_sel:WORD_1
	;; [unrolled: 2-line block ×10, first 2 shown]
	ds_write_b16 v14, v1
	s_cbranch_vccz .LBB903_68
; %bb.65:
	v_cndmask_b32_e64 v63, 0, 1, s[4:5]
	v_cndmask_b32_e64 v64, 0, 1, s[10:11]
	;; [unrolled: 1-line block ×21, first 2 shown]
	s_waitcnt lgkmcnt(0)
	s_barrier
	s_waitcnt lgkmcnt(0)
                                        ; implicit-def: $sgpr4_sgpr5
	s_and_saveexec_b64 s[10:11], s[2:3]
	s_xor_b64 s[10:11], exec, s[10:11]
	s_cbranch_execz .LBB903_67
; %bb.66:
	v_add_u32_e32 v15, -2, v14
	ds_read_u16 v15, v15
	s_or_b64 s[8:9], s[8:9], exec
	s_waitcnt lgkmcnt(0)
	v_cmp_neq_f16_e32 vcc, v15, v12
	s_and_b64 s[4:5], vcc, exec
.LBB903_67:
	s_or_b64 exec, exec, s[10:11]
	s_mov_b32 s12, 1
	s_branch .LBB903_72
.LBB903_68:
                                        ; implicit-def: $sgpr4_sgpr5
                                        ; implicit-def: $vgpr83
                                        ; implicit-def: $vgpr82
                                        ; implicit-def: $vgpr81
                                        ; implicit-def: $vgpr80
                                        ; implicit-def: $vgpr79
                                        ; implicit-def: $vgpr78
                                        ; implicit-def: $vgpr77
                                        ; implicit-def: $vgpr76
                                        ; implicit-def: $vgpr75
                                        ; implicit-def: $vgpr74
                                        ; implicit-def: $vgpr73
                                        ; implicit-def: $vgpr72
                                        ; implicit-def: $vgpr71
                                        ; implicit-def: $vgpr70
                                        ; implicit-def: $vgpr69
                                        ; implicit-def: $vgpr68
                                        ; implicit-def: $vgpr67
                                        ; implicit-def: $vgpr66
                                        ; implicit-def: $vgpr65
                                        ; implicit-def: $vgpr64
                                        ; implicit-def: $vgpr63
                                        ; implicit-def: $sgpr12
	s_cbranch_execz .LBB903_72
; %bb.69:
	v_cmp_gt_u32_e32 vcc, s64, v16
	v_cmp_neq_f16_e64 s[4:5], v62, v1
	s_and_b64 s[4:5], vcc, s[4:5]
	v_cndmask_b32_e64 v63, 0, 1, s[4:5]
	v_cmp_gt_u32_e32 vcc, s64, v17
	v_cmp_neq_f16_sdwa s[4:5], v3, v62 src0_sel:WORD_1 src1_sel:DWORD
	s_and_b64 s[4:5], vcc, s[4:5]
	v_cndmask_b32_e64 v64, 0, 1, s[4:5]
	v_cmp_gt_u32_e32 vcc, s64, v18
	v_cmp_neq_f16_sdwa s[4:5], v3, v3 src0_sel:DWORD src1_sel:WORD_1
	s_and_b64 s[4:5], vcc, s[4:5]
	v_cndmask_b32_e64 v65, 0, 1, s[4:5]
	v_cmp_gt_u32_e32 vcc, s64, v19
	v_cmp_neq_f16_sdwa s[4:5], v2, v3 src0_sel:WORD_1 src1_sel:DWORD
	s_and_b64 s[4:5], vcc, s[4:5]
	v_cndmask_b32_e64 v66, 0, 1, s[4:5]
	v_cmp_gt_u32_e32 vcc, s64, v20
	v_cmp_neq_f16_sdwa s[4:5], v2, v2 src0_sel:DWORD src1_sel:WORD_1
	;; [unrolled: 8-line block ×10, first 2 shown]
	s_and_b64 s[4:5], vcc, s[4:5]
	v_cndmask_b32_e64 v83, 0, 1, s[4:5]
	s_waitcnt lgkmcnt(0)
	s_barrier
	s_waitcnt lgkmcnt(0)
                                        ; implicit-def: $sgpr4_sgpr5
	s_and_saveexec_b64 s[10:11], s[2:3]
	s_cbranch_execz .LBB903_71
; %bb.70:
	v_add_u32_e32 v14, -2, v14
	ds_read_u16 v14, v14
	v_cmp_gt_u32_e32 vcc, s64, v24
	s_or_b64 s[8:9], s[8:9], exec
	s_waitcnt lgkmcnt(0)
	v_cmp_neq_f16_e64 s[2:3], v14, v12
	s_and_b64 s[2:3], vcc, s[2:3]
	s_and_b64 s[4:5], s[2:3], exec
.LBB903_71:
	s_or_b64 exec, exec, s[10:11]
	s_mov_b32 s12, 1
.LBB903_72:
	v_mov_b32_e32 v84, s12
	s_and_saveexec_b64 s[2:3], s[8:9]
; %bb.73:
	v_cndmask_b32_e64 v84, 0, 1, s[4:5]
; %bb.74:
	s_or_b64 exec, exec, s[2:3]
	s_andn2_b64 vcc, exec, s[6:7]
	s_cbranch_vccnz .LBB903_76
; %bb.75:
	v_cmp_gt_u32_e32 vcc, s64, v24
	v_cndmask_b32_e32 v84, 0, v84, vcc
	v_cmp_gt_u32_e32 vcc, s64, v36
	v_cndmask_b32_e32 v83, 0, v83, vcc
	;; [unrolled: 2-line block ×22, first 2 shown]
.LBB903_76:
	v_and_b32_e32 v49, 0xff, v66
	v_and_b32_e32 v51, 0xff, v65
	s_waitcnt vmcnt(0)
	v_add_u32_sdwa v14, v64, v63 dst_sel:DWORD dst_unused:UNUSED_PAD src0_sel:BYTE_0 src1_sel:BYTE_0
	v_and_b32_e32 v45, 0xff, v68
	v_and_b32_e32 v47, 0xff, v67
	v_add3_u32 v14, v14, v51, v49
	v_and_b32_e32 v41, 0xff, v70
	v_and_b32_e32 v43, 0xff, v69
	v_add3_u32 v14, v14, v47, v45
	;; [unrolled: 3-line block ×9, first 2 shown]
	v_add3_u32 v40, v14, v25, v24
	v_mbcnt_lo_u32_b32 v14, -1, 0
	v_mbcnt_hi_u32_b32 v36, -1, v14
	v_and_b32_e32 v14, 15, v36
	v_cmp_eq_u32_e64 s[14:15], 0, v14
	v_cmp_lt_u32_e64 s[12:13], 1, v14
	v_cmp_lt_u32_e64 s[10:11], 3, v14
	;; [unrolled: 1-line block ×3, first 2 shown]
	v_and_b32_e32 v14, 16, v36
	v_cmp_eq_u32_e64 s[6:7], 0, v14
	v_or_b32_e32 v14, 63, v0
	v_cmp_lt_u32_e64 s[2:3], 31, v36
	v_lshrrev_b32_e32 v38, 6, v0
	v_cmp_eq_u32_e64 s[4:5], v14, v0
	s_and_b64 vcc, exec, s[16:17]
	s_waitcnt lgkmcnt(0)
	s_barrier
	s_cbranch_vccz .LBB903_107
; %bb.77:
	v_mov_b32_dpp v14, v40 row_shr:1 row_mask:0xf bank_mask:0xf
	v_cndmask_b32_e64 v14, v14, 0, s[14:15]
	v_add_u32_e32 v14, v14, v40
	s_nop 1
	v_mov_b32_dpp v15, v14 row_shr:2 row_mask:0xf bank_mask:0xf
	v_cndmask_b32_e64 v15, 0, v15, s[12:13]
	v_add_u32_e32 v14, v14, v15
	s_nop 1
	;; [unrolled: 4-line block ×4, first 2 shown]
	v_mov_b32_dpp v15, v14 row_bcast:15 row_mask:0xf bank_mask:0xf
	v_cndmask_b32_e64 v15, v15, 0, s[6:7]
	v_add_u32_e32 v14, v14, v15
	s_nop 1
	v_mov_b32_dpp v15, v14 row_bcast:31 row_mask:0xf bank_mask:0xf
	v_cndmask_b32_e64 v15, 0, v15, s[2:3]
	v_add_u32_e32 v14, v14, v15
	s_and_saveexec_b64 s[16:17], s[4:5]
	s_cbranch_execz .LBB903_79
; %bb.78:
	v_lshlrev_b32_e32 v15, 2, v38
	ds_write_b32 v15, v14
.LBB903_79:
	s_or_b64 exec, exec, s[16:17]
	v_cmp_gt_u32_e32 vcc, 4, v0
	s_waitcnt lgkmcnt(0)
	s_barrier
	s_and_saveexec_b64 s[16:17], vcc
	s_cbranch_execz .LBB903_81
; %bb.80:
	v_lshlrev_b32_e32 v15, 2, v0
	ds_read_b32 v16, v15
	v_and_b32_e32 v17, 3, v36
	v_cmp_ne_u32_e32 vcc, 0, v17
	s_waitcnt lgkmcnt(0)
	v_mov_b32_dpp v18, v16 row_shr:1 row_mask:0xf bank_mask:0xf
	v_cndmask_b32_e32 v18, 0, v18, vcc
	v_add_u32_e32 v16, v18, v16
	v_cmp_lt_u32_e32 vcc, 1, v17
	s_nop 0
	v_mov_b32_dpp v18, v16 row_shr:2 row_mask:0xf bank_mask:0xf
	v_cndmask_b32_e32 v17, 0, v18, vcc
	v_add_u32_e32 v16, v16, v17
	ds_write_b32 v15, v16
.LBB903_81:
	s_or_b64 exec, exec, s[16:17]
	v_cmp_gt_u32_e32 vcc, 64, v0
	v_cmp_lt_u32_e64 s[16:17], 63, v0
	s_waitcnt lgkmcnt(0)
	s_barrier
	s_waitcnt lgkmcnt(0)
                                        ; implicit-def: $vgpr42
	s_and_saveexec_b64 s[28:29], s[16:17]
	s_cbranch_execz .LBB903_83
; %bb.82:
	v_lshl_add_u32 v15, v38, 2, -4
	ds_read_b32 v42, v15
	s_waitcnt lgkmcnt(0)
	v_add_u32_e32 v14, v42, v14
.LBB903_83:
	s_or_b64 exec, exec, s[28:29]
	v_add_u32_e32 v15, -1, v36
	v_and_b32_e32 v16, 64, v36
	v_cmp_lt_i32_e64 s[16:17], v15, v16
	v_cndmask_b32_e64 v15, v15, v36, s[16:17]
	v_lshlrev_b32_e32 v15, 2, v15
	ds_bpermute_b32 v44, v15, v14
	v_cmp_eq_u32_e64 s[16:17], 0, v36
	s_and_saveexec_b64 s[28:29], vcc
	s_cbranch_execz .LBB903_106
; %bb.84:
	v_mov_b32_e32 v23, 0
	ds_read_b32 v14, v23 offset:12
	s_and_saveexec_b64 s[30:31], s[16:17]
	s_cbranch_execz .LBB903_86
; %bb.85:
	s_add_i32 s34, s33, 64
	s_mov_b32 s35, 0
	s_lshl_b64 s[34:35], s[34:35], 3
	s_add_u32 s34, s26, s34
	v_mov_b32_e32 v15, 1
	s_addc_u32 s35, s27, s35
	s_waitcnt lgkmcnt(0)
	global_store_dwordx2 v23, v[14:15], s[34:35]
.LBB903_86:
	s_or_b64 exec, exec, s[30:31]
	v_xad_u32 v16, v36, -1, s33
	v_add_u32_e32 v22, 64, v16
	v_lshlrev_b64 v[18:19], 3, v[22:23]
	v_mov_b32_e32 v15, s27
	v_add_co_u32_e32 v18, vcc, s26, v18
	v_addc_co_u32_e32 v19, vcc, v15, v19, vcc
	global_load_dwordx2 v[20:21], v[18:19], off glc
	s_waitcnt vmcnt(0)
	v_cmp_eq_u16_sdwa s[34:35], v21, v23 src0_sel:BYTE_0 src1_sel:DWORD
	s_and_saveexec_b64 s[30:31], s[34:35]
	s_cbranch_execz .LBB903_92
; %bb.87:
	s_mov_b32 s36, 1
	s_mov_b64 s[34:35], 0
	v_mov_b32_e32 v15, 0
.LBB903_88:                             ; =>This Loop Header: Depth=1
                                        ;     Child Loop BB903_89 Depth 2
	s_max_u32 s37, s36, 1
.LBB903_89:                             ;   Parent Loop BB903_88 Depth=1
                                        ; =>  This Inner Loop Header: Depth=2
	s_add_i32 s37, s37, -1
	s_cmp_eq_u32 s37, 0
	s_sleep 1
	s_cbranch_scc0 .LBB903_89
; %bb.90:                               ;   in Loop: Header=BB903_88 Depth=1
	global_load_dwordx2 v[20:21], v[18:19], off glc
	s_cmp_lt_u32 s36, 32
	s_cselect_b64 s[38:39], -1, 0
	s_cmp_lg_u64 s[38:39], 0
	s_addc_u32 s36, s36, 0
	s_waitcnt vmcnt(0)
	v_cmp_ne_u16_sdwa s[38:39], v21, v15 src0_sel:BYTE_0 src1_sel:DWORD
	s_or_b64 s[34:35], s[38:39], s[34:35]
	s_andn2_b64 exec, exec, s[34:35]
	s_cbranch_execnz .LBB903_88
; %bb.91:
	s_or_b64 exec, exec, s[34:35]
.LBB903_92:
	s_or_b64 exec, exec, s[30:31]
	v_and_b32_e32 v48, 63, v36
	v_mov_b32_e32 v46, 2
	v_cmp_ne_u32_e32 vcc, 63, v48
	v_cmp_eq_u16_sdwa s[30:31], v21, v46 src0_sel:BYTE_0 src1_sel:DWORD
	v_lshlrev_b64 v[18:19], v36, -1
	v_addc_co_u32_e32 v22, vcc, 0, v36, vcc
	v_and_b32_e32 v15, s31, v19
	v_lshlrev_b32_e32 v50, 2, v22
	v_or_b32_e32 v15, 0x80000000, v15
	ds_bpermute_b32 v22, v50, v20
	v_and_b32_e32 v17, s30, v18
	v_ffbl_b32_e32 v15, v15
	v_add_u32_e32 v15, 32, v15
	v_ffbl_b32_e32 v17, v17
	v_min_u32_e32 v15, v17, v15
	v_cmp_lt_u32_e32 vcc, v48, v15
	s_waitcnt lgkmcnt(0)
	v_cndmask_b32_e32 v17, 0, v22, vcc
	v_cmp_gt_u32_e32 vcc, 62, v48
	v_add_u32_e32 v17, v17, v20
	v_cndmask_b32_e64 v20, 0, 1, vcc
	v_lshlrev_b32_e32 v20, 1, v20
	v_add_lshl_u32 v52, v20, v36, 2
	ds_bpermute_b32 v20, v52, v17
	v_add_u32_e32 v53, 2, v48
	v_cmp_le_u32_e32 vcc, v53, v15
	v_add_u32_e32 v55, 4, v48
	v_add_u32_e32 v57, 8, v48
	s_waitcnt lgkmcnt(0)
	v_cndmask_b32_e32 v20, 0, v20, vcc
	v_cmp_gt_u32_e32 vcc, 60, v48
	v_add_u32_e32 v17, v17, v20
	v_cndmask_b32_e64 v20, 0, 1, vcc
	v_lshlrev_b32_e32 v20, 2, v20
	v_add_lshl_u32 v54, v20, v36, 2
	ds_bpermute_b32 v20, v54, v17
	v_cmp_le_u32_e32 vcc, v55, v15
	v_add_u32_e32 v59, 16, v48
	v_add_u32_e32 v61, 32, v48
	s_waitcnt lgkmcnt(0)
	v_cndmask_b32_e32 v20, 0, v20, vcc
	v_cmp_gt_u32_e32 vcc, 56, v48
	v_add_u32_e32 v17, v17, v20
	v_cndmask_b32_e64 v20, 0, 1, vcc
	v_lshlrev_b32_e32 v20, 3, v20
	v_add_lshl_u32 v56, v20, v36, 2
	ds_bpermute_b32 v20, v56, v17
	v_cmp_le_u32_e32 vcc, v57, v15
	s_waitcnt lgkmcnt(0)
	v_cndmask_b32_e32 v20, 0, v20, vcc
	v_cmp_gt_u32_e32 vcc, 48, v48
	v_add_u32_e32 v17, v17, v20
	v_cndmask_b32_e64 v20, 0, 1, vcc
	v_lshlrev_b32_e32 v20, 4, v20
	v_add_lshl_u32 v58, v20, v36, 2
	ds_bpermute_b32 v20, v58, v17
	v_cmp_le_u32_e32 vcc, v59, v15
	;; [unrolled: 9-line block ×3, first 2 shown]
	s_waitcnt lgkmcnt(0)
	v_cndmask_b32_e32 v15, 0, v20, vcc
	v_add_u32_e32 v20, v17, v15
	v_mov_b32_e32 v17, 0
	s_branch .LBB903_94
.LBB903_93:                             ;   in Loop: Header=BB903_94 Depth=1
	s_or_b64 exec, exec, s[30:31]
	v_cmp_eq_u16_sdwa s[30:31], v21, v46 src0_sel:BYTE_0 src1_sel:DWORD
	v_and_b32_e32 v22, s31, v19
	v_or_b32_e32 v22, 0x80000000, v22
	ds_bpermute_b32 v85, v50, v20
	v_and_b32_e32 v23, s30, v18
	v_ffbl_b32_e32 v22, v22
	v_add_u32_e32 v22, 32, v22
	v_ffbl_b32_e32 v23, v23
	v_min_u32_e32 v22, v23, v22
	v_cmp_lt_u32_e32 vcc, v48, v22
	s_waitcnt lgkmcnt(0)
	v_cndmask_b32_e32 v23, 0, v85, vcc
	v_add_u32_e32 v20, v23, v20
	ds_bpermute_b32 v23, v52, v20
	v_cmp_le_u32_e32 vcc, v53, v22
	v_subrev_u32_e32 v16, 64, v16
	s_waitcnt lgkmcnt(0)
	v_cndmask_b32_e32 v23, 0, v23, vcc
	v_add_u32_e32 v20, v20, v23
	ds_bpermute_b32 v23, v54, v20
	v_cmp_le_u32_e32 vcc, v55, v22
	s_waitcnt lgkmcnt(0)
	v_cndmask_b32_e32 v23, 0, v23, vcc
	v_add_u32_e32 v20, v20, v23
	ds_bpermute_b32 v23, v56, v20
	v_cmp_le_u32_e32 vcc, v57, v22
	;; [unrolled: 5-line block ×4, first 2 shown]
	s_waitcnt lgkmcnt(0)
	v_cndmask_b32_e32 v22, 0, v23, vcc
	v_add3_u32 v20, v22, v15, v20
.LBB903_94:                             ; =>This Loop Header: Depth=1
                                        ;     Child Loop BB903_97 Depth 2
                                        ;       Child Loop BB903_98 Depth 3
	v_cmp_ne_u16_sdwa s[30:31], v21, v46 src0_sel:BYTE_0 src1_sel:DWORD
	v_cndmask_b32_e64 v15, 0, 1, s[30:31]
	;;#ASMSTART
	;;#ASMEND
	v_cmp_ne_u32_e32 vcc, 0, v15
	s_cmp_lg_u64 vcc, exec
	v_mov_b32_e32 v15, v20
	s_cbranch_scc1 .LBB903_101
; %bb.95:                               ;   in Loop: Header=BB903_94 Depth=1
	v_lshlrev_b64 v[20:21], 3, v[16:17]
	v_mov_b32_e32 v23, s27
	v_add_co_u32_e32 v22, vcc, s26, v20
	v_addc_co_u32_e32 v23, vcc, v23, v21, vcc
	global_load_dwordx2 v[20:21], v[22:23], off glc
	s_waitcnt vmcnt(0)
	v_cmp_eq_u16_sdwa s[34:35], v21, v17 src0_sel:BYTE_0 src1_sel:DWORD
	s_and_saveexec_b64 s[30:31], s[34:35]
	s_cbranch_execz .LBB903_93
; %bb.96:                               ;   in Loop: Header=BB903_94 Depth=1
	s_mov_b32 s36, 1
	s_mov_b64 s[34:35], 0
.LBB903_97:                             ;   Parent Loop BB903_94 Depth=1
                                        ; =>  This Loop Header: Depth=2
                                        ;       Child Loop BB903_98 Depth 3
	s_max_u32 s37, s36, 1
.LBB903_98:                             ;   Parent Loop BB903_94 Depth=1
                                        ;     Parent Loop BB903_97 Depth=2
                                        ; =>    This Inner Loop Header: Depth=3
	s_add_i32 s37, s37, -1
	s_cmp_eq_u32 s37, 0
	s_sleep 1
	s_cbranch_scc0 .LBB903_98
; %bb.99:                               ;   in Loop: Header=BB903_97 Depth=2
	global_load_dwordx2 v[20:21], v[22:23], off glc
	s_cmp_lt_u32 s36, 32
	s_cselect_b64 s[38:39], -1, 0
	s_cmp_lg_u64 s[38:39], 0
	s_addc_u32 s36, s36, 0
	s_waitcnt vmcnt(0)
	v_cmp_ne_u16_sdwa s[38:39], v21, v17 src0_sel:BYTE_0 src1_sel:DWORD
	s_or_b64 s[34:35], s[38:39], s[34:35]
	s_andn2_b64 exec, exec, s[34:35]
	s_cbranch_execnz .LBB903_97
; %bb.100:                              ;   in Loop: Header=BB903_94 Depth=1
	s_or_b64 exec, exec, s[34:35]
	s_branch .LBB903_93
.LBB903_101:                            ;   in Loop: Header=BB903_94 Depth=1
                                        ; implicit-def: $vgpr20
                                        ; implicit-def: $vgpr21
	s_cbranch_execz .LBB903_94
; %bb.102:
	s_and_saveexec_b64 s[30:31], s[16:17]
	s_cbranch_execz .LBB903_104
; %bb.103:
	s_add_i32 s34, s33, 64
	s_mov_b32 s35, 0
	s_lshl_b64 s[34:35], s[34:35], 3
	s_add_u32 s34, s26, s34
	v_add_u32_e32 v16, v15, v14
	v_mov_b32_e32 v17, 2
	s_addc_u32 s35, s27, s35
	v_mov_b32_e32 v18, 0
	global_store_dwordx2 v18, v[16:17], s[34:35]
	ds_write_b64 v18, v[14:15] offset:11264
.LBB903_104:
	s_or_b64 exec, exec, s[30:31]
	s_and_b64 exec, exec, s[0:1]
	s_cbranch_execz .LBB903_106
; %bb.105:
	v_mov_b32_e32 v14, 0
	ds_write_b32 v14, v15 offset:12
.LBB903_106:
	s_or_b64 exec, exec, s[28:29]
	v_mov_b32_e32 v14, 0
	s_waitcnt lgkmcnt(0)
	s_barrier
	ds_read_b32 v16, v14 offset:12
	s_waitcnt lgkmcnt(0)
	s_barrier
	ds_read_b64 v[14:15], v14 offset:11264
	v_cndmask_b32_e64 v17, v44, v42, s[16:17]
	v_cndmask_b32_e64 v17, v17, 0, s[0:1]
	v_add_u32_e32 v56, v16, v17
	s_waitcnt lgkmcnt(0)
	v_mov_b32_e32 v16, v15
	s_branch .LBB903_117
.LBB903_107:
                                        ; implicit-def: $vgpr16
                                        ; implicit-def: $vgpr14
                                        ; implicit-def: $vgpr56
	s_cbranch_execz .LBB903_117
; %bb.108:
	s_nop 0
	v_mov_b32_dpp v14, v40 row_shr:1 row_mask:0xf bank_mask:0xf
	v_cndmask_b32_e64 v14, v14, 0, s[14:15]
	v_add_u32_e32 v14, v14, v40
	s_nop 1
	v_mov_b32_dpp v15, v14 row_shr:2 row_mask:0xf bank_mask:0xf
	v_cndmask_b32_e64 v15, 0, v15, s[12:13]
	v_add_u32_e32 v14, v14, v15
	;; [unrolled: 4-line block ×4, first 2 shown]
	s_nop 1
	v_mov_b32_dpp v15, v14 row_bcast:15 row_mask:0xf bank_mask:0xf
	v_cndmask_b32_e64 v15, v15, 0, s[6:7]
	v_add_u32_e32 v14, v14, v15
	s_nop 1
	v_mov_b32_dpp v15, v14 row_bcast:31 row_mask:0xf bank_mask:0xf
	v_cndmask_b32_e64 v15, 0, v15, s[2:3]
	v_add_u32_e32 v14, v14, v15
	s_and_saveexec_b64 s[2:3], s[4:5]
	s_cbranch_execz .LBB903_110
; %bb.109:
	v_lshlrev_b32_e32 v15, 2, v38
	ds_write_b32 v15, v14
.LBB903_110:
	s_or_b64 exec, exec, s[2:3]
	v_cmp_gt_u32_e32 vcc, 4, v0
	s_waitcnt lgkmcnt(0)
	s_barrier
	s_and_saveexec_b64 s[2:3], vcc
	s_cbranch_execz .LBB903_112
; %bb.111:
	v_lshlrev_b32_e32 v15, 2, v0
	ds_read_b32 v16, v15
	v_and_b32_e32 v17, 3, v36
	v_cmp_ne_u32_e32 vcc, 0, v17
	s_waitcnt lgkmcnt(0)
	v_mov_b32_dpp v18, v16 row_shr:1 row_mask:0xf bank_mask:0xf
	v_cndmask_b32_e32 v18, 0, v18, vcc
	v_add_u32_e32 v16, v18, v16
	v_cmp_lt_u32_e32 vcc, 1, v17
	s_nop 0
	v_mov_b32_dpp v18, v16 row_shr:2 row_mask:0xf bank_mask:0xf
	v_cndmask_b32_e32 v17, 0, v18, vcc
	v_add_u32_e32 v16, v16, v17
	ds_write_b32 v15, v16
.LBB903_112:
	s_or_b64 exec, exec, s[2:3]
	v_cmp_lt_u32_e32 vcc, 63, v0
	v_mov_b32_e32 v15, 0
	v_mov_b32_e32 v16, 0
	s_waitcnt lgkmcnt(0)
	s_barrier
	s_and_saveexec_b64 s[2:3], vcc
	s_cbranch_execz .LBB903_114
; %bb.113:
	v_lshl_add_u32 v16, v38, 2, -4
	ds_read_b32 v16, v16
.LBB903_114:
	s_or_b64 exec, exec, s[2:3]
	v_add_u32_e32 v17, -1, v36
	v_and_b32_e32 v18, 64, v36
	v_cmp_lt_i32_e32 vcc, v17, v18
	v_cndmask_b32_e32 v17, v17, v36, vcc
	s_waitcnt lgkmcnt(0)
	v_add_u32_e32 v14, v16, v14
	v_lshlrev_b32_e32 v17, 2, v17
	ds_bpermute_b32 v17, v17, v14
	ds_read_b32 v14, v15 offset:12
	s_and_saveexec_b64 s[2:3], s[0:1]
	s_cbranch_execz .LBB903_116
; %bb.115:
	v_mov_b32_e32 v18, 0
	v_mov_b32_e32 v15, 2
	s_waitcnt lgkmcnt(0)
	global_store_dwordx2 v18, v[14:15], s[26:27] offset:512
.LBB903_116:
	s_or_b64 exec, exec, s[2:3]
	v_cmp_eq_u32_e32 vcc, 0, v36
	s_waitcnt lgkmcnt(1)
	v_cndmask_b32_e32 v15, v17, v16, vcc
	v_mov_b32_e32 v16, 0
	v_cndmask_b32_e64 v56, v15, 0, s[0:1]
	s_waitcnt lgkmcnt(0)
	s_barrier
.LBB903_117:
	v_add_u32_e32 v60, v56, v24
	v_add_u32_e32 v58, v60, v25
	v_add_u32_e32 v54, v58, v26
	v_add_u32_e32 v52, v54, v27
	v_add_u32_e32 v50, v52, v28
	v_add_u32_e32 v48, v50, v29
	v_add_u32_e32 v46, v48, v30
	v_add_u32_e32 v44, v46, v31
	v_add_u32_e32 v42, v44, v32
	v_add_u32_e32 v40, v42, v33
	v_add_u32_e32 v38, v40, v34
	v_add_u32_e32 v36, v38, v35
	v_add_u32_e32 v34, v36, v37
	v_add_u32_e32 v32, v34, v39
	v_add_u32_e32 v30, v32, v41
	v_add_u32_e32 v28, v30, v43
	v_add_u32_e32 v26, v28, v45
	v_add_u32_e32 v24, v26, v47
	v_add_u32_e32 v22, v24, v49
	s_movk_i32 s2, 0x101
	v_add_u32_e32 v20, v22, v51
	v_cmp_gt_u32_e32 vcc, s2, v14
	v_add_u32_sdwa v18, v20, v64 dst_sel:DWORD dst_unused:UNUSED_PAD src0_sel:DWORD src1_sel:BYTE_0
	s_mov_b64 s[2:3], -1
	s_cbranch_vccnz .LBB903_121
; %bb.118:
	s_and_b64 vcc, exec, s[2:3]
	s_cbranch_vccnz .LBB903_188
.LBB903_119:
	s_and_b64 s[0:1], s[0:1], s[18:19]
	s_and_saveexec_b64 s[2:3], s[0:1]
	s_cbranch_execnz .LBB903_248
.LBB903_120:
	s_endpgm
.LBB903_121:
	v_lshlrev_b64 v[86:87], 1, v[8:9]
	v_mov_b32_e32 v17, s25
	v_add_co_u32_e32 v15, vcc, s24, v86
	v_add_u32_e32 v19, v16, v14
	v_addc_co_u32_e32 v17, vcc, v17, v87, vcc
	v_cmp_lt_u32_e32 vcc, v56, v19
	s_or_b64 s[4:5], s[22:23], vcc
	s_and_saveexec_b64 s[2:3], s[4:5]
	s_cbranch_execz .LBB903_124
; %bb.122:
	v_and_b32_e32 v21, 1, v84
	v_cmp_eq_u32_e32 vcc, 1, v21
	s_and_b64 exec, exec, vcc
	s_cbranch_execz .LBB903_124
; %bb.123:
	v_mov_b32_e32 v57, 0
	v_lshlrev_b64 v[86:87], 1, v[56:57]
	v_add_co_u32_e32 v86, vcc, v15, v86
	v_addc_co_u32_e32 v87, vcc, v17, v87, vcc
	global_store_short v[86:87], v12, off
.LBB903_124:
	s_or_b64 exec, exec, s[2:3]
	v_cmp_lt_u32_e32 vcc, v60, v19
	s_or_b64 s[4:5], s[22:23], vcc
	s_and_saveexec_b64 s[2:3], s[4:5]
	s_cbranch_execz .LBB903_127
; %bb.125:
	v_and_b32_e32 v21, 1, v83
	v_cmp_eq_u32_e32 vcc, 1, v21
	s_and_b64 exec, exec, vcc
	s_cbranch_execz .LBB903_127
; %bb.126:
	v_mov_b32_e32 v61, 0
	v_lshlrev_b64 v[86:87], 1, v[60:61]
	v_add_co_u32_e32 v86, vcc, v15, v86
	v_addc_co_u32_e32 v87, vcc, v17, v87, vcc
	global_store_short_d16_hi v[86:87], v12, off
.LBB903_127:
	s_or_b64 exec, exec, s[2:3]
	v_cmp_lt_u32_e32 vcc, v58, v19
	s_or_b64 s[4:5], s[22:23], vcc
	s_and_saveexec_b64 s[2:3], s[4:5]
	s_cbranch_execz .LBB903_130
; %bb.128:
	v_and_b32_e32 v21, 1, v82
	v_cmp_eq_u32_e32 vcc, 1, v21
	s_and_b64 exec, exec, vcc
	s_cbranch_execz .LBB903_130
; %bb.129:
	v_mov_b32_e32 v59, 0
	v_lshlrev_b64 v[86:87], 1, v[58:59]
	v_add_co_u32_e32 v86, vcc, v15, v86
	v_addc_co_u32_e32 v87, vcc, v17, v87, vcc
	global_store_short v[86:87], v13, off
.LBB903_130:
	s_or_b64 exec, exec, s[2:3]
	v_cmp_lt_u32_e32 vcc, v54, v19
	s_or_b64 s[4:5], s[22:23], vcc
	s_and_saveexec_b64 s[2:3], s[4:5]
	s_cbranch_execz .LBB903_133
; %bb.131:
	v_and_b32_e32 v21, 1, v81
	v_cmp_eq_u32_e32 vcc, 1, v21
	s_and_b64 exec, exec, vcc
	s_cbranch_execz .LBB903_133
; %bb.132:
	v_mov_b32_e32 v55, 0
	v_lshlrev_b64 v[86:87], 1, v[54:55]
	v_add_co_u32_e32 v86, vcc, v15, v86
	v_addc_co_u32_e32 v87, vcc, v17, v87, vcc
	global_store_short_d16_hi v[86:87], v13, off
.LBB903_133:
	s_or_b64 exec, exec, s[2:3]
	;; [unrolled: 34-line block ×10, first 2 shown]
	v_cmp_lt_u32_e32 vcc, v20, v19
	s_or_b64 s[4:5], s[22:23], vcc
	s_and_saveexec_b64 s[2:3], s[4:5]
	s_cbranch_execz .LBB903_184
; %bb.182:
	v_and_b32_e32 v21, 1, v64
	v_cmp_eq_u32_e32 vcc, 1, v21
	s_and_b64 exec, exec, vcc
	s_cbranch_execz .LBB903_184
; %bb.183:
	v_mov_b32_e32 v21, 0
	v_lshlrev_b64 v[86:87], 1, v[20:21]
	v_add_co_u32_e32 v86, vcc, v15, v86
	v_addc_co_u32_e32 v87, vcc, v17, v87, vcc
	global_store_short v[86:87], v62, off
.LBB903_184:
	s_or_b64 exec, exec, s[2:3]
	v_cmp_lt_u32_e32 vcc, v18, v19
	s_or_b64 s[4:5], s[22:23], vcc
	s_and_saveexec_b64 s[2:3], s[4:5]
	s_cbranch_execz .LBB903_187
; %bb.185:
	v_and_b32_e32 v19, 1, v63
	v_cmp_eq_u32_e32 vcc, 1, v19
	s_and_b64 exec, exec, vcc
	s_cbranch_execz .LBB903_187
; %bb.186:
	v_mov_b32_e32 v19, 0
	v_lshlrev_b64 v[86:87], 1, v[18:19]
	v_add_co_u32_e32 v86, vcc, v15, v86
	v_addc_co_u32_e32 v87, vcc, v17, v87, vcc
	global_store_short v[86:87], v1, off
.LBB903_187:
	s_or_b64 exec, exec, s[2:3]
	s_branch .LBB903_119
.LBB903_188:
	v_and_b32_e32 v15, 1, v84
	v_cmp_eq_u32_e32 vcc, 1, v15
	s_and_saveexec_b64 s[2:3], vcc
	s_cbranch_execz .LBB903_190
; %bb.189:
	v_sub_u32_e32 v15, v56, v16
	v_lshlrev_b32_e32 v15, 1, v15
	ds_write_b16 v15, v12
.LBB903_190:
	s_or_b64 exec, exec, s[2:3]
	v_and_b32_e32 v15, 1, v83
	v_cmp_eq_u32_e32 vcc, 1, v15
	s_and_saveexec_b64 s[2:3], vcc
	s_cbranch_execz .LBB903_192
; %bb.191:
	v_sub_u32_e32 v15, v60, v16
	v_lshlrev_b32_e32 v15, 1, v15
	ds_write_b16_d16_hi v15, v12
.LBB903_192:
	s_or_b64 exec, exec, s[2:3]
	v_and_b32_e32 v12, 1, v82
	v_cmp_eq_u32_e32 vcc, 1, v12
	s_and_saveexec_b64 s[2:3], vcc
	s_cbranch_execz .LBB903_194
; %bb.193:
	v_sub_u32_e32 v12, v58, v16
	v_lshlrev_b32_e32 v12, 1, v12
	ds_write_b16 v12, v13
.LBB903_194:
	s_or_b64 exec, exec, s[2:3]
	v_and_b32_e32 v12, 1, v81
	v_cmp_eq_u32_e32 vcc, 1, v12
	s_and_saveexec_b64 s[2:3], vcc
	s_cbranch_execz .LBB903_196
; %bb.195:
	v_sub_u32_e32 v12, v54, v16
	v_lshlrev_b32_e32 v12, 1, v12
	ds_write_b16_d16_hi v12, v13
.LBB903_196:
	s_or_b64 exec, exec, s[2:3]
	;; [unrolled: 20-line block ×10, first 2 shown]
	v_and_b32_e32 v2, 1, v64
	v_cmp_eq_u32_e32 vcc, 1, v2
	s_and_saveexec_b64 s[2:3], vcc
	s_cbranch_execz .LBB903_230
; %bb.229:
	v_sub_u32_e32 v2, v20, v16
	v_lshlrev_b32_e32 v2, 1, v2
	ds_write_b16 v2, v62
.LBB903_230:
	s_or_b64 exec, exec, s[2:3]
	v_and_b32_e32 v2, 1, v63
	v_cmp_eq_u32_e32 vcc, 1, v2
	s_and_saveexec_b64 s[2:3], vcc
	s_cbranch_execz .LBB903_232
; %bb.231:
	v_sub_u32_e32 v2, v18, v16
	v_lshlrev_b32_e32 v2, 1, v2
	ds_write_b16 v2, v1
.LBB903_232:
	s_or_b64 exec, exec, s[2:3]
	v_cmp_lt_u32_e32 vcc, v0, v14
	s_waitcnt lgkmcnt(0)
	s_barrier
	s_and_saveexec_b64 s[6:7], vcc
	s_cbranch_execz .LBB903_247
; %bb.233:
	v_lshlrev_b64 v[2:3], 1, v[8:9]
	v_mov_b32_e32 v17, 0
	v_mov_b32_e32 v1, s25
	v_add_co_u32_e32 v4, vcc, s24, v2
	v_addc_co_u32_e32 v1, vcc, v1, v3, vcc
	v_lshlrev_b64 v[2:3], 1, v[16:17]
	v_add_co_u32_e32 v12, vcc, v4, v2
	v_addc_co_u32_e32 v13, vcc, v1, v3, vcc
	v_xad_u32 v1, v0, -1, v14
	s_movk_i32 s2, 0x1700
	v_cmp_gt_u32_e32 vcc, s2, v1
	s_movk_i32 s2, 0x16ff
	v_cmp_lt_u32_e64 s[2:3], s2, v1
	s_and_saveexec_b64 s[8:9], s[2:3]
	s_cbranch_execz .LBB903_244
; %bb.234:
	v_sub_u32_e32 v2, v0, v14
	v_or_b32_e32 v2, 0xff, v2
	v_cmp_ge_u32_e64 s[2:3], v2, v0
	s_mov_b64 s[4:5], -1
	s_and_saveexec_b64 s[10:11], s[2:3]
	s_cbranch_execz .LBB903_243
; %bb.235:
	v_lshrrev_b32_e32 v15, 8, v1
	v_add_u32_e32 v4, -3, v15
	v_or_b32_e32 v3, 0x300, v0
	v_or_b32_e32 v2, 0x200, v0
	v_lshrrev_b32_e32 v5, 2, v4
	v_or_b32_e32 v1, 0x100, v0
	v_add_u32_e32 v18, 1, v5
	v_cmp_lt_u32_e64 s[2:3], 11, v4
	v_pk_mov_b32 v[6:7], v[2:3], v[2:3] op_sel:[0,1]
	v_mov_b32_e32 v21, 0
	v_lshlrev_b32_e32 v17, 1, v0
	v_pk_mov_b32 v[4:5], v[0:1], v[0:1] op_sel:[0,1]
	s_and_saveexec_b64 s[12:13], s[2:3]
	s_cbranch_execz .LBB903_239
; %bb.236:
	v_pk_mov_b32 v[6:7], v[2:3], v[2:3] op_sel:[0,1]
	v_and_b32_e32 v19, 0x7ffffffc, v18
	s_mov_b32 s16, 0
	s_mov_b64 s[14:15], 0
	v_mov_b32_e32 v11, 0
	v_mov_b32_e32 v20, v17
	v_pk_mov_b32 v[4:5], v[0:1], v[0:1] op_sel:[0,1]
.LBB903_237:                            ; =>This Inner Loop Header: Depth=1
	v_mov_b32_e32 v10, v4
	v_lshlrev_b64 v[38:39], 1, v[10:11]
	v_add_u32_e32 v24, 0x400, v5
	v_mov_b32_e32 v25, v11
	v_add_co_u32_e64 v38, s[4:5], v12, v38
	v_lshlrev_b64 v[24:25], 1, v[24:25]
	v_addc_co_u32_e64 v39, s[4:5], v13, v39, s[4:5]
	v_add_u32_e32 v22, 0x400, v6
	v_mov_b32_e32 v23, v11
	v_add_co_u32_e64 v24, s[4:5], v12, v24
	v_lshlrev_b64 v[22:23], 1, v[22:23]
	v_addc_co_u32_e64 v25, s[4:5], v13, v25, s[4:5]
	v_add_u32_e32 v2, 0x400, v7
	v_mov_b32_e32 v3, v11
	v_add_co_u32_e64 v22, s[4:5], v12, v22
	v_add_u32_e32 v19, -4, v19
	v_mov_b32_e32 v10, v5
	v_lshlrev_b64 v[2:3], 1, v[2:3]
	v_addc_co_u32_e64 v23, s[4:5], v13, v23, s[4:5]
	v_add_u32_e32 v30, 0x800, v5
	v_mov_b32_e32 v31, v11
	s_add_i32 s16, s16, 16
	v_cmp_eq_u32_e64 s[2:3], 0, v19
	v_lshlrev_b64 v[40:41], 1, v[10:11]
	v_add_co_u32_e64 v2, s[4:5], v12, v2
	v_lshlrev_b64 v[30:31], 1, v[30:31]
	v_mov_b32_e32 v10, v6
	v_addc_co_u32_e64 v3, s[4:5], v13, v3, s[4:5]
	s_or_b64 s[14:15], s[2:3], s[14:15]
	v_add_co_u32_e64 v40, s[2:3], v12, v40
	v_add_u32_e32 v28, 0x800, v6
	v_mov_b32_e32 v29, v11
	v_add_co_u32_e64 v30, s[4:5], v12, v30
	v_addc_co_u32_e64 v41, s[2:3], v13, v41, s[2:3]
	v_lshlrev_b64 v[42:43], 1, v[10:11]
	v_lshlrev_b64 v[28:29], 1, v[28:29]
	v_addc_co_u32_e64 v31, s[4:5], v13, v31, s[4:5]
	v_mov_b32_e32 v10, v7
	v_add_co_u32_e64 v42, s[2:3], v12, v42
	ds_read_u16 v1, v20
	ds_read_u16 v46, v20 offset:512
	ds_read_u16 v47, v20 offset:1024
	;; [unrolled: 1-line block ×7, first 2 shown]
	v_add_u32_e32 v26, 0x800, v7
	v_mov_b32_e32 v27, v11
	v_add_co_u32_e64 v28, s[4:5], v12, v28
	v_addc_co_u32_e64 v43, s[2:3], v13, v43, s[2:3]
	v_lshlrev_b64 v[44:45], 1, v[10:11]
	v_lshlrev_b64 v[26:27], 1, v[26:27]
	v_addc_co_u32_e64 v29, s[4:5], v13, v29, s[4:5]
	v_add_u32_e32 v10, 0x400, v4
	v_add_co_u32_e64 v44, s[2:3], v12, v44
	v_add_u32_e32 v36, 0xc00, v5
	v_mov_b32_e32 v37, v11
	ds_read_u16 v53, v20 offset:4096
	ds_read_u16 v54, v20 offset:4608
	;; [unrolled: 1-line block ×8, first 2 shown]
	v_add_co_u32_e64 v26, s[4:5], v12, v26
	v_addc_co_u32_e64 v45, s[2:3], v13, v45, s[2:3]
	s_waitcnt lgkmcnt(14)
	global_store_short v[38:39], v1, off
	global_store_short v[40:41], v46, off
	s_waitcnt lgkmcnt(13)
	global_store_short v[42:43], v47, off
	v_lshlrev_b64 v[38:39], 1, v[10:11]
	v_lshlrev_b64 v[36:37], 1, v[36:37]
	v_addc_co_u32_e64 v27, s[4:5], v13, v27, s[4:5]
	v_add_u32_e32 v10, 0x800, v4
	v_add_co_u32_e64 v38, s[2:3], v12, v38
	v_add_u32_e32 v34, 0xc00, v6
	v_mov_b32_e32 v35, v11
	v_add_co_u32_e64 v36, s[4:5], v12, v36
	v_addc_co_u32_e64 v39, s[2:3], v13, v39, s[2:3]
	v_lshlrev_b64 v[40:41], 1, v[10:11]
	v_lshlrev_b64 v[34:35], 1, v[34:35]
	v_addc_co_u32_e64 v37, s[4:5], v13, v37, s[4:5]
	s_waitcnt lgkmcnt(12)
	global_store_short v[44:45], v48, off
	v_add_u32_e32 v10, 0xc00, v4
	s_waitcnt lgkmcnt(11)
	global_store_short v[38:39], v49, off
	s_waitcnt lgkmcnt(10)
	global_store_short v[24:25], v50, off
	;; [unrolled: 2-line block ×4, first 2 shown]
	v_add_co_u32_e64 v2, s[2:3], v12, v40
	v_add_u32_e32 v32, 0xc00, v7
	v_mov_b32_e32 v33, v11
	v_add_co_u32_e64 v34, s[4:5], v12, v34
	v_addc_co_u32_e64 v3, s[2:3], v13, v41, s[2:3]
	v_lshlrev_b64 v[22:23], 1, v[10:11]
	v_lshlrev_b64 v[32:33], 1, v[32:33]
	v_addc_co_u32_e64 v35, s[4:5], v13, v35, s[4:5]
	s_waitcnt lgkmcnt(7)
	global_store_short v[2:3], v53, off
	s_waitcnt lgkmcnt(6)
	global_store_short v[30:31], v54, off
	;; [unrolled: 2-line block ×4, first 2 shown]
	v_add_co_u32_e64 v2, s[2:3], v12, v22
	v_add_u32_e32 v20, 0x2000, v20
	v_add_u32_e32 v5, 0x1000, v5
	v_mov_b32_e32 v21, s16
	v_add_co_u32_e64 v32, s[4:5], v12, v32
	v_add_u32_e32 v6, 0x1000, v6
	v_add_u32_e32 v7, 0x1000, v7
	;; [unrolled: 1-line block ×3, first 2 shown]
	v_addc_co_u32_e64 v3, s[2:3], v13, v23, s[2:3]
	v_addc_co_u32_e64 v33, s[4:5], v13, v33, s[4:5]
	s_waitcnt lgkmcnt(3)
	global_store_short v[2:3], v57, off
	s_waitcnt lgkmcnt(2)
	global_store_short v[36:37], v58, off
	;; [unrolled: 2-line block ×4, first 2 shown]
	s_andn2_b64 exec, exec, s[14:15]
	s_cbranch_execnz .LBB903_237
; %bb.238:
	s_or_b64 exec, exec, s[14:15]
.LBB903_239:
	s_or_b64 exec, exec, s[12:13]
	v_and_b32_e32 v1, 3, v18
	v_cmp_ne_u32_e64 s[2:3], 0, v1
	s_and_saveexec_b64 s[12:13], s[2:3]
	s_cbranch_execz .LBB903_242
; %bb.240:
	v_lshl_or_b32 v10, v21, 9, v17
	s_mov_b64 s[14:15], 0
	v_mov_b32_e32 v3, 0
.LBB903_241:                            ; =>This Inner Loop Header: Depth=1
	v_mov_b32_e32 v2, v4
	v_add_u32_e32 v1, -1, v1
	v_lshlrev_b64 v[18:19], 1, v[2:3]
	v_mov_b32_e32 v2, v5
	v_cmp_eq_u32_e64 s[2:3], 0, v1
	v_lshlrev_b64 v[20:21], 1, v[2:3]
	ds_read_u16 v11, v10
	ds_read_u16 v17, v10 offset:512
	ds_read_u16 v26, v10 offset:1024
	;; [unrolled: 1-line block ×3, first 2 shown]
	v_mov_b32_e32 v2, v6
	s_or_b64 s[14:15], s[2:3], s[14:15]
	v_add_co_u32_e64 v20, s[2:3], v12, v20
	v_addc_co_u32_e64 v21, s[2:3], v13, v21, s[2:3]
	v_lshlrev_b64 v[22:23], 1, v[2:3]
	v_mov_b32_e32 v2, v7
	v_add_co_u32_e64 v22, s[2:3], v12, v22
	v_add_co_u32_e64 v18, s[4:5], v12, v18
	v_addc_co_u32_e64 v23, s[2:3], v13, v23, s[2:3]
	v_lshlrev_b64 v[24:25], 1, v[2:3]
	v_add_u32_e32 v4, 0x400, v4
	v_add_u32_e32 v10, 0x800, v10
	;; [unrolled: 1-line block ×3, first 2 shown]
	v_addc_co_u32_e64 v19, s[4:5], v13, v19, s[4:5]
	v_add_u32_e32 v6, 0x400, v6
	v_add_u32_e32 v7, 0x400, v7
	v_add_co_u32_e64 v24, s[2:3], v12, v24
	v_addc_co_u32_e64 v25, s[2:3], v13, v25, s[2:3]
	s_waitcnt lgkmcnt(3)
	global_store_short v[18:19], v11, off
	s_waitcnt lgkmcnt(2)
	global_store_short v[20:21], v17, off
	;; [unrolled: 2-line block ×4, first 2 shown]
	s_andn2_b64 exec, exec, s[14:15]
	s_cbranch_execnz .LBB903_241
.LBB903_242:
	s_or_b64 exec, exec, s[12:13]
	v_add_u32_e32 v1, 1, v15
	v_and_b32_e32 v2, 0x1fffffc, v1
	v_cmp_ne_u32_e64 s[2:3], v1, v2
	v_lshl_or_b32 v0, v2, 8, v0
	s_orn2_b64 s[4:5], s[2:3], exec
.LBB903_243:
	s_or_b64 exec, exec, s[10:11]
	s_andn2_b64 s[2:3], vcc, exec
	s_and_b64 s[4:5], s[4:5], exec
	s_or_b64 vcc, s[2:3], s[4:5]
.LBB903_244:
	s_or_b64 exec, exec, s[8:9]
	s_and_b64 exec, exec, vcc
	s_cbranch_execz .LBB903_247
; %bb.245:
	v_lshlrev_b32_e32 v2, 1, v0
	s_mov_b64 s[2:3], 0
	v_mov_b32_e32 v1, 0
.LBB903_246:                            ; =>This Inner Loop Header: Depth=1
	v_lshlrev_b64 v[4:5], 1, v[0:1]
	ds_read_u16 v3, v2
	v_add_co_u32_e32 v4, vcc, v12, v4
	v_add_u32_e32 v0, 0x100, v0
	v_addc_co_u32_e32 v5, vcc, v13, v5, vcc
	v_cmp_ge_u32_e32 vcc, v0, v14
	v_add_u32_e32 v2, 0x200, v2
	s_or_b64 s[2:3], vcc, s[2:3]
	s_waitcnt lgkmcnt(0)
	global_store_short v[4:5], v3, off
	s_andn2_b64 exec, exec, s[2:3]
	s_cbranch_execnz .LBB903_246
.LBB903_247:
	s_or_b64 exec, exec, s[6:7]
	s_and_b64 s[0:1], s[0:1], s[18:19]
	s_and_saveexec_b64 s[2:3], s[0:1]
	s_cbranch_execz .LBB903_120
.LBB903_248:
	v_add_co_u32_e32 v0, vcc, v8, v14
	v_addc_co_u32_e32 v1, vcc, 0, v9, vcc
	v_add_co_u32_e32 v0, vcc, v0, v16
	v_mov_b32_e32 v2, 0
	v_addc_co_u32_e32 v1, vcc, 0, v1, vcc
	global_store_dwordx2 v2, v[0:1], s[20:21]
	s_endpgm
	.section	.rodata,"a",@progbits
	.p2align	6, 0x0
	.amdhsa_kernel _ZN7rocprim17ROCPRIM_400000_NS6detail17trampoline_kernelINS0_14default_configENS1_25partition_config_selectorILNS1_17partition_subalgoE8EN3c104HalfENS0_10empty_typeEbEEZZNS1_14partition_implILS5_8ELb0ES3_jPKS7_PS8_PKS8_NS0_5tupleIJPS7_S8_EEENSG_IJSD_SD_EEENS0_18inequality_wrapperIN6hipcub16HIPCUB_304000_NS8EqualityEEEPlJS8_EEE10hipError_tPvRmT3_T4_T5_T6_T7_T9_mT8_P12ihipStream_tbDpT10_ENKUlT_T0_E_clISt17integral_constantIbLb1EES19_EEDaS14_S15_EUlS14_E_NS1_11comp_targetILNS1_3genE4ELNS1_11target_archE910ELNS1_3gpuE8ELNS1_3repE0EEENS1_30default_config_static_selectorELNS0_4arch9wavefront6targetE1EEEvT1_
		.amdhsa_group_segment_fixed_size 11272
		.amdhsa_private_segment_fixed_size 0
		.amdhsa_kernarg_size 128
		.amdhsa_user_sgpr_count 6
		.amdhsa_user_sgpr_private_segment_buffer 1
		.amdhsa_user_sgpr_dispatch_ptr 0
		.amdhsa_user_sgpr_queue_ptr 0
		.amdhsa_user_sgpr_kernarg_segment_ptr 1
		.amdhsa_user_sgpr_dispatch_id 0
		.amdhsa_user_sgpr_flat_scratch_init 0
		.amdhsa_user_sgpr_kernarg_preload_length 0
		.amdhsa_user_sgpr_kernarg_preload_offset 0
		.amdhsa_user_sgpr_private_segment_size 0
		.amdhsa_uses_dynamic_stack 0
		.amdhsa_system_sgpr_private_segment_wavefront_offset 0
		.amdhsa_system_sgpr_workgroup_id_x 1
		.amdhsa_system_sgpr_workgroup_id_y 0
		.amdhsa_system_sgpr_workgroup_id_z 0
		.amdhsa_system_sgpr_workgroup_info 0
		.amdhsa_system_vgpr_workitem_id 0
		.amdhsa_next_free_vgpr 88
		.amdhsa_next_free_sgpr 65
		.amdhsa_accum_offset 88
		.amdhsa_reserve_vcc 1
		.amdhsa_reserve_flat_scratch 0
		.amdhsa_float_round_mode_32 0
		.amdhsa_float_round_mode_16_64 0
		.amdhsa_float_denorm_mode_32 3
		.amdhsa_float_denorm_mode_16_64 3
		.amdhsa_dx10_clamp 1
		.amdhsa_ieee_mode 1
		.amdhsa_fp16_overflow 0
		.amdhsa_tg_split 0
		.amdhsa_exception_fp_ieee_invalid_op 0
		.amdhsa_exception_fp_denorm_src 0
		.amdhsa_exception_fp_ieee_div_zero 0
		.amdhsa_exception_fp_ieee_overflow 0
		.amdhsa_exception_fp_ieee_underflow 0
		.amdhsa_exception_fp_ieee_inexact 0
		.amdhsa_exception_int_div_zero 0
	.end_amdhsa_kernel
	.section	.text._ZN7rocprim17ROCPRIM_400000_NS6detail17trampoline_kernelINS0_14default_configENS1_25partition_config_selectorILNS1_17partition_subalgoE8EN3c104HalfENS0_10empty_typeEbEEZZNS1_14partition_implILS5_8ELb0ES3_jPKS7_PS8_PKS8_NS0_5tupleIJPS7_S8_EEENSG_IJSD_SD_EEENS0_18inequality_wrapperIN6hipcub16HIPCUB_304000_NS8EqualityEEEPlJS8_EEE10hipError_tPvRmT3_T4_T5_T6_T7_T9_mT8_P12ihipStream_tbDpT10_ENKUlT_T0_E_clISt17integral_constantIbLb1EES19_EEDaS14_S15_EUlS14_E_NS1_11comp_targetILNS1_3genE4ELNS1_11target_archE910ELNS1_3gpuE8ELNS1_3repE0EEENS1_30default_config_static_selectorELNS0_4arch9wavefront6targetE1EEEvT1_,"axG",@progbits,_ZN7rocprim17ROCPRIM_400000_NS6detail17trampoline_kernelINS0_14default_configENS1_25partition_config_selectorILNS1_17partition_subalgoE8EN3c104HalfENS0_10empty_typeEbEEZZNS1_14partition_implILS5_8ELb0ES3_jPKS7_PS8_PKS8_NS0_5tupleIJPS7_S8_EEENSG_IJSD_SD_EEENS0_18inequality_wrapperIN6hipcub16HIPCUB_304000_NS8EqualityEEEPlJS8_EEE10hipError_tPvRmT3_T4_T5_T6_T7_T9_mT8_P12ihipStream_tbDpT10_ENKUlT_T0_E_clISt17integral_constantIbLb1EES19_EEDaS14_S15_EUlS14_E_NS1_11comp_targetILNS1_3genE4ELNS1_11target_archE910ELNS1_3gpuE8ELNS1_3repE0EEENS1_30default_config_static_selectorELNS0_4arch9wavefront6targetE1EEEvT1_,comdat
.Lfunc_end903:
	.size	_ZN7rocprim17ROCPRIM_400000_NS6detail17trampoline_kernelINS0_14default_configENS1_25partition_config_selectorILNS1_17partition_subalgoE8EN3c104HalfENS0_10empty_typeEbEEZZNS1_14partition_implILS5_8ELb0ES3_jPKS7_PS8_PKS8_NS0_5tupleIJPS7_S8_EEENSG_IJSD_SD_EEENS0_18inequality_wrapperIN6hipcub16HIPCUB_304000_NS8EqualityEEEPlJS8_EEE10hipError_tPvRmT3_T4_T5_T6_T7_T9_mT8_P12ihipStream_tbDpT10_ENKUlT_T0_E_clISt17integral_constantIbLb1EES19_EEDaS14_S15_EUlS14_E_NS1_11comp_targetILNS1_3genE4ELNS1_11target_archE910ELNS1_3gpuE8ELNS1_3repE0EEENS1_30default_config_static_selectorELNS0_4arch9wavefront6targetE1EEEvT1_, .Lfunc_end903-_ZN7rocprim17ROCPRIM_400000_NS6detail17trampoline_kernelINS0_14default_configENS1_25partition_config_selectorILNS1_17partition_subalgoE8EN3c104HalfENS0_10empty_typeEbEEZZNS1_14partition_implILS5_8ELb0ES3_jPKS7_PS8_PKS8_NS0_5tupleIJPS7_S8_EEENSG_IJSD_SD_EEENS0_18inequality_wrapperIN6hipcub16HIPCUB_304000_NS8EqualityEEEPlJS8_EEE10hipError_tPvRmT3_T4_T5_T6_T7_T9_mT8_P12ihipStream_tbDpT10_ENKUlT_T0_E_clISt17integral_constantIbLb1EES19_EEDaS14_S15_EUlS14_E_NS1_11comp_targetILNS1_3genE4ELNS1_11target_archE910ELNS1_3gpuE8ELNS1_3repE0EEENS1_30default_config_static_selectorELNS0_4arch9wavefront6targetE1EEEvT1_
                                        ; -- End function
	.section	.AMDGPU.csdata,"",@progbits
; Kernel info:
; codeLenInByte = 10808
; NumSgprs: 69
; NumVgprs: 88
; NumAgprs: 0
; TotalNumVgprs: 88
; ScratchSize: 0
; MemoryBound: 0
; FloatMode: 240
; IeeeMode: 1
; LDSByteSize: 11272 bytes/workgroup (compile time only)
; SGPRBlocks: 8
; VGPRBlocks: 10
; NumSGPRsForWavesPerEU: 69
; NumVGPRsForWavesPerEU: 88
; AccumOffset: 88
; Occupancy: 5
; WaveLimiterHint : 1
; COMPUTE_PGM_RSRC2:SCRATCH_EN: 0
; COMPUTE_PGM_RSRC2:USER_SGPR: 6
; COMPUTE_PGM_RSRC2:TRAP_HANDLER: 0
; COMPUTE_PGM_RSRC2:TGID_X_EN: 1
; COMPUTE_PGM_RSRC2:TGID_Y_EN: 0
; COMPUTE_PGM_RSRC2:TGID_Z_EN: 0
; COMPUTE_PGM_RSRC2:TIDIG_COMP_CNT: 0
; COMPUTE_PGM_RSRC3_GFX90A:ACCUM_OFFSET: 21
; COMPUTE_PGM_RSRC3_GFX90A:TG_SPLIT: 0
	.section	.text._ZN7rocprim17ROCPRIM_400000_NS6detail17trampoline_kernelINS0_14default_configENS1_25partition_config_selectorILNS1_17partition_subalgoE8EN3c104HalfENS0_10empty_typeEbEEZZNS1_14partition_implILS5_8ELb0ES3_jPKS7_PS8_PKS8_NS0_5tupleIJPS7_S8_EEENSG_IJSD_SD_EEENS0_18inequality_wrapperIN6hipcub16HIPCUB_304000_NS8EqualityEEEPlJS8_EEE10hipError_tPvRmT3_T4_T5_T6_T7_T9_mT8_P12ihipStream_tbDpT10_ENKUlT_T0_E_clISt17integral_constantIbLb1EES19_EEDaS14_S15_EUlS14_E_NS1_11comp_targetILNS1_3genE3ELNS1_11target_archE908ELNS1_3gpuE7ELNS1_3repE0EEENS1_30default_config_static_selectorELNS0_4arch9wavefront6targetE1EEEvT1_,"axG",@progbits,_ZN7rocprim17ROCPRIM_400000_NS6detail17trampoline_kernelINS0_14default_configENS1_25partition_config_selectorILNS1_17partition_subalgoE8EN3c104HalfENS0_10empty_typeEbEEZZNS1_14partition_implILS5_8ELb0ES3_jPKS7_PS8_PKS8_NS0_5tupleIJPS7_S8_EEENSG_IJSD_SD_EEENS0_18inequality_wrapperIN6hipcub16HIPCUB_304000_NS8EqualityEEEPlJS8_EEE10hipError_tPvRmT3_T4_T5_T6_T7_T9_mT8_P12ihipStream_tbDpT10_ENKUlT_T0_E_clISt17integral_constantIbLb1EES19_EEDaS14_S15_EUlS14_E_NS1_11comp_targetILNS1_3genE3ELNS1_11target_archE908ELNS1_3gpuE7ELNS1_3repE0EEENS1_30default_config_static_selectorELNS0_4arch9wavefront6targetE1EEEvT1_,comdat
	.protected	_ZN7rocprim17ROCPRIM_400000_NS6detail17trampoline_kernelINS0_14default_configENS1_25partition_config_selectorILNS1_17partition_subalgoE8EN3c104HalfENS0_10empty_typeEbEEZZNS1_14partition_implILS5_8ELb0ES3_jPKS7_PS8_PKS8_NS0_5tupleIJPS7_S8_EEENSG_IJSD_SD_EEENS0_18inequality_wrapperIN6hipcub16HIPCUB_304000_NS8EqualityEEEPlJS8_EEE10hipError_tPvRmT3_T4_T5_T6_T7_T9_mT8_P12ihipStream_tbDpT10_ENKUlT_T0_E_clISt17integral_constantIbLb1EES19_EEDaS14_S15_EUlS14_E_NS1_11comp_targetILNS1_3genE3ELNS1_11target_archE908ELNS1_3gpuE7ELNS1_3repE0EEENS1_30default_config_static_selectorELNS0_4arch9wavefront6targetE1EEEvT1_ ; -- Begin function _ZN7rocprim17ROCPRIM_400000_NS6detail17trampoline_kernelINS0_14default_configENS1_25partition_config_selectorILNS1_17partition_subalgoE8EN3c104HalfENS0_10empty_typeEbEEZZNS1_14partition_implILS5_8ELb0ES3_jPKS7_PS8_PKS8_NS0_5tupleIJPS7_S8_EEENSG_IJSD_SD_EEENS0_18inequality_wrapperIN6hipcub16HIPCUB_304000_NS8EqualityEEEPlJS8_EEE10hipError_tPvRmT3_T4_T5_T6_T7_T9_mT8_P12ihipStream_tbDpT10_ENKUlT_T0_E_clISt17integral_constantIbLb1EES19_EEDaS14_S15_EUlS14_E_NS1_11comp_targetILNS1_3genE3ELNS1_11target_archE908ELNS1_3gpuE7ELNS1_3repE0EEENS1_30default_config_static_selectorELNS0_4arch9wavefront6targetE1EEEvT1_
	.globl	_ZN7rocprim17ROCPRIM_400000_NS6detail17trampoline_kernelINS0_14default_configENS1_25partition_config_selectorILNS1_17partition_subalgoE8EN3c104HalfENS0_10empty_typeEbEEZZNS1_14partition_implILS5_8ELb0ES3_jPKS7_PS8_PKS8_NS0_5tupleIJPS7_S8_EEENSG_IJSD_SD_EEENS0_18inequality_wrapperIN6hipcub16HIPCUB_304000_NS8EqualityEEEPlJS8_EEE10hipError_tPvRmT3_T4_T5_T6_T7_T9_mT8_P12ihipStream_tbDpT10_ENKUlT_T0_E_clISt17integral_constantIbLb1EES19_EEDaS14_S15_EUlS14_E_NS1_11comp_targetILNS1_3genE3ELNS1_11target_archE908ELNS1_3gpuE7ELNS1_3repE0EEENS1_30default_config_static_selectorELNS0_4arch9wavefront6targetE1EEEvT1_
	.p2align	8
	.type	_ZN7rocprim17ROCPRIM_400000_NS6detail17trampoline_kernelINS0_14default_configENS1_25partition_config_selectorILNS1_17partition_subalgoE8EN3c104HalfENS0_10empty_typeEbEEZZNS1_14partition_implILS5_8ELb0ES3_jPKS7_PS8_PKS8_NS0_5tupleIJPS7_S8_EEENSG_IJSD_SD_EEENS0_18inequality_wrapperIN6hipcub16HIPCUB_304000_NS8EqualityEEEPlJS8_EEE10hipError_tPvRmT3_T4_T5_T6_T7_T9_mT8_P12ihipStream_tbDpT10_ENKUlT_T0_E_clISt17integral_constantIbLb1EES19_EEDaS14_S15_EUlS14_E_NS1_11comp_targetILNS1_3genE3ELNS1_11target_archE908ELNS1_3gpuE7ELNS1_3repE0EEENS1_30default_config_static_selectorELNS0_4arch9wavefront6targetE1EEEvT1_,@function
_ZN7rocprim17ROCPRIM_400000_NS6detail17trampoline_kernelINS0_14default_configENS1_25partition_config_selectorILNS1_17partition_subalgoE8EN3c104HalfENS0_10empty_typeEbEEZZNS1_14partition_implILS5_8ELb0ES3_jPKS7_PS8_PKS8_NS0_5tupleIJPS7_S8_EEENSG_IJSD_SD_EEENS0_18inequality_wrapperIN6hipcub16HIPCUB_304000_NS8EqualityEEEPlJS8_EEE10hipError_tPvRmT3_T4_T5_T6_T7_T9_mT8_P12ihipStream_tbDpT10_ENKUlT_T0_E_clISt17integral_constantIbLb1EES19_EEDaS14_S15_EUlS14_E_NS1_11comp_targetILNS1_3genE3ELNS1_11target_archE908ELNS1_3gpuE7ELNS1_3repE0EEENS1_30default_config_static_selectorELNS0_4arch9wavefront6targetE1EEEvT1_: ; @_ZN7rocprim17ROCPRIM_400000_NS6detail17trampoline_kernelINS0_14default_configENS1_25partition_config_selectorILNS1_17partition_subalgoE8EN3c104HalfENS0_10empty_typeEbEEZZNS1_14partition_implILS5_8ELb0ES3_jPKS7_PS8_PKS8_NS0_5tupleIJPS7_S8_EEENSG_IJSD_SD_EEENS0_18inequality_wrapperIN6hipcub16HIPCUB_304000_NS8EqualityEEEPlJS8_EEE10hipError_tPvRmT3_T4_T5_T6_T7_T9_mT8_P12ihipStream_tbDpT10_ENKUlT_T0_E_clISt17integral_constantIbLb1EES19_EEDaS14_S15_EUlS14_E_NS1_11comp_targetILNS1_3genE3ELNS1_11target_archE908ELNS1_3gpuE7ELNS1_3repE0EEENS1_30default_config_static_selectorELNS0_4arch9wavefront6targetE1EEEvT1_
; %bb.0:
	.section	.rodata,"a",@progbits
	.p2align	6, 0x0
	.amdhsa_kernel _ZN7rocprim17ROCPRIM_400000_NS6detail17trampoline_kernelINS0_14default_configENS1_25partition_config_selectorILNS1_17partition_subalgoE8EN3c104HalfENS0_10empty_typeEbEEZZNS1_14partition_implILS5_8ELb0ES3_jPKS7_PS8_PKS8_NS0_5tupleIJPS7_S8_EEENSG_IJSD_SD_EEENS0_18inequality_wrapperIN6hipcub16HIPCUB_304000_NS8EqualityEEEPlJS8_EEE10hipError_tPvRmT3_T4_T5_T6_T7_T9_mT8_P12ihipStream_tbDpT10_ENKUlT_T0_E_clISt17integral_constantIbLb1EES19_EEDaS14_S15_EUlS14_E_NS1_11comp_targetILNS1_3genE3ELNS1_11target_archE908ELNS1_3gpuE7ELNS1_3repE0EEENS1_30default_config_static_selectorELNS0_4arch9wavefront6targetE1EEEvT1_
		.amdhsa_group_segment_fixed_size 0
		.amdhsa_private_segment_fixed_size 0
		.amdhsa_kernarg_size 128
		.amdhsa_user_sgpr_count 6
		.amdhsa_user_sgpr_private_segment_buffer 1
		.amdhsa_user_sgpr_dispatch_ptr 0
		.amdhsa_user_sgpr_queue_ptr 0
		.amdhsa_user_sgpr_kernarg_segment_ptr 1
		.amdhsa_user_sgpr_dispatch_id 0
		.amdhsa_user_sgpr_flat_scratch_init 0
		.amdhsa_user_sgpr_kernarg_preload_length 0
		.amdhsa_user_sgpr_kernarg_preload_offset 0
		.amdhsa_user_sgpr_private_segment_size 0
		.amdhsa_uses_dynamic_stack 0
		.amdhsa_system_sgpr_private_segment_wavefront_offset 0
		.amdhsa_system_sgpr_workgroup_id_x 1
		.amdhsa_system_sgpr_workgroup_id_y 0
		.amdhsa_system_sgpr_workgroup_id_z 0
		.amdhsa_system_sgpr_workgroup_info 0
		.amdhsa_system_vgpr_workitem_id 0
		.amdhsa_next_free_vgpr 1
		.amdhsa_next_free_sgpr 0
		.amdhsa_accum_offset 4
		.amdhsa_reserve_vcc 0
		.amdhsa_reserve_flat_scratch 0
		.amdhsa_float_round_mode_32 0
		.amdhsa_float_round_mode_16_64 0
		.amdhsa_float_denorm_mode_32 3
		.amdhsa_float_denorm_mode_16_64 3
		.amdhsa_dx10_clamp 1
		.amdhsa_ieee_mode 1
		.amdhsa_fp16_overflow 0
		.amdhsa_tg_split 0
		.amdhsa_exception_fp_ieee_invalid_op 0
		.amdhsa_exception_fp_denorm_src 0
		.amdhsa_exception_fp_ieee_div_zero 0
		.amdhsa_exception_fp_ieee_overflow 0
		.amdhsa_exception_fp_ieee_underflow 0
		.amdhsa_exception_fp_ieee_inexact 0
		.amdhsa_exception_int_div_zero 0
	.end_amdhsa_kernel
	.section	.text._ZN7rocprim17ROCPRIM_400000_NS6detail17trampoline_kernelINS0_14default_configENS1_25partition_config_selectorILNS1_17partition_subalgoE8EN3c104HalfENS0_10empty_typeEbEEZZNS1_14partition_implILS5_8ELb0ES3_jPKS7_PS8_PKS8_NS0_5tupleIJPS7_S8_EEENSG_IJSD_SD_EEENS0_18inequality_wrapperIN6hipcub16HIPCUB_304000_NS8EqualityEEEPlJS8_EEE10hipError_tPvRmT3_T4_T5_T6_T7_T9_mT8_P12ihipStream_tbDpT10_ENKUlT_T0_E_clISt17integral_constantIbLb1EES19_EEDaS14_S15_EUlS14_E_NS1_11comp_targetILNS1_3genE3ELNS1_11target_archE908ELNS1_3gpuE7ELNS1_3repE0EEENS1_30default_config_static_selectorELNS0_4arch9wavefront6targetE1EEEvT1_,"axG",@progbits,_ZN7rocprim17ROCPRIM_400000_NS6detail17trampoline_kernelINS0_14default_configENS1_25partition_config_selectorILNS1_17partition_subalgoE8EN3c104HalfENS0_10empty_typeEbEEZZNS1_14partition_implILS5_8ELb0ES3_jPKS7_PS8_PKS8_NS0_5tupleIJPS7_S8_EEENSG_IJSD_SD_EEENS0_18inequality_wrapperIN6hipcub16HIPCUB_304000_NS8EqualityEEEPlJS8_EEE10hipError_tPvRmT3_T4_T5_T6_T7_T9_mT8_P12ihipStream_tbDpT10_ENKUlT_T0_E_clISt17integral_constantIbLb1EES19_EEDaS14_S15_EUlS14_E_NS1_11comp_targetILNS1_3genE3ELNS1_11target_archE908ELNS1_3gpuE7ELNS1_3repE0EEENS1_30default_config_static_selectorELNS0_4arch9wavefront6targetE1EEEvT1_,comdat
.Lfunc_end904:
	.size	_ZN7rocprim17ROCPRIM_400000_NS6detail17trampoline_kernelINS0_14default_configENS1_25partition_config_selectorILNS1_17partition_subalgoE8EN3c104HalfENS0_10empty_typeEbEEZZNS1_14partition_implILS5_8ELb0ES3_jPKS7_PS8_PKS8_NS0_5tupleIJPS7_S8_EEENSG_IJSD_SD_EEENS0_18inequality_wrapperIN6hipcub16HIPCUB_304000_NS8EqualityEEEPlJS8_EEE10hipError_tPvRmT3_T4_T5_T6_T7_T9_mT8_P12ihipStream_tbDpT10_ENKUlT_T0_E_clISt17integral_constantIbLb1EES19_EEDaS14_S15_EUlS14_E_NS1_11comp_targetILNS1_3genE3ELNS1_11target_archE908ELNS1_3gpuE7ELNS1_3repE0EEENS1_30default_config_static_selectorELNS0_4arch9wavefront6targetE1EEEvT1_, .Lfunc_end904-_ZN7rocprim17ROCPRIM_400000_NS6detail17trampoline_kernelINS0_14default_configENS1_25partition_config_selectorILNS1_17partition_subalgoE8EN3c104HalfENS0_10empty_typeEbEEZZNS1_14partition_implILS5_8ELb0ES3_jPKS7_PS8_PKS8_NS0_5tupleIJPS7_S8_EEENSG_IJSD_SD_EEENS0_18inequality_wrapperIN6hipcub16HIPCUB_304000_NS8EqualityEEEPlJS8_EEE10hipError_tPvRmT3_T4_T5_T6_T7_T9_mT8_P12ihipStream_tbDpT10_ENKUlT_T0_E_clISt17integral_constantIbLb1EES19_EEDaS14_S15_EUlS14_E_NS1_11comp_targetILNS1_3genE3ELNS1_11target_archE908ELNS1_3gpuE7ELNS1_3repE0EEENS1_30default_config_static_selectorELNS0_4arch9wavefront6targetE1EEEvT1_
                                        ; -- End function
	.section	.AMDGPU.csdata,"",@progbits
; Kernel info:
; codeLenInByte = 0
; NumSgprs: 4
; NumVgprs: 0
; NumAgprs: 0
; TotalNumVgprs: 0
; ScratchSize: 0
; MemoryBound: 0
; FloatMode: 240
; IeeeMode: 1
; LDSByteSize: 0 bytes/workgroup (compile time only)
; SGPRBlocks: 0
; VGPRBlocks: 0
; NumSGPRsForWavesPerEU: 4
; NumVGPRsForWavesPerEU: 1
; AccumOffset: 4
; Occupancy: 8
; WaveLimiterHint : 0
; COMPUTE_PGM_RSRC2:SCRATCH_EN: 0
; COMPUTE_PGM_RSRC2:USER_SGPR: 6
; COMPUTE_PGM_RSRC2:TRAP_HANDLER: 0
; COMPUTE_PGM_RSRC2:TGID_X_EN: 1
; COMPUTE_PGM_RSRC2:TGID_Y_EN: 0
; COMPUTE_PGM_RSRC2:TGID_Z_EN: 0
; COMPUTE_PGM_RSRC2:TIDIG_COMP_CNT: 0
; COMPUTE_PGM_RSRC3_GFX90A:ACCUM_OFFSET: 0
; COMPUTE_PGM_RSRC3_GFX90A:TG_SPLIT: 0
	.section	.text._ZN7rocprim17ROCPRIM_400000_NS6detail17trampoline_kernelINS0_14default_configENS1_25partition_config_selectorILNS1_17partition_subalgoE8EN3c104HalfENS0_10empty_typeEbEEZZNS1_14partition_implILS5_8ELb0ES3_jPKS7_PS8_PKS8_NS0_5tupleIJPS7_S8_EEENSG_IJSD_SD_EEENS0_18inequality_wrapperIN6hipcub16HIPCUB_304000_NS8EqualityEEEPlJS8_EEE10hipError_tPvRmT3_T4_T5_T6_T7_T9_mT8_P12ihipStream_tbDpT10_ENKUlT_T0_E_clISt17integral_constantIbLb1EES19_EEDaS14_S15_EUlS14_E_NS1_11comp_targetILNS1_3genE2ELNS1_11target_archE906ELNS1_3gpuE6ELNS1_3repE0EEENS1_30default_config_static_selectorELNS0_4arch9wavefront6targetE1EEEvT1_,"axG",@progbits,_ZN7rocprim17ROCPRIM_400000_NS6detail17trampoline_kernelINS0_14default_configENS1_25partition_config_selectorILNS1_17partition_subalgoE8EN3c104HalfENS0_10empty_typeEbEEZZNS1_14partition_implILS5_8ELb0ES3_jPKS7_PS8_PKS8_NS0_5tupleIJPS7_S8_EEENSG_IJSD_SD_EEENS0_18inequality_wrapperIN6hipcub16HIPCUB_304000_NS8EqualityEEEPlJS8_EEE10hipError_tPvRmT3_T4_T5_T6_T7_T9_mT8_P12ihipStream_tbDpT10_ENKUlT_T0_E_clISt17integral_constantIbLb1EES19_EEDaS14_S15_EUlS14_E_NS1_11comp_targetILNS1_3genE2ELNS1_11target_archE906ELNS1_3gpuE6ELNS1_3repE0EEENS1_30default_config_static_selectorELNS0_4arch9wavefront6targetE1EEEvT1_,comdat
	.protected	_ZN7rocprim17ROCPRIM_400000_NS6detail17trampoline_kernelINS0_14default_configENS1_25partition_config_selectorILNS1_17partition_subalgoE8EN3c104HalfENS0_10empty_typeEbEEZZNS1_14partition_implILS5_8ELb0ES3_jPKS7_PS8_PKS8_NS0_5tupleIJPS7_S8_EEENSG_IJSD_SD_EEENS0_18inequality_wrapperIN6hipcub16HIPCUB_304000_NS8EqualityEEEPlJS8_EEE10hipError_tPvRmT3_T4_T5_T6_T7_T9_mT8_P12ihipStream_tbDpT10_ENKUlT_T0_E_clISt17integral_constantIbLb1EES19_EEDaS14_S15_EUlS14_E_NS1_11comp_targetILNS1_3genE2ELNS1_11target_archE906ELNS1_3gpuE6ELNS1_3repE0EEENS1_30default_config_static_selectorELNS0_4arch9wavefront6targetE1EEEvT1_ ; -- Begin function _ZN7rocprim17ROCPRIM_400000_NS6detail17trampoline_kernelINS0_14default_configENS1_25partition_config_selectorILNS1_17partition_subalgoE8EN3c104HalfENS0_10empty_typeEbEEZZNS1_14partition_implILS5_8ELb0ES3_jPKS7_PS8_PKS8_NS0_5tupleIJPS7_S8_EEENSG_IJSD_SD_EEENS0_18inequality_wrapperIN6hipcub16HIPCUB_304000_NS8EqualityEEEPlJS8_EEE10hipError_tPvRmT3_T4_T5_T6_T7_T9_mT8_P12ihipStream_tbDpT10_ENKUlT_T0_E_clISt17integral_constantIbLb1EES19_EEDaS14_S15_EUlS14_E_NS1_11comp_targetILNS1_3genE2ELNS1_11target_archE906ELNS1_3gpuE6ELNS1_3repE0EEENS1_30default_config_static_selectorELNS0_4arch9wavefront6targetE1EEEvT1_
	.globl	_ZN7rocprim17ROCPRIM_400000_NS6detail17trampoline_kernelINS0_14default_configENS1_25partition_config_selectorILNS1_17partition_subalgoE8EN3c104HalfENS0_10empty_typeEbEEZZNS1_14partition_implILS5_8ELb0ES3_jPKS7_PS8_PKS8_NS0_5tupleIJPS7_S8_EEENSG_IJSD_SD_EEENS0_18inequality_wrapperIN6hipcub16HIPCUB_304000_NS8EqualityEEEPlJS8_EEE10hipError_tPvRmT3_T4_T5_T6_T7_T9_mT8_P12ihipStream_tbDpT10_ENKUlT_T0_E_clISt17integral_constantIbLb1EES19_EEDaS14_S15_EUlS14_E_NS1_11comp_targetILNS1_3genE2ELNS1_11target_archE906ELNS1_3gpuE6ELNS1_3repE0EEENS1_30default_config_static_selectorELNS0_4arch9wavefront6targetE1EEEvT1_
	.p2align	8
	.type	_ZN7rocprim17ROCPRIM_400000_NS6detail17trampoline_kernelINS0_14default_configENS1_25partition_config_selectorILNS1_17partition_subalgoE8EN3c104HalfENS0_10empty_typeEbEEZZNS1_14partition_implILS5_8ELb0ES3_jPKS7_PS8_PKS8_NS0_5tupleIJPS7_S8_EEENSG_IJSD_SD_EEENS0_18inequality_wrapperIN6hipcub16HIPCUB_304000_NS8EqualityEEEPlJS8_EEE10hipError_tPvRmT3_T4_T5_T6_T7_T9_mT8_P12ihipStream_tbDpT10_ENKUlT_T0_E_clISt17integral_constantIbLb1EES19_EEDaS14_S15_EUlS14_E_NS1_11comp_targetILNS1_3genE2ELNS1_11target_archE906ELNS1_3gpuE6ELNS1_3repE0EEENS1_30default_config_static_selectorELNS0_4arch9wavefront6targetE1EEEvT1_,@function
_ZN7rocprim17ROCPRIM_400000_NS6detail17trampoline_kernelINS0_14default_configENS1_25partition_config_selectorILNS1_17partition_subalgoE8EN3c104HalfENS0_10empty_typeEbEEZZNS1_14partition_implILS5_8ELb0ES3_jPKS7_PS8_PKS8_NS0_5tupleIJPS7_S8_EEENSG_IJSD_SD_EEENS0_18inequality_wrapperIN6hipcub16HIPCUB_304000_NS8EqualityEEEPlJS8_EEE10hipError_tPvRmT3_T4_T5_T6_T7_T9_mT8_P12ihipStream_tbDpT10_ENKUlT_T0_E_clISt17integral_constantIbLb1EES19_EEDaS14_S15_EUlS14_E_NS1_11comp_targetILNS1_3genE2ELNS1_11target_archE906ELNS1_3gpuE6ELNS1_3repE0EEENS1_30default_config_static_selectorELNS0_4arch9wavefront6targetE1EEEvT1_: ; @_ZN7rocprim17ROCPRIM_400000_NS6detail17trampoline_kernelINS0_14default_configENS1_25partition_config_selectorILNS1_17partition_subalgoE8EN3c104HalfENS0_10empty_typeEbEEZZNS1_14partition_implILS5_8ELb0ES3_jPKS7_PS8_PKS8_NS0_5tupleIJPS7_S8_EEENSG_IJSD_SD_EEENS0_18inequality_wrapperIN6hipcub16HIPCUB_304000_NS8EqualityEEEPlJS8_EEE10hipError_tPvRmT3_T4_T5_T6_T7_T9_mT8_P12ihipStream_tbDpT10_ENKUlT_T0_E_clISt17integral_constantIbLb1EES19_EEDaS14_S15_EUlS14_E_NS1_11comp_targetILNS1_3genE2ELNS1_11target_archE906ELNS1_3gpuE6ELNS1_3repE0EEENS1_30default_config_static_selectorELNS0_4arch9wavefront6targetE1EEEvT1_
; %bb.0:
	.section	.rodata,"a",@progbits
	.p2align	6, 0x0
	.amdhsa_kernel _ZN7rocprim17ROCPRIM_400000_NS6detail17trampoline_kernelINS0_14default_configENS1_25partition_config_selectorILNS1_17partition_subalgoE8EN3c104HalfENS0_10empty_typeEbEEZZNS1_14partition_implILS5_8ELb0ES3_jPKS7_PS8_PKS8_NS0_5tupleIJPS7_S8_EEENSG_IJSD_SD_EEENS0_18inequality_wrapperIN6hipcub16HIPCUB_304000_NS8EqualityEEEPlJS8_EEE10hipError_tPvRmT3_T4_T5_T6_T7_T9_mT8_P12ihipStream_tbDpT10_ENKUlT_T0_E_clISt17integral_constantIbLb1EES19_EEDaS14_S15_EUlS14_E_NS1_11comp_targetILNS1_3genE2ELNS1_11target_archE906ELNS1_3gpuE6ELNS1_3repE0EEENS1_30default_config_static_selectorELNS0_4arch9wavefront6targetE1EEEvT1_
		.amdhsa_group_segment_fixed_size 0
		.amdhsa_private_segment_fixed_size 0
		.amdhsa_kernarg_size 128
		.amdhsa_user_sgpr_count 6
		.amdhsa_user_sgpr_private_segment_buffer 1
		.amdhsa_user_sgpr_dispatch_ptr 0
		.amdhsa_user_sgpr_queue_ptr 0
		.amdhsa_user_sgpr_kernarg_segment_ptr 1
		.amdhsa_user_sgpr_dispatch_id 0
		.amdhsa_user_sgpr_flat_scratch_init 0
		.amdhsa_user_sgpr_kernarg_preload_length 0
		.amdhsa_user_sgpr_kernarg_preload_offset 0
		.amdhsa_user_sgpr_private_segment_size 0
		.amdhsa_uses_dynamic_stack 0
		.amdhsa_system_sgpr_private_segment_wavefront_offset 0
		.amdhsa_system_sgpr_workgroup_id_x 1
		.amdhsa_system_sgpr_workgroup_id_y 0
		.amdhsa_system_sgpr_workgroup_id_z 0
		.amdhsa_system_sgpr_workgroup_info 0
		.amdhsa_system_vgpr_workitem_id 0
		.amdhsa_next_free_vgpr 1
		.amdhsa_next_free_sgpr 0
		.amdhsa_accum_offset 4
		.amdhsa_reserve_vcc 0
		.amdhsa_reserve_flat_scratch 0
		.amdhsa_float_round_mode_32 0
		.amdhsa_float_round_mode_16_64 0
		.amdhsa_float_denorm_mode_32 3
		.amdhsa_float_denorm_mode_16_64 3
		.amdhsa_dx10_clamp 1
		.amdhsa_ieee_mode 1
		.amdhsa_fp16_overflow 0
		.amdhsa_tg_split 0
		.amdhsa_exception_fp_ieee_invalid_op 0
		.amdhsa_exception_fp_denorm_src 0
		.amdhsa_exception_fp_ieee_div_zero 0
		.amdhsa_exception_fp_ieee_overflow 0
		.amdhsa_exception_fp_ieee_underflow 0
		.amdhsa_exception_fp_ieee_inexact 0
		.amdhsa_exception_int_div_zero 0
	.end_amdhsa_kernel
	.section	.text._ZN7rocprim17ROCPRIM_400000_NS6detail17trampoline_kernelINS0_14default_configENS1_25partition_config_selectorILNS1_17partition_subalgoE8EN3c104HalfENS0_10empty_typeEbEEZZNS1_14partition_implILS5_8ELb0ES3_jPKS7_PS8_PKS8_NS0_5tupleIJPS7_S8_EEENSG_IJSD_SD_EEENS0_18inequality_wrapperIN6hipcub16HIPCUB_304000_NS8EqualityEEEPlJS8_EEE10hipError_tPvRmT3_T4_T5_T6_T7_T9_mT8_P12ihipStream_tbDpT10_ENKUlT_T0_E_clISt17integral_constantIbLb1EES19_EEDaS14_S15_EUlS14_E_NS1_11comp_targetILNS1_3genE2ELNS1_11target_archE906ELNS1_3gpuE6ELNS1_3repE0EEENS1_30default_config_static_selectorELNS0_4arch9wavefront6targetE1EEEvT1_,"axG",@progbits,_ZN7rocprim17ROCPRIM_400000_NS6detail17trampoline_kernelINS0_14default_configENS1_25partition_config_selectorILNS1_17partition_subalgoE8EN3c104HalfENS0_10empty_typeEbEEZZNS1_14partition_implILS5_8ELb0ES3_jPKS7_PS8_PKS8_NS0_5tupleIJPS7_S8_EEENSG_IJSD_SD_EEENS0_18inequality_wrapperIN6hipcub16HIPCUB_304000_NS8EqualityEEEPlJS8_EEE10hipError_tPvRmT3_T4_T5_T6_T7_T9_mT8_P12ihipStream_tbDpT10_ENKUlT_T0_E_clISt17integral_constantIbLb1EES19_EEDaS14_S15_EUlS14_E_NS1_11comp_targetILNS1_3genE2ELNS1_11target_archE906ELNS1_3gpuE6ELNS1_3repE0EEENS1_30default_config_static_selectorELNS0_4arch9wavefront6targetE1EEEvT1_,comdat
.Lfunc_end905:
	.size	_ZN7rocprim17ROCPRIM_400000_NS6detail17trampoline_kernelINS0_14default_configENS1_25partition_config_selectorILNS1_17partition_subalgoE8EN3c104HalfENS0_10empty_typeEbEEZZNS1_14partition_implILS5_8ELb0ES3_jPKS7_PS8_PKS8_NS0_5tupleIJPS7_S8_EEENSG_IJSD_SD_EEENS0_18inequality_wrapperIN6hipcub16HIPCUB_304000_NS8EqualityEEEPlJS8_EEE10hipError_tPvRmT3_T4_T5_T6_T7_T9_mT8_P12ihipStream_tbDpT10_ENKUlT_T0_E_clISt17integral_constantIbLb1EES19_EEDaS14_S15_EUlS14_E_NS1_11comp_targetILNS1_3genE2ELNS1_11target_archE906ELNS1_3gpuE6ELNS1_3repE0EEENS1_30default_config_static_selectorELNS0_4arch9wavefront6targetE1EEEvT1_, .Lfunc_end905-_ZN7rocprim17ROCPRIM_400000_NS6detail17trampoline_kernelINS0_14default_configENS1_25partition_config_selectorILNS1_17partition_subalgoE8EN3c104HalfENS0_10empty_typeEbEEZZNS1_14partition_implILS5_8ELb0ES3_jPKS7_PS8_PKS8_NS0_5tupleIJPS7_S8_EEENSG_IJSD_SD_EEENS0_18inequality_wrapperIN6hipcub16HIPCUB_304000_NS8EqualityEEEPlJS8_EEE10hipError_tPvRmT3_T4_T5_T6_T7_T9_mT8_P12ihipStream_tbDpT10_ENKUlT_T0_E_clISt17integral_constantIbLb1EES19_EEDaS14_S15_EUlS14_E_NS1_11comp_targetILNS1_3genE2ELNS1_11target_archE906ELNS1_3gpuE6ELNS1_3repE0EEENS1_30default_config_static_selectorELNS0_4arch9wavefront6targetE1EEEvT1_
                                        ; -- End function
	.section	.AMDGPU.csdata,"",@progbits
; Kernel info:
; codeLenInByte = 0
; NumSgprs: 4
; NumVgprs: 0
; NumAgprs: 0
; TotalNumVgprs: 0
; ScratchSize: 0
; MemoryBound: 0
; FloatMode: 240
; IeeeMode: 1
; LDSByteSize: 0 bytes/workgroup (compile time only)
; SGPRBlocks: 0
; VGPRBlocks: 0
; NumSGPRsForWavesPerEU: 4
; NumVGPRsForWavesPerEU: 1
; AccumOffset: 4
; Occupancy: 8
; WaveLimiterHint : 0
; COMPUTE_PGM_RSRC2:SCRATCH_EN: 0
; COMPUTE_PGM_RSRC2:USER_SGPR: 6
; COMPUTE_PGM_RSRC2:TRAP_HANDLER: 0
; COMPUTE_PGM_RSRC2:TGID_X_EN: 1
; COMPUTE_PGM_RSRC2:TGID_Y_EN: 0
; COMPUTE_PGM_RSRC2:TGID_Z_EN: 0
; COMPUTE_PGM_RSRC2:TIDIG_COMP_CNT: 0
; COMPUTE_PGM_RSRC3_GFX90A:ACCUM_OFFSET: 0
; COMPUTE_PGM_RSRC3_GFX90A:TG_SPLIT: 0
	.section	.text._ZN7rocprim17ROCPRIM_400000_NS6detail17trampoline_kernelINS0_14default_configENS1_25partition_config_selectorILNS1_17partition_subalgoE8EN3c104HalfENS0_10empty_typeEbEEZZNS1_14partition_implILS5_8ELb0ES3_jPKS7_PS8_PKS8_NS0_5tupleIJPS7_S8_EEENSG_IJSD_SD_EEENS0_18inequality_wrapperIN6hipcub16HIPCUB_304000_NS8EqualityEEEPlJS8_EEE10hipError_tPvRmT3_T4_T5_T6_T7_T9_mT8_P12ihipStream_tbDpT10_ENKUlT_T0_E_clISt17integral_constantIbLb1EES19_EEDaS14_S15_EUlS14_E_NS1_11comp_targetILNS1_3genE10ELNS1_11target_archE1200ELNS1_3gpuE4ELNS1_3repE0EEENS1_30default_config_static_selectorELNS0_4arch9wavefront6targetE1EEEvT1_,"axG",@progbits,_ZN7rocprim17ROCPRIM_400000_NS6detail17trampoline_kernelINS0_14default_configENS1_25partition_config_selectorILNS1_17partition_subalgoE8EN3c104HalfENS0_10empty_typeEbEEZZNS1_14partition_implILS5_8ELb0ES3_jPKS7_PS8_PKS8_NS0_5tupleIJPS7_S8_EEENSG_IJSD_SD_EEENS0_18inequality_wrapperIN6hipcub16HIPCUB_304000_NS8EqualityEEEPlJS8_EEE10hipError_tPvRmT3_T4_T5_T6_T7_T9_mT8_P12ihipStream_tbDpT10_ENKUlT_T0_E_clISt17integral_constantIbLb1EES19_EEDaS14_S15_EUlS14_E_NS1_11comp_targetILNS1_3genE10ELNS1_11target_archE1200ELNS1_3gpuE4ELNS1_3repE0EEENS1_30default_config_static_selectorELNS0_4arch9wavefront6targetE1EEEvT1_,comdat
	.protected	_ZN7rocprim17ROCPRIM_400000_NS6detail17trampoline_kernelINS0_14default_configENS1_25partition_config_selectorILNS1_17partition_subalgoE8EN3c104HalfENS0_10empty_typeEbEEZZNS1_14partition_implILS5_8ELb0ES3_jPKS7_PS8_PKS8_NS0_5tupleIJPS7_S8_EEENSG_IJSD_SD_EEENS0_18inequality_wrapperIN6hipcub16HIPCUB_304000_NS8EqualityEEEPlJS8_EEE10hipError_tPvRmT3_T4_T5_T6_T7_T9_mT8_P12ihipStream_tbDpT10_ENKUlT_T0_E_clISt17integral_constantIbLb1EES19_EEDaS14_S15_EUlS14_E_NS1_11comp_targetILNS1_3genE10ELNS1_11target_archE1200ELNS1_3gpuE4ELNS1_3repE0EEENS1_30default_config_static_selectorELNS0_4arch9wavefront6targetE1EEEvT1_ ; -- Begin function _ZN7rocprim17ROCPRIM_400000_NS6detail17trampoline_kernelINS0_14default_configENS1_25partition_config_selectorILNS1_17partition_subalgoE8EN3c104HalfENS0_10empty_typeEbEEZZNS1_14partition_implILS5_8ELb0ES3_jPKS7_PS8_PKS8_NS0_5tupleIJPS7_S8_EEENSG_IJSD_SD_EEENS0_18inequality_wrapperIN6hipcub16HIPCUB_304000_NS8EqualityEEEPlJS8_EEE10hipError_tPvRmT3_T4_T5_T6_T7_T9_mT8_P12ihipStream_tbDpT10_ENKUlT_T0_E_clISt17integral_constantIbLb1EES19_EEDaS14_S15_EUlS14_E_NS1_11comp_targetILNS1_3genE10ELNS1_11target_archE1200ELNS1_3gpuE4ELNS1_3repE0EEENS1_30default_config_static_selectorELNS0_4arch9wavefront6targetE1EEEvT1_
	.globl	_ZN7rocprim17ROCPRIM_400000_NS6detail17trampoline_kernelINS0_14default_configENS1_25partition_config_selectorILNS1_17partition_subalgoE8EN3c104HalfENS0_10empty_typeEbEEZZNS1_14partition_implILS5_8ELb0ES3_jPKS7_PS8_PKS8_NS0_5tupleIJPS7_S8_EEENSG_IJSD_SD_EEENS0_18inequality_wrapperIN6hipcub16HIPCUB_304000_NS8EqualityEEEPlJS8_EEE10hipError_tPvRmT3_T4_T5_T6_T7_T9_mT8_P12ihipStream_tbDpT10_ENKUlT_T0_E_clISt17integral_constantIbLb1EES19_EEDaS14_S15_EUlS14_E_NS1_11comp_targetILNS1_3genE10ELNS1_11target_archE1200ELNS1_3gpuE4ELNS1_3repE0EEENS1_30default_config_static_selectorELNS0_4arch9wavefront6targetE1EEEvT1_
	.p2align	8
	.type	_ZN7rocprim17ROCPRIM_400000_NS6detail17trampoline_kernelINS0_14default_configENS1_25partition_config_selectorILNS1_17partition_subalgoE8EN3c104HalfENS0_10empty_typeEbEEZZNS1_14partition_implILS5_8ELb0ES3_jPKS7_PS8_PKS8_NS0_5tupleIJPS7_S8_EEENSG_IJSD_SD_EEENS0_18inequality_wrapperIN6hipcub16HIPCUB_304000_NS8EqualityEEEPlJS8_EEE10hipError_tPvRmT3_T4_T5_T6_T7_T9_mT8_P12ihipStream_tbDpT10_ENKUlT_T0_E_clISt17integral_constantIbLb1EES19_EEDaS14_S15_EUlS14_E_NS1_11comp_targetILNS1_3genE10ELNS1_11target_archE1200ELNS1_3gpuE4ELNS1_3repE0EEENS1_30default_config_static_selectorELNS0_4arch9wavefront6targetE1EEEvT1_,@function
_ZN7rocprim17ROCPRIM_400000_NS6detail17trampoline_kernelINS0_14default_configENS1_25partition_config_selectorILNS1_17partition_subalgoE8EN3c104HalfENS0_10empty_typeEbEEZZNS1_14partition_implILS5_8ELb0ES3_jPKS7_PS8_PKS8_NS0_5tupleIJPS7_S8_EEENSG_IJSD_SD_EEENS0_18inequality_wrapperIN6hipcub16HIPCUB_304000_NS8EqualityEEEPlJS8_EEE10hipError_tPvRmT3_T4_T5_T6_T7_T9_mT8_P12ihipStream_tbDpT10_ENKUlT_T0_E_clISt17integral_constantIbLb1EES19_EEDaS14_S15_EUlS14_E_NS1_11comp_targetILNS1_3genE10ELNS1_11target_archE1200ELNS1_3gpuE4ELNS1_3repE0EEENS1_30default_config_static_selectorELNS0_4arch9wavefront6targetE1EEEvT1_: ; @_ZN7rocprim17ROCPRIM_400000_NS6detail17trampoline_kernelINS0_14default_configENS1_25partition_config_selectorILNS1_17partition_subalgoE8EN3c104HalfENS0_10empty_typeEbEEZZNS1_14partition_implILS5_8ELb0ES3_jPKS7_PS8_PKS8_NS0_5tupleIJPS7_S8_EEENSG_IJSD_SD_EEENS0_18inequality_wrapperIN6hipcub16HIPCUB_304000_NS8EqualityEEEPlJS8_EEE10hipError_tPvRmT3_T4_T5_T6_T7_T9_mT8_P12ihipStream_tbDpT10_ENKUlT_T0_E_clISt17integral_constantIbLb1EES19_EEDaS14_S15_EUlS14_E_NS1_11comp_targetILNS1_3genE10ELNS1_11target_archE1200ELNS1_3gpuE4ELNS1_3repE0EEENS1_30default_config_static_selectorELNS0_4arch9wavefront6targetE1EEEvT1_
; %bb.0:
	.section	.rodata,"a",@progbits
	.p2align	6, 0x0
	.amdhsa_kernel _ZN7rocprim17ROCPRIM_400000_NS6detail17trampoline_kernelINS0_14default_configENS1_25partition_config_selectorILNS1_17partition_subalgoE8EN3c104HalfENS0_10empty_typeEbEEZZNS1_14partition_implILS5_8ELb0ES3_jPKS7_PS8_PKS8_NS0_5tupleIJPS7_S8_EEENSG_IJSD_SD_EEENS0_18inequality_wrapperIN6hipcub16HIPCUB_304000_NS8EqualityEEEPlJS8_EEE10hipError_tPvRmT3_T4_T5_T6_T7_T9_mT8_P12ihipStream_tbDpT10_ENKUlT_T0_E_clISt17integral_constantIbLb1EES19_EEDaS14_S15_EUlS14_E_NS1_11comp_targetILNS1_3genE10ELNS1_11target_archE1200ELNS1_3gpuE4ELNS1_3repE0EEENS1_30default_config_static_selectorELNS0_4arch9wavefront6targetE1EEEvT1_
		.amdhsa_group_segment_fixed_size 0
		.amdhsa_private_segment_fixed_size 0
		.amdhsa_kernarg_size 128
		.amdhsa_user_sgpr_count 6
		.amdhsa_user_sgpr_private_segment_buffer 1
		.amdhsa_user_sgpr_dispatch_ptr 0
		.amdhsa_user_sgpr_queue_ptr 0
		.amdhsa_user_sgpr_kernarg_segment_ptr 1
		.amdhsa_user_sgpr_dispatch_id 0
		.amdhsa_user_sgpr_flat_scratch_init 0
		.amdhsa_user_sgpr_kernarg_preload_length 0
		.amdhsa_user_sgpr_kernarg_preload_offset 0
		.amdhsa_user_sgpr_private_segment_size 0
		.amdhsa_uses_dynamic_stack 0
		.amdhsa_system_sgpr_private_segment_wavefront_offset 0
		.amdhsa_system_sgpr_workgroup_id_x 1
		.amdhsa_system_sgpr_workgroup_id_y 0
		.amdhsa_system_sgpr_workgroup_id_z 0
		.amdhsa_system_sgpr_workgroup_info 0
		.amdhsa_system_vgpr_workitem_id 0
		.amdhsa_next_free_vgpr 1
		.amdhsa_next_free_sgpr 0
		.amdhsa_accum_offset 4
		.amdhsa_reserve_vcc 0
		.amdhsa_reserve_flat_scratch 0
		.amdhsa_float_round_mode_32 0
		.amdhsa_float_round_mode_16_64 0
		.amdhsa_float_denorm_mode_32 3
		.amdhsa_float_denorm_mode_16_64 3
		.amdhsa_dx10_clamp 1
		.amdhsa_ieee_mode 1
		.amdhsa_fp16_overflow 0
		.amdhsa_tg_split 0
		.amdhsa_exception_fp_ieee_invalid_op 0
		.amdhsa_exception_fp_denorm_src 0
		.amdhsa_exception_fp_ieee_div_zero 0
		.amdhsa_exception_fp_ieee_overflow 0
		.amdhsa_exception_fp_ieee_underflow 0
		.amdhsa_exception_fp_ieee_inexact 0
		.amdhsa_exception_int_div_zero 0
	.end_amdhsa_kernel
	.section	.text._ZN7rocprim17ROCPRIM_400000_NS6detail17trampoline_kernelINS0_14default_configENS1_25partition_config_selectorILNS1_17partition_subalgoE8EN3c104HalfENS0_10empty_typeEbEEZZNS1_14partition_implILS5_8ELb0ES3_jPKS7_PS8_PKS8_NS0_5tupleIJPS7_S8_EEENSG_IJSD_SD_EEENS0_18inequality_wrapperIN6hipcub16HIPCUB_304000_NS8EqualityEEEPlJS8_EEE10hipError_tPvRmT3_T4_T5_T6_T7_T9_mT8_P12ihipStream_tbDpT10_ENKUlT_T0_E_clISt17integral_constantIbLb1EES19_EEDaS14_S15_EUlS14_E_NS1_11comp_targetILNS1_3genE10ELNS1_11target_archE1200ELNS1_3gpuE4ELNS1_3repE0EEENS1_30default_config_static_selectorELNS0_4arch9wavefront6targetE1EEEvT1_,"axG",@progbits,_ZN7rocprim17ROCPRIM_400000_NS6detail17trampoline_kernelINS0_14default_configENS1_25partition_config_selectorILNS1_17partition_subalgoE8EN3c104HalfENS0_10empty_typeEbEEZZNS1_14partition_implILS5_8ELb0ES3_jPKS7_PS8_PKS8_NS0_5tupleIJPS7_S8_EEENSG_IJSD_SD_EEENS0_18inequality_wrapperIN6hipcub16HIPCUB_304000_NS8EqualityEEEPlJS8_EEE10hipError_tPvRmT3_T4_T5_T6_T7_T9_mT8_P12ihipStream_tbDpT10_ENKUlT_T0_E_clISt17integral_constantIbLb1EES19_EEDaS14_S15_EUlS14_E_NS1_11comp_targetILNS1_3genE10ELNS1_11target_archE1200ELNS1_3gpuE4ELNS1_3repE0EEENS1_30default_config_static_selectorELNS0_4arch9wavefront6targetE1EEEvT1_,comdat
.Lfunc_end906:
	.size	_ZN7rocprim17ROCPRIM_400000_NS6detail17trampoline_kernelINS0_14default_configENS1_25partition_config_selectorILNS1_17partition_subalgoE8EN3c104HalfENS0_10empty_typeEbEEZZNS1_14partition_implILS5_8ELb0ES3_jPKS7_PS8_PKS8_NS0_5tupleIJPS7_S8_EEENSG_IJSD_SD_EEENS0_18inequality_wrapperIN6hipcub16HIPCUB_304000_NS8EqualityEEEPlJS8_EEE10hipError_tPvRmT3_T4_T5_T6_T7_T9_mT8_P12ihipStream_tbDpT10_ENKUlT_T0_E_clISt17integral_constantIbLb1EES19_EEDaS14_S15_EUlS14_E_NS1_11comp_targetILNS1_3genE10ELNS1_11target_archE1200ELNS1_3gpuE4ELNS1_3repE0EEENS1_30default_config_static_selectorELNS0_4arch9wavefront6targetE1EEEvT1_, .Lfunc_end906-_ZN7rocprim17ROCPRIM_400000_NS6detail17trampoline_kernelINS0_14default_configENS1_25partition_config_selectorILNS1_17partition_subalgoE8EN3c104HalfENS0_10empty_typeEbEEZZNS1_14partition_implILS5_8ELb0ES3_jPKS7_PS8_PKS8_NS0_5tupleIJPS7_S8_EEENSG_IJSD_SD_EEENS0_18inequality_wrapperIN6hipcub16HIPCUB_304000_NS8EqualityEEEPlJS8_EEE10hipError_tPvRmT3_T4_T5_T6_T7_T9_mT8_P12ihipStream_tbDpT10_ENKUlT_T0_E_clISt17integral_constantIbLb1EES19_EEDaS14_S15_EUlS14_E_NS1_11comp_targetILNS1_3genE10ELNS1_11target_archE1200ELNS1_3gpuE4ELNS1_3repE0EEENS1_30default_config_static_selectorELNS0_4arch9wavefront6targetE1EEEvT1_
                                        ; -- End function
	.section	.AMDGPU.csdata,"",@progbits
; Kernel info:
; codeLenInByte = 0
; NumSgprs: 4
; NumVgprs: 0
; NumAgprs: 0
; TotalNumVgprs: 0
; ScratchSize: 0
; MemoryBound: 0
; FloatMode: 240
; IeeeMode: 1
; LDSByteSize: 0 bytes/workgroup (compile time only)
; SGPRBlocks: 0
; VGPRBlocks: 0
; NumSGPRsForWavesPerEU: 4
; NumVGPRsForWavesPerEU: 1
; AccumOffset: 4
; Occupancy: 8
; WaveLimiterHint : 0
; COMPUTE_PGM_RSRC2:SCRATCH_EN: 0
; COMPUTE_PGM_RSRC2:USER_SGPR: 6
; COMPUTE_PGM_RSRC2:TRAP_HANDLER: 0
; COMPUTE_PGM_RSRC2:TGID_X_EN: 1
; COMPUTE_PGM_RSRC2:TGID_Y_EN: 0
; COMPUTE_PGM_RSRC2:TGID_Z_EN: 0
; COMPUTE_PGM_RSRC2:TIDIG_COMP_CNT: 0
; COMPUTE_PGM_RSRC3_GFX90A:ACCUM_OFFSET: 0
; COMPUTE_PGM_RSRC3_GFX90A:TG_SPLIT: 0
	.section	.text._ZN7rocprim17ROCPRIM_400000_NS6detail17trampoline_kernelINS0_14default_configENS1_25partition_config_selectorILNS1_17partition_subalgoE8EN3c104HalfENS0_10empty_typeEbEEZZNS1_14partition_implILS5_8ELb0ES3_jPKS7_PS8_PKS8_NS0_5tupleIJPS7_S8_EEENSG_IJSD_SD_EEENS0_18inequality_wrapperIN6hipcub16HIPCUB_304000_NS8EqualityEEEPlJS8_EEE10hipError_tPvRmT3_T4_T5_T6_T7_T9_mT8_P12ihipStream_tbDpT10_ENKUlT_T0_E_clISt17integral_constantIbLb1EES19_EEDaS14_S15_EUlS14_E_NS1_11comp_targetILNS1_3genE9ELNS1_11target_archE1100ELNS1_3gpuE3ELNS1_3repE0EEENS1_30default_config_static_selectorELNS0_4arch9wavefront6targetE1EEEvT1_,"axG",@progbits,_ZN7rocprim17ROCPRIM_400000_NS6detail17trampoline_kernelINS0_14default_configENS1_25partition_config_selectorILNS1_17partition_subalgoE8EN3c104HalfENS0_10empty_typeEbEEZZNS1_14partition_implILS5_8ELb0ES3_jPKS7_PS8_PKS8_NS0_5tupleIJPS7_S8_EEENSG_IJSD_SD_EEENS0_18inequality_wrapperIN6hipcub16HIPCUB_304000_NS8EqualityEEEPlJS8_EEE10hipError_tPvRmT3_T4_T5_T6_T7_T9_mT8_P12ihipStream_tbDpT10_ENKUlT_T0_E_clISt17integral_constantIbLb1EES19_EEDaS14_S15_EUlS14_E_NS1_11comp_targetILNS1_3genE9ELNS1_11target_archE1100ELNS1_3gpuE3ELNS1_3repE0EEENS1_30default_config_static_selectorELNS0_4arch9wavefront6targetE1EEEvT1_,comdat
	.protected	_ZN7rocprim17ROCPRIM_400000_NS6detail17trampoline_kernelINS0_14default_configENS1_25partition_config_selectorILNS1_17partition_subalgoE8EN3c104HalfENS0_10empty_typeEbEEZZNS1_14partition_implILS5_8ELb0ES3_jPKS7_PS8_PKS8_NS0_5tupleIJPS7_S8_EEENSG_IJSD_SD_EEENS0_18inequality_wrapperIN6hipcub16HIPCUB_304000_NS8EqualityEEEPlJS8_EEE10hipError_tPvRmT3_T4_T5_T6_T7_T9_mT8_P12ihipStream_tbDpT10_ENKUlT_T0_E_clISt17integral_constantIbLb1EES19_EEDaS14_S15_EUlS14_E_NS1_11comp_targetILNS1_3genE9ELNS1_11target_archE1100ELNS1_3gpuE3ELNS1_3repE0EEENS1_30default_config_static_selectorELNS0_4arch9wavefront6targetE1EEEvT1_ ; -- Begin function _ZN7rocprim17ROCPRIM_400000_NS6detail17trampoline_kernelINS0_14default_configENS1_25partition_config_selectorILNS1_17partition_subalgoE8EN3c104HalfENS0_10empty_typeEbEEZZNS1_14partition_implILS5_8ELb0ES3_jPKS7_PS8_PKS8_NS0_5tupleIJPS7_S8_EEENSG_IJSD_SD_EEENS0_18inequality_wrapperIN6hipcub16HIPCUB_304000_NS8EqualityEEEPlJS8_EEE10hipError_tPvRmT3_T4_T5_T6_T7_T9_mT8_P12ihipStream_tbDpT10_ENKUlT_T0_E_clISt17integral_constantIbLb1EES19_EEDaS14_S15_EUlS14_E_NS1_11comp_targetILNS1_3genE9ELNS1_11target_archE1100ELNS1_3gpuE3ELNS1_3repE0EEENS1_30default_config_static_selectorELNS0_4arch9wavefront6targetE1EEEvT1_
	.globl	_ZN7rocprim17ROCPRIM_400000_NS6detail17trampoline_kernelINS0_14default_configENS1_25partition_config_selectorILNS1_17partition_subalgoE8EN3c104HalfENS0_10empty_typeEbEEZZNS1_14partition_implILS5_8ELb0ES3_jPKS7_PS8_PKS8_NS0_5tupleIJPS7_S8_EEENSG_IJSD_SD_EEENS0_18inequality_wrapperIN6hipcub16HIPCUB_304000_NS8EqualityEEEPlJS8_EEE10hipError_tPvRmT3_T4_T5_T6_T7_T9_mT8_P12ihipStream_tbDpT10_ENKUlT_T0_E_clISt17integral_constantIbLb1EES19_EEDaS14_S15_EUlS14_E_NS1_11comp_targetILNS1_3genE9ELNS1_11target_archE1100ELNS1_3gpuE3ELNS1_3repE0EEENS1_30default_config_static_selectorELNS0_4arch9wavefront6targetE1EEEvT1_
	.p2align	8
	.type	_ZN7rocprim17ROCPRIM_400000_NS6detail17trampoline_kernelINS0_14default_configENS1_25partition_config_selectorILNS1_17partition_subalgoE8EN3c104HalfENS0_10empty_typeEbEEZZNS1_14partition_implILS5_8ELb0ES3_jPKS7_PS8_PKS8_NS0_5tupleIJPS7_S8_EEENSG_IJSD_SD_EEENS0_18inequality_wrapperIN6hipcub16HIPCUB_304000_NS8EqualityEEEPlJS8_EEE10hipError_tPvRmT3_T4_T5_T6_T7_T9_mT8_P12ihipStream_tbDpT10_ENKUlT_T0_E_clISt17integral_constantIbLb1EES19_EEDaS14_S15_EUlS14_E_NS1_11comp_targetILNS1_3genE9ELNS1_11target_archE1100ELNS1_3gpuE3ELNS1_3repE0EEENS1_30default_config_static_selectorELNS0_4arch9wavefront6targetE1EEEvT1_,@function
_ZN7rocprim17ROCPRIM_400000_NS6detail17trampoline_kernelINS0_14default_configENS1_25partition_config_selectorILNS1_17partition_subalgoE8EN3c104HalfENS0_10empty_typeEbEEZZNS1_14partition_implILS5_8ELb0ES3_jPKS7_PS8_PKS8_NS0_5tupleIJPS7_S8_EEENSG_IJSD_SD_EEENS0_18inequality_wrapperIN6hipcub16HIPCUB_304000_NS8EqualityEEEPlJS8_EEE10hipError_tPvRmT3_T4_T5_T6_T7_T9_mT8_P12ihipStream_tbDpT10_ENKUlT_T0_E_clISt17integral_constantIbLb1EES19_EEDaS14_S15_EUlS14_E_NS1_11comp_targetILNS1_3genE9ELNS1_11target_archE1100ELNS1_3gpuE3ELNS1_3repE0EEENS1_30default_config_static_selectorELNS0_4arch9wavefront6targetE1EEEvT1_: ; @_ZN7rocprim17ROCPRIM_400000_NS6detail17trampoline_kernelINS0_14default_configENS1_25partition_config_selectorILNS1_17partition_subalgoE8EN3c104HalfENS0_10empty_typeEbEEZZNS1_14partition_implILS5_8ELb0ES3_jPKS7_PS8_PKS8_NS0_5tupleIJPS7_S8_EEENSG_IJSD_SD_EEENS0_18inequality_wrapperIN6hipcub16HIPCUB_304000_NS8EqualityEEEPlJS8_EEE10hipError_tPvRmT3_T4_T5_T6_T7_T9_mT8_P12ihipStream_tbDpT10_ENKUlT_T0_E_clISt17integral_constantIbLb1EES19_EEDaS14_S15_EUlS14_E_NS1_11comp_targetILNS1_3genE9ELNS1_11target_archE1100ELNS1_3gpuE3ELNS1_3repE0EEENS1_30default_config_static_selectorELNS0_4arch9wavefront6targetE1EEEvT1_
; %bb.0:
	.section	.rodata,"a",@progbits
	.p2align	6, 0x0
	.amdhsa_kernel _ZN7rocprim17ROCPRIM_400000_NS6detail17trampoline_kernelINS0_14default_configENS1_25partition_config_selectorILNS1_17partition_subalgoE8EN3c104HalfENS0_10empty_typeEbEEZZNS1_14partition_implILS5_8ELb0ES3_jPKS7_PS8_PKS8_NS0_5tupleIJPS7_S8_EEENSG_IJSD_SD_EEENS0_18inequality_wrapperIN6hipcub16HIPCUB_304000_NS8EqualityEEEPlJS8_EEE10hipError_tPvRmT3_T4_T5_T6_T7_T9_mT8_P12ihipStream_tbDpT10_ENKUlT_T0_E_clISt17integral_constantIbLb1EES19_EEDaS14_S15_EUlS14_E_NS1_11comp_targetILNS1_3genE9ELNS1_11target_archE1100ELNS1_3gpuE3ELNS1_3repE0EEENS1_30default_config_static_selectorELNS0_4arch9wavefront6targetE1EEEvT1_
		.amdhsa_group_segment_fixed_size 0
		.amdhsa_private_segment_fixed_size 0
		.amdhsa_kernarg_size 128
		.amdhsa_user_sgpr_count 6
		.amdhsa_user_sgpr_private_segment_buffer 1
		.amdhsa_user_sgpr_dispatch_ptr 0
		.amdhsa_user_sgpr_queue_ptr 0
		.amdhsa_user_sgpr_kernarg_segment_ptr 1
		.amdhsa_user_sgpr_dispatch_id 0
		.amdhsa_user_sgpr_flat_scratch_init 0
		.amdhsa_user_sgpr_kernarg_preload_length 0
		.amdhsa_user_sgpr_kernarg_preload_offset 0
		.amdhsa_user_sgpr_private_segment_size 0
		.amdhsa_uses_dynamic_stack 0
		.amdhsa_system_sgpr_private_segment_wavefront_offset 0
		.amdhsa_system_sgpr_workgroup_id_x 1
		.amdhsa_system_sgpr_workgroup_id_y 0
		.amdhsa_system_sgpr_workgroup_id_z 0
		.amdhsa_system_sgpr_workgroup_info 0
		.amdhsa_system_vgpr_workitem_id 0
		.amdhsa_next_free_vgpr 1
		.amdhsa_next_free_sgpr 0
		.amdhsa_accum_offset 4
		.amdhsa_reserve_vcc 0
		.amdhsa_reserve_flat_scratch 0
		.amdhsa_float_round_mode_32 0
		.amdhsa_float_round_mode_16_64 0
		.amdhsa_float_denorm_mode_32 3
		.amdhsa_float_denorm_mode_16_64 3
		.amdhsa_dx10_clamp 1
		.amdhsa_ieee_mode 1
		.amdhsa_fp16_overflow 0
		.amdhsa_tg_split 0
		.amdhsa_exception_fp_ieee_invalid_op 0
		.amdhsa_exception_fp_denorm_src 0
		.amdhsa_exception_fp_ieee_div_zero 0
		.amdhsa_exception_fp_ieee_overflow 0
		.amdhsa_exception_fp_ieee_underflow 0
		.amdhsa_exception_fp_ieee_inexact 0
		.amdhsa_exception_int_div_zero 0
	.end_amdhsa_kernel
	.section	.text._ZN7rocprim17ROCPRIM_400000_NS6detail17trampoline_kernelINS0_14default_configENS1_25partition_config_selectorILNS1_17partition_subalgoE8EN3c104HalfENS0_10empty_typeEbEEZZNS1_14partition_implILS5_8ELb0ES3_jPKS7_PS8_PKS8_NS0_5tupleIJPS7_S8_EEENSG_IJSD_SD_EEENS0_18inequality_wrapperIN6hipcub16HIPCUB_304000_NS8EqualityEEEPlJS8_EEE10hipError_tPvRmT3_T4_T5_T6_T7_T9_mT8_P12ihipStream_tbDpT10_ENKUlT_T0_E_clISt17integral_constantIbLb1EES19_EEDaS14_S15_EUlS14_E_NS1_11comp_targetILNS1_3genE9ELNS1_11target_archE1100ELNS1_3gpuE3ELNS1_3repE0EEENS1_30default_config_static_selectorELNS0_4arch9wavefront6targetE1EEEvT1_,"axG",@progbits,_ZN7rocprim17ROCPRIM_400000_NS6detail17trampoline_kernelINS0_14default_configENS1_25partition_config_selectorILNS1_17partition_subalgoE8EN3c104HalfENS0_10empty_typeEbEEZZNS1_14partition_implILS5_8ELb0ES3_jPKS7_PS8_PKS8_NS0_5tupleIJPS7_S8_EEENSG_IJSD_SD_EEENS0_18inequality_wrapperIN6hipcub16HIPCUB_304000_NS8EqualityEEEPlJS8_EEE10hipError_tPvRmT3_T4_T5_T6_T7_T9_mT8_P12ihipStream_tbDpT10_ENKUlT_T0_E_clISt17integral_constantIbLb1EES19_EEDaS14_S15_EUlS14_E_NS1_11comp_targetILNS1_3genE9ELNS1_11target_archE1100ELNS1_3gpuE3ELNS1_3repE0EEENS1_30default_config_static_selectorELNS0_4arch9wavefront6targetE1EEEvT1_,comdat
.Lfunc_end907:
	.size	_ZN7rocprim17ROCPRIM_400000_NS6detail17trampoline_kernelINS0_14default_configENS1_25partition_config_selectorILNS1_17partition_subalgoE8EN3c104HalfENS0_10empty_typeEbEEZZNS1_14partition_implILS5_8ELb0ES3_jPKS7_PS8_PKS8_NS0_5tupleIJPS7_S8_EEENSG_IJSD_SD_EEENS0_18inequality_wrapperIN6hipcub16HIPCUB_304000_NS8EqualityEEEPlJS8_EEE10hipError_tPvRmT3_T4_T5_T6_T7_T9_mT8_P12ihipStream_tbDpT10_ENKUlT_T0_E_clISt17integral_constantIbLb1EES19_EEDaS14_S15_EUlS14_E_NS1_11comp_targetILNS1_3genE9ELNS1_11target_archE1100ELNS1_3gpuE3ELNS1_3repE0EEENS1_30default_config_static_selectorELNS0_4arch9wavefront6targetE1EEEvT1_, .Lfunc_end907-_ZN7rocprim17ROCPRIM_400000_NS6detail17trampoline_kernelINS0_14default_configENS1_25partition_config_selectorILNS1_17partition_subalgoE8EN3c104HalfENS0_10empty_typeEbEEZZNS1_14partition_implILS5_8ELb0ES3_jPKS7_PS8_PKS8_NS0_5tupleIJPS7_S8_EEENSG_IJSD_SD_EEENS0_18inequality_wrapperIN6hipcub16HIPCUB_304000_NS8EqualityEEEPlJS8_EEE10hipError_tPvRmT3_T4_T5_T6_T7_T9_mT8_P12ihipStream_tbDpT10_ENKUlT_T0_E_clISt17integral_constantIbLb1EES19_EEDaS14_S15_EUlS14_E_NS1_11comp_targetILNS1_3genE9ELNS1_11target_archE1100ELNS1_3gpuE3ELNS1_3repE0EEENS1_30default_config_static_selectorELNS0_4arch9wavefront6targetE1EEEvT1_
                                        ; -- End function
	.section	.AMDGPU.csdata,"",@progbits
; Kernel info:
; codeLenInByte = 0
; NumSgprs: 4
; NumVgprs: 0
; NumAgprs: 0
; TotalNumVgprs: 0
; ScratchSize: 0
; MemoryBound: 0
; FloatMode: 240
; IeeeMode: 1
; LDSByteSize: 0 bytes/workgroup (compile time only)
; SGPRBlocks: 0
; VGPRBlocks: 0
; NumSGPRsForWavesPerEU: 4
; NumVGPRsForWavesPerEU: 1
; AccumOffset: 4
; Occupancy: 8
; WaveLimiterHint : 0
; COMPUTE_PGM_RSRC2:SCRATCH_EN: 0
; COMPUTE_PGM_RSRC2:USER_SGPR: 6
; COMPUTE_PGM_RSRC2:TRAP_HANDLER: 0
; COMPUTE_PGM_RSRC2:TGID_X_EN: 1
; COMPUTE_PGM_RSRC2:TGID_Y_EN: 0
; COMPUTE_PGM_RSRC2:TGID_Z_EN: 0
; COMPUTE_PGM_RSRC2:TIDIG_COMP_CNT: 0
; COMPUTE_PGM_RSRC3_GFX90A:ACCUM_OFFSET: 0
; COMPUTE_PGM_RSRC3_GFX90A:TG_SPLIT: 0
	.section	.text._ZN7rocprim17ROCPRIM_400000_NS6detail17trampoline_kernelINS0_14default_configENS1_25partition_config_selectorILNS1_17partition_subalgoE8EN3c104HalfENS0_10empty_typeEbEEZZNS1_14partition_implILS5_8ELb0ES3_jPKS7_PS8_PKS8_NS0_5tupleIJPS7_S8_EEENSG_IJSD_SD_EEENS0_18inequality_wrapperIN6hipcub16HIPCUB_304000_NS8EqualityEEEPlJS8_EEE10hipError_tPvRmT3_T4_T5_T6_T7_T9_mT8_P12ihipStream_tbDpT10_ENKUlT_T0_E_clISt17integral_constantIbLb1EES19_EEDaS14_S15_EUlS14_E_NS1_11comp_targetILNS1_3genE8ELNS1_11target_archE1030ELNS1_3gpuE2ELNS1_3repE0EEENS1_30default_config_static_selectorELNS0_4arch9wavefront6targetE1EEEvT1_,"axG",@progbits,_ZN7rocprim17ROCPRIM_400000_NS6detail17trampoline_kernelINS0_14default_configENS1_25partition_config_selectorILNS1_17partition_subalgoE8EN3c104HalfENS0_10empty_typeEbEEZZNS1_14partition_implILS5_8ELb0ES3_jPKS7_PS8_PKS8_NS0_5tupleIJPS7_S8_EEENSG_IJSD_SD_EEENS0_18inequality_wrapperIN6hipcub16HIPCUB_304000_NS8EqualityEEEPlJS8_EEE10hipError_tPvRmT3_T4_T5_T6_T7_T9_mT8_P12ihipStream_tbDpT10_ENKUlT_T0_E_clISt17integral_constantIbLb1EES19_EEDaS14_S15_EUlS14_E_NS1_11comp_targetILNS1_3genE8ELNS1_11target_archE1030ELNS1_3gpuE2ELNS1_3repE0EEENS1_30default_config_static_selectorELNS0_4arch9wavefront6targetE1EEEvT1_,comdat
	.protected	_ZN7rocprim17ROCPRIM_400000_NS6detail17trampoline_kernelINS0_14default_configENS1_25partition_config_selectorILNS1_17partition_subalgoE8EN3c104HalfENS0_10empty_typeEbEEZZNS1_14partition_implILS5_8ELb0ES3_jPKS7_PS8_PKS8_NS0_5tupleIJPS7_S8_EEENSG_IJSD_SD_EEENS0_18inequality_wrapperIN6hipcub16HIPCUB_304000_NS8EqualityEEEPlJS8_EEE10hipError_tPvRmT3_T4_T5_T6_T7_T9_mT8_P12ihipStream_tbDpT10_ENKUlT_T0_E_clISt17integral_constantIbLb1EES19_EEDaS14_S15_EUlS14_E_NS1_11comp_targetILNS1_3genE8ELNS1_11target_archE1030ELNS1_3gpuE2ELNS1_3repE0EEENS1_30default_config_static_selectorELNS0_4arch9wavefront6targetE1EEEvT1_ ; -- Begin function _ZN7rocprim17ROCPRIM_400000_NS6detail17trampoline_kernelINS0_14default_configENS1_25partition_config_selectorILNS1_17partition_subalgoE8EN3c104HalfENS0_10empty_typeEbEEZZNS1_14partition_implILS5_8ELb0ES3_jPKS7_PS8_PKS8_NS0_5tupleIJPS7_S8_EEENSG_IJSD_SD_EEENS0_18inequality_wrapperIN6hipcub16HIPCUB_304000_NS8EqualityEEEPlJS8_EEE10hipError_tPvRmT3_T4_T5_T6_T7_T9_mT8_P12ihipStream_tbDpT10_ENKUlT_T0_E_clISt17integral_constantIbLb1EES19_EEDaS14_S15_EUlS14_E_NS1_11comp_targetILNS1_3genE8ELNS1_11target_archE1030ELNS1_3gpuE2ELNS1_3repE0EEENS1_30default_config_static_selectorELNS0_4arch9wavefront6targetE1EEEvT1_
	.globl	_ZN7rocprim17ROCPRIM_400000_NS6detail17trampoline_kernelINS0_14default_configENS1_25partition_config_selectorILNS1_17partition_subalgoE8EN3c104HalfENS0_10empty_typeEbEEZZNS1_14partition_implILS5_8ELb0ES3_jPKS7_PS8_PKS8_NS0_5tupleIJPS7_S8_EEENSG_IJSD_SD_EEENS0_18inequality_wrapperIN6hipcub16HIPCUB_304000_NS8EqualityEEEPlJS8_EEE10hipError_tPvRmT3_T4_T5_T6_T7_T9_mT8_P12ihipStream_tbDpT10_ENKUlT_T0_E_clISt17integral_constantIbLb1EES19_EEDaS14_S15_EUlS14_E_NS1_11comp_targetILNS1_3genE8ELNS1_11target_archE1030ELNS1_3gpuE2ELNS1_3repE0EEENS1_30default_config_static_selectorELNS0_4arch9wavefront6targetE1EEEvT1_
	.p2align	8
	.type	_ZN7rocprim17ROCPRIM_400000_NS6detail17trampoline_kernelINS0_14default_configENS1_25partition_config_selectorILNS1_17partition_subalgoE8EN3c104HalfENS0_10empty_typeEbEEZZNS1_14partition_implILS5_8ELb0ES3_jPKS7_PS8_PKS8_NS0_5tupleIJPS7_S8_EEENSG_IJSD_SD_EEENS0_18inequality_wrapperIN6hipcub16HIPCUB_304000_NS8EqualityEEEPlJS8_EEE10hipError_tPvRmT3_T4_T5_T6_T7_T9_mT8_P12ihipStream_tbDpT10_ENKUlT_T0_E_clISt17integral_constantIbLb1EES19_EEDaS14_S15_EUlS14_E_NS1_11comp_targetILNS1_3genE8ELNS1_11target_archE1030ELNS1_3gpuE2ELNS1_3repE0EEENS1_30default_config_static_selectorELNS0_4arch9wavefront6targetE1EEEvT1_,@function
_ZN7rocprim17ROCPRIM_400000_NS6detail17trampoline_kernelINS0_14default_configENS1_25partition_config_selectorILNS1_17partition_subalgoE8EN3c104HalfENS0_10empty_typeEbEEZZNS1_14partition_implILS5_8ELb0ES3_jPKS7_PS8_PKS8_NS0_5tupleIJPS7_S8_EEENSG_IJSD_SD_EEENS0_18inequality_wrapperIN6hipcub16HIPCUB_304000_NS8EqualityEEEPlJS8_EEE10hipError_tPvRmT3_T4_T5_T6_T7_T9_mT8_P12ihipStream_tbDpT10_ENKUlT_T0_E_clISt17integral_constantIbLb1EES19_EEDaS14_S15_EUlS14_E_NS1_11comp_targetILNS1_3genE8ELNS1_11target_archE1030ELNS1_3gpuE2ELNS1_3repE0EEENS1_30default_config_static_selectorELNS0_4arch9wavefront6targetE1EEEvT1_: ; @_ZN7rocprim17ROCPRIM_400000_NS6detail17trampoline_kernelINS0_14default_configENS1_25partition_config_selectorILNS1_17partition_subalgoE8EN3c104HalfENS0_10empty_typeEbEEZZNS1_14partition_implILS5_8ELb0ES3_jPKS7_PS8_PKS8_NS0_5tupleIJPS7_S8_EEENSG_IJSD_SD_EEENS0_18inequality_wrapperIN6hipcub16HIPCUB_304000_NS8EqualityEEEPlJS8_EEE10hipError_tPvRmT3_T4_T5_T6_T7_T9_mT8_P12ihipStream_tbDpT10_ENKUlT_T0_E_clISt17integral_constantIbLb1EES19_EEDaS14_S15_EUlS14_E_NS1_11comp_targetILNS1_3genE8ELNS1_11target_archE1030ELNS1_3gpuE2ELNS1_3repE0EEENS1_30default_config_static_selectorELNS0_4arch9wavefront6targetE1EEEvT1_
; %bb.0:
	.section	.rodata,"a",@progbits
	.p2align	6, 0x0
	.amdhsa_kernel _ZN7rocprim17ROCPRIM_400000_NS6detail17trampoline_kernelINS0_14default_configENS1_25partition_config_selectorILNS1_17partition_subalgoE8EN3c104HalfENS0_10empty_typeEbEEZZNS1_14partition_implILS5_8ELb0ES3_jPKS7_PS8_PKS8_NS0_5tupleIJPS7_S8_EEENSG_IJSD_SD_EEENS0_18inequality_wrapperIN6hipcub16HIPCUB_304000_NS8EqualityEEEPlJS8_EEE10hipError_tPvRmT3_T4_T5_T6_T7_T9_mT8_P12ihipStream_tbDpT10_ENKUlT_T0_E_clISt17integral_constantIbLb1EES19_EEDaS14_S15_EUlS14_E_NS1_11comp_targetILNS1_3genE8ELNS1_11target_archE1030ELNS1_3gpuE2ELNS1_3repE0EEENS1_30default_config_static_selectorELNS0_4arch9wavefront6targetE1EEEvT1_
		.amdhsa_group_segment_fixed_size 0
		.amdhsa_private_segment_fixed_size 0
		.amdhsa_kernarg_size 128
		.amdhsa_user_sgpr_count 6
		.amdhsa_user_sgpr_private_segment_buffer 1
		.amdhsa_user_sgpr_dispatch_ptr 0
		.amdhsa_user_sgpr_queue_ptr 0
		.amdhsa_user_sgpr_kernarg_segment_ptr 1
		.amdhsa_user_sgpr_dispatch_id 0
		.amdhsa_user_sgpr_flat_scratch_init 0
		.amdhsa_user_sgpr_kernarg_preload_length 0
		.amdhsa_user_sgpr_kernarg_preload_offset 0
		.amdhsa_user_sgpr_private_segment_size 0
		.amdhsa_uses_dynamic_stack 0
		.amdhsa_system_sgpr_private_segment_wavefront_offset 0
		.amdhsa_system_sgpr_workgroup_id_x 1
		.amdhsa_system_sgpr_workgroup_id_y 0
		.amdhsa_system_sgpr_workgroup_id_z 0
		.amdhsa_system_sgpr_workgroup_info 0
		.amdhsa_system_vgpr_workitem_id 0
		.amdhsa_next_free_vgpr 1
		.amdhsa_next_free_sgpr 0
		.amdhsa_accum_offset 4
		.amdhsa_reserve_vcc 0
		.amdhsa_reserve_flat_scratch 0
		.amdhsa_float_round_mode_32 0
		.amdhsa_float_round_mode_16_64 0
		.amdhsa_float_denorm_mode_32 3
		.amdhsa_float_denorm_mode_16_64 3
		.amdhsa_dx10_clamp 1
		.amdhsa_ieee_mode 1
		.amdhsa_fp16_overflow 0
		.amdhsa_tg_split 0
		.amdhsa_exception_fp_ieee_invalid_op 0
		.amdhsa_exception_fp_denorm_src 0
		.amdhsa_exception_fp_ieee_div_zero 0
		.amdhsa_exception_fp_ieee_overflow 0
		.amdhsa_exception_fp_ieee_underflow 0
		.amdhsa_exception_fp_ieee_inexact 0
		.amdhsa_exception_int_div_zero 0
	.end_amdhsa_kernel
	.section	.text._ZN7rocprim17ROCPRIM_400000_NS6detail17trampoline_kernelINS0_14default_configENS1_25partition_config_selectorILNS1_17partition_subalgoE8EN3c104HalfENS0_10empty_typeEbEEZZNS1_14partition_implILS5_8ELb0ES3_jPKS7_PS8_PKS8_NS0_5tupleIJPS7_S8_EEENSG_IJSD_SD_EEENS0_18inequality_wrapperIN6hipcub16HIPCUB_304000_NS8EqualityEEEPlJS8_EEE10hipError_tPvRmT3_T4_T5_T6_T7_T9_mT8_P12ihipStream_tbDpT10_ENKUlT_T0_E_clISt17integral_constantIbLb1EES19_EEDaS14_S15_EUlS14_E_NS1_11comp_targetILNS1_3genE8ELNS1_11target_archE1030ELNS1_3gpuE2ELNS1_3repE0EEENS1_30default_config_static_selectorELNS0_4arch9wavefront6targetE1EEEvT1_,"axG",@progbits,_ZN7rocprim17ROCPRIM_400000_NS6detail17trampoline_kernelINS0_14default_configENS1_25partition_config_selectorILNS1_17partition_subalgoE8EN3c104HalfENS0_10empty_typeEbEEZZNS1_14partition_implILS5_8ELb0ES3_jPKS7_PS8_PKS8_NS0_5tupleIJPS7_S8_EEENSG_IJSD_SD_EEENS0_18inequality_wrapperIN6hipcub16HIPCUB_304000_NS8EqualityEEEPlJS8_EEE10hipError_tPvRmT3_T4_T5_T6_T7_T9_mT8_P12ihipStream_tbDpT10_ENKUlT_T0_E_clISt17integral_constantIbLb1EES19_EEDaS14_S15_EUlS14_E_NS1_11comp_targetILNS1_3genE8ELNS1_11target_archE1030ELNS1_3gpuE2ELNS1_3repE0EEENS1_30default_config_static_selectorELNS0_4arch9wavefront6targetE1EEEvT1_,comdat
.Lfunc_end908:
	.size	_ZN7rocprim17ROCPRIM_400000_NS6detail17trampoline_kernelINS0_14default_configENS1_25partition_config_selectorILNS1_17partition_subalgoE8EN3c104HalfENS0_10empty_typeEbEEZZNS1_14partition_implILS5_8ELb0ES3_jPKS7_PS8_PKS8_NS0_5tupleIJPS7_S8_EEENSG_IJSD_SD_EEENS0_18inequality_wrapperIN6hipcub16HIPCUB_304000_NS8EqualityEEEPlJS8_EEE10hipError_tPvRmT3_T4_T5_T6_T7_T9_mT8_P12ihipStream_tbDpT10_ENKUlT_T0_E_clISt17integral_constantIbLb1EES19_EEDaS14_S15_EUlS14_E_NS1_11comp_targetILNS1_3genE8ELNS1_11target_archE1030ELNS1_3gpuE2ELNS1_3repE0EEENS1_30default_config_static_selectorELNS0_4arch9wavefront6targetE1EEEvT1_, .Lfunc_end908-_ZN7rocprim17ROCPRIM_400000_NS6detail17trampoline_kernelINS0_14default_configENS1_25partition_config_selectorILNS1_17partition_subalgoE8EN3c104HalfENS0_10empty_typeEbEEZZNS1_14partition_implILS5_8ELb0ES3_jPKS7_PS8_PKS8_NS0_5tupleIJPS7_S8_EEENSG_IJSD_SD_EEENS0_18inequality_wrapperIN6hipcub16HIPCUB_304000_NS8EqualityEEEPlJS8_EEE10hipError_tPvRmT3_T4_T5_T6_T7_T9_mT8_P12ihipStream_tbDpT10_ENKUlT_T0_E_clISt17integral_constantIbLb1EES19_EEDaS14_S15_EUlS14_E_NS1_11comp_targetILNS1_3genE8ELNS1_11target_archE1030ELNS1_3gpuE2ELNS1_3repE0EEENS1_30default_config_static_selectorELNS0_4arch9wavefront6targetE1EEEvT1_
                                        ; -- End function
	.section	.AMDGPU.csdata,"",@progbits
; Kernel info:
; codeLenInByte = 0
; NumSgprs: 4
; NumVgprs: 0
; NumAgprs: 0
; TotalNumVgprs: 0
; ScratchSize: 0
; MemoryBound: 0
; FloatMode: 240
; IeeeMode: 1
; LDSByteSize: 0 bytes/workgroup (compile time only)
; SGPRBlocks: 0
; VGPRBlocks: 0
; NumSGPRsForWavesPerEU: 4
; NumVGPRsForWavesPerEU: 1
; AccumOffset: 4
; Occupancy: 8
; WaveLimiterHint : 0
; COMPUTE_PGM_RSRC2:SCRATCH_EN: 0
; COMPUTE_PGM_RSRC2:USER_SGPR: 6
; COMPUTE_PGM_RSRC2:TRAP_HANDLER: 0
; COMPUTE_PGM_RSRC2:TGID_X_EN: 1
; COMPUTE_PGM_RSRC2:TGID_Y_EN: 0
; COMPUTE_PGM_RSRC2:TGID_Z_EN: 0
; COMPUTE_PGM_RSRC2:TIDIG_COMP_CNT: 0
; COMPUTE_PGM_RSRC3_GFX90A:ACCUM_OFFSET: 0
; COMPUTE_PGM_RSRC3_GFX90A:TG_SPLIT: 0
	.section	.text._ZN7rocprim17ROCPRIM_400000_NS6detail17trampoline_kernelINS0_14default_configENS1_25partition_config_selectorILNS1_17partition_subalgoE8EN3c104HalfENS0_10empty_typeEbEEZZNS1_14partition_implILS5_8ELb0ES3_jPKS7_PS8_PKS8_NS0_5tupleIJPS7_S8_EEENSG_IJSD_SD_EEENS0_18inequality_wrapperIN6hipcub16HIPCUB_304000_NS8EqualityEEEPlJS8_EEE10hipError_tPvRmT3_T4_T5_T6_T7_T9_mT8_P12ihipStream_tbDpT10_ENKUlT_T0_E_clISt17integral_constantIbLb1EES18_IbLb0EEEEDaS14_S15_EUlS14_E_NS1_11comp_targetILNS1_3genE0ELNS1_11target_archE4294967295ELNS1_3gpuE0ELNS1_3repE0EEENS1_30default_config_static_selectorELNS0_4arch9wavefront6targetE1EEEvT1_,"axG",@progbits,_ZN7rocprim17ROCPRIM_400000_NS6detail17trampoline_kernelINS0_14default_configENS1_25partition_config_selectorILNS1_17partition_subalgoE8EN3c104HalfENS0_10empty_typeEbEEZZNS1_14partition_implILS5_8ELb0ES3_jPKS7_PS8_PKS8_NS0_5tupleIJPS7_S8_EEENSG_IJSD_SD_EEENS0_18inequality_wrapperIN6hipcub16HIPCUB_304000_NS8EqualityEEEPlJS8_EEE10hipError_tPvRmT3_T4_T5_T6_T7_T9_mT8_P12ihipStream_tbDpT10_ENKUlT_T0_E_clISt17integral_constantIbLb1EES18_IbLb0EEEEDaS14_S15_EUlS14_E_NS1_11comp_targetILNS1_3genE0ELNS1_11target_archE4294967295ELNS1_3gpuE0ELNS1_3repE0EEENS1_30default_config_static_selectorELNS0_4arch9wavefront6targetE1EEEvT1_,comdat
	.protected	_ZN7rocprim17ROCPRIM_400000_NS6detail17trampoline_kernelINS0_14default_configENS1_25partition_config_selectorILNS1_17partition_subalgoE8EN3c104HalfENS0_10empty_typeEbEEZZNS1_14partition_implILS5_8ELb0ES3_jPKS7_PS8_PKS8_NS0_5tupleIJPS7_S8_EEENSG_IJSD_SD_EEENS0_18inequality_wrapperIN6hipcub16HIPCUB_304000_NS8EqualityEEEPlJS8_EEE10hipError_tPvRmT3_T4_T5_T6_T7_T9_mT8_P12ihipStream_tbDpT10_ENKUlT_T0_E_clISt17integral_constantIbLb1EES18_IbLb0EEEEDaS14_S15_EUlS14_E_NS1_11comp_targetILNS1_3genE0ELNS1_11target_archE4294967295ELNS1_3gpuE0ELNS1_3repE0EEENS1_30default_config_static_selectorELNS0_4arch9wavefront6targetE1EEEvT1_ ; -- Begin function _ZN7rocprim17ROCPRIM_400000_NS6detail17trampoline_kernelINS0_14default_configENS1_25partition_config_selectorILNS1_17partition_subalgoE8EN3c104HalfENS0_10empty_typeEbEEZZNS1_14partition_implILS5_8ELb0ES3_jPKS7_PS8_PKS8_NS0_5tupleIJPS7_S8_EEENSG_IJSD_SD_EEENS0_18inequality_wrapperIN6hipcub16HIPCUB_304000_NS8EqualityEEEPlJS8_EEE10hipError_tPvRmT3_T4_T5_T6_T7_T9_mT8_P12ihipStream_tbDpT10_ENKUlT_T0_E_clISt17integral_constantIbLb1EES18_IbLb0EEEEDaS14_S15_EUlS14_E_NS1_11comp_targetILNS1_3genE0ELNS1_11target_archE4294967295ELNS1_3gpuE0ELNS1_3repE0EEENS1_30default_config_static_selectorELNS0_4arch9wavefront6targetE1EEEvT1_
	.globl	_ZN7rocprim17ROCPRIM_400000_NS6detail17trampoline_kernelINS0_14default_configENS1_25partition_config_selectorILNS1_17partition_subalgoE8EN3c104HalfENS0_10empty_typeEbEEZZNS1_14partition_implILS5_8ELb0ES3_jPKS7_PS8_PKS8_NS0_5tupleIJPS7_S8_EEENSG_IJSD_SD_EEENS0_18inequality_wrapperIN6hipcub16HIPCUB_304000_NS8EqualityEEEPlJS8_EEE10hipError_tPvRmT3_T4_T5_T6_T7_T9_mT8_P12ihipStream_tbDpT10_ENKUlT_T0_E_clISt17integral_constantIbLb1EES18_IbLb0EEEEDaS14_S15_EUlS14_E_NS1_11comp_targetILNS1_3genE0ELNS1_11target_archE4294967295ELNS1_3gpuE0ELNS1_3repE0EEENS1_30default_config_static_selectorELNS0_4arch9wavefront6targetE1EEEvT1_
	.p2align	8
	.type	_ZN7rocprim17ROCPRIM_400000_NS6detail17trampoline_kernelINS0_14default_configENS1_25partition_config_selectorILNS1_17partition_subalgoE8EN3c104HalfENS0_10empty_typeEbEEZZNS1_14partition_implILS5_8ELb0ES3_jPKS7_PS8_PKS8_NS0_5tupleIJPS7_S8_EEENSG_IJSD_SD_EEENS0_18inequality_wrapperIN6hipcub16HIPCUB_304000_NS8EqualityEEEPlJS8_EEE10hipError_tPvRmT3_T4_T5_T6_T7_T9_mT8_P12ihipStream_tbDpT10_ENKUlT_T0_E_clISt17integral_constantIbLb1EES18_IbLb0EEEEDaS14_S15_EUlS14_E_NS1_11comp_targetILNS1_3genE0ELNS1_11target_archE4294967295ELNS1_3gpuE0ELNS1_3repE0EEENS1_30default_config_static_selectorELNS0_4arch9wavefront6targetE1EEEvT1_,@function
_ZN7rocprim17ROCPRIM_400000_NS6detail17trampoline_kernelINS0_14default_configENS1_25partition_config_selectorILNS1_17partition_subalgoE8EN3c104HalfENS0_10empty_typeEbEEZZNS1_14partition_implILS5_8ELb0ES3_jPKS7_PS8_PKS8_NS0_5tupleIJPS7_S8_EEENSG_IJSD_SD_EEENS0_18inequality_wrapperIN6hipcub16HIPCUB_304000_NS8EqualityEEEPlJS8_EEE10hipError_tPvRmT3_T4_T5_T6_T7_T9_mT8_P12ihipStream_tbDpT10_ENKUlT_T0_E_clISt17integral_constantIbLb1EES18_IbLb0EEEEDaS14_S15_EUlS14_E_NS1_11comp_targetILNS1_3genE0ELNS1_11target_archE4294967295ELNS1_3gpuE0ELNS1_3repE0EEENS1_30default_config_static_selectorELNS0_4arch9wavefront6targetE1EEEvT1_: ; @_ZN7rocprim17ROCPRIM_400000_NS6detail17trampoline_kernelINS0_14default_configENS1_25partition_config_selectorILNS1_17partition_subalgoE8EN3c104HalfENS0_10empty_typeEbEEZZNS1_14partition_implILS5_8ELb0ES3_jPKS7_PS8_PKS8_NS0_5tupleIJPS7_S8_EEENSG_IJSD_SD_EEENS0_18inequality_wrapperIN6hipcub16HIPCUB_304000_NS8EqualityEEEPlJS8_EEE10hipError_tPvRmT3_T4_T5_T6_T7_T9_mT8_P12ihipStream_tbDpT10_ENKUlT_T0_E_clISt17integral_constantIbLb1EES18_IbLb0EEEEDaS14_S15_EUlS14_E_NS1_11comp_targetILNS1_3genE0ELNS1_11target_archE4294967295ELNS1_3gpuE0ELNS1_3repE0EEENS1_30default_config_static_selectorELNS0_4arch9wavefront6targetE1EEEvT1_
; %bb.0:
	.section	.rodata,"a",@progbits
	.p2align	6, 0x0
	.amdhsa_kernel _ZN7rocprim17ROCPRIM_400000_NS6detail17trampoline_kernelINS0_14default_configENS1_25partition_config_selectorILNS1_17partition_subalgoE8EN3c104HalfENS0_10empty_typeEbEEZZNS1_14partition_implILS5_8ELb0ES3_jPKS7_PS8_PKS8_NS0_5tupleIJPS7_S8_EEENSG_IJSD_SD_EEENS0_18inequality_wrapperIN6hipcub16HIPCUB_304000_NS8EqualityEEEPlJS8_EEE10hipError_tPvRmT3_T4_T5_T6_T7_T9_mT8_P12ihipStream_tbDpT10_ENKUlT_T0_E_clISt17integral_constantIbLb1EES18_IbLb0EEEEDaS14_S15_EUlS14_E_NS1_11comp_targetILNS1_3genE0ELNS1_11target_archE4294967295ELNS1_3gpuE0ELNS1_3repE0EEENS1_30default_config_static_selectorELNS0_4arch9wavefront6targetE1EEEvT1_
		.amdhsa_group_segment_fixed_size 0
		.amdhsa_private_segment_fixed_size 0
		.amdhsa_kernarg_size 112
		.amdhsa_user_sgpr_count 6
		.amdhsa_user_sgpr_private_segment_buffer 1
		.amdhsa_user_sgpr_dispatch_ptr 0
		.amdhsa_user_sgpr_queue_ptr 0
		.amdhsa_user_sgpr_kernarg_segment_ptr 1
		.amdhsa_user_sgpr_dispatch_id 0
		.amdhsa_user_sgpr_flat_scratch_init 0
		.amdhsa_user_sgpr_kernarg_preload_length 0
		.amdhsa_user_sgpr_kernarg_preload_offset 0
		.amdhsa_user_sgpr_private_segment_size 0
		.amdhsa_uses_dynamic_stack 0
		.amdhsa_system_sgpr_private_segment_wavefront_offset 0
		.amdhsa_system_sgpr_workgroup_id_x 1
		.amdhsa_system_sgpr_workgroup_id_y 0
		.amdhsa_system_sgpr_workgroup_id_z 0
		.amdhsa_system_sgpr_workgroup_info 0
		.amdhsa_system_vgpr_workitem_id 0
		.amdhsa_next_free_vgpr 1
		.amdhsa_next_free_sgpr 0
		.amdhsa_accum_offset 4
		.amdhsa_reserve_vcc 0
		.amdhsa_reserve_flat_scratch 0
		.amdhsa_float_round_mode_32 0
		.amdhsa_float_round_mode_16_64 0
		.amdhsa_float_denorm_mode_32 3
		.amdhsa_float_denorm_mode_16_64 3
		.amdhsa_dx10_clamp 1
		.amdhsa_ieee_mode 1
		.amdhsa_fp16_overflow 0
		.amdhsa_tg_split 0
		.amdhsa_exception_fp_ieee_invalid_op 0
		.amdhsa_exception_fp_denorm_src 0
		.amdhsa_exception_fp_ieee_div_zero 0
		.amdhsa_exception_fp_ieee_overflow 0
		.amdhsa_exception_fp_ieee_underflow 0
		.amdhsa_exception_fp_ieee_inexact 0
		.amdhsa_exception_int_div_zero 0
	.end_amdhsa_kernel
	.section	.text._ZN7rocprim17ROCPRIM_400000_NS6detail17trampoline_kernelINS0_14default_configENS1_25partition_config_selectorILNS1_17partition_subalgoE8EN3c104HalfENS0_10empty_typeEbEEZZNS1_14partition_implILS5_8ELb0ES3_jPKS7_PS8_PKS8_NS0_5tupleIJPS7_S8_EEENSG_IJSD_SD_EEENS0_18inequality_wrapperIN6hipcub16HIPCUB_304000_NS8EqualityEEEPlJS8_EEE10hipError_tPvRmT3_T4_T5_T6_T7_T9_mT8_P12ihipStream_tbDpT10_ENKUlT_T0_E_clISt17integral_constantIbLb1EES18_IbLb0EEEEDaS14_S15_EUlS14_E_NS1_11comp_targetILNS1_3genE0ELNS1_11target_archE4294967295ELNS1_3gpuE0ELNS1_3repE0EEENS1_30default_config_static_selectorELNS0_4arch9wavefront6targetE1EEEvT1_,"axG",@progbits,_ZN7rocprim17ROCPRIM_400000_NS6detail17trampoline_kernelINS0_14default_configENS1_25partition_config_selectorILNS1_17partition_subalgoE8EN3c104HalfENS0_10empty_typeEbEEZZNS1_14partition_implILS5_8ELb0ES3_jPKS7_PS8_PKS8_NS0_5tupleIJPS7_S8_EEENSG_IJSD_SD_EEENS0_18inequality_wrapperIN6hipcub16HIPCUB_304000_NS8EqualityEEEPlJS8_EEE10hipError_tPvRmT3_T4_T5_T6_T7_T9_mT8_P12ihipStream_tbDpT10_ENKUlT_T0_E_clISt17integral_constantIbLb1EES18_IbLb0EEEEDaS14_S15_EUlS14_E_NS1_11comp_targetILNS1_3genE0ELNS1_11target_archE4294967295ELNS1_3gpuE0ELNS1_3repE0EEENS1_30default_config_static_selectorELNS0_4arch9wavefront6targetE1EEEvT1_,comdat
.Lfunc_end909:
	.size	_ZN7rocprim17ROCPRIM_400000_NS6detail17trampoline_kernelINS0_14default_configENS1_25partition_config_selectorILNS1_17partition_subalgoE8EN3c104HalfENS0_10empty_typeEbEEZZNS1_14partition_implILS5_8ELb0ES3_jPKS7_PS8_PKS8_NS0_5tupleIJPS7_S8_EEENSG_IJSD_SD_EEENS0_18inequality_wrapperIN6hipcub16HIPCUB_304000_NS8EqualityEEEPlJS8_EEE10hipError_tPvRmT3_T4_T5_T6_T7_T9_mT8_P12ihipStream_tbDpT10_ENKUlT_T0_E_clISt17integral_constantIbLb1EES18_IbLb0EEEEDaS14_S15_EUlS14_E_NS1_11comp_targetILNS1_3genE0ELNS1_11target_archE4294967295ELNS1_3gpuE0ELNS1_3repE0EEENS1_30default_config_static_selectorELNS0_4arch9wavefront6targetE1EEEvT1_, .Lfunc_end909-_ZN7rocprim17ROCPRIM_400000_NS6detail17trampoline_kernelINS0_14default_configENS1_25partition_config_selectorILNS1_17partition_subalgoE8EN3c104HalfENS0_10empty_typeEbEEZZNS1_14partition_implILS5_8ELb0ES3_jPKS7_PS8_PKS8_NS0_5tupleIJPS7_S8_EEENSG_IJSD_SD_EEENS0_18inequality_wrapperIN6hipcub16HIPCUB_304000_NS8EqualityEEEPlJS8_EEE10hipError_tPvRmT3_T4_T5_T6_T7_T9_mT8_P12ihipStream_tbDpT10_ENKUlT_T0_E_clISt17integral_constantIbLb1EES18_IbLb0EEEEDaS14_S15_EUlS14_E_NS1_11comp_targetILNS1_3genE0ELNS1_11target_archE4294967295ELNS1_3gpuE0ELNS1_3repE0EEENS1_30default_config_static_selectorELNS0_4arch9wavefront6targetE1EEEvT1_
                                        ; -- End function
	.section	.AMDGPU.csdata,"",@progbits
; Kernel info:
; codeLenInByte = 0
; NumSgprs: 4
; NumVgprs: 0
; NumAgprs: 0
; TotalNumVgprs: 0
; ScratchSize: 0
; MemoryBound: 0
; FloatMode: 240
; IeeeMode: 1
; LDSByteSize: 0 bytes/workgroup (compile time only)
; SGPRBlocks: 0
; VGPRBlocks: 0
; NumSGPRsForWavesPerEU: 4
; NumVGPRsForWavesPerEU: 1
; AccumOffset: 4
; Occupancy: 8
; WaveLimiterHint : 0
; COMPUTE_PGM_RSRC2:SCRATCH_EN: 0
; COMPUTE_PGM_RSRC2:USER_SGPR: 6
; COMPUTE_PGM_RSRC2:TRAP_HANDLER: 0
; COMPUTE_PGM_RSRC2:TGID_X_EN: 1
; COMPUTE_PGM_RSRC2:TGID_Y_EN: 0
; COMPUTE_PGM_RSRC2:TGID_Z_EN: 0
; COMPUTE_PGM_RSRC2:TIDIG_COMP_CNT: 0
; COMPUTE_PGM_RSRC3_GFX90A:ACCUM_OFFSET: 0
; COMPUTE_PGM_RSRC3_GFX90A:TG_SPLIT: 0
	.section	.text._ZN7rocprim17ROCPRIM_400000_NS6detail17trampoline_kernelINS0_14default_configENS1_25partition_config_selectorILNS1_17partition_subalgoE8EN3c104HalfENS0_10empty_typeEbEEZZNS1_14partition_implILS5_8ELb0ES3_jPKS7_PS8_PKS8_NS0_5tupleIJPS7_S8_EEENSG_IJSD_SD_EEENS0_18inequality_wrapperIN6hipcub16HIPCUB_304000_NS8EqualityEEEPlJS8_EEE10hipError_tPvRmT3_T4_T5_T6_T7_T9_mT8_P12ihipStream_tbDpT10_ENKUlT_T0_E_clISt17integral_constantIbLb1EES18_IbLb0EEEEDaS14_S15_EUlS14_E_NS1_11comp_targetILNS1_3genE5ELNS1_11target_archE942ELNS1_3gpuE9ELNS1_3repE0EEENS1_30default_config_static_selectorELNS0_4arch9wavefront6targetE1EEEvT1_,"axG",@progbits,_ZN7rocprim17ROCPRIM_400000_NS6detail17trampoline_kernelINS0_14default_configENS1_25partition_config_selectorILNS1_17partition_subalgoE8EN3c104HalfENS0_10empty_typeEbEEZZNS1_14partition_implILS5_8ELb0ES3_jPKS7_PS8_PKS8_NS0_5tupleIJPS7_S8_EEENSG_IJSD_SD_EEENS0_18inequality_wrapperIN6hipcub16HIPCUB_304000_NS8EqualityEEEPlJS8_EEE10hipError_tPvRmT3_T4_T5_T6_T7_T9_mT8_P12ihipStream_tbDpT10_ENKUlT_T0_E_clISt17integral_constantIbLb1EES18_IbLb0EEEEDaS14_S15_EUlS14_E_NS1_11comp_targetILNS1_3genE5ELNS1_11target_archE942ELNS1_3gpuE9ELNS1_3repE0EEENS1_30default_config_static_selectorELNS0_4arch9wavefront6targetE1EEEvT1_,comdat
	.protected	_ZN7rocprim17ROCPRIM_400000_NS6detail17trampoline_kernelINS0_14default_configENS1_25partition_config_selectorILNS1_17partition_subalgoE8EN3c104HalfENS0_10empty_typeEbEEZZNS1_14partition_implILS5_8ELb0ES3_jPKS7_PS8_PKS8_NS0_5tupleIJPS7_S8_EEENSG_IJSD_SD_EEENS0_18inequality_wrapperIN6hipcub16HIPCUB_304000_NS8EqualityEEEPlJS8_EEE10hipError_tPvRmT3_T4_T5_T6_T7_T9_mT8_P12ihipStream_tbDpT10_ENKUlT_T0_E_clISt17integral_constantIbLb1EES18_IbLb0EEEEDaS14_S15_EUlS14_E_NS1_11comp_targetILNS1_3genE5ELNS1_11target_archE942ELNS1_3gpuE9ELNS1_3repE0EEENS1_30default_config_static_selectorELNS0_4arch9wavefront6targetE1EEEvT1_ ; -- Begin function _ZN7rocprim17ROCPRIM_400000_NS6detail17trampoline_kernelINS0_14default_configENS1_25partition_config_selectorILNS1_17partition_subalgoE8EN3c104HalfENS0_10empty_typeEbEEZZNS1_14partition_implILS5_8ELb0ES3_jPKS7_PS8_PKS8_NS0_5tupleIJPS7_S8_EEENSG_IJSD_SD_EEENS0_18inequality_wrapperIN6hipcub16HIPCUB_304000_NS8EqualityEEEPlJS8_EEE10hipError_tPvRmT3_T4_T5_T6_T7_T9_mT8_P12ihipStream_tbDpT10_ENKUlT_T0_E_clISt17integral_constantIbLb1EES18_IbLb0EEEEDaS14_S15_EUlS14_E_NS1_11comp_targetILNS1_3genE5ELNS1_11target_archE942ELNS1_3gpuE9ELNS1_3repE0EEENS1_30default_config_static_selectorELNS0_4arch9wavefront6targetE1EEEvT1_
	.globl	_ZN7rocprim17ROCPRIM_400000_NS6detail17trampoline_kernelINS0_14default_configENS1_25partition_config_selectorILNS1_17partition_subalgoE8EN3c104HalfENS0_10empty_typeEbEEZZNS1_14partition_implILS5_8ELb0ES3_jPKS7_PS8_PKS8_NS0_5tupleIJPS7_S8_EEENSG_IJSD_SD_EEENS0_18inequality_wrapperIN6hipcub16HIPCUB_304000_NS8EqualityEEEPlJS8_EEE10hipError_tPvRmT3_T4_T5_T6_T7_T9_mT8_P12ihipStream_tbDpT10_ENKUlT_T0_E_clISt17integral_constantIbLb1EES18_IbLb0EEEEDaS14_S15_EUlS14_E_NS1_11comp_targetILNS1_3genE5ELNS1_11target_archE942ELNS1_3gpuE9ELNS1_3repE0EEENS1_30default_config_static_selectorELNS0_4arch9wavefront6targetE1EEEvT1_
	.p2align	8
	.type	_ZN7rocprim17ROCPRIM_400000_NS6detail17trampoline_kernelINS0_14default_configENS1_25partition_config_selectorILNS1_17partition_subalgoE8EN3c104HalfENS0_10empty_typeEbEEZZNS1_14partition_implILS5_8ELb0ES3_jPKS7_PS8_PKS8_NS0_5tupleIJPS7_S8_EEENSG_IJSD_SD_EEENS0_18inequality_wrapperIN6hipcub16HIPCUB_304000_NS8EqualityEEEPlJS8_EEE10hipError_tPvRmT3_T4_T5_T6_T7_T9_mT8_P12ihipStream_tbDpT10_ENKUlT_T0_E_clISt17integral_constantIbLb1EES18_IbLb0EEEEDaS14_S15_EUlS14_E_NS1_11comp_targetILNS1_3genE5ELNS1_11target_archE942ELNS1_3gpuE9ELNS1_3repE0EEENS1_30default_config_static_selectorELNS0_4arch9wavefront6targetE1EEEvT1_,@function
_ZN7rocprim17ROCPRIM_400000_NS6detail17trampoline_kernelINS0_14default_configENS1_25partition_config_selectorILNS1_17partition_subalgoE8EN3c104HalfENS0_10empty_typeEbEEZZNS1_14partition_implILS5_8ELb0ES3_jPKS7_PS8_PKS8_NS0_5tupleIJPS7_S8_EEENSG_IJSD_SD_EEENS0_18inequality_wrapperIN6hipcub16HIPCUB_304000_NS8EqualityEEEPlJS8_EEE10hipError_tPvRmT3_T4_T5_T6_T7_T9_mT8_P12ihipStream_tbDpT10_ENKUlT_T0_E_clISt17integral_constantIbLb1EES18_IbLb0EEEEDaS14_S15_EUlS14_E_NS1_11comp_targetILNS1_3genE5ELNS1_11target_archE942ELNS1_3gpuE9ELNS1_3repE0EEENS1_30default_config_static_selectorELNS0_4arch9wavefront6targetE1EEEvT1_: ; @_ZN7rocprim17ROCPRIM_400000_NS6detail17trampoline_kernelINS0_14default_configENS1_25partition_config_selectorILNS1_17partition_subalgoE8EN3c104HalfENS0_10empty_typeEbEEZZNS1_14partition_implILS5_8ELb0ES3_jPKS7_PS8_PKS8_NS0_5tupleIJPS7_S8_EEENSG_IJSD_SD_EEENS0_18inequality_wrapperIN6hipcub16HIPCUB_304000_NS8EqualityEEEPlJS8_EEE10hipError_tPvRmT3_T4_T5_T6_T7_T9_mT8_P12ihipStream_tbDpT10_ENKUlT_T0_E_clISt17integral_constantIbLb1EES18_IbLb0EEEEDaS14_S15_EUlS14_E_NS1_11comp_targetILNS1_3genE5ELNS1_11target_archE942ELNS1_3gpuE9ELNS1_3repE0EEENS1_30default_config_static_selectorELNS0_4arch9wavefront6targetE1EEEvT1_
; %bb.0:
	.section	.rodata,"a",@progbits
	.p2align	6, 0x0
	.amdhsa_kernel _ZN7rocprim17ROCPRIM_400000_NS6detail17trampoline_kernelINS0_14default_configENS1_25partition_config_selectorILNS1_17partition_subalgoE8EN3c104HalfENS0_10empty_typeEbEEZZNS1_14partition_implILS5_8ELb0ES3_jPKS7_PS8_PKS8_NS0_5tupleIJPS7_S8_EEENSG_IJSD_SD_EEENS0_18inequality_wrapperIN6hipcub16HIPCUB_304000_NS8EqualityEEEPlJS8_EEE10hipError_tPvRmT3_T4_T5_T6_T7_T9_mT8_P12ihipStream_tbDpT10_ENKUlT_T0_E_clISt17integral_constantIbLb1EES18_IbLb0EEEEDaS14_S15_EUlS14_E_NS1_11comp_targetILNS1_3genE5ELNS1_11target_archE942ELNS1_3gpuE9ELNS1_3repE0EEENS1_30default_config_static_selectorELNS0_4arch9wavefront6targetE1EEEvT1_
		.amdhsa_group_segment_fixed_size 0
		.amdhsa_private_segment_fixed_size 0
		.amdhsa_kernarg_size 112
		.amdhsa_user_sgpr_count 6
		.amdhsa_user_sgpr_private_segment_buffer 1
		.amdhsa_user_sgpr_dispatch_ptr 0
		.amdhsa_user_sgpr_queue_ptr 0
		.amdhsa_user_sgpr_kernarg_segment_ptr 1
		.amdhsa_user_sgpr_dispatch_id 0
		.amdhsa_user_sgpr_flat_scratch_init 0
		.amdhsa_user_sgpr_kernarg_preload_length 0
		.amdhsa_user_sgpr_kernarg_preload_offset 0
		.amdhsa_user_sgpr_private_segment_size 0
		.amdhsa_uses_dynamic_stack 0
		.amdhsa_system_sgpr_private_segment_wavefront_offset 0
		.amdhsa_system_sgpr_workgroup_id_x 1
		.amdhsa_system_sgpr_workgroup_id_y 0
		.amdhsa_system_sgpr_workgroup_id_z 0
		.amdhsa_system_sgpr_workgroup_info 0
		.amdhsa_system_vgpr_workitem_id 0
		.amdhsa_next_free_vgpr 1
		.amdhsa_next_free_sgpr 0
		.amdhsa_accum_offset 4
		.amdhsa_reserve_vcc 0
		.amdhsa_reserve_flat_scratch 0
		.amdhsa_float_round_mode_32 0
		.amdhsa_float_round_mode_16_64 0
		.amdhsa_float_denorm_mode_32 3
		.amdhsa_float_denorm_mode_16_64 3
		.amdhsa_dx10_clamp 1
		.amdhsa_ieee_mode 1
		.amdhsa_fp16_overflow 0
		.amdhsa_tg_split 0
		.amdhsa_exception_fp_ieee_invalid_op 0
		.amdhsa_exception_fp_denorm_src 0
		.amdhsa_exception_fp_ieee_div_zero 0
		.amdhsa_exception_fp_ieee_overflow 0
		.amdhsa_exception_fp_ieee_underflow 0
		.amdhsa_exception_fp_ieee_inexact 0
		.amdhsa_exception_int_div_zero 0
	.end_amdhsa_kernel
	.section	.text._ZN7rocprim17ROCPRIM_400000_NS6detail17trampoline_kernelINS0_14default_configENS1_25partition_config_selectorILNS1_17partition_subalgoE8EN3c104HalfENS0_10empty_typeEbEEZZNS1_14partition_implILS5_8ELb0ES3_jPKS7_PS8_PKS8_NS0_5tupleIJPS7_S8_EEENSG_IJSD_SD_EEENS0_18inequality_wrapperIN6hipcub16HIPCUB_304000_NS8EqualityEEEPlJS8_EEE10hipError_tPvRmT3_T4_T5_T6_T7_T9_mT8_P12ihipStream_tbDpT10_ENKUlT_T0_E_clISt17integral_constantIbLb1EES18_IbLb0EEEEDaS14_S15_EUlS14_E_NS1_11comp_targetILNS1_3genE5ELNS1_11target_archE942ELNS1_3gpuE9ELNS1_3repE0EEENS1_30default_config_static_selectorELNS0_4arch9wavefront6targetE1EEEvT1_,"axG",@progbits,_ZN7rocprim17ROCPRIM_400000_NS6detail17trampoline_kernelINS0_14default_configENS1_25partition_config_selectorILNS1_17partition_subalgoE8EN3c104HalfENS0_10empty_typeEbEEZZNS1_14partition_implILS5_8ELb0ES3_jPKS7_PS8_PKS8_NS0_5tupleIJPS7_S8_EEENSG_IJSD_SD_EEENS0_18inequality_wrapperIN6hipcub16HIPCUB_304000_NS8EqualityEEEPlJS8_EEE10hipError_tPvRmT3_T4_T5_T6_T7_T9_mT8_P12ihipStream_tbDpT10_ENKUlT_T0_E_clISt17integral_constantIbLb1EES18_IbLb0EEEEDaS14_S15_EUlS14_E_NS1_11comp_targetILNS1_3genE5ELNS1_11target_archE942ELNS1_3gpuE9ELNS1_3repE0EEENS1_30default_config_static_selectorELNS0_4arch9wavefront6targetE1EEEvT1_,comdat
.Lfunc_end910:
	.size	_ZN7rocprim17ROCPRIM_400000_NS6detail17trampoline_kernelINS0_14default_configENS1_25partition_config_selectorILNS1_17partition_subalgoE8EN3c104HalfENS0_10empty_typeEbEEZZNS1_14partition_implILS5_8ELb0ES3_jPKS7_PS8_PKS8_NS0_5tupleIJPS7_S8_EEENSG_IJSD_SD_EEENS0_18inequality_wrapperIN6hipcub16HIPCUB_304000_NS8EqualityEEEPlJS8_EEE10hipError_tPvRmT3_T4_T5_T6_T7_T9_mT8_P12ihipStream_tbDpT10_ENKUlT_T0_E_clISt17integral_constantIbLb1EES18_IbLb0EEEEDaS14_S15_EUlS14_E_NS1_11comp_targetILNS1_3genE5ELNS1_11target_archE942ELNS1_3gpuE9ELNS1_3repE0EEENS1_30default_config_static_selectorELNS0_4arch9wavefront6targetE1EEEvT1_, .Lfunc_end910-_ZN7rocprim17ROCPRIM_400000_NS6detail17trampoline_kernelINS0_14default_configENS1_25partition_config_selectorILNS1_17partition_subalgoE8EN3c104HalfENS0_10empty_typeEbEEZZNS1_14partition_implILS5_8ELb0ES3_jPKS7_PS8_PKS8_NS0_5tupleIJPS7_S8_EEENSG_IJSD_SD_EEENS0_18inequality_wrapperIN6hipcub16HIPCUB_304000_NS8EqualityEEEPlJS8_EEE10hipError_tPvRmT3_T4_T5_T6_T7_T9_mT8_P12ihipStream_tbDpT10_ENKUlT_T0_E_clISt17integral_constantIbLb1EES18_IbLb0EEEEDaS14_S15_EUlS14_E_NS1_11comp_targetILNS1_3genE5ELNS1_11target_archE942ELNS1_3gpuE9ELNS1_3repE0EEENS1_30default_config_static_selectorELNS0_4arch9wavefront6targetE1EEEvT1_
                                        ; -- End function
	.section	.AMDGPU.csdata,"",@progbits
; Kernel info:
; codeLenInByte = 0
; NumSgprs: 4
; NumVgprs: 0
; NumAgprs: 0
; TotalNumVgprs: 0
; ScratchSize: 0
; MemoryBound: 0
; FloatMode: 240
; IeeeMode: 1
; LDSByteSize: 0 bytes/workgroup (compile time only)
; SGPRBlocks: 0
; VGPRBlocks: 0
; NumSGPRsForWavesPerEU: 4
; NumVGPRsForWavesPerEU: 1
; AccumOffset: 4
; Occupancy: 8
; WaveLimiterHint : 0
; COMPUTE_PGM_RSRC2:SCRATCH_EN: 0
; COMPUTE_PGM_RSRC2:USER_SGPR: 6
; COMPUTE_PGM_RSRC2:TRAP_HANDLER: 0
; COMPUTE_PGM_RSRC2:TGID_X_EN: 1
; COMPUTE_PGM_RSRC2:TGID_Y_EN: 0
; COMPUTE_PGM_RSRC2:TGID_Z_EN: 0
; COMPUTE_PGM_RSRC2:TIDIG_COMP_CNT: 0
; COMPUTE_PGM_RSRC3_GFX90A:ACCUM_OFFSET: 0
; COMPUTE_PGM_RSRC3_GFX90A:TG_SPLIT: 0
	.section	.text._ZN7rocprim17ROCPRIM_400000_NS6detail17trampoline_kernelINS0_14default_configENS1_25partition_config_selectorILNS1_17partition_subalgoE8EN3c104HalfENS0_10empty_typeEbEEZZNS1_14partition_implILS5_8ELb0ES3_jPKS7_PS8_PKS8_NS0_5tupleIJPS7_S8_EEENSG_IJSD_SD_EEENS0_18inequality_wrapperIN6hipcub16HIPCUB_304000_NS8EqualityEEEPlJS8_EEE10hipError_tPvRmT3_T4_T5_T6_T7_T9_mT8_P12ihipStream_tbDpT10_ENKUlT_T0_E_clISt17integral_constantIbLb1EES18_IbLb0EEEEDaS14_S15_EUlS14_E_NS1_11comp_targetILNS1_3genE4ELNS1_11target_archE910ELNS1_3gpuE8ELNS1_3repE0EEENS1_30default_config_static_selectorELNS0_4arch9wavefront6targetE1EEEvT1_,"axG",@progbits,_ZN7rocprim17ROCPRIM_400000_NS6detail17trampoline_kernelINS0_14default_configENS1_25partition_config_selectorILNS1_17partition_subalgoE8EN3c104HalfENS0_10empty_typeEbEEZZNS1_14partition_implILS5_8ELb0ES3_jPKS7_PS8_PKS8_NS0_5tupleIJPS7_S8_EEENSG_IJSD_SD_EEENS0_18inequality_wrapperIN6hipcub16HIPCUB_304000_NS8EqualityEEEPlJS8_EEE10hipError_tPvRmT3_T4_T5_T6_T7_T9_mT8_P12ihipStream_tbDpT10_ENKUlT_T0_E_clISt17integral_constantIbLb1EES18_IbLb0EEEEDaS14_S15_EUlS14_E_NS1_11comp_targetILNS1_3genE4ELNS1_11target_archE910ELNS1_3gpuE8ELNS1_3repE0EEENS1_30default_config_static_selectorELNS0_4arch9wavefront6targetE1EEEvT1_,comdat
	.protected	_ZN7rocprim17ROCPRIM_400000_NS6detail17trampoline_kernelINS0_14default_configENS1_25partition_config_selectorILNS1_17partition_subalgoE8EN3c104HalfENS0_10empty_typeEbEEZZNS1_14partition_implILS5_8ELb0ES3_jPKS7_PS8_PKS8_NS0_5tupleIJPS7_S8_EEENSG_IJSD_SD_EEENS0_18inequality_wrapperIN6hipcub16HIPCUB_304000_NS8EqualityEEEPlJS8_EEE10hipError_tPvRmT3_T4_T5_T6_T7_T9_mT8_P12ihipStream_tbDpT10_ENKUlT_T0_E_clISt17integral_constantIbLb1EES18_IbLb0EEEEDaS14_S15_EUlS14_E_NS1_11comp_targetILNS1_3genE4ELNS1_11target_archE910ELNS1_3gpuE8ELNS1_3repE0EEENS1_30default_config_static_selectorELNS0_4arch9wavefront6targetE1EEEvT1_ ; -- Begin function _ZN7rocprim17ROCPRIM_400000_NS6detail17trampoline_kernelINS0_14default_configENS1_25partition_config_selectorILNS1_17partition_subalgoE8EN3c104HalfENS0_10empty_typeEbEEZZNS1_14partition_implILS5_8ELb0ES3_jPKS7_PS8_PKS8_NS0_5tupleIJPS7_S8_EEENSG_IJSD_SD_EEENS0_18inequality_wrapperIN6hipcub16HIPCUB_304000_NS8EqualityEEEPlJS8_EEE10hipError_tPvRmT3_T4_T5_T6_T7_T9_mT8_P12ihipStream_tbDpT10_ENKUlT_T0_E_clISt17integral_constantIbLb1EES18_IbLb0EEEEDaS14_S15_EUlS14_E_NS1_11comp_targetILNS1_3genE4ELNS1_11target_archE910ELNS1_3gpuE8ELNS1_3repE0EEENS1_30default_config_static_selectorELNS0_4arch9wavefront6targetE1EEEvT1_
	.globl	_ZN7rocprim17ROCPRIM_400000_NS6detail17trampoline_kernelINS0_14default_configENS1_25partition_config_selectorILNS1_17partition_subalgoE8EN3c104HalfENS0_10empty_typeEbEEZZNS1_14partition_implILS5_8ELb0ES3_jPKS7_PS8_PKS8_NS0_5tupleIJPS7_S8_EEENSG_IJSD_SD_EEENS0_18inequality_wrapperIN6hipcub16HIPCUB_304000_NS8EqualityEEEPlJS8_EEE10hipError_tPvRmT3_T4_T5_T6_T7_T9_mT8_P12ihipStream_tbDpT10_ENKUlT_T0_E_clISt17integral_constantIbLb1EES18_IbLb0EEEEDaS14_S15_EUlS14_E_NS1_11comp_targetILNS1_3genE4ELNS1_11target_archE910ELNS1_3gpuE8ELNS1_3repE0EEENS1_30default_config_static_selectorELNS0_4arch9wavefront6targetE1EEEvT1_
	.p2align	8
	.type	_ZN7rocprim17ROCPRIM_400000_NS6detail17trampoline_kernelINS0_14default_configENS1_25partition_config_selectorILNS1_17partition_subalgoE8EN3c104HalfENS0_10empty_typeEbEEZZNS1_14partition_implILS5_8ELb0ES3_jPKS7_PS8_PKS8_NS0_5tupleIJPS7_S8_EEENSG_IJSD_SD_EEENS0_18inequality_wrapperIN6hipcub16HIPCUB_304000_NS8EqualityEEEPlJS8_EEE10hipError_tPvRmT3_T4_T5_T6_T7_T9_mT8_P12ihipStream_tbDpT10_ENKUlT_T0_E_clISt17integral_constantIbLb1EES18_IbLb0EEEEDaS14_S15_EUlS14_E_NS1_11comp_targetILNS1_3genE4ELNS1_11target_archE910ELNS1_3gpuE8ELNS1_3repE0EEENS1_30default_config_static_selectorELNS0_4arch9wavefront6targetE1EEEvT1_,@function
_ZN7rocprim17ROCPRIM_400000_NS6detail17trampoline_kernelINS0_14default_configENS1_25partition_config_selectorILNS1_17partition_subalgoE8EN3c104HalfENS0_10empty_typeEbEEZZNS1_14partition_implILS5_8ELb0ES3_jPKS7_PS8_PKS8_NS0_5tupleIJPS7_S8_EEENSG_IJSD_SD_EEENS0_18inequality_wrapperIN6hipcub16HIPCUB_304000_NS8EqualityEEEPlJS8_EEE10hipError_tPvRmT3_T4_T5_T6_T7_T9_mT8_P12ihipStream_tbDpT10_ENKUlT_T0_E_clISt17integral_constantIbLb1EES18_IbLb0EEEEDaS14_S15_EUlS14_E_NS1_11comp_targetILNS1_3genE4ELNS1_11target_archE910ELNS1_3gpuE8ELNS1_3repE0EEENS1_30default_config_static_selectorELNS0_4arch9wavefront6targetE1EEEvT1_: ; @_ZN7rocprim17ROCPRIM_400000_NS6detail17trampoline_kernelINS0_14default_configENS1_25partition_config_selectorILNS1_17partition_subalgoE8EN3c104HalfENS0_10empty_typeEbEEZZNS1_14partition_implILS5_8ELb0ES3_jPKS7_PS8_PKS8_NS0_5tupleIJPS7_S8_EEENSG_IJSD_SD_EEENS0_18inequality_wrapperIN6hipcub16HIPCUB_304000_NS8EqualityEEEPlJS8_EEE10hipError_tPvRmT3_T4_T5_T6_T7_T9_mT8_P12ihipStream_tbDpT10_ENKUlT_T0_E_clISt17integral_constantIbLb1EES18_IbLb0EEEEDaS14_S15_EUlS14_E_NS1_11comp_targetILNS1_3genE4ELNS1_11target_archE910ELNS1_3gpuE8ELNS1_3repE0EEENS1_30default_config_static_selectorELNS0_4arch9wavefront6targetE1EEEvT1_
; %bb.0:
	s_load_dwordx2 s[8:9], s[4:5], 0x50
	s_load_dwordx4 s[0:3], s[4:5], 0x8
	s_load_dwordx4 s[20:23], s[4:5], 0x40
	s_load_dword s7, s[4:5], 0x68
	s_waitcnt lgkmcnt(0)
	v_mov_b32_e32 v3, s9
	s_lshl_b64 s[10:11], s[2:3], 1
	s_add_u32 s12, s0, s10
	s_mul_i32 s9, s7, 0x1600
	s_addc_u32 s13, s1, s11
	s_add_i32 s1, s9, s2
	s_add_i32 s10, s7, -1
	s_sub_i32 s7, s8, s1
	v_mov_b32_e32 v2, s8
	s_add_u32 s8, s2, s9
	s_addc_u32 s9, s3, 0
	s_cmp_eq_u32 s6, s10
	s_load_dwordx2 s[22:23], s[22:23], 0x0
	v_cmp_ge_u64_e32 vcc, s[8:9], v[2:3]
	s_cselect_b64 s[24:25], -1, 0
	s_mul_i32 s0, s6, 0x1600
	s_mov_b32 s1, 0
	s_and_b64 s[8:9], s[24:25], vcc
	s_xor_b64 s[26:27], s[8:9], -1
	s_lshl_b64 s[0:1], s[0:1], 1
	s_add_u32 s0, s12, s0
	s_mov_b64 s[10:11], -1
	s_addc_u32 s1, s13, s1
	s_and_b64 vcc, exec, s[26:27]
	s_cbranch_vccz .LBB911_2
; %bb.1:
	v_lshlrev_b32_e32 v1, 1, v0
	v_mov_b32_e32 v2, s1
	v_add_co_u32_e32 v4, vcc, s0, v1
	v_addc_co_u32_e32 v5, vcc, 0, v2, vcc
	v_add_co_u32_e32 v2, vcc, 0x1000, v4
	v_addc_co_u32_e32 v3, vcc, 0, v5, vcc
	global_load_ushort v6, v1, s[0:1]
	global_load_ushort v7, v1, s[0:1] offset:512
	global_load_ushort v8, v1, s[0:1] offset:1024
	;; [unrolled: 1-line block ×7, first 2 shown]
	global_load_ushort v14, v[2:3], off
	global_load_ushort v15, v[2:3], off offset:512
	global_load_ushort v16, v[2:3], off offset:1024
	;; [unrolled: 1-line block ×7, first 2 shown]
	v_add_co_u32_e32 v2, vcc, 0x2000, v4
	v_addc_co_u32_e32 v3, vcc, 0, v5, vcc
	global_load_ushort v4, v[2:3], off
	global_load_ushort v5, v[2:3], off offset:512
	global_load_ushort v22, v[2:3], off offset:1024
	;; [unrolled: 1-line block ×5, first 2 shown]
	s_mov_b64 s[10:11], 0
	s_waitcnt vmcnt(21)
	ds_write_b16 v1, v6
	s_waitcnt vmcnt(20)
	ds_write_b16 v1, v7 offset:512
	s_waitcnt vmcnt(19)
	ds_write_b16 v1, v8 offset:1024
	;; [unrolled: 2-line block ×21, first 2 shown]
	s_waitcnt lgkmcnt(0)
	s_barrier
.LBB911_2:
	s_andn2_b64 vcc, exec, s[10:11]
	s_addk_i32 s7, 0x1600
	s_cbranch_vccnz .LBB911_48
; %bb.3:
	v_cmp_gt_u32_e32 vcc, s7, v0
                                        ; implicit-def: $vgpr1
	s_and_saveexec_b64 s[10:11], vcc
	s_cbranch_execz .LBB911_5
; %bb.4:
	v_lshlrev_b32_e32 v1, 1, v0
	global_load_ushort v1, v1, s[0:1]
.LBB911_5:
	s_or_b64 exec, exec, s[10:11]
	v_or_b32_e32 v2, 0x100, v0
	v_cmp_gt_u32_e32 vcc, s7, v2
                                        ; implicit-def: $vgpr2
	s_and_saveexec_b64 s[10:11], vcc
	s_cbranch_execz .LBB911_7
; %bb.6:
	v_lshlrev_b32_e32 v2, 1, v0
	global_load_ushort v2, v2, s[0:1] offset:512
.LBB911_7:
	s_or_b64 exec, exec, s[10:11]
	v_or_b32_e32 v3, 0x200, v0
	v_cmp_gt_u32_e32 vcc, s7, v3
                                        ; implicit-def: $vgpr3
	s_and_saveexec_b64 s[10:11], vcc
	s_cbranch_execz .LBB911_9
; %bb.8:
	v_lshlrev_b32_e32 v3, 1, v0
	global_load_ushort v3, v3, s[0:1] offset:1024
.LBB911_9:
	s_or_b64 exec, exec, s[10:11]
	v_or_b32_e32 v4, 0x300, v0
	v_cmp_gt_u32_e32 vcc, s7, v4
                                        ; implicit-def: $vgpr4
	s_and_saveexec_b64 s[10:11], vcc
	s_cbranch_execz .LBB911_11
; %bb.10:
	v_lshlrev_b32_e32 v4, 1, v0
	global_load_ushort v4, v4, s[0:1] offset:1536
.LBB911_11:
	s_or_b64 exec, exec, s[10:11]
	v_or_b32_e32 v5, 0x400, v0
	v_cmp_gt_u32_e32 vcc, s7, v5
                                        ; implicit-def: $vgpr5
	s_and_saveexec_b64 s[10:11], vcc
	s_cbranch_execz .LBB911_13
; %bb.12:
	v_lshlrev_b32_e32 v5, 1, v0
	global_load_ushort v5, v5, s[0:1] offset:2048
.LBB911_13:
	s_or_b64 exec, exec, s[10:11]
	v_or_b32_e32 v6, 0x500, v0
	v_cmp_gt_u32_e32 vcc, s7, v6
                                        ; implicit-def: $vgpr6
	s_and_saveexec_b64 s[10:11], vcc
	s_cbranch_execz .LBB911_15
; %bb.14:
	v_lshlrev_b32_e32 v6, 1, v0
	global_load_ushort v6, v6, s[0:1] offset:2560
.LBB911_15:
	s_or_b64 exec, exec, s[10:11]
	v_or_b32_e32 v7, 0x600, v0
	v_cmp_gt_u32_e32 vcc, s7, v7
                                        ; implicit-def: $vgpr7
	s_and_saveexec_b64 s[10:11], vcc
	s_cbranch_execz .LBB911_17
; %bb.16:
	v_lshlrev_b32_e32 v7, 1, v0
	global_load_ushort v7, v7, s[0:1] offset:3072
.LBB911_17:
	s_or_b64 exec, exec, s[10:11]
	v_or_b32_e32 v8, 0x700, v0
	v_cmp_gt_u32_e32 vcc, s7, v8
                                        ; implicit-def: $vgpr8
	s_and_saveexec_b64 s[10:11], vcc
	s_cbranch_execz .LBB911_19
; %bb.18:
	v_lshlrev_b32_e32 v8, 1, v0
	global_load_ushort v8, v8, s[0:1] offset:3584
.LBB911_19:
	s_or_b64 exec, exec, s[10:11]
	v_or_b32_e32 v10, 0x800, v0
	v_cmp_gt_u32_e32 vcc, s7, v10
                                        ; implicit-def: $vgpr9
	s_and_saveexec_b64 s[10:11], vcc
	s_cbranch_execz .LBB911_21
; %bb.20:
	v_lshlrev_b32_e32 v9, 1, v10
	global_load_ushort v9, v9, s[0:1]
.LBB911_21:
	s_or_b64 exec, exec, s[10:11]
	v_or_b32_e32 v11, 0x900, v0
	v_cmp_gt_u32_e32 vcc, s7, v11
                                        ; implicit-def: $vgpr10
	s_and_saveexec_b64 s[10:11], vcc
	s_cbranch_execz .LBB911_23
; %bb.22:
	v_lshlrev_b32_e32 v10, 1, v11
	global_load_ushort v10, v10, s[0:1]
.LBB911_23:
	s_or_b64 exec, exec, s[10:11]
	v_or_b32_e32 v12, 0xa00, v0
	v_cmp_gt_u32_e32 vcc, s7, v12
                                        ; implicit-def: $vgpr11
	s_and_saveexec_b64 s[10:11], vcc
	s_cbranch_execz .LBB911_25
; %bb.24:
	v_lshlrev_b32_e32 v11, 1, v12
	global_load_ushort v11, v11, s[0:1]
.LBB911_25:
	s_or_b64 exec, exec, s[10:11]
	v_or_b32_e32 v13, 0xb00, v0
	v_cmp_gt_u32_e32 vcc, s7, v13
                                        ; implicit-def: $vgpr12
	s_and_saveexec_b64 s[10:11], vcc
	s_cbranch_execz .LBB911_27
; %bb.26:
	v_lshlrev_b32_e32 v12, 1, v13
	global_load_ushort v12, v12, s[0:1]
.LBB911_27:
	s_or_b64 exec, exec, s[10:11]
	v_or_b32_e32 v14, 0xc00, v0
	v_cmp_gt_u32_e32 vcc, s7, v14
                                        ; implicit-def: $vgpr13
	s_and_saveexec_b64 s[10:11], vcc
	s_cbranch_execz .LBB911_29
; %bb.28:
	v_lshlrev_b32_e32 v13, 1, v14
	global_load_ushort v13, v13, s[0:1]
.LBB911_29:
	s_or_b64 exec, exec, s[10:11]
	v_or_b32_e32 v15, 0xd00, v0
	v_cmp_gt_u32_e32 vcc, s7, v15
                                        ; implicit-def: $vgpr14
	s_and_saveexec_b64 s[10:11], vcc
	s_cbranch_execz .LBB911_31
; %bb.30:
	v_lshlrev_b32_e32 v14, 1, v15
	global_load_ushort v14, v14, s[0:1]
.LBB911_31:
	s_or_b64 exec, exec, s[10:11]
	v_or_b32_e32 v16, 0xe00, v0
	v_cmp_gt_u32_e32 vcc, s7, v16
                                        ; implicit-def: $vgpr15
	s_and_saveexec_b64 s[10:11], vcc
	s_cbranch_execz .LBB911_33
; %bb.32:
	v_lshlrev_b32_e32 v15, 1, v16
	global_load_ushort v15, v15, s[0:1]
.LBB911_33:
	s_or_b64 exec, exec, s[10:11]
	v_or_b32_e32 v17, 0xf00, v0
	v_cmp_gt_u32_e32 vcc, s7, v17
                                        ; implicit-def: $vgpr16
	s_and_saveexec_b64 s[10:11], vcc
	s_cbranch_execz .LBB911_35
; %bb.34:
	v_lshlrev_b32_e32 v16, 1, v17
	global_load_ushort v16, v16, s[0:1]
.LBB911_35:
	s_or_b64 exec, exec, s[10:11]
	v_or_b32_e32 v18, 0x1000, v0
	v_cmp_gt_u32_e32 vcc, s7, v18
                                        ; implicit-def: $vgpr17
	s_and_saveexec_b64 s[10:11], vcc
	s_cbranch_execz .LBB911_37
; %bb.36:
	v_lshlrev_b32_e32 v17, 1, v18
	global_load_ushort v17, v17, s[0:1]
.LBB911_37:
	s_or_b64 exec, exec, s[10:11]
	v_or_b32_e32 v19, 0x1100, v0
	v_cmp_gt_u32_e32 vcc, s7, v19
                                        ; implicit-def: $vgpr18
	s_and_saveexec_b64 s[10:11], vcc
	s_cbranch_execz .LBB911_39
; %bb.38:
	v_lshlrev_b32_e32 v18, 1, v19
	global_load_ushort v18, v18, s[0:1]
.LBB911_39:
	s_or_b64 exec, exec, s[10:11]
	v_or_b32_e32 v20, 0x1200, v0
	v_cmp_gt_u32_e32 vcc, s7, v20
                                        ; implicit-def: $vgpr19
	s_and_saveexec_b64 s[10:11], vcc
	s_cbranch_execz .LBB911_41
; %bb.40:
	v_lshlrev_b32_e32 v19, 1, v20
	global_load_ushort v19, v19, s[0:1]
.LBB911_41:
	s_or_b64 exec, exec, s[10:11]
	v_or_b32_e32 v21, 0x1300, v0
	v_cmp_gt_u32_e32 vcc, s7, v21
                                        ; implicit-def: $vgpr20
	s_and_saveexec_b64 s[10:11], vcc
	s_cbranch_execz .LBB911_43
; %bb.42:
	v_lshlrev_b32_e32 v20, 1, v21
	global_load_ushort v20, v20, s[0:1]
.LBB911_43:
	s_or_b64 exec, exec, s[10:11]
	v_or_b32_e32 v22, 0x1400, v0
	v_cmp_gt_u32_e32 vcc, s7, v22
                                        ; implicit-def: $vgpr21
	s_and_saveexec_b64 s[10:11], vcc
	s_cbranch_execz .LBB911_45
; %bb.44:
	v_lshlrev_b32_e32 v21, 1, v22
	global_load_ushort v21, v21, s[0:1]
.LBB911_45:
	s_or_b64 exec, exec, s[10:11]
	v_or_b32_e32 v23, 0x1500, v0
	v_cmp_gt_u32_e32 vcc, s7, v23
                                        ; implicit-def: $vgpr22
	s_and_saveexec_b64 s[10:11], vcc
	s_cbranch_execz .LBB911_47
; %bb.46:
	v_lshlrev_b32_e32 v22, 1, v23
	global_load_ushort v22, v22, s[0:1]
.LBB911_47:
	s_or_b64 exec, exec, s[10:11]
	v_lshlrev_b32_e32 v23, 1, v0
	s_waitcnt vmcnt(0)
	ds_write_b16 v23, v1
	ds_write_b16 v23, v2 offset:512
	ds_write_b16 v23, v3 offset:1024
	;; [unrolled: 1-line block ×21, first 2 shown]
	s_waitcnt lgkmcnt(0)
	s_barrier
.LBB911_48:
	v_mul_u32_u24_e32 v20, 22, v0
	v_lshlrev_b32_e32 v34, 1, v20
	s_waitcnt lgkmcnt(0)
	ds_read_b32 v60, v34 offset:40
	ds_read2_b32 v[2:3], v34 offset0:8 offset1:9
	ds_read2_b32 v[10:11], v34 offset1:1
	ds_read2_b32 v[8:9], v34 offset0:2 offset1:3
	ds_read2_b32 v[4:5], v34 offset0:6 offset1:7
	;; [unrolled: 1-line block ×3, first 2 shown]
	s_cmp_lg_u32 s6, 0
	s_cselect_b64 s[16:17], -1, 0
	s_cmp_lg_u64 s[2:3], 0
	s_cselect_b64 s[2:3], -1, 0
	s_or_b64 s[2:3], s[16:17], s[2:3]
	v_mad_u32_u24 v12, v0, 22, 21
	v_mad_u32_u24 v13, v0, 22, 20
	s_waitcnt lgkmcnt(5)
	v_lshrrev_b32_e32 v1, 16, v60
	v_mad_u32_u24 v14, v0, 22, 19
	v_mad_u32_u24 v15, v0, 22, 18
	;; [unrolled: 1-line block ×6, first 2 shown]
	v_or_b32_e32 v32, 1, v20
	v_mad_u32_u24 v33, v0, 22, 2
	v_mad_u32_u24 v31, v0, 22, 3
	v_mad_u32_u24 v29, v0, 22, 4
	v_mad_u32_u24 v27, v0, 22, 5
	v_mad_u32_u24 v30, v0, 22, 6
	v_mad_u32_u24 v28, v0, 22, 7
	v_mad_u32_u24 v25, v0, 22, 8
	v_mad_u32_u24 v23, v0, 22, 9
	v_mad_u32_u24 v26, v0, 22, 10
	v_mad_u32_u24 v24, v0, 22, 11
	v_mad_u32_u24 v22, v0, 22, 12
	v_mad_u32_u24 v21, v0, 22, 13
	s_mov_b64 s[10:11], 0
	s_and_b64 vcc, exec, s[2:3]
	s_waitcnt lgkmcnt(0)
	s_barrier
	s_cbranch_vccz .LBB911_53
; %bb.49:
	v_mov_b32_e32 v35, 0
	global_load_ushort v35, v35, s[0:1] offset:-2
	v_lshlrev_b32_e32 v36, 1, v0
	s_and_b64 vcc, exec, s[26:27]
	ds_write_b16 v36, v1
	s_cbranch_vccz .LBB911_55
; %bb.50:
	v_cmp_ne_u32_e32 vcc, 0, v0
	s_waitcnt vmcnt(0)
	v_mov_b32_e32 v37, v35
	s_waitcnt lgkmcnt(0)
	s_barrier
	s_and_saveexec_b64 s[0:1], vcc
	s_cbranch_execz .LBB911_52
; %bb.51:
	v_add_u32_e32 v37, -2, v36
	ds_read_u16 v37, v37
.LBB911_52:
	s_or_b64 exec, exec, s[0:1]
	v_cmp_neq_f16_sdwa s[0:1], v3, v60 src0_sel:WORD_1 src1_sel:DWORD
	v_cndmask_b32_e64 v62, 0, 1, s[0:1]
	v_cmp_neq_f16_sdwa s[0:1], v3, v3 src0_sel:DWORD src1_sel:WORD_1
	v_cndmask_b32_e64 v63, 0, 1, s[0:1]
	v_cmp_neq_f16_sdwa s[0:1], v2, v3 src0_sel:WORD_1 src1_sel:DWORD
	v_cndmask_b32_e64 v64, 0, 1, s[0:1]
	v_cmp_neq_f16_sdwa s[0:1], v2, v2 src0_sel:DWORD src1_sel:WORD_1
	v_cndmask_b32_e64 v65, 0, 1, s[0:1]
	;; [unrolled: 4-line block ×9, first 2 shown]
	v_cmp_neq_f16_sdwa s[0:1], v10, v11 src0_sel:WORD_1 src1_sel:DWORD
	v_cmp_neq_f16_e32 vcc, v60, v1
	v_cndmask_b32_e64 v80, 0, 1, s[0:1]
	v_cmp_neq_f16_sdwa s[0:1], v10, v10 src0_sel:DWORD src1_sel:WORD_1
	v_cndmask_b32_e64 v61, 0, 1, vcc
	v_cndmask_b32_e64 v81, 0, 1, s[0:1]
	s_waitcnt lgkmcnt(0)
	v_cmp_neq_f16_e64 s[0:1], v10, v37
	s_branch .LBB911_59
.LBB911_53:
                                        ; implicit-def: $sgpr0_sgpr1
                                        ; implicit-def: $vgpr81
                                        ; implicit-def: $vgpr80
                                        ; implicit-def: $vgpr79
                                        ; implicit-def: $vgpr78
                                        ; implicit-def: $vgpr77
                                        ; implicit-def: $vgpr76
                                        ; implicit-def: $vgpr75
                                        ; implicit-def: $vgpr74
                                        ; implicit-def: $vgpr73
                                        ; implicit-def: $vgpr72
                                        ; implicit-def: $vgpr71
                                        ; implicit-def: $vgpr70
                                        ; implicit-def: $vgpr69
                                        ; implicit-def: $vgpr68
                                        ; implicit-def: $vgpr67
                                        ; implicit-def: $vgpr66
                                        ; implicit-def: $vgpr65
                                        ; implicit-def: $vgpr64
                                        ; implicit-def: $vgpr63
                                        ; implicit-def: $vgpr62
                                        ; implicit-def: $vgpr61
	s_branch .LBB911_60
.LBB911_54:
                                        ; implicit-def: $sgpr12
	s_branch .LBB911_68
.LBB911_55:
                                        ; implicit-def: $sgpr0_sgpr1
                                        ; implicit-def: $vgpr81
                                        ; implicit-def: $vgpr80
                                        ; implicit-def: $vgpr79
                                        ; implicit-def: $vgpr78
                                        ; implicit-def: $vgpr77
                                        ; implicit-def: $vgpr76
                                        ; implicit-def: $vgpr75
                                        ; implicit-def: $vgpr74
                                        ; implicit-def: $vgpr73
                                        ; implicit-def: $vgpr72
                                        ; implicit-def: $vgpr71
                                        ; implicit-def: $vgpr70
                                        ; implicit-def: $vgpr69
                                        ; implicit-def: $vgpr68
                                        ; implicit-def: $vgpr67
                                        ; implicit-def: $vgpr66
                                        ; implicit-def: $vgpr65
                                        ; implicit-def: $vgpr64
                                        ; implicit-def: $vgpr63
                                        ; implicit-def: $vgpr62
                                        ; implicit-def: $vgpr61
	s_cbranch_execz .LBB911_59
; %bb.56:
	v_cmp_ne_u32_e32 vcc, 0, v0
	s_waitcnt lgkmcnt(0)
	s_barrier
	s_and_saveexec_b64 s[0:1], vcc
	s_cbranch_execz .LBB911_58
; %bb.57:
	s_waitcnt vmcnt(0)
	v_add_u32_e32 v35, -2, v36
	ds_read_u16 v35, v35
.LBB911_58:
	s_or_b64 exec, exec, s[0:1]
	v_cmp_gt_u32_e32 vcc, s7, v12
	v_cmp_neq_f16_e64 s[0:1], v60, v1
	s_and_b64 s[0:1], vcc, s[0:1]
	v_cndmask_b32_e64 v61, 0, 1, s[0:1]
	v_cmp_gt_u32_e32 vcc, s7, v13
	v_cmp_neq_f16_sdwa s[0:1], v3, v60 src0_sel:WORD_1 src1_sel:DWORD
	s_and_b64 s[0:1], vcc, s[0:1]
	v_cndmask_b32_e64 v62, 0, 1, s[0:1]
	v_cmp_gt_u32_e32 vcc, s7, v14
	v_cmp_neq_f16_sdwa s[0:1], v3, v3 src0_sel:DWORD src1_sel:WORD_1
	s_and_b64 s[0:1], vcc, s[0:1]
	v_cndmask_b32_e64 v63, 0, 1, s[0:1]
	v_cmp_gt_u32_e32 vcc, s7, v15
	v_cmp_neq_f16_sdwa s[0:1], v2, v3 src0_sel:WORD_1 src1_sel:DWORD
	s_and_b64 s[0:1], vcc, s[0:1]
	v_cndmask_b32_e64 v64, 0, 1, s[0:1]
	v_cmp_gt_u32_e32 vcc, s7, v16
	v_cmp_neq_f16_sdwa s[0:1], v2, v2 src0_sel:DWORD src1_sel:WORD_1
	s_and_b64 s[0:1], vcc, s[0:1]
	v_cndmask_b32_e64 v65, 0, 1, s[0:1]
	v_cmp_gt_u32_e32 vcc, s7, v17
	v_cmp_neq_f16_sdwa s[0:1], v5, v2 src0_sel:WORD_1 src1_sel:DWORD
	s_and_b64 s[0:1], vcc, s[0:1]
	v_cndmask_b32_e64 v66, 0, 1, s[0:1]
	v_cmp_gt_u32_e32 vcc, s7, v18
	v_cmp_neq_f16_sdwa s[0:1], v5, v5 src0_sel:DWORD src1_sel:WORD_1
	s_and_b64 s[0:1], vcc, s[0:1]
	v_cndmask_b32_e64 v67, 0, 1, s[0:1]
	v_cmp_gt_u32_e32 vcc, s7, v19
	v_cmp_neq_f16_sdwa s[0:1], v4, v5 src0_sel:WORD_1 src1_sel:DWORD
	s_and_b64 s[0:1], vcc, s[0:1]
	v_cndmask_b32_e64 v68, 0, 1, s[0:1]
	v_cmp_gt_u32_e32 vcc, s7, v21
	v_cmp_neq_f16_sdwa s[0:1], v4, v4 src0_sel:DWORD src1_sel:WORD_1
	s_and_b64 s[0:1], vcc, s[0:1]
	v_cndmask_b32_e64 v69, 0, 1, s[0:1]
	v_cmp_gt_u32_e32 vcc, s7, v22
	v_cmp_neq_f16_sdwa s[0:1], v7, v4 src0_sel:WORD_1 src1_sel:DWORD
	s_and_b64 s[0:1], vcc, s[0:1]
	v_cndmask_b32_e64 v70, 0, 1, s[0:1]
	v_cmp_gt_u32_e32 vcc, s7, v24
	v_cmp_neq_f16_sdwa s[0:1], v7, v7 src0_sel:DWORD src1_sel:WORD_1
	s_and_b64 s[0:1], vcc, s[0:1]
	v_cndmask_b32_e64 v71, 0, 1, s[0:1]
	v_cmp_gt_u32_e32 vcc, s7, v26
	v_cmp_neq_f16_sdwa s[0:1], v6, v7 src0_sel:WORD_1 src1_sel:DWORD
	s_and_b64 s[0:1], vcc, s[0:1]
	v_cndmask_b32_e64 v72, 0, 1, s[0:1]
	v_cmp_gt_u32_e32 vcc, s7, v23
	v_cmp_neq_f16_sdwa s[0:1], v6, v6 src0_sel:DWORD src1_sel:WORD_1
	s_and_b64 s[0:1], vcc, s[0:1]
	v_cndmask_b32_e64 v73, 0, 1, s[0:1]
	v_cmp_gt_u32_e32 vcc, s7, v25
	v_cmp_neq_f16_sdwa s[0:1], v9, v6 src0_sel:WORD_1 src1_sel:DWORD
	s_and_b64 s[0:1], vcc, s[0:1]
	v_cndmask_b32_e64 v74, 0, 1, s[0:1]
	v_cmp_gt_u32_e32 vcc, s7, v28
	v_cmp_neq_f16_sdwa s[0:1], v9, v9 src0_sel:DWORD src1_sel:WORD_1
	s_and_b64 s[0:1], vcc, s[0:1]
	v_cndmask_b32_e64 v75, 0, 1, s[0:1]
	v_cmp_gt_u32_e32 vcc, s7, v30
	v_cmp_neq_f16_sdwa s[0:1], v8, v9 src0_sel:WORD_1 src1_sel:DWORD
	s_and_b64 s[0:1], vcc, s[0:1]
	v_cndmask_b32_e64 v76, 0, 1, s[0:1]
	v_cmp_gt_u32_e32 vcc, s7, v27
	v_cmp_neq_f16_sdwa s[0:1], v8, v8 src0_sel:DWORD src1_sel:WORD_1
	s_and_b64 s[0:1], vcc, s[0:1]
	v_cndmask_b32_e64 v77, 0, 1, s[0:1]
	v_cmp_gt_u32_e32 vcc, s7, v29
	v_cmp_neq_f16_sdwa s[0:1], v11, v8 src0_sel:WORD_1 src1_sel:DWORD
	s_and_b64 s[0:1], vcc, s[0:1]
	v_cndmask_b32_e64 v78, 0, 1, s[0:1]
	v_cmp_gt_u32_e32 vcc, s7, v31
	v_cmp_neq_f16_sdwa s[0:1], v11, v11 src0_sel:DWORD src1_sel:WORD_1
	s_and_b64 s[0:1], vcc, s[0:1]
	v_cndmask_b32_e64 v79, 0, 1, s[0:1]
	v_cmp_gt_u32_e32 vcc, s7, v33
	v_cmp_neq_f16_sdwa s[0:1], v10, v11 src0_sel:WORD_1 src1_sel:DWORD
	s_and_b64 s[0:1], vcc, s[0:1]
	v_cndmask_b32_e64 v80, 0, 1, s[0:1]
	v_cmp_gt_u32_e32 vcc, s7, v32
	v_cmp_neq_f16_sdwa s[0:1], v10, v10 src0_sel:DWORD src1_sel:WORD_1
	s_and_b64 s[0:1], vcc, s[0:1]
	v_cndmask_b32_e64 v81, 0, 1, s[0:1]
	v_cmp_gt_u32_e32 vcc, s7, v20
	s_waitcnt vmcnt(0) lgkmcnt(0)
	v_cmp_neq_f16_e64 s[0:1], v10, v35
	s_and_b64 s[0:1], vcc, s[0:1]
.LBB911_59:
	s_mov_b64 s[10:11], -1
	s_cbranch_execnz .LBB911_54
.LBB911_60:
	s_movk_i32 s0, 0xffd6
	v_mad_i32_i24 v34, v0, s0, v34
	s_and_b64 vcc, exec, s[26:27]
	v_cmp_neq_f16_e64 s[0:1], v60, v1
	v_cmp_neq_f16_sdwa s[2:3], v3, v60 src0_sel:WORD_1 src1_sel:DWORD
	v_cmp_neq_f16_sdwa s[12:13], v3, v3 src0_sel:DWORD src1_sel:WORD_1
	v_cmp_neq_f16_sdwa s[14:15], v2, v3 src0_sel:WORD_1 src1_sel:DWORD
	v_cmp_neq_f16_sdwa s[18:19], v2, v2 src0_sel:DWORD src1_sel:WORD_1
	;; [unrolled: 2-line block ×10, first 2 shown]
	ds_write_b16 v34, v1
	s_cbranch_vccz .LBB911_64
; %bb.61:
	v_cndmask_b32_e64 v61, 0, 1, s[0:1]
	v_cndmask_b32_e64 v62, 0, 1, s[2:3]
	;; [unrolled: 1-line block ×21, first 2 shown]
	v_cmp_ne_u32_e32 vcc, 0, v0
	s_waitcnt lgkmcnt(0)
	s_barrier
	s_waitcnt lgkmcnt(0)
                                        ; implicit-def: $sgpr0_sgpr1
	s_and_saveexec_b64 s[2:3], vcc
	s_xor_b64 s[2:3], exec, s[2:3]
	s_cbranch_execz .LBB911_63
; %bb.62:
	s_waitcnt vmcnt(0)
	v_add_u32_e32 v35, -2, v34
	ds_read_u16 v35, v35
	s_or_b64 s[10:11], s[10:11], exec
	s_waitcnt lgkmcnt(0)
	v_cmp_neq_f16_e32 vcc, v35, v10
	s_and_b64 s[0:1], vcc, exec
.LBB911_63:
	s_or_b64 exec, exec, s[2:3]
	s_mov_b32 s12, 1
	s_branch .LBB911_68
.LBB911_64:
                                        ; implicit-def: $sgpr0_sgpr1
                                        ; implicit-def: $vgpr81
                                        ; implicit-def: $vgpr80
                                        ; implicit-def: $vgpr79
                                        ; implicit-def: $vgpr78
                                        ; implicit-def: $vgpr77
                                        ; implicit-def: $vgpr76
                                        ; implicit-def: $vgpr75
                                        ; implicit-def: $vgpr74
                                        ; implicit-def: $vgpr73
                                        ; implicit-def: $vgpr72
                                        ; implicit-def: $vgpr71
                                        ; implicit-def: $vgpr70
                                        ; implicit-def: $vgpr69
                                        ; implicit-def: $vgpr68
                                        ; implicit-def: $vgpr67
                                        ; implicit-def: $vgpr66
                                        ; implicit-def: $vgpr65
                                        ; implicit-def: $vgpr64
                                        ; implicit-def: $vgpr63
                                        ; implicit-def: $vgpr62
                                        ; implicit-def: $vgpr61
                                        ; implicit-def: $sgpr12
	s_cbranch_execz .LBB911_68
; %bb.65:
	v_cmp_gt_u32_e32 vcc, s7, v12
	v_cmp_neq_f16_e64 s[0:1], v60, v1
	s_and_b64 s[0:1], vcc, s[0:1]
	v_cndmask_b32_e64 v61, 0, 1, s[0:1]
	v_cmp_gt_u32_e32 vcc, s7, v13
	v_cmp_neq_f16_sdwa s[0:1], v3, v60 src0_sel:WORD_1 src1_sel:DWORD
	s_and_b64 s[0:1], vcc, s[0:1]
	v_cndmask_b32_e64 v62, 0, 1, s[0:1]
	v_cmp_gt_u32_e32 vcc, s7, v14
	v_cmp_neq_f16_sdwa s[0:1], v3, v3 src0_sel:DWORD src1_sel:WORD_1
	s_and_b64 s[0:1], vcc, s[0:1]
	v_cndmask_b32_e64 v63, 0, 1, s[0:1]
	v_cmp_gt_u32_e32 vcc, s7, v15
	v_cmp_neq_f16_sdwa s[0:1], v2, v3 src0_sel:WORD_1 src1_sel:DWORD
	s_and_b64 s[0:1], vcc, s[0:1]
	v_cndmask_b32_e64 v64, 0, 1, s[0:1]
	v_cmp_gt_u32_e32 vcc, s7, v16
	v_cmp_neq_f16_sdwa s[0:1], v2, v2 src0_sel:DWORD src1_sel:WORD_1
	;; [unrolled: 8-line block ×10, first 2 shown]
	s_and_b64 s[0:1], vcc, s[0:1]
	v_cndmask_b32_e64 v81, 0, 1, s[0:1]
	v_cmp_ne_u32_e32 vcc, 0, v0
	s_waitcnt lgkmcnt(0)
	s_barrier
	s_waitcnt lgkmcnt(0)
                                        ; implicit-def: $sgpr0_sgpr1
	s_and_saveexec_b64 s[2:3], vcc
	s_cbranch_execz .LBB911_67
; %bb.66:
	v_add_u32_e32 v34, -2, v34
	ds_read_u16 v34, v34
	v_cmp_gt_u32_e32 vcc, s7, v20
	s_or_b64 s[10:11], s[10:11], exec
	s_waitcnt lgkmcnt(0)
	v_cmp_neq_f16_e64 s[0:1], v34, v10
	s_and_b64 s[0:1], vcc, s[0:1]
	s_and_b64 s[0:1], s[0:1], exec
.LBB911_67:
	s_or_b64 exec, exec, s[2:3]
	s_mov_b32 s12, 1
.LBB911_68:
	v_mov_b32_e32 v82, s12
	s_and_saveexec_b64 s[2:3], s[10:11]
; %bb.69:
	v_cndmask_b32_e64 v82, 0, 1, s[0:1]
; %bb.70:
	s_or_b64 exec, exec, s[2:3]
	s_load_dwordx2 s[28:29], s[4:5], 0x60
	s_andn2_b64 vcc, exec, s[8:9]
	s_cbranch_vccnz .LBB911_72
; %bb.71:
	v_cmp_gt_u32_e32 vcc, s7, v20
	v_cndmask_b32_e32 v82, 0, v82, vcc
	v_cmp_gt_u32_e32 vcc, s7, v32
	v_cndmask_b32_e32 v81, 0, v81, vcc
	;; [unrolled: 2-line block ×22, first 2 shown]
.LBB911_72:
	v_and_b32_e32 v47, 0xff, v64
	v_and_b32_e32 v49, 0xff, v63
	v_add_u32_sdwa v12, v62, v61 dst_sel:DWORD dst_unused:UNUSED_PAD src0_sel:BYTE_0 src1_sel:BYTE_0
	v_and_b32_e32 v43, 0xff, v66
	v_and_b32_e32 v45, 0xff, v65
	v_add3_u32 v12, v12, v49, v47
	v_and_b32_e32 v39, 0xff, v68
	v_and_b32_e32 v41, 0xff, v67
	v_add3_u32 v12, v12, v45, v43
	s_waitcnt vmcnt(0)
	v_and_b32_e32 v35, 0xff, v70
	v_and_b32_e32 v37, 0xff, v69
	v_add3_u32 v12, v12, v41, v39
	v_and_b32_e32 v32, 0xff, v72
	v_and_b32_e32 v33, 0xff, v71
	v_add3_u32 v12, v12, v37, v35
	;; [unrolled: 3-line block ×7, first 2 shown]
	v_add3_u32 v38, v12, v23, v22
	v_mbcnt_lo_u32_b32 v12, -1, 0
	v_mbcnt_hi_u32_b32 v34, -1, v12
	v_and_b32_e32 v12, 15, v34
	v_cmp_eq_u32_e64 s[14:15], 0, v12
	v_cmp_lt_u32_e64 s[12:13], 1, v12
	v_cmp_lt_u32_e64 s[10:11], 3, v12
	v_cmp_lt_u32_e64 s[8:9], 7, v12
	v_and_b32_e32 v12, 16, v34
	v_cmp_eq_u32_e64 s[18:19], 0, v12
	v_or_b32_e32 v12, 63, v0
	v_cmp_lt_u32_e64 s[0:1], 31, v34
	v_lshrrev_b32_e32 v36, 6, v0
	v_cmp_eq_u32_e64 s[2:3], v12, v0
	s_and_b64 vcc, exec, s[16:17]
	s_waitcnt lgkmcnt(0)
	s_barrier
	s_cbranch_vccz .LBB911_103
; %bb.73:
	v_mov_b32_dpp v12, v38 row_shr:1 row_mask:0xf bank_mask:0xf
	v_cndmask_b32_e64 v12, v12, 0, s[14:15]
	v_add_u32_e32 v12, v12, v38
	s_nop 1
	v_mov_b32_dpp v13, v12 row_shr:2 row_mask:0xf bank_mask:0xf
	v_cndmask_b32_e64 v13, 0, v13, s[12:13]
	v_add_u32_e32 v12, v12, v13
	s_nop 1
	;; [unrolled: 4-line block ×4, first 2 shown]
	v_mov_b32_dpp v13, v12 row_bcast:15 row_mask:0xf bank_mask:0xf
	v_cndmask_b32_e64 v13, v13, 0, s[18:19]
	v_add_u32_e32 v12, v12, v13
	s_nop 1
	v_mov_b32_dpp v13, v12 row_bcast:31 row_mask:0xf bank_mask:0xf
	v_cndmask_b32_e64 v13, 0, v13, s[0:1]
	v_add_u32_e32 v12, v12, v13
	s_and_saveexec_b64 s[16:17], s[2:3]
	s_cbranch_execz .LBB911_75
; %bb.74:
	v_lshlrev_b32_e32 v13, 2, v36
	ds_write_b32 v13, v12
.LBB911_75:
	s_or_b64 exec, exec, s[16:17]
	v_cmp_gt_u32_e32 vcc, 4, v0
	s_waitcnt lgkmcnt(0)
	s_barrier
	s_and_saveexec_b64 s[16:17], vcc
	s_cbranch_execz .LBB911_77
; %bb.76:
	v_lshlrev_b32_e32 v13, 2, v0
	ds_read_b32 v14, v13
	v_and_b32_e32 v15, 3, v34
	v_cmp_ne_u32_e32 vcc, 0, v15
	s_waitcnt lgkmcnt(0)
	v_mov_b32_dpp v16, v14 row_shr:1 row_mask:0xf bank_mask:0xf
	v_cndmask_b32_e32 v16, 0, v16, vcc
	v_add_u32_e32 v14, v16, v14
	v_cmp_lt_u32_e32 vcc, 1, v15
	s_nop 0
	v_mov_b32_dpp v16, v14 row_shr:2 row_mask:0xf bank_mask:0xf
	v_cndmask_b32_e32 v15, 0, v16, vcc
	v_add_u32_e32 v14, v14, v15
	ds_write_b32 v13, v14
.LBB911_77:
	s_or_b64 exec, exec, s[16:17]
	v_cmp_gt_u32_e32 vcc, 64, v0
	v_cmp_lt_u32_e64 s[16:17], 63, v0
	s_waitcnt lgkmcnt(0)
	s_barrier
	s_waitcnt lgkmcnt(0)
                                        ; implicit-def: $vgpr40
	s_and_saveexec_b64 s[30:31], s[16:17]
	s_cbranch_execz .LBB911_79
; %bb.78:
	v_lshl_add_u32 v13, v36, 2, -4
	ds_read_b32 v40, v13
	s_waitcnt lgkmcnt(0)
	v_add_u32_e32 v12, v40, v12
.LBB911_79:
	s_or_b64 exec, exec, s[30:31]
	v_add_u32_e32 v13, -1, v34
	v_and_b32_e32 v14, 64, v34
	v_cmp_lt_i32_e64 s[16:17], v13, v14
	v_cndmask_b32_e64 v13, v13, v34, s[16:17]
	v_lshlrev_b32_e32 v13, 2, v13
	ds_bpermute_b32 v42, v13, v12
	v_cmp_eq_u32_e64 s[16:17], 0, v34
	s_and_saveexec_b64 s[30:31], vcc
	s_cbranch_execz .LBB911_102
; %bb.80:
	v_mov_b32_e32 v21, 0
	ds_read_b32 v12, v21 offset:12
	s_and_saveexec_b64 s[34:35], s[16:17]
	s_cbranch_execz .LBB911_82
; %bb.81:
	s_add_i32 s36, s6, 64
	s_mov_b32 s37, 0
	s_lshl_b64 s[36:37], s[36:37], 3
	s_add_u32 s36, s28, s36
	v_mov_b32_e32 v13, 1
	s_addc_u32 s37, s29, s37
	s_waitcnt lgkmcnt(0)
	global_store_dwordx2 v21, v[12:13], s[36:37]
.LBB911_82:
	s_or_b64 exec, exec, s[34:35]
	v_xad_u32 v14, v34, -1, s6
	v_add_u32_e32 v20, 64, v14
	v_lshlrev_b64 v[16:17], 3, v[20:21]
	v_mov_b32_e32 v13, s29
	v_add_co_u32_e32 v16, vcc, s28, v16
	v_addc_co_u32_e32 v17, vcc, v13, v17, vcc
	global_load_dwordx2 v[18:19], v[16:17], off glc
	s_waitcnt vmcnt(0)
	v_cmp_eq_u16_sdwa s[36:37], v19, v21 src0_sel:BYTE_0 src1_sel:DWORD
	s_and_saveexec_b64 s[34:35], s[36:37]
	s_cbranch_execz .LBB911_88
; %bb.83:
	s_mov_b32 s7, 1
	s_mov_b64 s[36:37], 0
	v_mov_b32_e32 v13, 0
.LBB911_84:                             ; =>This Loop Header: Depth=1
                                        ;     Child Loop BB911_85 Depth 2
	s_max_u32 s33, s7, 1
.LBB911_85:                             ;   Parent Loop BB911_84 Depth=1
                                        ; =>  This Inner Loop Header: Depth=2
	s_add_i32 s33, s33, -1
	s_cmp_eq_u32 s33, 0
	s_sleep 1
	s_cbranch_scc0 .LBB911_85
; %bb.86:                               ;   in Loop: Header=BB911_84 Depth=1
	global_load_dwordx2 v[18:19], v[16:17], off glc
	s_cmp_lt_u32 s7, 32
	s_cselect_b64 s[38:39], -1, 0
	s_cmp_lg_u64 s[38:39], 0
	s_addc_u32 s7, s7, 0
	s_waitcnt vmcnt(0)
	v_cmp_ne_u16_sdwa s[38:39], v19, v13 src0_sel:BYTE_0 src1_sel:DWORD
	s_or_b64 s[36:37], s[38:39], s[36:37]
	s_andn2_b64 exec, exec, s[36:37]
	s_cbranch_execnz .LBB911_84
; %bb.87:
	s_or_b64 exec, exec, s[36:37]
.LBB911_88:
	s_or_b64 exec, exec, s[34:35]
	v_and_b32_e32 v46, 63, v34
	v_mov_b32_e32 v44, 2
	v_cmp_ne_u32_e32 vcc, 63, v46
	v_cmp_eq_u16_sdwa s[34:35], v19, v44 src0_sel:BYTE_0 src1_sel:DWORD
	v_lshlrev_b64 v[16:17], v34, -1
	v_addc_co_u32_e32 v20, vcc, 0, v34, vcc
	v_and_b32_e32 v13, s35, v17
	v_lshlrev_b32_e32 v48, 2, v20
	v_or_b32_e32 v13, 0x80000000, v13
	ds_bpermute_b32 v20, v48, v18
	v_and_b32_e32 v15, s34, v16
	v_ffbl_b32_e32 v13, v13
	v_add_u32_e32 v13, 32, v13
	v_ffbl_b32_e32 v15, v15
	v_min_u32_e32 v13, v15, v13
	v_cmp_lt_u32_e32 vcc, v46, v13
	s_waitcnt lgkmcnt(0)
	v_cndmask_b32_e32 v15, 0, v20, vcc
	v_cmp_gt_u32_e32 vcc, 62, v46
	v_add_u32_e32 v15, v15, v18
	v_cndmask_b32_e64 v18, 0, 1, vcc
	v_lshlrev_b32_e32 v18, 1, v18
	v_add_lshl_u32 v50, v18, v34, 2
	ds_bpermute_b32 v18, v50, v15
	v_add_u32_e32 v51, 2, v46
	v_cmp_le_u32_e32 vcc, v51, v13
	v_add_u32_e32 v53, 4, v46
	v_add_u32_e32 v55, 8, v46
	s_waitcnt lgkmcnt(0)
	v_cndmask_b32_e32 v18, 0, v18, vcc
	v_cmp_gt_u32_e32 vcc, 60, v46
	v_add_u32_e32 v15, v15, v18
	v_cndmask_b32_e64 v18, 0, 1, vcc
	v_lshlrev_b32_e32 v18, 2, v18
	v_add_lshl_u32 v52, v18, v34, 2
	ds_bpermute_b32 v18, v52, v15
	v_cmp_le_u32_e32 vcc, v53, v13
	v_add_u32_e32 v57, 16, v46
	v_add_u32_e32 v59, 32, v46
	s_waitcnt lgkmcnt(0)
	v_cndmask_b32_e32 v18, 0, v18, vcc
	v_cmp_gt_u32_e32 vcc, 56, v46
	v_add_u32_e32 v15, v15, v18
	v_cndmask_b32_e64 v18, 0, 1, vcc
	v_lshlrev_b32_e32 v18, 3, v18
	v_add_lshl_u32 v54, v18, v34, 2
	ds_bpermute_b32 v18, v54, v15
	v_cmp_le_u32_e32 vcc, v55, v13
	s_waitcnt lgkmcnt(0)
	v_cndmask_b32_e32 v18, 0, v18, vcc
	v_cmp_gt_u32_e32 vcc, 48, v46
	v_add_u32_e32 v15, v15, v18
	v_cndmask_b32_e64 v18, 0, 1, vcc
	v_lshlrev_b32_e32 v18, 4, v18
	v_add_lshl_u32 v56, v18, v34, 2
	ds_bpermute_b32 v18, v56, v15
	v_cmp_le_u32_e32 vcc, v57, v13
	;; [unrolled: 9-line block ×3, first 2 shown]
	s_waitcnt lgkmcnt(0)
	v_cndmask_b32_e32 v13, 0, v18, vcc
	v_add_u32_e32 v18, v15, v13
	v_mov_b32_e32 v15, 0
	s_branch .LBB911_90
.LBB911_89:                             ;   in Loop: Header=BB911_90 Depth=1
	s_or_b64 exec, exec, s[34:35]
	v_cmp_eq_u16_sdwa s[34:35], v19, v44 src0_sel:BYTE_0 src1_sel:DWORD
	v_and_b32_e32 v20, s35, v17
	v_or_b32_e32 v20, 0x80000000, v20
	ds_bpermute_b32 v83, v48, v18
	v_and_b32_e32 v21, s34, v16
	v_ffbl_b32_e32 v20, v20
	v_add_u32_e32 v20, 32, v20
	v_ffbl_b32_e32 v21, v21
	v_min_u32_e32 v20, v21, v20
	v_cmp_lt_u32_e32 vcc, v46, v20
	s_waitcnt lgkmcnt(0)
	v_cndmask_b32_e32 v21, 0, v83, vcc
	v_add_u32_e32 v18, v21, v18
	ds_bpermute_b32 v21, v50, v18
	v_cmp_le_u32_e32 vcc, v51, v20
	v_subrev_u32_e32 v14, 64, v14
	s_waitcnt lgkmcnt(0)
	v_cndmask_b32_e32 v21, 0, v21, vcc
	v_add_u32_e32 v18, v18, v21
	ds_bpermute_b32 v21, v52, v18
	v_cmp_le_u32_e32 vcc, v53, v20
	s_waitcnt lgkmcnt(0)
	v_cndmask_b32_e32 v21, 0, v21, vcc
	v_add_u32_e32 v18, v18, v21
	ds_bpermute_b32 v21, v54, v18
	v_cmp_le_u32_e32 vcc, v55, v20
	;; [unrolled: 5-line block ×4, first 2 shown]
	s_waitcnt lgkmcnt(0)
	v_cndmask_b32_e32 v20, 0, v21, vcc
	v_add3_u32 v18, v20, v13, v18
.LBB911_90:                             ; =>This Loop Header: Depth=1
                                        ;     Child Loop BB911_93 Depth 2
                                        ;       Child Loop BB911_94 Depth 3
	v_cmp_ne_u16_sdwa s[34:35], v19, v44 src0_sel:BYTE_0 src1_sel:DWORD
	v_cndmask_b32_e64 v13, 0, 1, s[34:35]
	;;#ASMSTART
	;;#ASMEND
	v_cmp_ne_u32_e32 vcc, 0, v13
	s_cmp_lg_u64 vcc, exec
	v_mov_b32_e32 v13, v18
	s_cbranch_scc1 .LBB911_97
; %bb.91:                               ;   in Loop: Header=BB911_90 Depth=1
	v_lshlrev_b64 v[18:19], 3, v[14:15]
	v_mov_b32_e32 v21, s29
	v_add_co_u32_e32 v20, vcc, s28, v18
	v_addc_co_u32_e32 v21, vcc, v21, v19, vcc
	global_load_dwordx2 v[18:19], v[20:21], off glc
	s_waitcnt vmcnt(0)
	v_cmp_eq_u16_sdwa s[36:37], v19, v15 src0_sel:BYTE_0 src1_sel:DWORD
	s_and_saveexec_b64 s[34:35], s[36:37]
	s_cbranch_execz .LBB911_89
; %bb.92:                               ;   in Loop: Header=BB911_90 Depth=1
	s_mov_b32 s7, 1
	s_mov_b64 s[36:37], 0
.LBB911_93:                             ;   Parent Loop BB911_90 Depth=1
                                        ; =>  This Loop Header: Depth=2
                                        ;       Child Loop BB911_94 Depth 3
	s_max_u32 s33, s7, 1
.LBB911_94:                             ;   Parent Loop BB911_90 Depth=1
                                        ;     Parent Loop BB911_93 Depth=2
                                        ; =>    This Inner Loop Header: Depth=3
	s_add_i32 s33, s33, -1
	s_cmp_eq_u32 s33, 0
	s_sleep 1
	s_cbranch_scc0 .LBB911_94
; %bb.95:                               ;   in Loop: Header=BB911_93 Depth=2
	global_load_dwordx2 v[18:19], v[20:21], off glc
	s_cmp_lt_u32 s7, 32
	s_cselect_b64 s[38:39], -1, 0
	s_cmp_lg_u64 s[38:39], 0
	s_addc_u32 s7, s7, 0
	s_waitcnt vmcnt(0)
	v_cmp_ne_u16_sdwa s[38:39], v19, v15 src0_sel:BYTE_0 src1_sel:DWORD
	s_or_b64 s[36:37], s[38:39], s[36:37]
	s_andn2_b64 exec, exec, s[36:37]
	s_cbranch_execnz .LBB911_93
; %bb.96:                               ;   in Loop: Header=BB911_90 Depth=1
	s_or_b64 exec, exec, s[36:37]
	s_branch .LBB911_89
.LBB911_97:                             ;   in Loop: Header=BB911_90 Depth=1
                                        ; implicit-def: $vgpr18
                                        ; implicit-def: $vgpr19
	s_cbranch_execz .LBB911_90
; %bb.98:
	s_and_saveexec_b64 s[34:35], s[16:17]
	s_cbranch_execz .LBB911_100
; %bb.99:
	s_add_i32 s6, s6, 64
	s_mov_b32 s7, 0
	s_lshl_b64 s[6:7], s[6:7], 3
	s_add_u32 s6, s28, s6
	v_add_u32_e32 v14, v13, v12
	v_mov_b32_e32 v15, 2
	s_addc_u32 s7, s29, s7
	v_mov_b32_e32 v16, 0
	global_store_dwordx2 v16, v[14:15], s[6:7]
	ds_write_b64 v16, v[12:13] offset:11264
.LBB911_100:
	s_or_b64 exec, exec, s[34:35]
	v_cmp_eq_u32_e32 vcc, 0, v0
	s_and_b64 exec, exec, vcc
	s_cbranch_execz .LBB911_102
; %bb.101:
	v_mov_b32_e32 v12, 0
	ds_write_b32 v12, v13 offset:12
.LBB911_102:
	s_or_b64 exec, exec, s[30:31]
	v_mov_b32_e32 v12, 0
	s_waitcnt lgkmcnt(0)
	s_barrier
	ds_read_b32 v15, v12 offset:12
	s_waitcnt lgkmcnt(0)
	s_barrier
	ds_read_b64 v[12:13], v12 offset:11264
	v_cndmask_b32_e64 v14, v42, v40, s[16:17]
	v_cmp_ne_u32_e32 vcc, 0, v0
	v_cndmask_b32_e32 v14, 0, v14, vcc
	v_add_u32_e32 v52, v15, v14
	s_waitcnt lgkmcnt(0)
	v_mov_b32_e32 v14, v13
	s_load_dwordx2 s[4:5], s[4:5], 0x28
	s_branch .LBB911_113
.LBB911_103:
                                        ; implicit-def: $vgpr14
                                        ; implicit-def: $vgpr12
                                        ; implicit-def: $vgpr52
	s_load_dwordx2 s[4:5], s[4:5], 0x28
	s_cbranch_execz .LBB911_113
; %bb.104:
	v_mov_b32_dpp v12, v38 row_shr:1 row_mask:0xf bank_mask:0xf
	v_cndmask_b32_e64 v12, v12, 0, s[14:15]
	v_add_u32_e32 v12, v12, v38
	s_nop 1
	v_mov_b32_dpp v13, v12 row_shr:2 row_mask:0xf bank_mask:0xf
	v_cndmask_b32_e64 v13, 0, v13, s[12:13]
	v_add_u32_e32 v12, v12, v13
	s_nop 1
	;; [unrolled: 4-line block ×4, first 2 shown]
	v_mov_b32_dpp v13, v12 row_bcast:15 row_mask:0xf bank_mask:0xf
	v_cndmask_b32_e64 v13, v13, 0, s[18:19]
	v_add_u32_e32 v12, v12, v13
	s_nop 1
	v_mov_b32_dpp v13, v12 row_bcast:31 row_mask:0xf bank_mask:0xf
	v_cndmask_b32_e64 v13, 0, v13, s[0:1]
	v_add_u32_e32 v12, v12, v13
	s_and_saveexec_b64 s[0:1], s[2:3]
	s_cbranch_execz .LBB911_106
; %bb.105:
	v_lshlrev_b32_e32 v13, 2, v36
	ds_write_b32 v13, v12
.LBB911_106:
	s_or_b64 exec, exec, s[0:1]
	v_cmp_gt_u32_e32 vcc, 4, v0
	s_waitcnt lgkmcnt(0)
	s_barrier
	s_and_saveexec_b64 s[0:1], vcc
	s_cbranch_execz .LBB911_108
; %bb.107:
	v_lshlrev_b32_e32 v13, 2, v0
	ds_read_b32 v14, v13
	v_and_b32_e32 v15, 3, v34
	v_cmp_ne_u32_e32 vcc, 0, v15
	s_waitcnt lgkmcnt(0)
	v_mov_b32_dpp v16, v14 row_shr:1 row_mask:0xf bank_mask:0xf
	v_cndmask_b32_e32 v16, 0, v16, vcc
	v_add_u32_e32 v14, v16, v14
	v_cmp_lt_u32_e32 vcc, 1, v15
	s_nop 0
	v_mov_b32_dpp v16, v14 row_shr:2 row_mask:0xf bank_mask:0xf
	v_cndmask_b32_e32 v15, 0, v16, vcc
	v_add_u32_e32 v14, v14, v15
	ds_write_b32 v13, v14
.LBB911_108:
	s_or_b64 exec, exec, s[0:1]
	v_cmp_lt_u32_e32 vcc, 63, v0
	v_mov_b32_e32 v13, 0
	v_mov_b32_e32 v14, 0
	s_waitcnt lgkmcnt(0)
	s_barrier
	s_and_saveexec_b64 s[0:1], vcc
	s_cbranch_execz .LBB911_110
; %bb.109:
	v_lshl_add_u32 v14, v36, 2, -4
	ds_read_b32 v14, v14
.LBB911_110:
	s_or_b64 exec, exec, s[0:1]
	v_add_u32_e32 v15, -1, v34
	v_and_b32_e32 v16, 64, v34
	v_cmp_lt_i32_e32 vcc, v15, v16
	v_cndmask_b32_e32 v15, v15, v34, vcc
	s_waitcnt lgkmcnt(0)
	v_add_u32_e32 v12, v14, v12
	v_lshlrev_b32_e32 v15, 2, v15
	ds_bpermute_b32 v15, v15, v12
	ds_read_b32 v12, v13 offset:12
	v_cmp_eq_u32_e32 vcc, 0, v0
	s_and_saveexec_b64 s[0:1], vcc
	s_cbranch_execz .LBB911_112
; %bb.111:
	v_mov_b32_e32 v16, 0
	v_mov_b32_e32 v13, 2
	s_waitcnt lgkmcnt(0)
	global_store_dwordx2 v16, v[12:13], s[28:29] offset:512
.LBB911_112:
	s_or_b64 exec, exec, s[0:1]
	v_cmp_eq_u32_e64 s[0:1], 0, v34
	s_waitcnt lgkmcnt(1)
	v_cndmask_b32_e64 v13, v15, v14, s[0:1]
	v_mov_b32_e32 v14, 0
	v_cndmask_b32_e64 v52, v13, 0, vcc
	s_waitcnt lgkmcnt(0)
	s_barrier
.LBB911_113:
	v_add_u32_e32 v58, v52, v22
	v_add_u32_e32 v56, v58, v23
	;; [unrolled: 1-line block ×19, first 2 shown]
	s_movk_i32 s0, 0x101
	v_add_u32_e32 v18, v20, v49
	v_cmp_gt_u32_e32 vcc, s0, v12
	v_add_u32_sdwa v16, v18, v62 dst_sel:DWORD dst_unused:UNUSED_PAD src0_sel:DWORD src1_sel:BYTE_0
	s_mov_b64 s[0:1], -1
	s_cbranch_vccnz .LBB911_117
; %bb.114:
	s_and_b64 vcc, exec, s[0:1]
	s_cbranch_vccnz .LBB911_184
.LBB911_115:
	v_cmp_eq_u32_e32 vcc, 0, v0
	s_and_b64 s[0:1], vcc, s[24:25]
	s_and_saveexec_b64 s[2:3], s[0:1]
	s_cbranch_execnz .LBB911_244
.LBB911_116:
	s_endpgm
.LBB911_117:
	v_add_u32_e32 v13, v14, v12
	s_lshl_b64 s[0:1], s[22:23], 1
	s_waitcnt lgkmcnt(0)
	s_add_u32 s2, s4, s0
	v_cmp_lt_u32_e32 vcc, v52, v13
	s_addc_u32 s3, s5, s1
	s_or_b64 s[6:7], s[26:27], vcc
	s_and_saveexec_b64 s[0:1], s[6:7]
	s_cbranch_execz .LBB911_120
; %bb.118:
	v_and_b32_e32 v15, 1, v82
	v_cmp_eq_u32_e32 vcc, 1, v15
	s_and_b64 exec, exec, vcc
	s_cbranch_execz .LBB911_120
; %bb.119:
	v_mov_b32_e32 v53, 0
	v_lshlrev_b64 v[84:85], 1, v[52:53]
	v_mov_b32_e32 v15, s3
	v_add_co_u32_e32 v84, vcc, s2, v84
	v_addc_co_u32_e32 v85, vcc, v15, v85, vcc
	global_store_short v[84:85], v10, off
.LBB911_120:
	s_or_b64 exec, exec, s[0:1]
	v_cmp_lt_u32_e32 vcc, v58, v13
	s_or_b64 s[6:7], s[26:27], vcc
	s_and_saveexec_b64 s[0:1], s[6:7]
	s_cbranch_execz .LBB911_123
; %bb.121:
	v_and_b32_e32 v15, 1, v81
	v_cmp_eq_u32_e32 vcc, 1, v15
	s_and_b64 exec, exec, vcc
	s_cbranch_execz .LBB911_123
; %bb.122:
	v_mov_b32_e32 v59, 0
	v_lshlrev_b64 v[84:85], 1, v[58:59]
	v_mov_b32_e32 v15, s3
	v_add_co_u32_e32 v84, vcc, s2, v84
	v_addc_co_u32_e32 v85, vcc, v15, v85, vcc
	global_store_short_d16_hi v[84:85], v10, off
.LBB911_123:
	s_or_b64 exec, exec, s[0:1]
	v_cmp_lt_u32_e32 vcc, v56, v13
	s_or_b64 s[6:7], s[26:27], vcc
	s_and_saveexec_b64 s[0:1], s[6:7]
	s_cbranch_execz .LBB911_126
; %bb.124:
	v_and_b32_e32 v15, 1, v80
	v_cmp_eq_u32_e32 vcc, 1, v15
	s_and_b64 exec, exec, vcc
	s_cbranch_execz .LBB911_126
; %bb.125:
	v_mov_b32_e32 v57, 0
	v_lshlrev_b64 v[84:85], 1, v[56:57]
	v_mov_b32_e32 v15, s3
	v_add_co_u32_e32 v84, vcc, s2, v84
	v_addc_co_u32_e32 v85, vcc, v15, v85, vcc
	global_store_short v[84:85], v11, off
.LBB911_126:
	s_or_b64 exec, exec, s[0:1]
	v_cmp_lt_u32_e32 vcc, v54, v13
	s_or_b64 s[6:7], s[26:27], vcc
	s_and_saveexec_b64 s[0:1], s[6:7]
	s_cbranch_execz .LBB911_129
; %bb.127:
	v_and_b32_e32 v15, 1, v79
	v_cmp_eq_u32_e32 vcc, 1, v15
	s_and_b64 exec, exec, vcc
	s_cbranch_execz .LBB911_129
; %bb.128:
	v_mov_b32_e32 v55, 0
	v_lshlrev_b64 v[84:85], 1, v[54:55]
	v_mov_b32_e32 v15, s3
	v_add_co_u32_e32 v84, vcc, s2, v84
	v_addc_co_u32_e32 v85, vcc, v15, v85, vcc
	global_store_short_d16_hi v[84:85], v11, off
.LBB911_129:
	s_or_b64 exec, exec, s[0:1]
	v_cmp_lt_u32_e32 vcc, v50, v13
	;; [unrolled: 36-line block ×10, first 2 shown]
	s_or_b64 s[6:7], s[26:27], vcc
	s_and_saveexec_b64 s[0:1], s[6:7]
	s_cbranch_execz .LBB911_180
; %bb.178:
	v_and_b32_e32 v15, 1, v62
	v_cmp_eq_u32_e32 vcc, 1, v15
	s_and_b64 exec, exec, vcc
	s_cbranch_execz .LBB911_180
; %bb.179:
	v_mov_b32_e32 v19, 0
	v_lshlrev_b64 v[84:85], 1, v[18:19]
	v_mov_b32_e32 v15, s3
	v_add_co_u32_e32 v84, vcc, s2, v84
	v_addc_co_u32_e32 v85, vcc, v15, v85, vcc
	global_store_short v[84:85], v60, off
.LBB911_180:
	s_or_b64 exec, exec, s[0:1]
	v_cmp_lt_u32_e32 vcc, v16, v13
	s_or_b64 s[6:7], s[26:27], vcc
	s_and_saveexec_b64 s[0:1], s[6:7]
	s_cbranch_execz .LBB911_183
; %bb.181:
	v_and_b32_e32 v13, 1, v61
	v_cmp_eq_u32_e32 vcc, 1, v13
	s_and_b64 exec, exec, vcc
	s_cbranch_execz .LBB911_183
; %bb.182:
	v_mov_b32_e32 v17, 0
	v_lshlrev_b64 v[84:85], 1, v[16:17]
	v_mov_b32_e32 v13, s3
	v_add_co_u32_e32 v84, vcc, s2, v84
	v_addc_co_u32_e32 v85, vcc, v13, v85, vcc
	global_store_short v[84:85], v1, off
.LBB911_183:
	s_or_b64 exec, exec, s[0:1]
	s_branch .LBB911_115
.LBB911_184:
	v_and_b32_e32 v13, 1, v82
	v_cmp_eq_u32_e32 vcc, 1, v13
	s_and_saveexec_b64 s[0:1], vcc
	s_cbranch_execz .LBB911_186
; %bb.185:
	v_sub_u32_e32 v13, v52, v14
	v_lshlrev_b32_e32 v13, 1, v13
	ds_write_b16 v13, v10
.LBB911_186:
	s_or_b64 exec, exec, s[0:1]
	v_and_b32_e32 v13, 1, v81
	v_cmp_eq_u32_e32 vcc, 1, v13
	s_and_saveexec_b64 s[0:1], vcc
	s_cbranch_execz .LBB911_188
; %bb.187:
	v_sub_u32_e32 v13, v58, v14
	v_lshlrev_b32_e32 v13, 1, v13
	ds_write_b16_d16_hi v13, v10
.LBB911_188:
	s_or_b64 exec, exec, s[0:1]
	v_and_b32_e32 v10, 1, v80
	v_cmp_eq_u32_e32 vcc, 1, v10
	s_and_saveexec_b64 s[0:1], vcc
	s_cbranch_execz .LBB911_190
; %bb.189:
	v_sub_u32_e32 v10, v56, v14
	v_lshlrev_b32_e32 v10, 1, v10
	ds_write_b16 v10, v11
.LBB911_190:
	s_or_b64 exec, exec, s[0:1]
	v_and_b32_e32 v10, 1, v79
	v_cmp_eq_u32_e32 vcc, 1, v10
	s_and_saveexec_b64 s[0:1], vcc
	s_cbranch_execz .LBB911_192
; %bb.191:
	v_sub_u32_e32 v10, v54, v14
	v_lshlrev_b32_e32 v10, 1, v10
	ds_write_b16_d16_hi v10, v11
.LBB911_192:
	s_or_b64 exec, exec, s[0:1]
	;; [unrolled: 20-line block ×10, first 2 shown]
	v_and_b32_e32 v2, 1, v62
	v_cmp_eq_u32_e32 vcc, 1, v2
	s_and_saveexec_b64 s[0:1], vcc
	s_cbranch_execz .LBB911_226
; %bb.225:
	v_sub_u32_e32 v2, v18, v14
	v_lshlrev_b32_e32 v2, 1, v2
	ds_write_b16 v2, v60
.LBB911_226:
	s_or_b64 exec, exec, s[0:1]
	v_and_b32_e32 v2, 1, v61
	v_cmp_eq_u32_e32 vcc, 1, v2
	s_and_saveexec_b64 s[0:1], vcc
	s_cbranch_execz .LBB911_228
; %bb.227:
	v_sub_u32_e32 v2, v16, v14
	v_lshlrev_b32_e32 v2, 1, v2
	ds_write_b16 v2, v1
.LBB911_228:
	s_or_b64 exec, exec, s[0:1]
	v_cmp_lt_u32_e32 vcc, v0, v12
	s_waitcnt lgkmcnt(0)
	s_barrier
	s_and_saveexec_b64 s[6:7], vcc
	s_cbranch_execz .LBB911_243
; %bb.229:
	s_lshl_b64 s[0:1], s[22:23], 1
	v_mov_b32_e32 v15, 0
	s_add_u32 s0, s4, s0
	s_addc_u32 s1, s5, s1
	v_lshlrev_b64 v[2:3], 1, v[14:15]
	v_mov_b32_e32 v1, s1
	v_add_co_u32_e32 v10, vcc, s0, v2
	v_addc_co_u32_e32 v11, vcc, v1, v3, vcc
	v_xad_u32 v1, v0, -1, v12
	s_movk_i32 s0, 0x1700
	v_cmp_gt_u32_e32 vcc, s0, v1
	s_movk_i32 s0, 0x16ff
	v_cmp_lt_u32_e64 s[0:1], s0, v1
	v_mov_b32_e32 v2, v0
	s_and_saveexec_b64 s[4:5], s[0:1]
	s_cbranch_execz .LBB911_240
; %bb.230:
	v_sub_u32_e32 v2, v0, v12
	v_or_b32_e32 v2, 0xff, v2
	v_cmp_ge_u32_e64 s[0:1], v2, v0
	s_mov_b64 s[2:3], -1
	v_mov_b32_e32 v2, v0
	s_and_saveexec_b64 s[8:9], s[0:1]
	s_cbranch_execz .LBB911_239
; %bb.231:
	v_lshrrev_b32_e32 v13, 8, v1
	v_add_u32_e32 v4, -3, v13
	v_or_b32_e32 v3, 0x300, v0
	v_or_b32_e32 v2, 0x200, v0
	v_lshrrev_b32_e32 v5, 2, v4
	v_or_b32_e32 v1, 0x100, v0
	v_add_u32_e32 v16, 1, v5
	v_cmp_lt_u32_e64 s[0:1], 11, v4
	v_pk_mov_b32 v[6:7], v[2:3], v[2:3] op_sel:[0,1]
	v_mov_b32_e32 v19, 0
	v_lshlrev_b32_e32 v15, 1, v0
	v_pk_mov_b32 v[4:5], v[0:1], v[0:1] op_sel:[0,1]
	s_and_saveexec_b64 s[10:11], s[0:1]
	s_cbranch_execz .LBB911_235
; %bb.232:
	v_pk_mov_b32 v[6:7], v[2:3], v[2:3] op_sel:[0,1]
	v_and_b32_e32 v17, 0x7ffffffc, v16
	s_mov_b32 s14, 0
	s_mov_b64 s[12:13], 0
	v_mov_b32_e32 v9, 0
	v_mov_b32_e32 v18, v15
	v_pk_mov_b32 v[4:5], v[0:1], v[0:1] op_sel:[0,1]
.LBB911_233:                            ; =>This Inner Loop Header: Depth=1
	v_mov_b32_e32 v8, v4
	v_lshlrev_b64 v[36:37], 1, v[8:9]
	v_add_u32_e32 v22, 0x400, v5
	v_mov_b32_e32 v23, v9
	v_add_co_u32_e64 v36, s[2:3], v10, v36
	v_lshlrev_b64 v[22:23], 1, v[22:23]
	v_addc_co_u32_e64 v37, s[2:3], v11, v37, s[2:3]
	v_add_u32_e32 v20, 0x400, v6
	v_mov_b32_e32 v21, v9
	v_add_co_u32_e64 v22, s[2:3], v10, v22
	v_lshlrev_b64 v[20:21], 1, v[20:21]
	v_addc_co_u32_e64 v23, s[2:3], v11, v23, s[2:3]
	v_add_u32_e32 v2, 0x400, v7
	v_mov_b32_e32 v3, v9
	v_add_co_u32_e64 v20, s[2:3], v10, v20
	v_add_u32_e32 v17, -4, v17
	v_mov_b32_e32 v8, v5
	v_lshlrev_b64 v[2:3], 1, v[2:3]
	v_addc_co_u32_e64 v21, s[2:3], v11, v21, s[2:3]
	v_add_u32_e32 v28, 0x800, v5
	v_mov_b32_e32 v29, v9
	s_add_i32 s14, s14, 16
	v_cmp_eq_u32_e64 s[0:1], 0, v17
	v_lshlrev_b64 v[38:39], 1, v[8:9]
	v_add_co_u32_e64 v2, s[2:3], v10, v2
	v_lshlrev_b64 v[28:29], 1, v[28:29]
	v_mov_b32_e32 v8, v6
	v_addc_co_u32_e64 v3, s[2:3], v11, v3, s[2:3]
	s_or_b64 s[12:13], s[0:1], s[12:13]
	v_add_co_u32_e64 v38, s[0:1], v10, v38
	v_add_u32_e32 v26, 0x800, v6
	v_mov_b32_e32 v27, v9
	v_add_co_u32_e64 v28, s[2:3], v10, v28
	v_addc_co_u32_e64 v39, s[0:1], v11, v39, s[0:1]
	v_lshlrev_b64 v[40:41], 1, v[8:9]
	v_lshlrev_b64 v[26:27], 1, v[26:27]
	v_addc_co_u32_e64 v29, s[2:3], v11, v29, s[2:3]
	v_mov_b32_e32 v8, v7
	v_add_co_u32_e64 v40, s[0:1], v10, v40
	ds_read_u16 v1, v18
	ds_read_u16 v44, v18 offset:512
	ds_read_u16 v45, v18 offset:1024
	;; [unrolled: 1-line block ×7, first 2 shown]
	v_add_u32_e32 v24, 0x800, v7
	v_mov_b32_e32 v25, v9
	v_add_co_u32_e64 v26, s[2:3], v10, v26
	v_addc_co_u32_e64 v41, s[0:1], v11, v41, s[0:1]
	v_lshlrev_b64 v[42:43], 1, v[8:9]
	v_lshlrev_b64 v[24:25], 1, v[24:25]
	v_addc_co_u32_e64 v27, s[2:3], v11, v27, s[2:3]
	v_add_u32_e32 v8, 0x400, v4
	v_add_co_u32_e64 v42, s[0:1], v10, v42
	v_add_u32_e32 v34, 0xc00, v5
	v_mov_b32_e32 v35, v9
	ds_read_u16 v51, v18 offset:4096
	ds_read_u16 v52, v18 offset:4608
	;; [unrolled: 1-line block ×8, first 2 shown]
	v_add_co_u32_e64 v24, s[2:3], v10, v24
	v_addc_co_u32_e64 v43, s[0:1], v11, v43, s[0:1]
	s_waitcnt lgkmcnt(14)
	global_store_short v[36:37], v1, off
	global_store_short v[38:39], v44, off
	s_waitcnt lgkmcnt(13)
	global_store_short v[40:41], v45, off
	v_lshlrev_b64 v[36:37], 1, v[8:9]
	v_lshlrev_b64 v[34:35], 1, v[34:35]
	v_addc_co_u32_e64 v25, s[2:3], v11, v25, s[2:3]
	v_add_u32_e32 v8, 0x800, v4
	v_add_co_u32_e64 v36, s[0:1], v10, v36
	v_add_u32_e32 v32, 0xc00, v6
	v_mov_b32_e32 v33, v9
	v_add_co_u32_e64 v34, s[2:3], v10, v34
	v_addc_co_u32_e64 v37, s[0:1], v11, v37, s[0:1]
	v_lshlrev_b64 v[38:39], 1, v[8:9]
	v_lshlrev_b64 v[32:33], 1, v[32:33]
	v_addc_co_u32_e64 v35, s[2:3], v11, v35, s[2:3]
	s_waitcnt lgkmcnt(12)
	global_store_short v[42:43], v46, off
	v_add_u32_e32 v8, 0xc00, v4
	s_waitcnt lgkmcnt(11)
	global_store_short v[36:37], v47, off
	s_waitcnt lgkmcnt(10)
	global_store_short v[22:23], v48, off
	;; [unrolled: 2-line block ×4, first 2 shown]
	v_add_co_u32_e64 v2, s[0:1], v10, v38
	v_add_u32_e32 v30, 0xc00, v7
	v_mov_b32_e32 v31, v9
	v_add_co_u32_e64 v32, s[2:3], v10, v32
	v_addc_co_u32_e64 v3, s[0:1], v11, v39, s[0:1]
	v_lshlrev_b64 v[20:21], 1, v[8:9]
	v_lshlrev_b64 v[30:31], 1, v[30:31]
	v_addc_co_u32_e64 v33, s[2:3], v11, v33, s[2:3]
	s_waitcnt lgkmcnt(7)
	global_store_short v[2:3], v51, off
	s_waitcnt lgkmcnt(6)
	global_store_short v[28:29], v52, off
	;; [unrolled: 2-line block ×4, first 2 shown]
	v_add_co_u32_e64 v2, s[0:1], v10, v20
	v_add_u32_e32 v18, 0x2000, v18
	v_add_u32_e32 v5, 0x1000, v5
	v_mov_b32_e32 v19, s14
	v_add_co_u32_e64 v30, s[2:3], v10, v30
	v_add_u32_e32 v6, 0x1000, v6
	v_add_u32_e32 v7, 0x1000, v7
	v_add_u32_e32 v4, 0x1000, v4
	v_addc_co_u32_e64 v3, s[0:1], v11, v21, s[0:1]
	v_addc_co_u32_e64 v31, s[2:3], v11, v31, s[2:3]
	s_waitcnt lgkmcnt(3)
	global_store_short v[2:3], v55, off
	s_waitcnt lgkmcnt(2)
	global_store_short v[34:35], v56, off
	;; [unrolled: 2-line block ×4, first 2 shown]
	s_andn2_b64 exec, exec, s[12:13]
	s_cbranch_execnz .LBB911_233
; %bb.234:
	s_or_b64 exec, exec, s[12:13]
.LBB911_235:
	s_or_b64 exec, exec, s[10:11]
	v_and_b32_e32 v1, 3, v16
	v_cmp_ne_u32_e64 s[0:1], 0, v1
	s_and_saveexec_b64 s[10:11], s[0:1]
	s_cbranch_execz .LBB911_238
; %bb.236:
	v_lshl_or_b32 v8, v19, 9, v15
	s_mov_b64 s[12:13], 0
	v_mov_b32_e32 v3, 0
.LBB911_237:                            ; =>This Inner Loop Header: Depth=1
	v_mov_b32_e32 v2, v4
	v_add_u32_e32 v1, -1, v1
	v_lshlrev_b64 v[16:17], 1, v[2:3]
	v_mov_b32_e32 v2, v5
	v_cmp_eq_u32_e64 s[0:1], 0, v1
	v_lshlrev_b64 v[18:19], 1, v[2:3]
	ds_read_u16 v9, v8
	ds_read_u16 v15, v8 offset:512
	ds_read_u16 v24, v8 offset:1024
	;; [unrolled: 1-line block ×3, first 2 shown]
	v_mov_b32_e32 v2, v6
	s_or_b64 s[12:13], s[0:1], s[12:13]
	v_add_co_u32_e64 v18, s[0:1], v10, v18
	v_addc_co_u32_e64 v19, s[0:1], v11, v19, s[0:1]
	v_lshlrev_b64 v[20:21], 1, v[2:3]
	v_mov_b32_e32 v2, v7
	v_add_co_u32_e64 v20, s[0:1], v10, v20
	v_add_co_u32_e64 v16, s[2:3], v10, v16
	v_addc_co_u32_e64 v21, s[0:1], v11, v21, s[0:1]
	v_lshlrev_b64 v[22:23], 1, v[2:3]
	v_add_u32_e32 v4, 0x400, v4
	v_add_u32_e32 v8, 0x800, v8
	;; [unrolled: 1-line block ×3, first 2 shown]
	v_addc_co_u32_e64 v17, s[2:3], v11, v17, s[2:3]
	v_add_u32_e32 v6, 0x400, v6
	v_add_u32_e32 v7, 0x400, v7
	v_add_co_u32_e64 v22, s[0:1], v10, v22
	v_addc_co_u32_e64 v23, s[0:1], v11, v23, s[0:1]
	s_waitcnt lgkmcnt(3)
	global_store_short v[16:17], v9, off
	s_waitcnt lgkmcnt(2)
	global_store_short v[18:19], v15, off
	;; [unrolled: 2-line block ×4, first 2 shown]
	s_andn2_b64 exec, exec, s[12:13]
	s_cbranch_execnz .LBB911_237
.LBB911_238:
	s_or_b64 exec, exec, s[10:11]
	v_add_u32_e32 v1, 1, v13
	v_and_b32_e32 v3, 0x1fffffc, v1
	v_cmp_ne_u32_e64 s[0:1], v1, v3
	v_lshl_or_b32 v2, v3, 8, v0
	s_orn2_b64 s[2:3], s[0:1], exec
.LBB911_239:
	s_or_b64 exec, exec, s[8:9]
	s_andn2_b64 s[0:1], vcc, exec
	s_and_b64 s[2:3], s[2:3], exec
	s_or_b64 vcc, s[0:1], s[2:3]
.LBB911_240:
	s_or_b64 exec, exec, s[4:5]
	s_and_b64 exec, exec, vcc
	s_cbranch_execz .LBB911_243
; %bb.241:
	v_lshlrev_b32_e32 v1, 1, v2
	s_mov_b64 s[0:1], 0
	v_mov_b32_e32 v3, 0
.LBB911_242:                            ; =>This Inner Loop Header: Depth=1
	v_lshlrev_b64 v[4:5], 1, v[2:3]
	ds_read_u16 v6, v1
	v_add_co_u32_e32 v4, vcc, v10, v4
	v_add_u32_e32 v2, 0x100, v2
	v_addc_co_u32_e32 v5, vcc, v11, v5, vcc
	v_cmp_ge_u32_e32 vcc, v2, v12
	v_add_u32_e32 v1, 0x200, v1
	s_or_b64 s[0:1], vcc, s[0:1]
	s_waitcnt lgkmcnt(0)
	global_store_short v[4:5], v6, off
	s_andn2_b64 exec, exec, s[0:1]
	s_cbranch_execnz .LBB911_242
.LBB911_243:
	s_or_b64 exec, exec, s[6:7]
	v_cmp_eq_u32_e32 vcc, 0, v0
	s_and_b64 s[0:1], vcc, s[24:25]
	s_and_saveexec_b64 s[2:3], s[0:1]
	s_cbranch_execz .LBB911_116
.LBB911_244:
	v_mov_b32_e32 v0, s23
	v_add_co_u32_e32 v1, vcc, s22, v12
	v_addc_co_u32_e32 v3, vcc, 0, v0, vcc
	v_add_co_u32_e32 v0, vcc, v1, v14
	v_mov_b32_e32 v2, 0
	v_addc_co_u32_e32 v1, vcc, 0, v3, vcc
	global_store_dwordx2 v2, v[0:1], s[20:21]
	s_endpgm
	.section	.rodata,"a",@progbits
	.p2align	6, 0x0
	.amdhsa_kernel _ZN7rocprim17ROCPRIM_400000_NS6detail17trampoline_kernelINS0_14default_configENS1_25partition_config_selectorILNS1_17partition_subalgoE8EN3c104HalfENS0_10empty_typeEbEEZZNS1_14partition_implILS5_8ELb0ES3_jPKS7_PS8_PKS8_NS0_5tupleIJPS7_S8_EEENSG_IJSD_SD_EEENS0_18inequality_wrapperIN6hipcub16HIPCUB_304000_NS8EqualityEEEPlJS8_EEE10hipError_tPvRmT3_T4_T5_T6_T7_T9_mT8_P12ihipStream_tbDpT10_ENKUlT_T0_E_clISt17integral_constantIbLb1EES18_IbLb0EEEEDaS14_S15_EUlS14_E_NS1_11comp_targetILNS1_3genE4ELNS1_11target_archE910ELNS1_3gpuE8ELNS1_3repE0EEENS1_30default_config_static_selectorELNS0_4arch9wavefront6targetE1EEEvT1_
		.amdhsa_group_segment_fixed_size 11272
		.amdhsa_private_segment_fixed_size 0
		.amdhsa_kernarg_size 112
		.amdhsa_user_sgpr_count 6
		.amdhsa_user_sgpr_private_segment_buffer 1
		.amdhsa_user_sgpr_dispatch_ptr 0
		.amdhsa_user_sgpr_queue_ptr 0
		.amdhsa_user_sgpr_kernarg_segment_ptr 1
		.amdhsa_user_sgpr_dispatch_id 0
		.amdhsa_user_sgpr_flat_scratch_init 0
		.amdhsa_user_sgpr_kernarg_preload_length 0
		.amdhsa_user_sgpr_kernarg_preload_offset 0
		.amdhsa_user_sgpr_private_segment_size 0
		.amdhsa_uses_dynamic_stack 0
		.amdhsa_system_sgpr_private_segment_wavefront_offset 0
		.amdhsa_system_sgpr_workgroup_id_x 1
		.amdhsa_system_sgpr_workgroup_id_y 0
		.amdhsa_system_sgpr_workgroup_id_z 0
		.amdhsa_system_sgpr_workgroup_info 0
		.amdhsa_system_vgpr_workitem_id 0
		.amdhsa_next_free_vgpr 86
		.amdhsa_next_free_sgpr 62
		.amdhsa_accum_offset 88
		.amdhsa_reserve_vcc 1
		.amdhsa_reserve_flat_scratch 0
		.amdhsa_float_round_mode_32 0
		.amdhsa_float_round_mode_16_64 0
		.amdhsa_float_denorm_mode_32 3
		.amdhsa_float_denorm_mode_16_64 3
		.amdhsa_dx10_clamp 1
		.amdhsa_ieee_mode 1
		.amdhsa_fp16_overflow 0
		.amdhsa_tg_split 0
		.amdhsa_exception_fp_ieee_invalid_op 0
		.amdhsa_exception_fp_denorm_src 0
		.amdhsa_exception_fp_ieee_div_zero 0
		.amdhsa_exception_fp_ieee_overflow 0
		.amdhsa_exception_fp_ieee_underflow 0
		.amdhsa_exception_fp_ieee_inexact 0
		.amdhsa_exception_int_div_zero 0
	.end_amdhsa_kernel
	.section	.text._ZN7rocprim17ROCPRIM_400000_NS6detail17trampoline_kernelINS0_14default_configENS1_25partition_config_selectorILNS1_17partition_subalgoE8EN3c104HalfENS0_10empty_typeEbEEZZNS1_14partition_implILS5_8ELb0ES3_jPKS7_PS8_PKS8_NS0_5tupleIJPS7_S8_EEENSG_IJSD_SD_EEENS0_18inequality_wrapperIN6hipcub16HIPCUB_304000_NS8EqualityEEEPlJS8_EEE10hipError_tPvRmT3_T4_T5_T6_T7_T9_mT8_P12ihipStream_tbDpT10_ENKUlT_T0_E_clISt17integral_constantIbLb1EES18_IbLb0EEEEDaS14_S15_EUlS14_E_NS1_11comp_targetILNS1_3genE4ELNS1_11target_archE910ELNS1_3gpuE8ELNS1_3repE0EEENS1_30default_config_static_selectorELNS0_4arch9wavefront6targetE1EEEvT1_,"axG",@progbits,_ZN7rocprim17ROCPRIM_400000_NS6detail17trampoline_kernelINS0_14default_configENS1_25partition_config_selectorILNS1_17partition_subalgoE8EN3c104HalfENS0_10empty_typeEbEEZZNS1_14partition_implILS5_8ELb0ES3_jPKS7_PS8_PKS8_NS0_5tupleIJPS7_S8_EEENSG_IJSD_SD_EEENS0_18inequality_wrapperIN6hipcub16HIPCUB_304000_NS8EqualityEEEPlJS8_EEE10hipError_tPvRmT3_T4_T5_T6_T7_T9_mT8_P12ihipStream_tbDpT10_ENKUlT_T0_E_clISt17integral_constantIbLb1EES18_IbLb0EEEEDaS14_S15_EUlS14_E_NS1_11comp_targetILNS1_3genE4ELNS1_11target_archE910ELNS1_3gpuE8ELNS1_3repE0EEENS1_30default_config_static_selectorELNS0_4arch9wavefront6targetE1EEEvT1_,comdat
.Lfunc_end911:
	.size	_ZN7rocprim17ROCPRIM_400000_NS6detail17trampoline_kernelINS0_14default_configENS1_25partition_config_selectorILNS1_17partition_subalgoE8EN3c104HalfENS0_10empty_typeEbEEZZNS1_14partition_implILS5_8ELb0ES3_jPKS7_PS8_PKS8_NS0_5tupleIJPS7_S8_EEENSG_IJSD_SD_EEENS0_18inequality_wrapperIN6hipcub16HIPCUB_304000_NS8EqualityEEEPlJS8_EEE10hipError_tPvRmT3_T4_T5_T6_T7_T9_mT8_P12ihipStream_tbDpT10_ENKUlT_T0_E_clISt17integral_constantIbLb1EES18_IbLb0EEEEDaS14_S15_EUlS14_E_NS1_11comp_targetILNS1_3genE4ELNS1_11target_archE910ELNS1_3gpuE8ELNS1_3repE0EEENS1_30default_config_static_selectorELNS0_4arch9wavefront6targetE1EEEvT1_, .Lfunc_end911-_ZN7rocprim17ROCPRIM_400000_NS6detail17trampoline_kernelINS0_14default_configENS1_25partition_config_selectorILNS1_17partition_subalgoE8EN3c104HalfENS0_10empty_typeEbEEZZNS1_14partition_implILS5_8ELb0ES3_jPKS7_PS8_PKS8_NS0_5tupleIJPS7_S8_EEENSG_IJSD_SD_EEENS0_18inequality_wrapperIN6hipcub16HIPCUB_304000_NS8EqualityEEEPlJS8_EEE10hipError_tPvRmT3_T4_T5_T6_T7_T9_mT8_P12ihipStream_tbDpT10_ENKUlT_T0_E_clISt17integral_constantIbLb1EES18_IbLb0EEEEDaS14_S15_EUlS14_E_NS1_11comp_targetILNS1_3genE4ELNS1_11target_archE910ELNS1_3gpuE8ELNS1_3repE0EEENS1_30default_config_static_selectorELNS0_4arch9wavefront6targetE1EEEvT1_
                                        ; -- End function
	.section	.AMDGPU.csdata,"",@progbits
; Kernel info:
; codeLenInByte = 10516
; NumSgprs: 66
; NumVgprs: 86
; NumAgprs: 0
; TotalNumVgprs: 86
; ScratchSize: 0
; MemoryBound: 0
; FloatMode: 240
; IeeeMode: 1
; LDSByteSize: 11272 bytes/workgroup (compile time only)
; SGPRBlocks: 8
; VGPRBlocks: 10
; NumSGPRsForWavesPerEU: 66
; NumVGPRsForWavesPerEU: 86
; AccumOffset: 88
; Occupancy: 5
; WaveLimiterHint : 1
; COMPUTE_PGM_RSRC2:SCRATCH_EN: 0
; COMPUTE_PGM_RSRC2:USER_SGPR: 6
; COMPUTE_PGM_RSRC2:TRAP_HANDLER: 0
; COMPUTE_PGM_RSRC2:TGID_X_EN: 1
; COMPUTE_PGM_RSRC2:TGID_Y_EN: 0
; COMPUTE_PGM_RSRC2:TGID_Z_EN: 0
; COMPUTE_PGM_RSRC2:TIDIG_COMP_CNT: 0
; COMPUTE_PGM_RSRC3_GFX90A:ACCUM_OFFSET: 21
; COMPUTE_PGM_RSRC3_GFX90A:TG_SPLIT: 0
	.section	.text._ZN7rocprim17ROCPRIM_400000_NS6detail17trampoline_kernelINS0_14default_configENS1_25partition_config_selectorILNS1_17partition_subalgoE8EN3c104HalfENS0_10empty_typeEbEEZZNS1_14partition_implILS5_8ELb0ES3_jPKS7_PS8_PKS8_NS0_5tupleIJPS7_S8_EEENSG_IJSD_SD_EEENS0_18inequality_wrapperIN6hipcub16HIPCUB_304000_NS8EqualityEEEPlJS8_EEE10hipError_tPvRmT3_T4_T5_T6_T7_T9_mT8_P12ihipStream_tbDpT10_ENKUlT_T0_E_clISt17integral_constantIbLb1EES18_IbLb0EEEEDaS14_S15_EUlS14_E_NS1_11comp_targetILNS1_3genE3ELNS1_11target_archE908ELNS1_3gpuE7ELNS1_3repE0EEENS1_30default_config_static_selectorELNS0_4arch9wavefront6targetE1EEEvT1_,"axG",@progbits,_ZN7rocprim17ROCPRIM_400000_NS6detail17trampoline_kernelINS0_14default_configENS1_25partition_config_selectorILNS1_17partition_subalgoE8EN3c104HalfENS0_10empty_typeEbEEZZNS1_14partition_implILS5_8ELb0ES3_jPKS7_PS8_PKS8_NS0_5tupleIJPS7_S8_EEENSG_IJSD_SD_EEENS0_18inequality_wrapperIN6hipcub16HIPCUB_304000_NS8EqualityEEEPlJS8_EEE10hipError_tPvRmT3_T4_T5_T6_T7_T9_mT8_P12ihipStream_tbDpT10_ENKUlT_T0_E_clISt17integral_constantIbLb1EES18_IbLb0EEEEDaS14_S15_EUlS14_E_NS1_11comp_targetILNS1_3genE3ELNS1_11target_archE908ELNS1_3gpuE7ELNS1_3repE0EEENS1_30default_config_static_selectorELNS0_4arch9wavefront6targetE1EEEvT1_,comdat
	.protected	_ZN7rocprim17ROCPRIM_400000_NS6detail17trampoline_kernelINS0_14default_configENS1_25partition_config_selectorILNS1_17partition_subalgoE8EN3c104HalfENS0_10empty_typeEbEEZZNS1_14partition_implILS5_8ELb0ES3_jPKS7_PS8_PKS8_NS0_5tupleIJPS7_S8_EEENSG_IJSD_SD_EEENS0_18inequality_wrapperIN6hipcub16HIPCUB_304000_NS8EqualityEEEPlJS8_EEE10hipError_tPvRmT3_T4_T5_T6_T7_T9_mT8_P12ihipStream_tbDpT10_ENKUlT_T0_E_clISt17integral_constantIbLb1EES18_IbLb0EEEEDaS14_S15_EUlS14_E_NS1_11comp_targetILNS1_3genE3ELNS1_11target_archE908ELNS1_3gpuE7ELNS1_3repE0EEENS1_30default_config_static_selectorELNS0_4arch9wavefront6targetE1EEEvT1_ ; -- Begin function _ZN7rocprim17ROCPRIM_400000_NS6detail17trampoline_kernelINS0_14default_configENS1_25partition_config_selectorILNS1_17partition_subalgoE8EN3c104HalfENS0_10empty_typeEbEEZZNS1_14partition_implILS5_8ELb0ES3_jPKS7_PS8_PKS8_NS0_5tupleIJPS7_S8_EEENSG_IJSD_SD_EEENS0_18inequality_wrapperIN6hipcub16HIPCUB_304000_NS8EqualityEEEPlJS8_EEE10hipError_tPvRmT3_T4_T5_T6_T7_T9_mT8_P12ihipStream_tbDpT10_ENKUlT_T0_E_clISt17integral_constantIbLb1EES18_IbLb0EEEEDaS14_S15_EUlS14_E_NS1_11comp_targetILNS1_3genE3ELNS1_11target_archE908ELNS1_3gpuE7ELNS1_3repE0EEENS1_30default_config_static_selectorELNS0_4arch9wavefront6targetE1EEEvT1_
	.globl	_ZN7rocprim17ROCPRIM_400000_NS6detail17trampoline_kernelINS0_14default_configENS1_25partition_config_selectorILNS1_17partition_subalgoE8EN3c104HalfENS0_10empty_typeEbEEZZNS1_14partition_implILS5_8ELb0ES3_jPKS7_PS8_PKS8_NS0_5tupleIJPS7_S8_EEENSG_IJSD_SD_EEENS0_18inequality_wrapperIN6hipcub16HIPCUB_304000_NS8EqualityEEEPlJS8_EEE10hipError_tPvRmT3_T4_T5_T6_T7_T9_mT8_P12ihipStream_tbDpT10_ENKUlT_T0_E_clISt17integral_constantIbLb1EES18_IbLb0EEEEDaS14_S15_EUlS14_E_NS1_11comp_targetILNS1_3genE3ELNS1_11target_archE908ELNS1_3gpuE7ELNS1_3repE0EEENS1_30default_config_static_selectorELNS0_4arch9wavefront6targetE1EEEvT1_
	.p2align	8
	.type	_ZN7rocprim17ROCPRIM_400000_NS6detail17trampoline_kernelINS0_14default_configENS1_25partition_config_selectorILNS1_17partition_subalgoE8EN3c104HalfENS0_10empty_typeEbEEZZNS1_14partition_implILS5_8ELb0ES3_jPKS7_PS8_PKS8_NS0_5tupleIJPS7_S8_EEENSG_IJSD_SD_EEENS0_18inequality_wrapperIN6hipcub16HIPCUB_304000_NS8EqualityEEEPlJS8_EEE10hipError_tPvRmT3_T4_T5_T6_T7_T9_mT8_P12ihipStream_tbDpT10_ENKUlT_T0_E_clISt17integral_constantIbLb1EES18_IbLb0EEEEDaS14_S15_EUlS14_E_NS1_11comp_targetILNS1_3genE3ELNS1_11target_archE908ELNS1_3gpuE7ELNS1_3repE0EEENS1_30default_config_static_selectorELNS0_4arch9wavefront6targetE1EEEvT1_,@function
_ZN7rocprim17ROCPRIM_400000_NS6detail17trampoline_kernelINS0_14default_configENS1_25partition_config_selectorILNS1_17partition_subalgoE8EN3c104HalfENS0_10empty_typeEbEEZZNS1_14partition_implILS5_8ELb0ES3_jPKS7_PS8_PKS8_NS0_5tupleIJPS7_S8_EEENSG_IJSD_SD_EEENS0_18inequality_wrapperIN6hipcub16HIPCUB_304000_NS8EqualityEEEPlJS8_EEE10hipError_tPvRmT3_T4_T5_T6_T7_T9_mT8_P12ihipStream_tbDpT10_ENKUlT_T0_E_clISt17integral_constantIbLb1EES18_IbLb0EEEEDaS14_S15_EUlS14_E_NS1_11comp_targetILNS1_3genE3ELNS1_11target_archE908ELNS1_3gpuE7ELNS1_3repE0EEENS1_30default_config_static_selectorELNS0_4arch9wavefront6targetE1EEEvT1_: ; @_ZN7rocprim17ROCPRIM_400000_NS6detail17trampoline_kernelINS0_14default_configENS1_25partition_config_selectorILNS1_17partition_subalgoE8EN3c104HalfENS0_10empty_typeEbEEZZNS1_14partition_implILS5_8ELb0ES3_jPKS7_PS8_PKS8_NS0_5tupleIJPS7_S8_EEENSG_IJSD_SD_EEENS0_18inequality_wrapperIN6hipcub16HIPCUB_304000_NS8EqualityEEEPlJS8_EEE10hipError_tPvRmT3_T4_T5_T6_T7_T9_mT8_P12ihipStream_tbDpT10_ENKUlT_T0_E_clISt17integral_constantIbLb1EES18_IbLb0EEEEDaS14_S15_EUlS14_E_NS1_11comp_targetILNS1_3genE3ELNS1_11target_archE908ELNS1_3gpuE7ELNS1_3repE0EEENS1_30default_config_static_selectorELNS0_4arch9wavefront6targetE1EEEvT1_
; %bb.0:
	.section	.rodata,"a",@progbits
	.p2align	6, 0x0
	.amdhsa_kernel _ZN7rocprim17ROCPRIM_400000_NS6detail17trampoline_kernelINS0_14default_configENS1_25partition_config_selectorILNS1_17partition_subalgoE8EN3c104HalfENS0_10empty_typeEbEEZZNS1_14partition_implILS5_8ELb0ES3_jPKS7_PS8_PKS8_NS0_5tupleIJPS7_S8_EEENSG_IJSD_SD_EEENS0_18inequality_wrapperIN6hipcub16HIPCUB_304000_NS8EqualityEEEPlJS8_EEE10hipError_tPvRmT3_T4_T5_T6_T7_T9_mT8_P12ihipStream_tbDpT10_ENKUlT_T0_E_clISt17integral_constantIbLb1EES18_IbLb0EEEEDaS14_S15_EUlS14_E_NS1_11comp_targetILNS1_3genE3ELNS1_11target_archE908ELNS1_3gpuE7ELNS1_3repE0EEENS1_30default_config_static_selectorELNS0_4arch9wavefront6targetE1EEEvT1_
		.amdhsa_group_segment_fixed_size 0
		.amdhsa_private_segment_fixed_size 0
		.amdhsa_kernarg_size 112
		.amdhsa_user_sgpr_count 6
		.amdhsa_user_sgpr_private_segment_buffer 1
		.amdhsa_user_sgpr_dispatch_ptr 0
		.amdhsa_user_sgpr_queue_ptr 0
		.amdhsa_user_sgpr_kernarg_segment_ptr 1
		.amdhsa_user_sgpr_dispatch_id 0
		.amdhsa_user_sgpr_flat_scratch_init 0
		.amdhsa_user_sgpr_kernarg_preload_length 0
		.amdhsa_user_sgpr_kernarg_preload_offset 0
		.amdhsa_user_sgpr_private_segment_size 0
		.amdhsa_uses_dynamic_stack 0
		.amdhsa_system_sgpr_private_segment_wavefront_offset 0
		.amdhsa_system_sgpr_workgroup_id_x 1
		.amdhsa_system_sgpr_workgroup_id_y 0
		.amdhsa_system_sgpr_workgroup_id_z 0
		.amdhsa_system_sgpr_workgroup_info 0
		.amdhsa_system_vgpr_workitem_id 0
		.amdhsa_next_free_vgpr 1
		.amdhsa_next_free_sgpr 0
		.amdhsa_accum_offset 4
		.amdhsa_reserve_vcc 0
		.amdhsa_reserve_flat_scratch 0
		.amdhsa_float_round_mode_32 0
		.amdhsa_float_round_mode_16_64 0
		.amdhsa_float_denorm_mode_32 3
		.amdhsa_float_denorm_mode_16_64 3
		.amdhsa_dx10_clamp 1
		.amdhsa_ieee_mode 1
		.amdhsa_fp16_overflow 0
		.amdhsa_tg_split 0
		.amdhsa_exception_fp_ieee_invalid_op 0
		.amdhsa_exception_fp_denorm_src 0
		.amdhsa_exception_fp_ieee_div_zero 0
		.amdhsa_exception_fp_ieee_overflow 0
		.amdhsa_exception_fp_ieee_underflow 0
		.amdhsa_exception_fp_ieee_inexact 0
		.amdhsa_exception_int_div_zero 0
	.end_amdhsa_kernel
	.section	.text._ZN7rocprim17ROCPRIM_400000_NS6detail17trampoline_kernelINS0_14default_configENS1_25partition_config_selectorILNS1_17partition_subalgoE8EN3c104HalfENS0_10empty_typeEbEEZZNS1_14partition_implILS5_8ELb0ES3_jPKS7_PS8_PKS8_NS0_5tupleIJPS7_S8_EEENSG_IJSD_SD_EEENS0_18inequality_wrapperIN6hipcub16HIPCUB_304000_NS8EqualityEEEPlJS8_EEE10hipError_tPvRmT3_T4_T5_T6_T7_T9_mT8_P12ihipStream_tbDpT10_ENKUlT_T0_E_clISt17integral_constantIbLb1EES18_IbLb0EEEEDaS14_S15_EUlS14_E_NS1_11comp_targetILNS1_3genE3ELNS1_11target_archE908ELNS1_3gpuE7ELNS1_3repE0EEENS1_30default_config_static_selectorELNS0_4arch9wavefront6targetE1EEEvT1_,"axG",@progbits,_ZN7rocprim17ROCPRIM_400000_NS6detail17trampoline_kernelINS0_14default_configENS1_25partition_config_selectorILNS1_17partition_subalgoE8EN3c104HalfENS0_10empty_typeEbEEZZNS1_14partition_implILS5_8ELb0ES3_jPKS7_PS8_PKS8_NS0_5tupleIJPS7_S8_EEENSG_IJSD_SD_EEENS0_18inequality_wrapperIN6hipcub16HIPCUB_304000_NS8EqualityEEEPlJS8_EEE10hipError_tPvRmT3_T4_T5_T6_T7_T9_mT8_P12ihipStream_tbDpT10_ENKUlT_T0_E_clISt17integral_constantIbLb1EES18_IbLb0EEEEDaS14_S15_EUlS14_E_NS1_11comp_targetILNS1_3genE3ELNS1_11target_archE908ELNS1_3gpuE7ELNS1_3repE0EEENS1_30default_config_static_selectorELNS0_4arch9wavefront6targetE1EEEvT1_,comdat
.Lfunc_end912:
	.size	_ZN7rocprim17ROCPRIM_400000_NS6detail17trampoline_kernelINS0_14default_configENS1_25partition_config_selectorILNS1_17partition_subalgoE8EN3c104HalfENS0_10empty_typeEbEEZZNS1_14partition_implILS5_8ELb0ES3_jPKS7_PS8_PKS8_NS0_5tupleIJPS7_S8_EEENSG_IJSD_SD_EEENS0_18inequality_wrapperIN6hipcub16HIPCUB_304000_NS8EqualityEEEPlJS8_EEE10hipError_tPvRmT3_T4_T5_T6_T7_T9_mT8_P12ihipStream_tbDpT10_ENKUlT_T0_E_clISt17integral_constantIbLb1EES18_IbLb0EEEEDaS14_S15_EUlS14_E_NS1_11comp_targetILNS1_3genE3ELNS1_11target_archE908ELNS1_3gpuE7ELNS1_3repE0EEENS1_30default_config_static_selectorELNS0_4arch9wavefront6targetE1EEEvT1_, .Lfunc_end912-_ZN7rocprim17ROCPRIM_400000_NS6detail17trampoline_kernelINS0_14default_configENS1_25partition_config_selectorILNS1_17partition_subalgoE8EN3c104HalfENS0_10empty_typeEbEEZZNS1_14partition_implILS5_8ELb0ES3_jPKS7_PS8_PKS8_NS0_5tupleIJPS7_S8_EEENSG_IJSD_SD_EEENS0_18inequality_wrapperIN6hipcub16HIPCUB_304000_NS8EqualityEEEPlJS8_EEE10hipError_tPvRmT3_T4_T5_T6_T7_T9_mT8_P12ihipStream_tbDpT10_ENKUlT_T0_E_clISt17integral_constantIbLb1EES18_IbLb0EEEEDaS14_S15_EUlS14_E_NS1_11comp_targetILNS1_3genE3ELNS1_11target_archE908ELNS1_3gpuE7ELNS1_3repE0EEENS1_30default_config_static_selectorELNS0_4arch9wavefront6targetE1EEEvT1_
                                        ; -- End function
	.section	.AMDGPU.csdata,"",@progbits
; Kernel info:
; codeLenInByte = 0
; NumSgprs: 4
; NumVgprs: 0
; NumAgprs: 0
; TotalNumVgprs: 0
; ScratchSize: 0
; MemoryBound: 0
; FloatMode: 240
; IeeeMode: 1
; LDSByteSize: 0 bytes/workgroup (compile time only)
; SGPRBlocks: 0
; VGPRBlocks: 0
; NumSGPRsForWavesPerEU: 4
; NumVGPRsForWavesPerEU: 1
; AccumOffset: 4
; Occupancy: 8
; WaveLimiterHint : 0
; COMPUTE_PGM_RSRC2:SCRATCH_EN: 0
; COMPUTE_PGM_RSRC2:USER_SGPR: 6
; COMPUTE_PGM_RSRC2:TRAP_HANDLER: 0
; COMPUTE_PGM_RSRC2:TGID_X_EN: 1
; COMPUTE_PGM_RSRC2:TGID_Y_EN: 0
; COMPUTE_PGM_RSRC2:TGID_Z_EN: 0
; COMPUTE_PGM_RSRC2:TIDIG_COMP_CNT: 0
; COMPUTE_PGM_RSRC3_GFX90A:ACCUM_OFFSET: 0
; COMPUTE_PGM_RSRC3_GFX90A:TG_SPLIT: 0
	.section	.text._ZN7rocprim17ROCPRIM_400000_NS6detail17trampoline_kernelINS0_14default_configENS1_25partition_config_selectorILNS1_17partition_subalgoE8EN3c104HalfENS0_10empty_typeEbEEZZNS1_14partition_implILS5_8ELb0ES3_jPKS7_PS8_PKS8_NS0_5tupleIJPS7_S8_EEENSG_IJSD_SD_EEENS0_18inequality_wrapperIN6hipcub16HIPCUB_304000_NS8EqualityEEEPlJS8_EEE10hipError_tPvRmT3_T4_T5_T6_T7_T9_mT8_P12ihipStream_tbDpT10_ENKUlT_T0_E_clISt17integral_constantIbLb1EES18_IbLb0EEEEDaS14_S15_EUlS14_E_NS1_11comp_targetILNS1_3genE2ELNS1_11target_archE906ELNS1_3gpuE6ELNS1_3repE0EEENS1_30default_config_static_selectorELNS0_4arch9wavefront6targetE1EEEvT1_,"axG",@progbits,_ZN7rocprim17ROCPRIM_400000_NS6detail17trampoline_kernelINS0_14default_configENS1_25partition_config_selectorILNS1_17partition_subalgoE8EN3c104HalfENS0_10empty_typeEbEEZZNS1_14partition_implILS5_8ELb0ES3_jPKS7_PS8_PKS8_NS0_5tupleIJPS7_S8_EEENSG_IJSD_SD_EEENS0_18inequality_wrapperIN6hipcub16HIPCUB_304000_NS8EqualityEEEPlJS8_EEE10hipError_tPvRmT3_T4_T5_T6_T7_T9_mT8_P12ihipStream_tbDpT10_ENKUlT_T0_E_clISt17integral_constantIbLb1EES18_IbLb0EEEEDaS14_S15_EUlS14_E_NS1_11comp_targetILNS1_3genE2ELNS1_11target_archE906ELNS1_3gpuE6ELNS1_3repE0EEENS1_30default_config_static_selectorELNS0_4arch9wavefront6targetE1EEEvT1_,comdat
	.protected	_ZN7rocprim17ROCPRIM_400000_NS6detail17trampoline_kernelINS0_14default_configENS1_25partition_config_selectorILNS1_17partition_subalgoE8EN3c104HalfENS0_10empty_typeEbEEZZNS1_14partition_implILS5_8ELb0ES3_jPKS7_PS8_PKS8_NS0_5tupleIJPS7_S8_EEENSG_IJSD_SD_EEENS0_18inequality_wrapperIN6hipcub16HIPCUB_304000_NS8EqualityEEEPlJS8_EEE10hipError_tPvRmT3_T4_T5_T6_T7_T9_mT8_P12ihipStream_tbDpT10_ENKUlT_T0_E_clISt17integral_constantIbLb1EES18_IbLb0EEEEDaS14_S15_EUlS14_E_NS1_11comp_targetILNS1_3genE2ELNS1_11target_archE906ELNS1_3gpuE6ELNS1_3repE0EEENS1_30default_config_static_selectorELNS0_4arch9wavefront6targetE1EEEvT1_ ; -- Begin function _ZN7rocprim17ROCPRIM_400000_NS6detail17trampoline_kernelINS0_14default_configENS1_25partition_config_selectorILNS1_17partition_subalgoE8EN3c104HalfENS0_10empty_typeEbEEZZNS1_14partition_implILS5_8ELb0ES3_jPKS7_PS8_PKS8_NS0_5tupleIJPS7_S8_EEENSG_IJSD_SD_EEENS0_18inequality_wrapperIN6hipcub16HIPCUB_304000_NS8EqualityEEEPlJS8_EEE10hipError_tPvRmT3_T4_T5_T6_T7_T9_mT8_P12ihipStream_tbDpT10_ENKUlT_T0_E_clISt17integral_constantIbLb1EES18_IbLb0EEEEDaS14_S15_EUlS14_E_NS1_11comp_targetILNS1_3genE2ELNS1_11target_archE906ELNS1_3gpuE6ELNS1_3repE0EEENS1_30default_config_static_selectorELNS0_4arch9wavefront6targetE1EEEvT1_
	.globl	_ZN7rocprim17ROCPRIM_400000_NS6detail17trampoline_kernelINS0_14default_configENS1_25partition_config_selectorILNS1_17partition_subalgoE8EN3c104HalfENS0_10empty_typeEbEEZZNS1_14partition_implILS5_8ELb0ES3_jPKS7_PS8_PKS8_NS0_5tupleIJPS7_S8_EEENSG_IJSD_SD_EEENS0_18inequality_wrapperIN6hipcub16HIPCUB_304000_NS8EqualityEEEPlJS8_EEE10hipError_tPvRmT3_T4_T5_T6_T7_T9_mT8_P12ihipStream_tbDpT10_ENKUlT_T0_E_clISt17integral_constantIbLb1EES18_IbLb0EEEEDaS14_S15_EUlS14_E_NS1_11comp_targetILNS1_3genE2ELNS1_11target_archE906ELNS1_3gpuE6ELNS1_3repE0EEENS1_30default_config_static_selectorELNS0_4arch9wavefront6targetE1EEEvT1_
	.p2align	8
	.type	_ZN7rocprim17ROCPRIM_400000_NS6detail17trampoline_kernelINS0_14default_configENS1_25partition_config_selectorILNS1_17partition_subalgoE8EN3c104HalfENS0_10empty_typeEbEEZZNS1_14partition_implILS5_8ELb0ES3_jPKS7_PS8_PKS8_NS0_5tupleIJPS7_S8_EEENSG_IJSD_SD_EEENS0_18inequality_wrapperIN6hipcub16HIPCUB_304000_NS8EqualityEEEPlJS8_EEE10hipError_tPvRmT3_T4_T5_T6_T7_T9_mT8_P12ihipStream_tbDpT10_ENKUlT_T0_E_clISt17integral_constantIbLb1EES18_IbLb0EEEEDaS14_S15_EUlS14_E_NS1_11comp_targetILNS1_3genE2ELNS1_11target_archE906ELNS1_3gpuE6ELNS1_3repE0EEENS1_30default_config_static_selectorELNS0_4arch9wavefront6targetE1EEEvT1_,@function
_ZN7rocprim17ROCPRIM_400000_NS6detail17trampoline_kernelINS0_14default_configENS1_25partition_config_selectorILNS1_17partition_subalgoE8EN3c104HalfENS0_10empty_typeEbEEZZNS1_14partition_implILS5_8ELb0ES3_jPKS7_PS8_PKS8_NS0_5tupleIJPS7_S8_EEENSG_IJSD_SD_EEENS0_18inequality_wrapperIN6hipcub16HIPCUB_304000_NS8EqualityEEEPlJS8_EEE10hipError_tPvRmT3_T4_T5_T6_T7_T9_mT8_P12ihipStream_tbDpT10_ENKUlT_T0_E_clISt17integral_constantIbLb1EES18_IbLb0EEEEDaS14_S15_EUlS14_E_NS1_11comp_targetILNS1_3genE2ELNS1_11target_archE906ELNS1_3gpuE6ELNS1_3repE0EEENS1_30default_config_static_selectorELNS0_4arch9wavefront6targetE1EEEvT1_: ; @_ZN7rocprim17ROCPRIM_400000_NS6detail17trampoline_kernelINS0_14default_configENS1_25partition_config_selectorILNS1_17partition_subalgoE8EN3c104HalfENS0_10empty_typeEbEEZZNS1_14partition_implILS5_8ELb0ES3_jPKS7_PS8_PKS8_NS0_5tupleIJPS7_S8_EEENSG_IJSD_SD_EEENS0_18inequality_wrapperIN6hipcub16HIPCUB_304000_NS8EqualityEEEPlJS8_EEE10hipError_tPvRmT3_T4_T5_T6_T7_T9_mT8_P12ihipStream_tbDpT10_ENKUlT_T0_E_clISt17integral_constantIbLb1EES18_IbLb0EEEEDaS14_S15_EUlS14_E_NS1_11comp_targetILNS1_3genE2ELNS1_11target_archE906ELNS1_3gpuE6ELNS1_3repE0EEENS1_30default_config_static_selectorELNS0_4arch9wavefront6targetE1EEEvT1_
; %bb.0:
	.section	.rodata,"a",@progbits
	.p2align	6, 0x0
	.amdhsa_kernel _ZN7rocprim17ROCPRIM_400000_NS6detail17trampoline_kernelINS0_14default_configENS1_25partition_config_selectorILNS1_17partition_subalgoE8EN3c104HalfENS0_10empty_typeEbEEZZNS1_14partition_implILS5_8ELb0ES3_jPKS7_PS8_PKS8_NS0_5tupleIJPS7_S8_EEENSG_IJSD_SD_EEENS0_18inequality_wrapperIN6hipcub16HIPCUB_304000_NS8EqualityEEEPlJS8_EEE10hipError_tPvRmT3_T4_T5_T6_T7_T9_mT8_P12ihipStream_tbDpT10_ENKUlT_T0_E_clISt17integral_constantIbLb1EES18_IbLb0EEEEDaS14_S15_EUlS14_E_NS1_11comp_targetILNS1_3genE2ELNS1_11target_archE906ELNS1_3gpuE6ELNS1_3repE0EEENS1_30default_config_static_selectorELNS0_4arch9wavefront6targetE1EEEvT1_
		.amdhsa_group_segment_fixed_size 0
		.amdhsa_private_segment_fixed_size 0
		.amdhsa_kernarg_size 112
		.amdhsa_user_sgpr_count 6
		.amdhsa_user_sgpr_private_segment_buffer 1
		.amdhsa_user_sgpr_dispatch_ptr 0
		.amdhsa_user_sgpr_queue_ptr 0
		.amdhsa_user_sgpr_kernarg_segment_ptr 1
		.amdhsa_user_sgpr_dispatch_id 0
		.amdhsa_user_sgpr_flat_scratch_init 0
		.amdhsa_user_sgpr_kernarg_preload_length 0
		.amdhsa_user_sgpr_kernarg_preload_offset 0
		.amdhsa_user_sgpr_private_segment_size 0
		.amdhsa_uses_dynamic_stack 0
		.amdhsa_system_sgpr_private_segment_wavefront_offset 0
		.amdhsa_system_sgpr_workgroup_id_x 1
		.amdhsa_system_sgpr_workgroup_id_y 0
		.amdhsa_system_sgpr_workgroup_id_z 0
		.amdhsa_system_sgpr_workgroup_info 0
		.amdhsa_system_vgpr_workitem_id 0
		.amdhsa_next_free_vgpr 1
		.amdhsa_next_free_sgpr 0
		.amdhsa_accum_offset 4
		.amdhsa_reserve_vcc 0
		.amdhsa_reserve_flat_scratch 0
		.amdhsa_float_round_mode_32 0
		.amdhsa_float_round_mode_16_64 0
		.amdhsa_float_denorm_mode_32 3
		.amdhsa_float_denorm_mode_16_64 3
		.amdhsa_dx10_clamp 1
		.amdhsa_ieee_mode 1
		.amdhsa_fp16_overflow 0
		.amdhsa_tg_split 0
		.amdhsa_exception_fp_ieee_invalid_op 0
		.amdhsa_exception_fp_denorm_src 0
		.amdhsa_exception_fp_ieee_div_zero 0
		.amdhsa_exception_fp_ieee_overflow 0
		.amdhsa_exception_fp_ieee_underflow 0
		.amdhsa_exception_fp_ieee_inexact 0
		.amdhsa_exception_int_div_zero 0
	.end_amdhsa_kernel
	.section	.text._ZN7rocprim17ROCPRIM_400000_NS6detail17trampoline_kernelINS0_14default_configENS1_25partition_config_selectorILNS1_17partition_subalgoE8EN3c104HalfENS0_10empty_typeEbEEZZNS1_14partition_implILS5_8ELb0ES3_jPKS7_PS8_PKS8_NS0_5tupleIJPS7_S8_EEENSG_IJSD_SD_EEENS0_18inequality_wrapperIN6hipcub16HIPCUB_304000_NS8EqualityEEEPlJS8_EEE10hipError_tPvRmT3_T4_T5_T6_T7_T9_mT8_P12ihipStream_tbDpT10_ENKUlT_T0_E_clISt17integral_constantIbLb1EES18_IbLb0EEEEDaS14_S15_EUlS14_E_NS1_11comp_targetILNS1_3genE2ELNS1_11target_archE906ELNS1_3gpuE6ELNS1_3repE0EEENS1_30default_config_static_selectorELNS0_4arch9wavefront6targetE1EEEvT1_,"axG",@progbits,_ZN7rocprim17ROCPRIM_400000_NS6detail17trampoline_kernelINS0_14default_configENS1_25partition_config_selectorILNS1_17partition_subalgoE8EN3c104HalfENS0_10empty_typeEbEEZZNS1_14partition_implILS5_8ELb0ES3_jPKS7_PS8_PKS8_NS0_5tupleIJPS7_S8_EEENSG_IJSD_SD_EEENS0_18inequality_wrapperIN6hipcub16HIPCUB_304000_NS8EqualityEEEPlJS8_EEE10hipError_tPvRmT3_T4_T5_T6_T7_T9_mT8_P12ihipStream_tbDpT10_ENKUlT_T0_E_clISt17integral_constantIbLb1EES18_IbLb0EEEEDaS14_S15_EUlS14_E_NS1_11comp_targetILNS1_3genE2ELNS1_11target_archE906ELNS1_3gpuE6ELNS1_3repE0EEENS1_30default_config_static_selectorELNS0_4arch9wavefront6targetE1EEEvT1_,comdat
.Lfunc_end913:
	.size	_ZN7rocprim17ROCPRIM_400000_NS6detail17trampoline_kernelINS0_14default_configENS1_25partition_config_selectorILNS1_17partition_subalgoE8EN3c104HalfENS0_10empty_typeEbEEZZNS1_14partition_implILS5_8ELb0ES3_jPKS7_PS8_PKS8_NS0_5tupleIJPS7_S8_EEENSG_IJSD_SD_EEENS0_18inequality_wrapperIN6hipcub16HIPCUB_304000_NS8EqualityEEEPlJS8_EEE10hipError_tPvRmT3_T4_T5_T6_T7_T9_mT8_P12ihipStream_tbDpT10_ENKUlT_T0_E_clISt17integral_constantIbLb1EES18_IbLb0EEEEDaS14_S15_EUlS14_E_NS1_11comp_targetILNS1_3genE2ELNS1_11target_archE906ELNS1_3gpuE6ELNS1_3repE0EEENS1_30default_config_static_selectorELNS0_4arch9wavefront6targetE1EEEvT1_, .Lfunc_end913-_ZN7rocprim17ROCPRIM_400000_NS6detail17trampoline_kernelINS0_14default_configENS1_25partition_config_selectorILNS1_17partition_subalgoE8EN3c104HalfENS0_10empty_typeEbEEZZNS1_14partition_implILS5_8ELb0ES3_jPKS7_PS8_PKS8_NS0_5tupleIJPS7_S8_EEENSG_IJSD_SD_EEENS0_18inequality_wrapperIN6hipcub16HIPCUB_304000_NS8EqualityEEEPlJS8_EEE10hipError_tPvRmT3_T4_T5_T6_T7_T9_mT8_P12ihipStream_tbDpT10_ENKUlT_T0_E_clISt17integral_constantIbLb1EES18_IbLb0EEEEDaS14_S15_EUlS14_E_NS1_11comp_targetILNS1_3genE2ELNS1_11target_archE906ELNS1_3gpuE6ELNS1_3repE0EEENS1_30default_config_static_selectorELNS0_4arch9wavefront6targetE1EEEvT1_
                                        ; -- End function
	.section	.AMDGPU.csdata,"",@progbits
; Kernel info:
; codeLenInByte = 0
; NumSgprs: 4
; NumVgprs: 0
; NumAgprs: 0
; TotalNumVgprs: 0
; ScratchSize: 0
; MemoryBound: 0
; FloatMode: 240
; IeeeMode: 1
; LDSByteSize: 0 bytes/workgroup (compile time only)
; SGPRBlocks: 0
; VGPRBlocks: 0
; NumSGPRsForWavesPerEU: 4
; NumVGPRsForWavesPerEU: 1
; AccumOffset: 4
; Occupancy: 8
; WaveLimiterHint : 0
; COMPUTE_PGM_RSRC2:SCRATCH_EN: 0
; COMPUTE_PGM_RSRC2:USER_SGPR: 6
; COMPUTE_PGM_RSRC2:TRAP_HANDLER: 0
; COMPUTE_PGM_RSRC2:TGID_X_EN: 1
; COMPUTE_PGM_RSRC2:TGID_Y_EN: 0
; COMPUTE_PGM_RSRC2:TGID_Z_EN: 0
; COMPUTE_PGM_RSRC2:TIDIG_COMP_CNT: 0
; COMPUTE_PGM_RSRC3_GFX90A:ACCUM_OFFSET: 0
; COMPUTE_PGM_RSRC3_GFX90A:TG_SPLIT: 0
	.section	.text._ZN7rocprim17ROCPRIM_400000_NS6detail17trampoline_kernelINS0_14default_configENS1_25partition_config_selectorILNS1_17partition_subalgoE8EN3c104HalfENS0_10empty_typeEbEEZZNS1_14partition_implILS5_8ELb0ES3_jPKS7_PS8_PKS8_NS0_5tupleIJPS7_S8_EEENSG_IJSD_SD_EEENS0_18inequality_wrapperIN6hipcub16HIPCUB_304000_NS8EqualityEEEPlJS8_EEE10hipError_tPvRmT3_T4_T5_T6_T7_T9_mT8_P12ihipStream_tbDpT10_ENKUlT_T0_E_clISt17integral_constantIbLb1EES18_IbLb0EEEEDaS14_S15_EUlS14_E_NS1_11comp_targetILNS1_3genE10ELNS1_11target_archE1200ELNS1_3gpuE4ELNS1_3repE0EEENS1_30default_config_static_selectorELNS0_4arch9wavefront6targetE1EEEvT1_,"axG",@progbits,_ZN7rocprim17ROCPRIM_400000_NS6detail17trampoline_kernelINS0_14default_configENS1_25partition_config_selectorILNS1_17partition_subalgoE8EN3c104HalfENS0_10empty_typeEbEEZZNS1_14partition_implILS5_8ELb0ES3_jPKS7_PS8_PKS8_NS0_5tupleIJPS7_S8_EEENSG_IJSD_SD_EEENS0_18inequality_wrapperIN6hipcub16HIPCUB_304000_NS8EqualityEEEPlJS8_EEE10hipError_tPvRmT3_T4_T5_T6_T7_T9_mT8_P12ihipStream_tbDpT10_ENKUlT_T0_E_clISt17integral_constantIbLb1EES18_IbLb0EEEEDaS14_S15_EUlS14_E_NS1_11comp_targetILNS1_3genE10ELNS1_11target_archE1200ELNS1_3gpuE4ELNS1_3repE0EEENS1_30default_config_static_selectorELNS0_4arch9wavefront6targetE1EEEvT1_,comdat
	.protected	_ZN7rocprim17ROCPRIM_400000_NS6detail17trampoline_kernelINS0_14default_configENS1_25partition_config_selectorILNS1_17partition_subalgoE8EN3c104HalfENS0_10empty_typeEbEEZZNS1_14partition_implILS5_8ELb0ES3_jPKS7_PS8_PKS8_NS0_5tupleIJPS7_S8_EEENSG_IJSD_SD_EEENS0_18inequality_wrapperIN6hipcub16HIPCUB_304000_NS8EqualityEEEPlJS8_EEE10hipError_tPvRmT3_T4_T5_T6_T7_T9_mT8_P12ihipStream_tbDpT10_ENKUlT_T0_E_clISt17integral_constantIbLb1EES18_IbLb0EEEEDaS14_S15_EUlS14_E_NS1_11comp_targetILNS1_3genE10ELNS1_11target_archE1200ELNS1_3gpuE4ELNS1_3repE0EEENS1_30default_config_static_selectorELNS0_4arch9wavefront6targetE1EEEvT1_ ; -- Begin function _ZN7rocprim17ROCPRIM_400000_NS6detail17trampoline_kernelINS0_14default_configENS1_25partition_config_selectorILNS1_17partition_subalgoE8EN3c104HalfENS0_10empty_typeEbEEZZNS1_14partition_implILS5_8ELb0ES3_jPKS7_PS8_PKS8_NS0_5tupleIJPS7_S8_EEENSG_IJSD_SD_EEENS0_18inequality_wrapperIN6hipcub16HIPCUB_304000_NS8EqualityEEEPlJS8_EEE10hipError_tPvRmT3_T4_T5_T6_T7_T9_mT8_P12ihipStream_tbDpT10_ENKUlT_T0_E_clISt17integral_constantIbLb1EES18_IbLb0EEEEDaS14_S15_EUlS14_E_NS1_11comp_targetILNS1_3genE10ELNS1_11target_archE1200ELNS1_3gpuE4ELNS1_3repE0EEENS1_30default_config_static_selectorELNS0_4arch9wavefront6targetE1EEEvT1_
	.globl	_ZN7rocprim17ROCPRIM_400000_NS6detail17trampoline_kernelINS0_14default_configENS1_25partition_config_selectorILNS1_17partition_subalgoE8EN3c104HalfENS0_10empty_typeEbEEZZNS1_14partition_implILS5_8ELb0ES3_jPKS7_PS8_PKS8_NS0_5tupleIJPS7_S8_EEENSG_IJSD_SD_EEENS0_18inequality_wrapperIN6hipcub16HIPCUB_304000_NS8EqualityEEEPlJS8_EEE10hipError_tPvRmT3_T4_T5_T6_T7_T9_mT8_P12ihipStream_tbDpT10_ENKUlT_T0_E_clISt17integral_constantIbLb1EES18_IbLb0EEEEDaS14_S15_EUlS14_E_NS1_11comp_targetILNS1_3genE10ELNS1_11target_archE1200ELNS1_3gpuE4ELNS1_3repE0EEENS1_30default_config_static_selectorELNS0_4arch9wavefront6targetE1EEEvT1_
	.p2align	8
	.type	_ZN7rocprim17ROCPRIM_400000_NS6detail17trampoline_kernelINS0_14default_configENS1_25partition_config_selectorILNS1_17partition_subalgoE8EN3c104HalfENS0_10empty_typeEbEEZZNS1_14partition_implILS5_8ELb0ES3_jPKS7_PS8_PKS8_NS0_5tupleIJPS7_S8_EEENSG_IJSD_SD_EEENS0_18inequality_wrapperIN6hipcub16HIPCUB_304000_NS8EqualityEEEPlJS8_EEE10hipError_tPvRmT3_T4_T5_T6_T7_T9_mT8_P12ihipStream_tbDpT10_ENKUlT_T0_E_clISt17integral_constantIbLb1EES18_IbLb0EEEEDaS14_S15_EUlS14_E_NS1_11comp_targetILNS1_3genE10ELNS1_11target_archE1200ELNS1_3gpuE4ELNS1_3repE0EEENS1_30default_config_static_selectorELNS0_4arch9wavefront6targetE1EEEvT1_,@function
_ZN7rocprim17ROCPRIM_400000_NS6detail17trampoline_kernelINS0_14default_configENS1_25partition_config_selectorILNS1_17partition_subalgoE8EN3c104HalfENS0_10empty_typeEbEEZZNS1_14partition_implILS5_8ELb0ES3_jPKS7_PS8_PKS8_NS0_5tupleIJPS7_S8_EEENSG_IJSD_SD_EEENS0_18inequality_wrapperIN6hipcub16HIPCUB_304000_NS8EqualityEEEPlJS8_EEE10hipError_tPvRmT3_T4_T5_T6_T7_T9_mT8_P12ihipStream_tbDpT10_ENKUlT_T0_E_clISt17integral_constantIbLb1EES18_IbLb0EEEEDaS14_S15_EUlS14_E_NS1_11comp_targetILNS1_3genE10ELNS1_11target_archE1200ELNS1_3gpuE4ELNS1_3repE0EEENS1_30default_config_static_selectorELNS0_4arch9wavefront6targetE1EEEvT1_: ; @_ZN7rocprim17ROCPRIM_400000_NS6detail17trampoline_kernelINS0_14default_configENS1_25partition_config_selectorILNS1_17partition_subalgoE8EN3c104HalfENS0_10empty_typeEbEEZZNS1_14partition_implILS5_8ELb0ES3_jPKS7_PS8_PKS8_NS0_5tupleIJPS7_S8_EEENSG_IJSD_SD_EEENS0_18inequality_wrapperIN6hipcub16HIPCUB_304000_NS8EqualityEEEPlJS8_EEE10hipError_tPvRmT3_T4_T5_T6_T7_T9_mT8_P12ihipStream_tbDpT10_ENKUlT_T0_E_clISt17integral_constantIbLb1EES18_IbLb0EEEEDaS14_S15_EUlS14_E_NS1_11comp_targetILNS1_3genE10ELNS1_11target_archE1200ELNS1_3gpuE4ELNS1_3repE0EEENS1_30default_config_static_selectorELNS0_4arch9wavefront6targetE1EEEvT1_
; %bb.0:
	.section	.rodata,"a",@progbits
	.p2align	6, 0x0
	.amdhsa_kernel _ZN7rocprim17ROCPRIM_400000_NS6detail17trampoline_kernelINS0_14default_configENS1_25partition_config_selectorILNS1_17partition_subalgoE8EN3c104HalfENS0_10empty_typeEbEEZZNS1_14partition_implILS5_8ELb0ES3_jPKS7_PS8_PKS8_NS0_5tupleIJPS7_S8_EEENSG_IJSD_SD_EEENS0_18inequality_wrapperIN6hipcub16HIPCUB_304000_NS8EqualityEEEPlJS8_EEE10hipError_tPvRmT3_T4_T5_T6_T7_T9_mT8_P12ihipStream_tbDpT10_ENKUlT_T0_E_clISt17integral_constantIbLb1EES18_IbLb0EEEEDaS14_S15_EUlS14_E_NS1_11comp_targetILNS1_3genE10ELNS1_11target_archE1200ELNS1_3gpuE4ELNS1_3repE0EEENS1_30default_config_static_selectorELNS0_4arch9wavefront6targetE1EEEvT1_
		.amdhsa_group_segment_fixed_size 0
		.amdhsa_private_segment_fixed_size 0
		.amdhsa_kernarg_size 112
		.amdhsa_user_sgpr_count 6
		.amdhsa_user_sgpr_private_segment_buffer 1
		.amdhsa_user_sgpr_dispatch_ptr 0
		.amdhsa_user_sgpr_queue_ptr 0
		.amdhsa_user_sgpr_kernarg_segment_ptr 1
		.amdhsa_user_sgpr_dispatch_id 0
		.amdhsa_user_sgpr_flat_scratch_init 0
		.amdhsa_user_sgpr_kernarg_preload_length 0
		.amdhsa_user_sgpr_kernarg_preload_offset 0
		.amdhsa_user_sgpr_private_segment_size 0
		.amdhsa_uses_dynamic_stack 0
		.amdhsa_system_sgpr_private_segment_wavefront_offset 0
		.amdhsa_system_sgpr_workgroup_id_x 1
		.amdhsa_system_sgpr_workgroup_id_y 0
		.amdhsa_system_sgpr_workgroup_id_z 0
		.amdhsa_system_sgpr_workgroup_info 0
		.amdhsa_system_vgpr_workitem_id 0
		.amdhsa_next_free_vgpr 1
		.amdhsa_next_free_sgpr 0
		.amdhsa_accum_offset 4
		.amdhsa_reserve_vcc 0
		.amdhsa_reserve_flat_scratch 0
		.amdhsa_float_round_mode_32 0
		.amdhsa_float_round_mode_16_64 0
		.amdhsa_float_denorm_mode_32 3
		.amdhsa_float_denorm_mode_16_64 3
		.amdhsa_dx10_clamp 1
		.amdhsa_ieee_mode 1
		.amdhsa_fp16_overflow 0
		.amdhsa_tg_split 0
		.amdhsa_exception_fp_ieee_invalid_op 0
		.amdhsa_exception_fp_denorm_src 0
		.amdhsa_exception_fp_ieee_div_zero 0
		.amdhsa_exception_fp_ieee_overflow 0
		.amdhsa_exception_fp_ieee_underflow 0
		.amdhsa_exception_fp_ieee_inexact 0
		.amdhsa_exception_int_div_zero 0
	.end_amdhsa_kernel
	.section	.text._ZN7rocprim17ROCPRIM_400000_NS6detail17trampoline_kernelINS0_14default_configENS1_25partition_config_selectorILNS1_17partition_subalgoE8EN3c104HalfENS0_10empty_typeEbEEZZNS1_14partition_implILS5_8ELb0ES3_jPKS7_PS8_PKS8_NS0_5tupleIJPS7_S8_EEENSG_IJSD_SD_EEENS0_18inequality_wrapperIN6hipcub16HIPCUB_304000_NS8EqualityEEEPlJS8_EEE10hipError_tPvRmT3_T4_T5_T6_T7_T9_mT8_P12ihipStream_tbDpT10_ENKUlT_T0_E_clISt17integral_constantIbLb1EES18_IbLb0EEEEDaS14_S15_EUlS14_E_NS1_11comp_targetILNS1_3genE10ELNS1_11target_archE1200ELNS1_3gpuE4ELNS1_3repE0EEENS1_30default_config_static_selectorELNS0_4arch9wavefront6targetE1EEEvT1_,"axG",@progbits,_ZN7rocprim17ROCPRIM_400000_NS6detail17trampoline_kernelINS0_14default_configENS1_25partition_config_selectorILNS1_17partition_subalgoE8EN3c104HalfENS0_10empty_typeEbEEZZNS1_14partition_implILS5_8ELb0ES3_jPKS7_PS8_PKS8_NS0_5tupleIJPS7_S8_EEENSG_IJSD_SD_EEENS0_18inequality_wrapperIN6hipcub16HIPCUB_304000_NS8EqualityEEEPlJS8_EEE10hipError_tPvRmT3_T4_T5_T6_T7_T9_mT8_P12ihipStream_tbDpT10_ENKUlT_T0_E_clISt17integral_constantIbLb1EES18_IbLb0EEEEDaS14_S15_EUlS14_E_NS1_11comp_targetILNS1_3genE10ELNS1_11target_archE1200ELNS1_3gpuE4ELNS1_3repE0EEENS1_30default_config_static_selectorELNS0_4arch9wavefront6targetE1EEEvT1_,comdat
.Lfunc_end914:
	.size	_ZN7rocprim17ROCPRIM_400000_NS6detail17trampoline_kernelINS0_14default_configENS1_25partition_config_selectorILNS1_17partition_subalgoE8EN3c104HalfENS0_10empty_typeEbEEZZNS1_14partition_implILS5_8ELb0ES3_jPKS7_PS8_PKS8_NS0_5tupleIJPS7_S8_EEENSG_IJSD_SD_EEENS0_18inequality_wrapperIN6hipcub16HIPCUB_304000_NS8EqualityEEEPlJS8_EEE10hipError_tPvRmT3_T4_T5_T6_T7_T9_mT8_P12ihipStream_tbDpT10_ENKUlT_T0_E_clISt17integral_constantIbLb1EES18_IbLb0EEEEDaS14_S15_EUlS14_E_NS1_11comp_targetILNS1_3genE10ELNS1_11target_archE1200ELNS1_3gpuE4ELNS1_3repE0EEENS1_30default_config_static_selectorELNS0_4arch9wavefront6targetE1EEEvT1_, .Lfunc_end914-_ZN7rocprim17ROCPRIM_400000_NS6detail17trampoline_kernelINS0_14default_configENS1_25partition_config_selectorILNS1_17partition_subalgoE8EN3c104HalfENS0_10empty_typeEbEEZZNS1_14partition_implILS5_8ELb0ES3_jPKS7_PS8_PKS8_NS0_5tupleIJPS7_S8_EEENSG_IJSD_SD_EEENS0_18inequality_wrapperIN6hipcub16HIPCUB_304000_NS8EqualityEEEPlJS8_EEE10hipError_tPvRmT3_T4_T5_T6_T7_T9_mT8_P12ihipStream_tbDpT10_ENKUlT_T0_E_clISt17integral_constantIbLb1EES18_IbLb0EEEEDaS14_S15_EUlS14_E_NS1_11comp_targetILNS1_3genE10ELNS1_11target_archE1200ELNS1_3gpuE4ELNS1_3repE0EEENS1_30default_config_static_selectorELNS0_4arch9wavefront6targetE1EEEvT1_
                                        ; -- End function
	.section	.AMDGPU.csdata,"",@progbits
; Kernel info:
; codeLenInByte = 0
; NumSgprs: 4
; NumVgprs: 0
; NumAgprs: 0
; TotalNumVgprs: 0
; ScratchSize: 0
; MemoryBound: 0
; FloatMode: 240
; IeeeMode: 1
; LDSByteSize: 0 bytes/workgroup (compile time only)
; SGPRBlocks: 0
; VGPRBlocks: 0
; NumSGPRsForWavesPerEU: 4
; NumVGPRsForWavesPerEU: 1
; AccumOffset: 4
; Occupancy: 8
; WaveLimiterHint : 0
; COMPUTE_PGM_RSRC2:SCRATCH_EN: 0
; COMPUTE_PGM_RSRC2:USER_SGPR: 6
; COMPUTE_PGM_RSRC2:TRAP_HANDLER: 0
; COMPUTE_PGM_RSRC2:TGID_X_EN: 1
; COMPUTE_PGM_RSRC2:TGID_Y_EN: 0
; COMPUTE_PGM_RSRC2:TGID_Z_EN: 0
; COMPUTE_PGM_RSRC2:TIDIG_COMP_CNT: 0
; COMPUTE_PGM_RSRC3_GFX90A:ACCUM_OFFSET: 0
; COMPUTE_PGM_RSRC3_GFX90A:TG_SPLIT: 0
	.section	.text._ZN7rocprim17ROCPRIM_400000_NS6detail17trampoline_kernelINS0_14default_configENS1_25partition_config_selectorILNS1_17partition_subalgoE8EN3c104HalfENS0_10empty_typeEbEEZZNS1_14partition_implILS5_8ELb0ES3_jPKS7_PS8_PKS8_NS0_5tupleIJPS7_S8_EEENSG_IJSD_SD_EEENS0_18inequality_wrapperIN6hipcub16HIPCUB_304000_NS8EqualityEEEPlJS8_EEE10hipError_tPvRmT3_T4_T5_T6_T7_T9_mT8_P12ihipStream_tbDpT10_ENKUlT_T0_E_clISt17integral_constantIbLb1EES18_IbLb0EEEEDaS14_S15_EUlS14_E_NS1_11comp_targetILNS1_3genE9ELNS1_11target_archE1100ELNS1_3gpuE3ELNS1_3repE0EEENS1_30default_config_static_selectorELNS0_4arch9wavefront6targetE1EEEvT1_,"axG",@progbits,_ZN7rocprim17ROCPRIM_400000_NS6detail17trampoline_kernelINS0_14default_configENS1_25partition_config_selectorILNS1_17partition_subalgoE8EN3c104HalfENS0_10empty_typeEbEEZZNS1_14partition_implILS5_8ELb0ES3_jPKS7_PS8_PKS8_NS0_5tupleIJPS7_S8_EEENSG_IJSD_SD_EEENS0_18inequality_wrapperIN6hipcub16HIPCUB_304000_NS8EqualityEEEPlJS8_EEE10hipError_tPvRmT3_T4_T5_T6_T7_T9_mT8_P12ihipStream_tbDpT10_ENKUlT_T0_E_clISt17integral_constantIbLb1EES18_IbLb0EEEEDaS14_S15_EUlS14_E_NS1_11comp_targetILNS1_3genE9ELNS1_11target_archE1100ELNS1_3gpuE3ELNS1_3repE0EEENS1_30default_config_static_selectorELNS0_4arch9wavefront6targetE1EEEvT1_,comdat
	.protected	_ZN7rocprim17ROCPRIM_400000_NS6detail17trampoline_kernelINS0_14default_configENS1_25partition_config_selectorILNS1_17partition_subalgoE8EN3c104HalfENS0_10empty_typeEbEEZZNS1_14partition_implILS5_8ELb0ES3_jPKS7_PS8_PKS8_NS0_5tupleIJPS7_S8_EEENSG_IJSD_SD_EEENS0_18inequality_wrapperIN6hipcub16HIPCUB_304000_NS8EqualityEEEPlJS8_EEE10hipError_tPvRmT3_T4_T5_T6_T7_T9_mT8_P12ihipStream_tbDpT10_ENKUlT_T0_E_clISt17integral_constantIbLb1EES18_IbLb0EEEEDaS14_S15_EUlS14_E_NS1_11comp_targetILNS1_3genE9ELNS1_11target_archE1100ELNS1_3gpuE3ELNS1_3repE0EEENS1_30default_config_static_selectorELNS0_4arch9wavefront6targetE1EEEvT1_ ; -- Begin function _ZN7rocprim17ROCPRIM_400000_NS6detail17trampoline_kernelINS0_14default_configENS1_25partition_config_selectorILNS1_17partition_subalgoE8EN3c104HalfENS0_10empty_typeEbEEZZNS1_14partition_implILS5_8ELb0ES3_jPKS7_PS8_PKS8_NS0_5tupleIJPS7_S8_EEENSG_IJSD_SD_EEENS0_18inequality_wrapperIN6hipcub16HIPCUB_304000_NS8EqualityEEEPlJS8_EEE10hipError_tPvRmT3_T4_T5_T6_T7_T9_mT8_P12ihipStream_tbDpT10_ENKUlT_T0_E_clISt17integral_constantIbLb1EES18_IbLb0EEEEDaS14_S15_EUlS14_E_NS1_11comp_targetILNS1_3genE9ELNS1_11target_archE1100ELNS1_3gpuE3ELNS1_3repE0EEENS1_30default_config_static_selectorELNS0_4arch9wavefront6targetE1EEEvT1_
	.globl	_ZN7rocprim17ROCPRIM_400000_NS6detail17trampoline_kernelINS0_14default_configENS1_25partition_config_selectorILNS1_17partition_subalgoE8EN3c104HalfENS0_10empty_typeEbEEZZNS1_14partition_implILS5_8ELb0ES3_jPKS7_PS8_PKS8_NS0_5tupleIJPS7_S8_EEENSG_IJSD_SD_EEENS0_18inequality_wrapperIN6hipcub16HIPCUB_304000_NS8EqualityEEEPlJS8_EEE10hipError_tPvRmT3_T4_T5_T6_T7_T9_mT8_P12ihipStream_tbDpT10_ENKUlT_T0_E_clISt17integral_constantIbLb1EES18_IbLb0EEEEDaS14_S15_EUlS14_E_NS1_11comp_targetILNS1_3genE9ELNS1_11target_archE1100ELNS1_3gpuE3ELNS1_3repE0EEENS1_30default_config_static_selectorELNS0_4arch9wavefront6targetE1EEEvT1_
	.p2align	8
	.type	_ZN7rocprim17ROCPRIM_400000_NS6detail17trampoline_kernelINS0_14default_configENS1_25partition_config_selectorILNS1_17partition_subalgoE8EN3c104HalfENS0_10empty_typeEbEEZZNS1_14partition_implILS5_8ELb0ES3_jPKS7_PS8_PKS8_NS0_5tupleIJPS7_S8_EEENSG_IJSD_SD_EEENS0_18inequality_wrapperIN6hipcub16HIPCUB_304000_NS8EqualityEEEPlJS8_EEE10hipError_tPvRmT3_T4_T5_T6_T7_T9_mT8_P12ihipStream_tbDpT10_ENKUlT_T0_E_clISt17integral_constantIbLb1EES18_IbLb0EEEEDaS14_S15_EUlS14_E_NS1_11comp_targetILNS1_3genE9ELNS1_11target_archE1100ELNS1_3gpuE3ELNS1_3repE0EEENS1_30default_config_static_selectorELNS0_4arch9wavefront6targetE1EEEvT1_,@function
_ZN7rocprim17ROCPRIM_400000_NS6detail17trampoline_kernelINS0_14default_configENS1_25partition_config_selectorILNS1_17partition_subalgoE8EN3c104HalfENS0_10empty_typeEbEEZZNS1_14partition_implILS5_8ELb0ES3_jPKS7_PS8_PKS8_NS0_5tupleIJPS7_S8_EEENSG_IJSD_SD_EEENS0_18inequality_wrapperIN6hipcub16HIPCUB_304000_NS8EqualityEEEPlJS8_EEE10hipError_tPvRmT3_T4_T5_T6_T7_T9_mT8_P12ihipStream_tbDpT10_ENKUlT_T0_E_clISt17integral_constantIbLb1EES18_IbLb0EEEEDaS14_S15_EUlS14_E_NS1_11comp_targetILNS1_3genE9ELNS1_11target_archE1100ELNS1_3gpuE3ELNS1_3repE0EEENS1_30default_config_static_selectorELNS0_4arch9wavefront6targetE1EEEvT1_: ; @_ZN7rocprim17ROCPRIM_400000_NS6detail17trampoline_kernelINS0_14default_configENS1_25partition_config_selectorILNS1_17partition_subalgoE8EN3c104HalfENS0_10empty_typeEbEEZZNS1_14partition_implILS5_8ELb0ES3_jPKS7_PS8_PKS8_NS0_5tupleIJPS7_S8_EEENSG_IJSD_SD_EEENS0_18inequality_wrapperIN6hipcub16HIPCUB_304000_NS8EqualityEEEPlJS8_EEE10hipError_tPvRmT3_T4_T5_T6_T7_T9_mT8_P12ihipStream_tbDpT10_ENKUlT_T0_E_clISt17integral_constantIbLb1EES18_IbLb0EEEEDaS14_S15_EUlS14_E_NS1_11comp_targetILNS1_3genE9ELNS1_11target_archE1100ELNS1_3gpuE3ELNS1_3repE0EEENS1_30default_config_static_selectorELNS0_4arch9wavefront6targetE1EEEvT1_
; %bb.0:
	.section	.rodata,"a",@progbits
	.p2align	6, 0x0
	.amdhsa_kernel _ZN7rocprim17ROCPRIM_400000_NS6detail17trampoline_kernelINS0_14default_configENS1_25partition_config_selectorILNS1_17partition_subalgoE8EN3c104HalfENS0_10empty_typeEbEEZZNS1_14partition_implILS5_8ELb0ES3_jPKS7_PS8_PKS8_NS0_5tupleIJPS7_S8_EEENSG_IJSD_SD_EEENS0_18inequality_wrapperIN6hipcub16HIPCUB_304000_NS8EqualityEEEPlJS8_EEE10hipError_tPvRmT3_T4_T5_T6_T7_T9_mT8_P12ihipStream_tbDpT10_ENKUlT_T0_E_clISt17integral_constantIbLb1EES18_IbLb0EEEEDaS14_S15_EUlS14_E_NS1_11comp_targetILNS1_3genE9ELNS1_11target_archE1100ELNS1_3gpuE3ELNS1_3repE0EEENS1_30default_config_static_selectorELNS0_4arch9wavefront6targetE1EEEvT1_
		.amdhsa_group_segment_fixed_size 0
		.amdhsa_private_segment_fixed_size 0
		.amdhsa_kernarg_size 112
		.amdhsa_user_sgpr_count 6
		.amdhsa_user_sgpr_private_segment_buffer 1
		.amdhsa_user_sgpr_dispatch_ptr 0
		.amdhsa_user_sgpr_queue_ptr 0
		.amdhsa_user_sgpr_kernarg_segment_ptr 1
		.amdhsa_user_sgpr_dispatch_id 0
		.amdhsa_user_sgpr_flat_scratch_init 0
		.amdhsa_user_sgpr_kernarg_preload_length 0
		.amdhsa_user_sgpr_kernarg_preload_offset 0
		.amdhsa_user_sgpr_private_segment_size 0
		.amdhsa_uses_dynamic_stack 0
		.amdhsa_system_sgpr_private_segment_wavefront_offset 0
		.amdhsa_system_sgpr_workgroup_id_x 1
		.amdhsa_system_sgpr_workgroup_id_y 0
		.amdhsa_system_sgpr_workgroup_id_z 0
		.amdhsa_system_sgpr_workgroup_info 0
		.amdhsa_system_vgpr_workitem_id 0
		.amdhsa_next_free_vgpr 1
		.amdhsa_next_free_sgpr 0
		.amdhsa_accum_offset 4
		.amdhsa_reserve_vcc 0
		.amdhsa_reserve_flat_scratch 0
		.amdhsa_float_round_mode_32 0
		.amdhsa_float_round_mode_16_64 0
		.amdhsa_float_denorm_mode_32 3
		.amdhsa_float_denorm_mode_16_64 3
		.amdhsa_dx10_clamp 1
		.amdhsa_ieee_mode 1
		.amdhsa_fp16_overflow 0
		.amdhsa_tg_split 0
		.amdhsa_exception_fp_ieee_invalid_op 0
		.amdhsa_exception_fp_denorm_src 0
		.amdhsa_exception_fp_ieee_div_zero 0
		.amdhsa_exception_fp_ieee_overflow 0
		.amdhsa_exception_fp_ieee_underflow 0
		.amdhsa_exception_fp_ieee_inexact 0
		.amdhsa_exception_int_div_zero 0
	.end_amdhsa_kernel
	.section	.text._ZN7rocprim17ROCPRIM_400000_NS6detail17trampoline_kernelINS0_14default_configENS1_25partition_config_selectorILNS1_17partition_subalgoE8EN3c104HalfENS0_10empty_typeEbEEZZNS1_14partition_implILS5_8ELb0ES3_jPKS7_PS8_PKS8_NS0_5tupleIJPS7_S8_EEENSG_IJSD_SD_EEENS0_18inequality_wrapperIN6hipcub16HIPCUB_304000_NS8EqualityEEEPlJS8_EEE10hipError_tPvRmT3_T4_T5_T6_T7_T9_mT8_P12ihipStream_tbDpT10_ENKUlT_T0_E_clISt17integral_constantIbLb1EES18_IbLb0EEEEDaS14_S15_EUlS14_E_NS1_11comp_targetILNS1_3genE9ELNS1_11target_archE1100ELNS1_3gpuE3ELNS1_3repE0EEENS1_30default_config_static_selectorELNS0_4arch9wavefront6targetE1EEEvT1_,"axG",@progbits,_ZN7rocprim17ROCPRIM_400000_NS6detail17trampoline_kernelINS0_14default_configENS1_25partition_config_selectorILNS1_17partition_subalgoE8EN3c104HalfENS0_10empty_typeEbEEZZNS1_14partition_implILS5_8ELb0ES3_jPKS7_PS8_PKS8_NS0_5tupleIJPS7_S8_EEENSG_IJSD_SD_EEENS0_18inequality_wrapperIN6hipcub16HIPCUB_304000_NS8EqualityEEEPlJS8_EEE10hipError_tPvRmT3_T4_T5_T6_T7_T9_mT8_P12ihipStream_tbDpT10_ENKUlT_T0_E_clISt17integral_constantIbLb1EES18_IbLb0EEEEDaS14_S15_EUlS14_E_NS1_11comp_targetILNS1_3genE9ELNS1_11target_archE1100ELNS1_3gpuE3ELNS1_3repE0EEENS1_30default_config_static_selectorELNS0_4arch9wavefront6targetE1EEEvT1_,comdat
.Lfunc_end915:
	.size	_ZN7rocprim17ROCPRIM_400000_NS6detail17trampoline_kernelINS0_14default_configENS1_25partition_config_selectorILNS1_17partition_subalgoE8EN3c104HalfENS0_10empty_typeEbEEZZNS1_14partition_implILS5_8ELb0ES3_jPKS7_PS8_PKS8_NS0_5tupleIJPS7_S8_EEENSG_IJSD_SD_EEENS0_18inequality_wrapperIN6hipcub16HIPCUB_304000_NS8EqualityEEEPlJS8_EEE10hipError_tPvRmT3_T4_T5_T6_T7_T9_mT8_P12ihipStream_tbDpT10_ENKUlT_T0_E_clISt17integral_constantIbLb1EES18_IbLb0EEEEDaS14_S15_EUlS14_E_NS1_11comp_targetILNS1_3genE9ELNS1_11target_archE1100ELNS1_3gpuE3ELNS1_3repE0EEENS1_30default_config_static_selectorELNS0_4arch9wavefront6targetE1EEEvT1_, .Lfunc_end915-_ZN7rocprim17ROCPRIM_400000_NS6detail17trampoline_kernelINS0_14default_configENS1_25partition_config_selectorILNS1_17partition_subalgoE8EN3c104HalfENS0_10empty_typeEbEEZZNS1_14partition_implILS5_8ELb0ES3_jPKS7_PS8_PKS8_NS0_5tupleIJPS7_S8_EEENSG_IJSD_SD_EEENS0_18inequality_wrapperIN6hipcub16HIPCUB_304000_NS8EqualityEEEPlJS8_EEE10hipError_tPvRmT3_T4_T5_T6_T7_T9_mT8_P12ihipStream_tbDpT10_ENKUlT_T0_E_clISt17integral_constantIbLb1EES18_IbLb0EEEEDaS14_S15_EUlS14_E_NS1_11comp_targetILNS1_3genE9ELNS1_11target_archE1100ELNS1_3gpuE3ELNS1_3repE0EEENS1_30default_config_static_selectorELNS0_4arch9wavefront6targetE1EEEvT1_
                                        ; -- End function
	.section	.AMDGPU.csdata,"",@progbits
; Kernel info:
; codeLenInByte = 0
; NumSgprs: 4
; NumVgprs: 0
; NumAgprs: 0
; TotalNumVgprs: 0
; ScratchSize: 0
; MemoryBound: 0
; FloatMode: 240
; IeeeMode: 1
; LDSByteSize: 0 bytes/workgroup (compile time only)
; SGPRBlocks: 0
; VGPRBlocks: 0
; NumSGPRsForWavesPerEU: 4
; NumVGPRsForWavesPerEU: 1
; AccumOffset: 4
; Occupancy: 8
; WaveLimiterHint : 0
; COMPUTE_PGM_RSRC2:SCRATCH_EN: 0
; COMPUTE_PGM_RSRC2:USER_SGPR: 6
; COMPUTE_PGM_RSRC2:TRAP_HANDLER: 0
; COMPUTE_PGM_RSRC2:TGID_X_EN: 1
; COMPUTE_PGM_RSRC2:TGID_Y_EN: 0
; COMPUTE_PGM_RSRC2:TGID_Z_EN: 0
; COMPUTE_PGM_RSRC2:TIDIG_COMP_CNT: 0
; COMPUTE_PGM_RSRC3_GFX90A:ACCUM_OFFSET: 0
; COMPUTE_PGM_RSRC3_GFX90A:TG_SPLIT: 0
	.section	.text._ZN7rocprim17ROCPRIM_400000_NS6detail17trampoline_kernelINS0_14default_configENS1_25partition_config_selectorILNS1_17partition_subalgoE8EN3c104HalfENS0_10empty_typeEbEEZZNS1_14partition_implILS5_8ELb0ES3_jPKS7_PS8_PKS8_NS0_5tupleIJPS7_S8_EEENSG_IJSD_SD_EEENS0_18inequality_wrapperIN6hipcub16HIPCUB_304000_NS8EqualityEEEPlJS8_EEE10hipError_tPvRmT3_T4_T5_T6_T7_T9_mT8_P12ihipStream_tbDpT10_ENKUlT_T0_E_clISt17integral_constantIbLb1EES18_IbLb0EEEEDaS14_S15_EUlS14_E_NS1_11comp_targetILNS1_3genE8ELNS1_11target_archE1030ELNS1_3gpuE2ELNS1_3repE0EEENS1_30default_config_static_selectorELNS0_4arch9wavefront6targetE1EEEvT1_,"axG",@progbits,_ZN7rocprim17ROCPRIM_400000_NS6detail17trampoline_kernelINS0_14default_configENS1_25partition_config_selectorILNS1_17partition_subalgoE8EN3c104HalfENS0_10empty_typeEbEEZZNS1_14partition_implILS5_8ELb0ES3_jPKS7_PS8_PKS8_NS0_5tupleIJPS7_S8_EEENSG_IJSD_SD_EEENS0_18inequality_wrapperIN6hipcub16HIPCUB_304000_NS8EqualityEEEPlJS8_EEE10hipError_tPvRmT3_T4_T5_T6_T7_T9_mT8_P12ihipStream_tbDpT10_ENKUlT_T0_E_clISt17integral_constantIbLb1EES18_IbLb0EEEEDaS14_S15_EUlS14_E_NS1_11comp_targetILNS1_3genE8ELNS1_11target_archE1030ELNS1_3gpuE2ELNS1_3repE0EEENS1_30default_config_static_selectorELNS0_4arch9wavefront6targetE1EEEvT1_,comdat
	.protected	_ZN7rocprim17ROCPRIM_400000_NS6detail17trampoline_kernelINS0_14default_configENS1_25partition_config_selectorILNS1_17partition_subalgoE8EN3c104HalfENS0_10empty_typeEbEEZZNS1_14partition_implILS5_8ELb0ES3_jPKS7_PS8_PKS8_NS0_5tupleIJPS7_S8_EEENSG_IJSD_SD_EEENS0_18inequality_wrapperIN6hipcub16HIPCUB_304000_NS8EqualityEEEPlJS8_EEE10hipError_tPvRmT3_T4_T5_T6_T7_T9_mT8_P12ihipStream_tbDpT10_ENKUlT_T0_E_clISt17integral_constantIbLb1EES18_IbLb0EEEEDaS14_S15_EUlS14_E_NS1_11comp_targetILNS1_3genE8ELNS1_11target_archE1030ELNS1_3gpuE2ELNS1_3repE0EEENS1_30default_config_static_selectorELNS0_4arch9wavefront6targetE1EEEvT1_ ; -- Begin function _ZN7rocprim17ROCPRIM_400000_NS6detail17trampoline_kernelINS0_14default_configENS1_25partition_config_selectorILNS1_17partition_subalgoE8EN3c104HalfENS0_10empty_typeEbEEZZNS1_14partition_implILS5_8ELb0ES3_jPKS7_PS8_PKS8_NS0_5tupleIJPS7_S8_EEENSG_IJSD_SD_EEENS0_18inequality_wrapperIN6hipcub16HIPCUB_304000_NS8EqualityEEEPlJS8_EEE10hipError_tPvRmT3_T4_T5_T6_T7_T9_mT8_P12ihipStream_tbDpT10_ENKUlT_T0_E_clISt17integral_constantIbLb1EES18_IbLb0EEEEDaS14_S15_EUlS14_E_NS1_11comp_targetILNS1_3genE8ELNS1_11target_archE1030ELNS1_3gpuE2ELNS1_3repE0EEENS1_30default_config_static_selectorELNS0_4arch9wavefront6targetE1EEEvT1_
	.globl	_ZN7rocprim17ROCPRIM_400000_NS6detail17trampoline_kernelINS0_14default_configENS1_25partition_config_selectorILNS1_17partition_subalgoE8EN3c104HalfENS0_10empty_typeEbEEZZNS1_14partition_implILS5_8ELb0ES3_jPKS7_PS8_PKS8_NS0_5tupleIJPS7_S8_EEENSG_IJSD_SD_EEENS0_18inequality_wrapperIN6hipcub16HIPCUB_304000_NS8EqualityEEEPlJS8_EEE10hipError_tPvRmT3_T4_T5_T6_T7_T9_mT8_P12ihipStream_tbDpT10_ENKUlT_T0_E_clISt17integral_constantIbLb1EES18_IbLb0EEEEDaS14_S15_EUlS14_E_NS1_11comp_targetILNS1_3genE8ELNS1_11target_archE1030ELNS1_3gpuE2ELNS1_3repE0EEENS1_30default_config_static_selectorELNS0_4arch9wavefront6targetE1EEEvT1_
	.p2align	8
	.type	_ZN7rocprim17ROCPRIM_400000_NS6detail17trampoline_kernelINS0_14default_configENS1_25partition_config_selectorILNS1_17partition_subalgoE8EN3c104HalfENS0_10empty_typeEbEEZZNS1_14partition_implILS5_8ELb0ES3_jPKS7_PS8_PKS8_NS0_5tupleIJPS7_S8_EEENSG_IJSD_SD_EEENS0_18inequality_wrapperIN6hipcub16HIPCUB_304000_NS8EqualityEEEPlJS8_EEE10hipError_tPvRmT3_T4_T5_T6_T7_T9_mT8_P12ihipStream_tbDpT10_ENKUlT_T0_E_clISt17integral_constantIbLb1EES18_IbLb0EEEEDaS14_S15_EUlS14_E_NS1_11comp_targetILNS1_3genE8ELNS1_11target_archE1030ELNS1_3gpuE2ELNS1_3repE0EEENS1_30default_config_static_selectorELNS0_4arch9wavefront6targetE1EEEvT1_,@function
_ZN7rocprim17ROCPRIM_400000_NS6detail17trampoline_kernelINS0_14default_configENS1_25partition_config_selectorILNS1_17partition_subalgoE8EN3c104HalfENS0_10empty_typeEbEEZZNS1_14partition_implILS5_8ELb0ES3_jPKS7_PS8_PKS8_NS0_5tupleIJPS7_S8_EEENSG_IJSD_SD_EEENS0_18inequality_wrapperIN6hipcub16HIPCUB_304000_NS8EqualityEEEPlJS8_EEE10hipError_tPvRmT3_T4_T5_T6_T7_T9_mT8_P12ihipStream_tbDpT10_ENKUlT_T0_E_clISt17integral_constantIbLb1EES18_IbLb0EEEEDaS14_S15_EUlS14_E_NS1_11comp_targetILNS1_3genE8ELNS1_11target_archE1030ELNS1_3gpuE2ELNS1_3repE0EEENS1_30default_config_static_selectorELNS0_4arch9wavefront6targetE1EEEvT1_: ; @_ZN7rocprim17ROCPRIM_400000_NS6detail17trampoline_kernelINS0_14default_configENS1_25partition_config_selectorILNS1_17partition_subalgoE8EN3c104HalfENS0_10empty_typeEbEEZZNS1_14partition_implILS5_8ELb0ES3_jPKS7_PS8_PKS8_NS0_5tupleIJPS7_S8_EEENSG_IJSD_SD_EEENS0_18inequality_wrapperIN6hipcub16HIPCUB_304000_NS8EqualityEEEPlJS8_EEE10hipError_tPvRmT3_T4_T5_T6_T7_T9_mT8_P12ihipStream_tbDpT10_ENKUlT_T0_E_clISt17integral_constantIbLb1EES18_IbLb0EEEEDaS14_S15_EUlS14_E_NS1_11comp_targetILNS1_3genE8ELNS1_11target_archE1030ELNS1_3gpuE2ELNS1_3repE0EEENS1_30default_config_static_selectorELNS0_4arch9wavefront6targetE1EEEvT1_
; %bb.0:
	.section	.rodata,"a",@progbits
	.p2align	6, 0x0
	.amdhsa_kernel _ZN7rocprim17ROCPRIM_400000_NS6detail17trampoline_kernelINS0_14default_configENS1_25partition_config_selectorILNS1_17partition_subalgoE8EN3c104HalfENS0_10empty_typeEbEEZZNS1_14partition_implILS5_8ELb0ES3_jPKS7_PS8_PKS8_NS0_5tupleIJPS7_S8_EEENSG_IJSD_SD_EEENS0_18inequality_wrapperIN6hipcub16HIPCUB_304000_NS8EqualityEEEPlJS8_EEE10hipError_tPvRmT3_T4_T5_T6_T7_T9_mT8_P12ihipStream_tbDpT10_ENKUlT_T0_E_clISt17integral_constantIbLb1EES18_IbLb0EEEEDaS14_S15_EUlS14_E_NS1_11comp_targetILNS1_3genE8ELNS1_11target_archE1030ELNS1_3gpuE2ELNS1_3repE0EEENS1_30default_config_static_selectorELNS0_4arch9wavefront6targetE1EEEvT1_
		.amdhsa_group_segment_fixed_size 0
		.amdhsa_private_segment_fixed_size 0
		.amdhsa_kernarg_size 112
		.amdhsa_user_sgpr_count 6
		.amdhsa_user_sgpr_private_segment_buffer 1
		.amdhsa_user_sgpr_dispatch_ptr 0
		.amdhsa_user_sgpr_queue_ptr 0
		.amdhsa_user_sgpr_kernarg_segment_ptr 1
		.amdhsa_user_sgpr_dispatch_id 0
		.amdhsa_user_sgpr_flat_scratch_init 0
		.amdhsa_user_sgpr_kernarg_preload_length 0
		.amdhsa_user_sgpr_kernarg_preload_offset 0
		.amdhsa_user_sgpr_private_segment_size 0
		.amdhsa_uses_dynamic_stack 0
		.amdhsa_system_sgpr_private_segment_wavefront_offset 0
		.amdhsa_system_sgpr_workgroup_id_x 1
		.amdhsa_system_sgpr_workgroup_id_y 0
		.amdhsa_system_sgpr_workgroup_id_z 0
		.amdhsa_system_sgpr_workgroup_info 0
		.amdhsa_system_vgpr_workitem_id 0
		.amdhsa_next_free_vgpr 1
		.amdhsa_next_free_sgpr 0
		.amdhsa_accum_offset 4
		.amdhsa_reserve_vcc 0
		.amdhsa_reserve_flat_scratch 0
		.amdhsa_float_round_mode_32 0
		.amdhsa_float_round_mode_16_64 0
		.amdhsa_float_denorm_mode_32 3
		.amdhsa_float_denorm_mode_16_64 3
		.amdhsa_dx10_clamp 1
		.amdhsa_ieee_mode 1
		.amdhsa_fp16_overflow 0
		.amdhsa_tg_split 0
		.amdhsa_exception_fp_ieee_invalid_op 0
		.amdhsa_exception_fp_denorm_src 0
		.amdhsa_exception_fp_ieee_div_zero 0
		.amdhsa_exception_fp_ieee_overflow 0
		.amdhsa_exception_fp_ieee_underflow 0
		.amdhsa_exception_fp_ieee_inexact 0
		.amdhsa_exception_int_div_zero 0
	.end_amdhsa_kernel
	.section	.text._ZN7rocprim17ROCPRIM_400000_NS6detail17trampoline_kernelINS0_14default_configENS1_25partition_config_selectorILNS1_17partition_subalgoE8EN3c104HalfENS0_10empty_typeEbEEZZNS1_14partition_implILS5_8ELb0ES3_jPKS7_PS8_PKS8_NS0_5tupleIJPS7_S8_EEENSG_IJSD_SD_EEENS0_18inequality_wrapperIN6hipcub16HIPCUB_304000_NS8EqualityEEEPlJS8_EEE10hipError_tPvRmT3_T4_T5_T6_T7_T9_mT8_P12ihipStream_tbDpT10_ENKUlT_T0_E_clISt17integral_constantIbLb1EES18_IbLb0EEEEDaS14_S15_EUlS14_E_NS1_11comp_targetILNS1_3genE8ELNS1_11target_archE1030ELNS1_3gpuE2ELNS1_3repE0EEENS1_30default_config_static_selectorELNS0_4arch9wavefront6targetE1EEEvT1_,"axG",@progbits,_ZN7rocprim17ROCPRIM_400000_NS6detail17trampoline_kernelINS0_14default_configENS1_25partition_config_selectorILNS1_17partition_subalgoE8EN3c104HalfENS0_10empty_typeEbEEZZNS1_14partition_implILS5_8ELb0ES3_jPKS7_PS8_PKS8_NS0_5tupleIJPS7_S8_EEENSG_IJSD_SD_EEENS0_18inequality_wrapperIN6hipcub16HIPCUB_304000_NS8EqualityEEEPlJS8_EEE10hipError_tPvRmT3_T4_T5_T6_T7_T9_mT8_P12ihipStream_tbDpT10_ENKUlT_T0_E_clISt17integral_constantIbLb1EES18_IbLb0EEEEDaS14_S15_EUlS14_E_NS1_11comp_targetILNS1_3genE8ELNS1_11target_archE1030ELNS1_3gpuE2ELNS1_3repE0EEENS1_30default_config_static_selectorELNS0_4arch9wavefront6targetE1EEEvT1_,comdat
.Lfunc_end916:
	.size	_ZN7rocprim17ROCPRIM_400000_NS6detail17trampoline_kernelINS0_14default_configENS1_25partition_config_selectorILNS1_17partition_subalgoE8EN3c104HalfENS0_10empty_typeEbEEZZNS1_14partition_implILS5_8ELb0ES3_jPKS7_PS8_PKS8_NS0_5tupleIJPS7_S8_EEENSG_IJSD_SD_EEENS0_18inequality_wrapperIN6hipcub16HIPCUB_304000_NS8EqualityEEEPlJS8_EEE10hipError_tPvRmT3_T4_T5_T6_T7_T9_mT8_P12ihipStream_tbDpT10_ENKUlT_T0_E_clISt17integral_constantIbLb1EES18_IbLb0EEEEDaS14_S15_EUlS14_E_NS1_11comp_targetILNS1_3genE8ELNS1_11target_archE1030ELNS1_3gpuE2ELNS1_3repE0EEENS1_30default_config_static_selectorELNS0_4arch9wavefront6targetE1EEEvT1_, .Lfunc_end916-_ZN7rocprim17ROCPRIM_400000_NS6detail17trampoline_kernelINS0_14default_configENS1_25partition_config_selectorILNS1_17partition_subalgoE8EN3c104HalfENS0_10empty_typeEbEEZZNS1_14partition_implILS5_8ELb0ES3_jPKS7_PS8_PKS8_NS0_5tupleIJPS7_S8_EEENSG_IJSD_SD_EEENS0_18inequality_wrapperIN6hipcub16HIPCUB_304000_NS8EqualityEEEPlJS8_EEE10hipError_tPvRmT3_T4_T5_T6_T7_T9_mT8_P12ihipStream_tbDpT10_ENKUlT_T0_E_clISt17integral_constantIbLb1EES18_IbLb0EEEEDaS14_S15_EUlS14_E_NS1_11comp_targetILNS1_3genE8ELNS1_11target_archE1030ELNS1_3gpuE2ELNS1_3repE0EEENS1_30default_config_static_selectorELNS0_4arch9wavefront6targetE1EEEvT1_
                                        ; -- End function
	.section	.AMDGPU.csdata,"",@progbits
; Kernel info:
; codeLenInByte = 0
; NumSgprs: 4
; NumVgprs: 0
; NumAgprs: 0
; TotalNumVgprs: 0
; ScratchSize: 0
; MemoryBound: 0
; FloatMode: 240
; IeeeMode: 1
; LDSByteSize: 0 bytes/workgroup (compile time only)
; SGPRBlocks: 0
; VGPRBlocks: 0
; NumSGPRsForWavesPerEU: 4
; NumVGPRsForWavesPerEU: 1
; AccumOffset: 4
; Occupancy: 8
; WaveLimiterHint : 0
; COMPUTE_PGM_RSRC2:SCRATCH_EN: 0
; COMPUTE_PGM_RSRC2:USER_SGPR: 6
; COMPUTE_PGM_RSRC2:TRAP_HANDLER: 0
; COMPUTE_PGM_RSRC2:TGID_X_EN: 1
; COMPUTE_PGM_RSRC2:TGID_Y_EN: 0
; COMPUTE_PGM_RSRC2:TGID_Z_EN: 0
; COMPUTE_PGM_RSRC2:TIDIG_COMP_CNT: 0
; COMPUTE_PGM_RSRC3_GFX90A:ACCUM_OFFSET: 0
; COMPUTE_PGM_RSRC3_GFX90A:TG_SPLIT: 0
	.section	.text._ZN7rocprim17ROCPRIM_400000_NS6detail17trampoline_kernelINS0_14default_configENS1_25partition_config_selectorILNS1_17partition_subalgoE8EN3c104HalfENS0_10empty_typeEbEEZZNS1_14partition_implILS5_8ELb0ES3_jPKS7_PS8_PKS8_NS0_5tupleIJPS7_S8_EEENSG_IJSD_SD_EEENS0_18inequality_wrapperIN6hipcub16HIPCUB_304000_NS8EqualityEEEPlJS8_EEE10hipError_tPvRmT3_T4_T5_T6_T7_T9_mT8_P12ihipStream_tbDpT10_ENKUlT_T0_E_clISt17integral_constantIbLb0EES18_IbLb1EEEEDaS14_S15_EUlS14_E_NS1_11comp_targetILNS1_3genE0ELNS1_11target_archE4294967295ELNS1_3gpuE0ELNS1_3repE0EEENS1_30default_config_static_selectorELNS0_4arch9wavefront6targetE1EEEvT1_,"axG",@progbits,_ZN7rocprim17ROCPRIM_400000_NS6detail17trampoline_kernelINS0_14default_configENS1_25partition_config_selectorILNS1_17partition_subalgoE8EN3c104HalfENS0_10empty_typeEbEEZZNS1_14partition_implILS5_8ELb0ES3_jPKS7_PS8_PKS8_NS0_5tupleIJPS7_S8_EEENSG_IJSD_SD_EEENS0_18inequality_wrapperIN6hipcub16HIPCUB_304000_NS8EqualityEEEPlJS8_EEE10hipError_tPvRmT3_T4_T5_T6_T7_T9_mT8_P12ihipStream_tbDpT10_ENKUlT_T0_E_clISt17integral_constantIbLb0EES18_IbLb1EEEEDaS14_S15_EUlS14_E_NS1_11comp_targetILNS1_3genE0ELNS1_11target_archE4294967295ELNS1_3gpuE0ELNS1_3repE0EEENS1_30default_config_static_selectorELNS0_4arch9wavefront6targetE1EEEvT1_,comdat
	.protected	_ZN7rocprim17ROCPRIM_400000_NS6detail17trampoline_kernelINS0_14default_configENS1_25partition_config_selectorILNS1_17partition_subalgoE8EN3c104HalfENS0_10empty_typeEbEEZZNS1_14partition_implILS5_8ELb0ES3_jPKS7_PS8_PKS8_NS0_5tupleIJPS7_S8_EEENSG_IJSD_SD_EEENS0_18inequality_wrapperIN6hipcub16HIPCUB_304000_NS8EqualityEEEPlJS8_EEE10hipError_tPvRmT3_T4_T5_T6_T7_T9_mT8_P12ihipStream_tbDpT10_ENKUlT_T0_E_clISt17integral_constantIbLb0EES18_IbLb1EEEEDaS14_S15_EUlS14_E_NS1_11comp_targetILNS1_3genE0ELNS1_11target_archE4294967295ELNS1_3gpuE0ELNS1_3repE0EEENS1_30default_config_static_selectorELNS0_4arch9wavefront6targetE1EEEvT1_ ; -- Begin function _ZN7rocprim17ROCPRIM_400000_NS6detail17trampoline_kernelINS0_14default_configENS1_25partition_config_selectorILNS1_17partition_subalgoE8EN3c104HalfENS0_10empty_typeEbEEZZNS1_14partition_implILS5_8ELb0ES3_jPKS7_PS8_PKS8_NS0_5tupleIJPS7_S8_EEENSG_IJSD_SD_EEENS0_18inequality_wrapperIN6hipcub16HIPCUB_304000_NS8EqualityEEEPlJS8_EEE10hipError_tPvRmT3_T4_T5_T6_T7_T9_mT8_P12ihipStream_tbDpT10_ENKUlT_T0_E_clISt17integral_constantIbLb0EES18_IbLb1EEEEDaS14_S15_EUlS14_E_NS1_11comp_targetILNS1_3genE0ELNS1_11target_archE4294967295ELNS1_3gpuE0ELNS1_3repE0EEENS1_30default_config_static_selectorELNS0_4arch9wavefront6targetE1EEEvT1_
	.globl	_ZN7rocprim17ROCPRIM_400000_NS6detail17trampoline_kernelINS0_14default_configENS1_25partition_config_selectorILNS1_17partition_subalgoE8EN3c104HalfENS0_10empty_typeEbEEZZNS1_14partition_implILS5_8ELb0ES3_jPKS7_PS8_PKS8_NS0_5tupleIJPS7_S8_EEENSG_IJSD_SD_EEENS0_18inequality_wrapperIN6hipcub16HIPCUB_304000_NS8EqualityEEEPlJS8_EEE10hipError_tPvRmT3_T4_T5_T6_T7_T9_mT8_P12ihipStream_tbDpT10_ENKUlT_T0_E_clISt17integral_constantIbLb0EES18_IbLb1EEEEDaS14_S15_EUlS14_E_NS1_11comp_targetILNS1_3genE0ELNS1_11target_archE4294967295ELNS1_3gpuE0ELNS1_3repE0EEENS1_30default_config_static_selectorELNS0_4arch9wavefront6targetE1EEEvT1_
	.p2align	8
	.type	_ZN7rocprim17ROCPRIM_400000_NS6detail17trampoline_kernelINS0_14default_configENS1_25partition_config_selectorILNS1_17partition_subalgoE8EN3c104HalfENS0_10empty_typeEbEEZZNS1_14partition_implILS5_8ELb0ES3_jPKS7_PS8_PKS8_NS0_5tupleIJPS7_S8_EEENSG_IJSD_SD_EEENS0_18inequality_wrapperIN6hipcub16HIPCUB_304000_NS8EqualityEEEPlJS8_EEE10hipError_tPvRmT3_T4_T5_T6_T7_T9_mT8_P12ihipStream_tbDpT10_ENKUlT_T0_E_clISt17integral_constantIbLb0EES18_IbLb1EEEEDaS14_S15_EUlS14_E_NS1_11comp_targetILNS1_3genE0ELNS1_11target_archE4294967295ELNS1_3gpuE0ELNS1_3repE0EEENS1_30default_config_static_selectorELNS0_4arch9wavefront6targetE1EEEvT1_,@function
_ZN7rocprim17ROCPRIM_400000_NS6detail17trampoline_kernelINS0_14default_configENS1_25partition_config_selectorILNS1_17partition_subalgoE8EN3c104HalfENS0_10empty_typeEbEEZZNS1_14partition_implILS5_8ELb0ES3_jPKS7_PS8_PKS8_NS0_5tupleIJPS7_S8_EEENSG_IJSD_SD_EEENS0_18inequality_wrapperIN6hipcub16HIPCUB_304000_NS8EqualityEEEPlJS8_EEE10hipError_tPvRmT3_T4_T5_T6_T7_T9_mT8_P12ihipStream_tbDpT10_ENKUlT_T0_E_clISt17integral_constantIbLb0EES18_IbLb1EEEEDaS14_S15_EUlS14_E_NS1_11comp_targetILNS1_3genE0ELNS1_11target_archE4294967295ELNS1_3gpuE0ELNS1_3repE0EEENS1_30default_config_static_selectorELNS0_4arch9wavefront6targetE1EEEvT1_: ; @_ZN7rocprim17ROCPRIM_400000_NS6detail17trampoline_kernelINS0_14default_configENS1_25partition_config_selectorILNS1_17partition_subalgoE8EN3c104HalfENS0_10empty_typeEbEEZZNS1_14partition_implILS5_8ELb0ES3_jPKS7_PS8_PKS8_NS0_5tupleIJPS7_S8_EEENSG_IJSD_SD_EEENS0_18inequality_wrapperIN6hipcub16HIPCUB_304000_NS8EqualityEEEPlJS8_EEE10hipError_tPvRmT3_T4_T5_T6_T7_T9_mT8_P12ihipStream_tbDpT10_ENKUlT_T0_E_clISt17integral_constantIbLb0EES18_IbLb1EEEEDaS14_S15_EUlS14_E_NS1_11comp_targetILNS1_3genE0ELNS1_11target_archE4294967295ELNS1_3gpuE0ELNS1_3repE0EEENS1_30default_config_static_selectorELNS0_4arch9wavefront6targetE1EEEvT1_
; %bb.0:
	.section	.rodata,"a",@progbits
	.p2align	6, 0x0
	.amdhsa_kernel _ZN7rocprim17ROCPRIM_400000_NS6detail17trampoline_kernelINS0_14default_configENS1_25partition_config_selectorILNS1_17partition_subalgoE8EN3c104HalfENS0_10empty_typeEbEEZZNS1_14partition_implILS5_8ELb0ES3_jPKS7_PS8_PKS8_NS0_5tupleIJPS7_S8_EEENSG_IJSD_SD_EEENS0_18inequality_wrapperIN6hipcub16HIPCUB_304000_NS8EqualityEEEPlJS8_EEE10hipError_tPvRmT3_T4_T5_T6_T7_T9_mT8_P12ihipStream_tbDpT10_ENKUlT_T0_E_clISt17integral_constantIbLb0EES18_IbLb1EEEEDaS14_S15_EUlS14_E_NS1_11comp_targetILNS1_3genE0ELNS1_11target_archE4294967295ELNS1_3gpuE0ELNS1_3repE0EEENS1_30default_config_static_selectorELNS0_4arch9wavefront6targetE1EEEvT1_
		.amdhsa_group_segment_fixed_size 0
		.amdhsa_private_segment_fixed_size 0
		.amdhsa_kernarg_size 128
		.amdhsa_user_sgpr_count 6
		.amdhsa_user_sgpr_private_segment_buffer 1
		.amdhsa_user_sgpr_dispatch_ptr 0
		.amdhsa_user_sgpr_queue_ptr 0
		.amdhsa_user_sgpr_kernarg_segment_ptr 1
		.amdhsa_user_sgpr_dispatch_id 0
		.amdhsa_user_sgpr_flat_scratch_init 0
		.amdhsa_user_sgpr_kernarg_preload_length 0
		.amdhsa_user_sgpr_kernarg_preload_offset 0
		.amdhsa_user_sgpr_private_segment_size 0
		.amdhsa_uses_dynamic_stack 0
		.amdhsa_system_sgpr_private_segment_wavefront_offset 0
		.amdhsa_system_sgpr_workgroup_id_x 1
		.amdhsa_system_sgpr_workgroup_id_y 0
		.amdhsa_system_sgpr_workgroup_id_z 0
		.amdhsa_system_sgpr_workgroup_info 0
		.amdhsa_system_vgpr_workitem_id 0
		.amdhsa_next_free_vgpr 1
		.amdhsa_next_free_sgpr 0
		.amdhsa_accum_offset 4
		.amdhsa_reserve_vcc 0
		.amdhsa_reserve_flat_scratch 0
		.amdhsa_float_round_mode_32 0
		.amdhsa_float_round_mode_16_64 0
		.amdhsa_float_denorm_mode_32 3
		.amdhsa_float_denorm_mode_16_64 3
		.amdhsa_dx10_clamp 1
		.amdhsa_ieee_mode 1
		.amdhsa_fp16_overflow 0
		.amdhsa_tg_split 0
		.amdhsa_exception_fp_ieee_invalid_op 0
		.amdhsa_exception_fp_denorm_src 0
		.amdhsa_exception_fp_ieee_div_zero 0
		.amdhsa_exception_fp_ieee_overflow 0
		.amdhsa_exception_fp_ieee_underflow 0
		.amdhsa_exception_fp_ieee_inexact 0
		.amdhsa_exception_int_div_zero 0
	.end_amdhsa_kernel
	.section	.text._ZN7rocprim17ROCPRIM_400000_NS6detail17trampoline_kernelINS0_14default_configENS1_25partition_config_selectorILNS1_17partition_subalgoE8EN3c104HalfENS0_10empty_typeEbEEZZNS1_14partition_implILS5_8ELb0ES3_jPKS7_PS8_PKS8_NS0_5tupleIJPS7_S8_EEENSG_IJSD_SD_EEENS0_18inequality_wrapperIN6hipcub16HIPCUB_304000_NS8EqualityEEEPlJS8_EEE10hipError_tPvRmT3_T4_T5_T6_T7_T9_mT8_P12ihipStream_tbDpT10_ENKUlT_T0_E_clISt17integral_constantIbLb0EES18_IbLb1EEEEDaS14_S15_EUlS14_E_NS1_11comp_targetILNS1_3genE0ELNS1_11target_archE4294967295ELNS1_3gpuE0ELNS1_3repE0EEENS1_30default_config_static_selectorELNS0_4arch9wavefront6targetE1EEEvT1_,"axG",@progbits,_ZN7rocprim17ROCPRIM_400000_NS6detail17trampoline_kernelINS0_14default_configENS1_25partition_config_selectorILNS1_17partition_subalgoE8EN3c104HalfENS0_10empty_typeEbEEZZNS1_14partition_implILS5_8ELb0ES3_jPKS7_PS8_PKS8_NS0_5tupleIJPS7_S8_EEENSG_IJSD_SD_EEENS0_18inequality_wrapperIN6hipcub16HIPCUB_304000_NS8EqualityEEEPlJS8_EEE10hipError_tPvRmT3_T4_T5_T6_T7_T9_mT8_P12ihipStream_tbDpT10_ENKUlT_T0_E_clISt17integral_constantIbLb0EES18_IbLb1EEEEDaS14_S15_EUlS14_E_NS1_11comp_targetILNS1_3genE0ELNS1_11target_archE4294967295ELNS1_3gpuE0ELNS1_3repE0EEENS1_30default_config_static_selectorELNS0_4arch9wavefront6targetE1EEEvT1_,comdat
.Lfunc_end917:
	.size	_ZN7rocprim17ROCPRIM_400000_NS6detail17trampoline_kernelINS0_14default_configENS1_25partition_config_selectorILNS1_17partition_subalgoE8EN3c104HalfENS0_10empty_typeEbEEZZNS1_14partition_implILS5_8ELb0ES3_jPKS7_PS8_PKS8_NS0_5tupleIJPS7_S8_EEENSG_IJSD_SD_EEENS0_18inequality_wrapperIN6hipcub16HIPCUB_304000_NS8EqualityEEEPlJS8_EEE10hipError_tPvRmT3_T4_T5_T6_T7_T9_mT8_P12ihipStream_tbDpT10_ENKUlT_T0_E_clISt17integral_constantIbLb0EES18_IbLb1EEEEDaS14_S15_EUlS14_E_NS1_11comp_targetILNS1_3genE0ELNS1_11target_archE4294967295ELNS1_3gpuE0ELNS1_3repE0EEENS1_30default_config_static_selectorELNS0_4arch9wavefront6targetE1EEEvT1_, .Lfunc_end917-_ZN7rocprim17ROCPRIM_400000_NS6detail17trampoline_kernelINS0_14default_configENS1_25partition_config_selectorILNS1_17partition_subalgoE8EN3c104HalfENS0_10empty_typeEbEEZZNS1_14partition_implILS5_8ELb0ES3_jPKS7_PS8_PKS8_NS0_5tupleIJPS7_S8_EEENSG_IJSD_SD_EEENS0_18inequality_wrapperIN6hipcub16HIPCUB_304000_NS8EqualityEEEPlJS8_EEE10hipError_tPvRmT3_T4_T5_T6_T7_T9_mT8_P12ihipStream_tbDpT10_ENKUlT_T0_E_clISt17integral_constantIbLb0EES18_IbLb1EEEEDaS14_S15_EUlS14_E_NS1_11comp_targetILNS1_3genE0ELNS1_11target_archE4294967295ELNS1_3gpuE0ELNS1_3repE0EEENS1_30default_config_static_selectorELNS0_4arch9wavefront6targetE1EEEvT1_
                                        ; -- End function
	.section	.AMDGPU.csdata,"",@progbits
; Kernel info:
; codeLenInByte = 0
; NumSgprs: 4
; NumVgprs: 0
; NumAgprs: 0
; TotalNumVgprs: 0
; ScratchSize: 0
; MemoryBound: 0
; FloatMode: 240
; IeeeMode: 1
; LDSByteSize: 0 bytes/workgroup (compile time only)
; SGPRBlocks: 0
; VGPRBlocks: 0
; NumSGPRsForWavesPerEU: 4
; NumVGPRsForWavesPerEU: 1
; AccumOffset: 4
; Occupancy: 8
; WaveLimiterHint : 0
; COMPUTE_PGM_RSRC2:SCRATCH_EN: 0
; COMPUTE_PGM_RSRC2:USER_SGPR: 6
; COMPUTE_PGM_RSRC2:TRAP_HANDLER: 0
; COMPUTE_PGM_RSRC2:TGID_X_EN: 1
; COMPUTE_PGM_RSRC2:TGID_Y_EN: 0
; COMPUTE_PGM_RSRC2:TGID_Z_EN: 0
; COMPUTE_PGM_RSRC2:TIDIG_COMP_CNT: 0
; COMPUTE_PGM_RSRC3_GFX90A:ACCUM_OFFSET: 0
; COMPUTE_PGM_RSRC3_GFX90A:TG_SPLIT: 0
	.section	.text._ZN7rocprim17ROCPRIM_400000_NS6detail17trampoline_kernelINS0_14default_configENS1_25partition_config_selectorILNS1_17partition_subalgoE8EN3c104HalfENS0_10empty_typeEbEEZZNS1_14partition_implILS5_8ELb0ES3_jPKS7_PS8_PKS8_NS0_5tupleIJPS7_S8_EEENSG_IJSD_SD_EEENS0_18inequality_wrapperIN6hipcub16HIPCUB_304000_NS8EqualityEEEPlJS8_EEE10hipError_tPvRmT3_T4_T5_T6_T7_T9_mT8_P12ihipStream_tbDpT10_ENKUlT_T0_E_clISt17integral_constantIbLb0EES18_IbLb1EEEEDaS14_S15_EUlS14_E_NS1_11comp_targetILNS1_3genE5ELNS1_11target_archE942ELNS1_3gpuE9ELNS1_3repE0EEENS1_30default_config_static_selectorELNS0_4arch9wavefront6targetE1EEEvT1_,"axG",@progbits,_ZN7rocprim17ROCPRIM_400000_NS6detail17trampoline_kernelINS0_14default_configENS1_25partition_config_selectorILNS1_17partition_subalgoE8EN3c104HalfENS0_10empty_typeEbEEZZNS1_14partition_implILS5_8ELb0ES3_jPKS7_PS8_PKS8_NS0_5tupleIJPS7_S8_EEENSG_IJSD_SD_EEENS0_18inequality_wrapperIN6hipcub16HIPCUB_304000_NS8EqualityEEEPlJS8_EEE10hipError_tPvRmT3_T4_T5_T6_T7_T9_mT8_P12ihipStream_tbDpT10_ENKUlT_T0_E_clISt17integral_constantIbLb0EES18_IbLb1EEEEDaS14_S15_EUlS14_E_NS1_11comp_targetILNS1_3genE5ELNS1_11target_archE942ELNS1_3gpuE9ELNS1_3repE0EEENS1_30default_config_static_selectorELNS0_4arch9wavefront6targetE1EEEvT1_,comdat
	.protected	_ZN7rocprim17ROCPRIM_400000_NS6detail17trampoline_kernelINS0_14default_configENS1_25partition_config_selectorILNS1_17partition_subalgoE8EN3c104HalfENS0_10empty_typeEbEEZZNS1_14partition_implILS5_8ELb0ES3_jPKS7_PS8_PKS8_NS0_5tupleIJPS7_S8_EEENSG_IJSD_SD_EEENS0_18inequality_wrapperIN6hipcub16HIPCUB_304000_NS8EqualityEEEPlJS8_EEE10hipError_tPvRmT3_T4_T5_T6_T7_T9_mT8_P12ihipStream_tbDpT10_ENKUlT_T0_E_clISt17integral_constantIbLb0EES18_IbLb1EEEEDaS14_S15_EUlS14_E_NS1_11comp_targetILNS1_3genE5ELNS1_11target_archE942ELNS1_3gpuE9ELNS1_3repE0EEENS1_30default_config_static_selectorELNS0_4arch9wavefront6targetE1EEEvT1_ ; -- Begin function _ZN7rocprim17ROCPRIM_400000_NS6detail17trampoline_kernelINS0_14default_configENS1_25partition_config_selectorILNS1_17partition_subalgoE8EN3c104HalfENS0_10empty_typeEbEEZZNS1_14partition_implILS5_8ELb0ES3_jPKS7_PS8_PKS8_NS0_5tupleIJPS7_S8_EEENSG_IJSD_SD_EEENS0_18inequality_wrapperIN6hipcub16HIPCUB_304000_NS8EqualityEEEPlJS8_EEE10hipError_tPvRmT3_T4_T5_T6_T7_T9_mT8_P12ihipStream_tbDpT10_ENKUlT_T0_E_clISt17integral_constantIbLb0EES18_IbLb1EEEEDaS14_S15_EUlS14_E_NS1_11comp_targetILNS1_3genE5ELNS1_11target_archE942ELNS1_3gpuE9ELNS1_3repE0EEENS1_30default_config_static_selectorELNS0_4arch9wavefront6targetE1EEEvT1_
	.globl	_ZN7rocprim17ROCPRIM_400000_NS6detail17trampoline_kernelINS0_14default_configENS1_25partition_config_selectorILNS1_17partition_subalgoE8EN3c104HalfENS0_10empty_typeEbEEZZNS1_14partition_implILS5_8ELb0ES3_jPKS7_PS8_PKS8_NS0_5tupleIJPS7_S8_EEENSG_IJSD_SD_EEENS0_18inequality_wrapperIN6hipcub16HIPCUB_304000_NS8EqualityEEEPlJS8_EEE10hipError_tPvRmT3_T4_T5_T6_T7_T9_mT8_P12ihipStream_tbDpT10_ENKUlT_T0_E_clISt17integral_constantIbLb0EES18_IbLb1EEEEDaS14_S15_EUlS14_E_NS1_11comp_targetILNS1_3genE5ELNS1_11target_archE942ELNS1_3gpuE9ELNS1_3repE0EEENS1_30default_config_static_selectorELNS0_4arch9wavefront6targetE1EEEvT1_
	.p2align	8
	.type	_ZN7rocprim17ROCPRIM_400000_NS6detail17trampoline_kernelINS0_14default_configENS1_25partition_config_selectorILNS1_17partition_subalgoE8EN3c104HalfENS0_10empty_typeEbEEZZNS1_14partition_implILS5_8ELb0ES3_jPKS7_PS8_PKS8_NS0_5tupleIJPS7_S8_EEENSG_IJSD_SD_EEENS0_18inequality_wrapperIN6hipcub16HIPCUB_304000_NS8EqualityEEEPlJS8_EEE10hipError_tPvRmT3_T4_T5_T6_T7_T9_mT8_P12ihipStream_tbDpT10_ENKUlT_T0_E_clISt17integral_constantIbLb0EES18_IbLb1EEEEDaS14_S15_EUlS14_E_NS1_11comp_targetILNS1_3genE5ELNS1_11target_archE942ELNS1_3gpuE9ELNS1_3repE0EEENS1_30default_config_static_selectorELNS0_4arch9wavefront6targetE1EEEvT1_,@function
_ZN7rocprim17ROCPRIM_400000_NS6detail17trampoline_kernelINS0_14default_configENS1_25partition_config_selectorILNS1_17partition_subalgoE8EN3c104HalfENS0_10empty_typeEbEEZZNS1_14partition_implILS5_8ELb0ES3_jPKS7_PS8_PKS8_NS0_5tupleIJPS7_S8_EEENSG_IJSD_SD_EEENS0_18inequality_wrapperIN6hipcub16HIPCUB_304000_NS8EqualityEEEPlJS8_EEE10hipError_tPvRmT3_T4_T5_T6_T7_T9_mT8_P12ihipStream_tbDpT10_ENKUlT_T0_E_clISt17integral_constantIbLb0EES18_IbLb1EEEEDaS14_S15_EUlS14_E_NS1_11comp_targetILNS1_3genE5ELNS1_11target_archE942ELNS1_3gpuE9ELNS1_3repE0EEENS1_30default_config_static_selectorELNS0_4arch9wavefront6targetE1EEEvT1_: ; @_ZN7rocprim17ROCPRIM_400000_NS6detail17trampoline_kernelINS0_14default_configENS1_25partition_config_selectorILNS1_17partition_subalgoE8EN3c104HalfENS0_10empty_typeEbEEZZNS1_14partition_implILS5_8ELb0ES3_jPKS7_PS8_PKS8_NS0_5tupleIJPS7_S8_EEENSG_IJSD_SD_EEENS0_18inequality_wrapperIN6hipcub16HIPCUB_304000_NS8EqualityEEEPlJS8_EEE10hipError_tPvRmT3_T4_T5_T6_T7_T9_mT8_P12ihipStream_tbDpT10_ENKUlT_T0_E_clISt17integral_constantIbLb0EES18_IbLb1EEEEDaS14_S15_EUlS14_E_NS1_11comp_targetILNS1_3genE5ELNS1_11target_archE942ELNS1_3gpuE9ELNS1_3repE0EEENS1_30default_config_static_selectorELNS0_4arch9wavefront6targetE1EEEvT1_
; %bb.0:
	.section	.rodata,"a",@progbits
	.p2align	6, 0x0
	.amdhsa_kernel _ZN7rocprim17ROCPRIM_400000_NS6detail17trampoline_kernelINS0_14default_configENS1_25partition_config_selectorILNS1_17partition_subalgoE8EN3c104HalfENS0_10empty_typeEbEEZZNS1_14partition_implILS5_8ELb0ES3_jPKS7_PS8_PKS8_NS0_5tupleIJPS7_S8_EEENSG_IJSD_SD_EEENS0_18inequality_wrapperIN6hipcub16HIPCUB_304000_NS8EqualityEEEPlJS8_EEE10hipError_tPvRmT3_T4_T5_T6_T7_T9_mT8_P12ihipStream_tbDpT10_ENKUlT_T0_E_clISt17integral_constantIbLb0EES18_IbLb1EEEEDaS14_S15_EUlS14_E_NS1_11comp_targetILNS1_3genE5ELNS1_11target_archE942ELNS1_3gpuE9ELNS1_3repE0EEENS1_30default_config_static_selectorELNS0_4arch9wavefront6targetE1EEEvT1_
		.amdhsa_group_segment_fixed_size 0
		.amdhsa_private_segment_fixed_size 0
		.amdhsa_kernarg_size 128
		.amdhsa_user_sgpr_count 6
		.amdhsa_user_sgpr_private_segment_buffer 1
		.amdhsa_user_sgpr_dispatch_ptr 0
		.amdhsa_user_sgpr_queue_ptr 0
		.amdhsa_user_sgpr_kernarg_segment_ptr 1
		.amdhsa_user_sgpr_dispatch_id 0
		.amdhsa_user_sgpr_flat_scratch_init 0
		.amdhsa_user_sgpr_kernarg_preload_length 0
		.amdhsa_user_sgpr_kernarg_preload_offset 0
		.amdhsa_user_sgpr_private_segment_size 0
		.amdhsa_uses_dynamic_stack 0
		.amdhsa_system_sgpr_private_segment_wavefront_offset 0
		.amdhsa_system_sgpr_workgroup_id_x 1
		.amdhsa_system_sgpr_workgroup_id_y 0
		.amdhsa_system_sgpr_workgroup_id_z 0
		.amdhsa_system_sgpr_workgroup_info 0
		.amdhsa_system_vgpr_workitem_id 0
		.amdhsa_next_free_vgpr 1
		.amdhsa_next_free_sgpr 0
		.amdhsa_accum_offset 4
		.amdhsa_reserve_vcc 0
		.amdhsa_reserve_flat_scratch 0
		.amdhsa_float_round_mode_32 0
		.amdhsa_float_round_mode_16_64 0
		.amdhsa_float_denorm_mode_32 3
		.amdhsa_float_denorm_mode_16_64 3
		.amdhsa_dx10_clamp 1
		.amdhsa_ieee_mode 1
		.amdhsa_fp16_overflow 0
		.amdhsa_tg_split 0
		.amdhsa_exception_fp_ieee_invalid_op 0
		.amdhsa_exception_fp_denorm_src 0
		.amdhsa_exception_fp_ieee_div_zero 0
		.amdhsa_exception_fp_ieee_overflow 0
		.amdhsa_exception_fp_ieee_underflow 0
		.amdhsa_exception_fp_ieee_inexact 0
		.amdhsa_exception_int_div_zero 0
	.end_amdhsa_kernel
	.section	.text._ZN7rocprim17ROCPRIM_400000_NS6detail17trampoline_kernelINS0_14default_configENS1_25partition_config_selectorILNS1_17partition_subalgoE8EN3c104HalfENS0_10empty_typeEbEEZZNS1_14partition_implILS5_8ELb0ES3_jPKS7_PS8_PKS8_NS0_5tupleIJPS7_S8_EEENSG_IJSD_SD_EEENS0_18inequality_wrapperIN6hipcub16HIPCUB_304000_NS8EqualityEEEPlJS8_EEE10hipError_tPvRmT3_T4_T5_T6_T7_T9_mT8_P12ihipStream_tbDpT10_ENKUlT_T0_E_clISt17integral_constantIbLb0EES18_IbLb1EEEEDaS14_S15_EUlS14_E_NS1_11comp_targetILNS1_3genE5ELNS1_11target_archE942ELNS1_3gpuE9ELNS1_3repE0EEENS1_30default_config_static_selectorELNS0_4arch9wavefront6targetE1EEEvT1_,"axG",@progbits,_ZN7rocprim17ROCPRIM_400000_NS6detail17trampoline_kernelINS0_14default_configENS1_25partition_config_selectorILNS1_17partition_subalgoE8EN3c104HalfENS0_10empty_typeEbEEZZNS1_14partition_implILS5_8ELb0ES3_jPKS7_PS8_PKS8_NS0_5tupleIJPS7_S8_EEENSG_IJSD_SD_EEENS0_18inequality_wrapperIN6hipcub16HIPCUB_304000_NS8EqualityEEEPlJS8_EEE10hipError_tPvRmT3_T4_T5_T6_T7_T9_mT8_P12ihipStream_tbDpT10_ENKUlT_T0_E_clISt17integral_constantIbLb0EES18_IbLb1EEEEDaS14_S15_EUlS14_E_NS1_11comp_targetILNS1_3genE5ELNS1_11target_archE942ELNS1_3gpuE9ELNS1_3repE0EEENS1_30default_config_static_selectorELNS0_4arch9wavefront6targetE1EEEvT1_,comdat
.Lfunc_end918:
	.size	_ZN7rocprim17ROCPRIM_400000_NS6detail17trampoline_kernelINS0_14default_configENS1_25partition_config_selectorILNS1_17partition_subalgoE8EN3c104HalfENS0_10empty_typeEbEEZZNS1_14partition_implILS5_8ELb0ES3_jPKS7_PS8_PKS8_NS0_5tupleIJPS7_S8_EEENSG_IJSD_SD_EEENS0_18inequality_wrapperIN6hipcub16HIPCUB_304000_NS8EqualityEEEPlJS8_EEE10hipError_tPvRmT3_T4_T5_T6_T7_T9_mT8_P12ihipStream_tbDpT10_ENKUlT_T0_E_clISt17integral_constantIbLb0EES18_IbLb1EEEEDaS14_S15_EUlS14_E_NS1_11comp_targetILNS1_3genE5ELNS1_11target_archE942ELNS1_3gpuE9ELNS1_3repE0EEENS1_30default_config_static_selectorELNS0_4arch9wavefront6targetE1EEEvT1_, .Lfunc_end918-_ZN7rocprim17ROCPRIM_400000_NS6detail17trampoline_kernelINS0_14default_configENS1_25partition_config_selectorILNS1_17partition_subalgoE8EN3c104HalfENS0_10empty_typeEbEEZZNS1_14partition_implILS5_8ELb0ES3_jPKS7_PS8_PKS8_NS0_5tupleIJPS7_S8_EEENSG_IJSD_SD_EEENS0_18inequality_wrapperIN6hipcub16HIPCUB_304000_NS8EqualityEEEPlJS8_EEE10hipError_tPvRmT3_T4_T5_T6_T7_T9_mT8_P12ihipStream_tbDpT10_ENKUlT_T0_E_clISt17integral_constantIbLb0EES18_IbLb1EEEEDaS14_S15_EUlS14_E_NS1_11comp_targetILNS1_3genE5ELNS1_11target_archE942ELNS1_3gpuE9ELNS1_3repE0EEENS1_30default_config_static_selectorELNS0_4arch9wavefront6targetE1EEEvT1_
                                        ; -- End function
	.section	.AMDGPU.csdata,"",@progbits
; Kernel info:
; codeLenInByte = 0
; NumSgprs: 4
; NumVgprs: 0
; NumAgprs: 0
; TotalNumVgprs: 0
; ScratchSize: 0
; MemoryBound: 0
; FloatMode: 240
; IeeeMode: 1
; LDSByteSize: 0 bytes/workgroup (compile time only)
; SGPRBlocks: 0
; VGPRBlocks: 0
; NumSGPRsForWavesPerEU: 4
; NumVGPRsForWavesPerEU: 1
; AccumOffset: 4
; Occupancy: 8
; WaveLimiterHint : 0
; COMPUTE_PGM_RSRC2:SCRATCH_EN: 0
; COMPUTE_PGM_RSRC2:USER_SGPR: 6
; COMPUTE_PGM_RSRC2:TRAP_HANDLER: 0
; COMPUTE_PGM_RSRC2:TGID_X_EN: 1
; COMPUTE_PGM_RSRC2:TGID_Y_EN: 0
; COMPUTE_PGM_RSRC2:TGID_Z_EN: 0
; COMPUTE_PGM_RSRC2:TIDIG_COMP_CNT: 0
; COMPUTE_PGM_RSRC3_GFX90A:ACCUM_OFFSET: 0
; COMPUTE_PGM_RSRC3_GFX90A:TG_SPLIT: 0
	.section	.text._ZN7rocprim17ROCPRIM_400000_NS6detail17trampoline_kernelINS0_14default_configENS1_25partition_config_selectorILNS1_17partition_subalgoE8EN3c104HalfENS0_10empty_typeEbEEZZNS1_14partition_implILS5_8ELb0ES3_jPKS7_PS8_PKS8_NS0_5tupleIJPS7_S8_EEENSG_IJSD_SD_EEENS0_18inequality_wrapperIN6hipcub16HIPCUB_304000_NS8EqualityEEEPlJS8_EEE10hipError_tPvRmT3_T4_T5_T6_T7_T9_mT8_P12ihipStream_tbDpT10_ENKUlT_T0_E_clISt17integral_constantIbLb0EES18_IbLb1EEEEDaS14_S15_EUlS14_E_NS1_11comp_targetILNS1_3genE4ELNS1_11target_archE910ELNS1_3gpuE8ELNS1_3repE0EEENS1_30default_config_static_selectorELNS0_4arch9wavefront6targetE1EEEvT1_,"axG",@progbits,_ZN7rocprim17ROCPRIM_400000_NS6detail17trampoline_kernelINS0_14default_configENS1_25partition_config_selectorILNS1_17partition_subalgoE8EN3c104HalfENS0_10empty_typeEbEEZZNS1_14partition_implILS5_8ELb0ES3_jPKS7_PS8_PKS8_NS0_5tupleIJPS7_S8_EEENSG_IJSD_SD_EEENS0_18inequality_wrapperIN6hipcub16HIPCUB_304000_NS8EqualityEEEPlJS8_EEE10hipError_tPvRmT3_T4_T5_T6_T7_T9_mT8_P12ihipStream_tbDpT10_ENKUlT_T0_E_clISt17integral_constantIbLb0EES18_IbLb1EEEEDaS14_S15_EUlS14_E_NS1_11comp_targetILNS1_3genE4ELNS1_11target_archE910ELNS1_3gpuE8ELNS1_3repE0EEENS1_30default_config_static_selectorELNS0_4arch9wavefront6targetE1EEEvT1_,comdat
	.protected	_ZN7rocprim17ROCPRIM_400000_NS6detail17trampoline_kernelINS0_14default_configENS1_25partition_config_selectorILNS1_17partition_subalgoE8EN3c104HalfENS0_10empty_typeEbEEZZNS1_14partition_implILS5_8ELb0ES3_jPKS7_PS8_PKS8_NS0_5tupleIJPS7_S8_EEENSG_IJSD_SD_EEENS0_18inequality_wrapperIN6hipcub16HIPCUB_304000_NS8EqualityEEEPlJS8_EEE10hipError_tPvRmT3_T4_T5_T6_T7_T9_mT8_P12ihipStream_tbDpT10_ENKUlT_T0_E_clISt17integral_constantIbLb0EES18_IbLb1EEEEDaS14_S15_EUlS14_E_NS1_11comp_targetILNS1_3genE4ELNS1_11target_archE910ELNS1_3gpuE8ELNS1_3repE0EEENS1_30default_config_static_selectorELNS0_4arch9wavefront6targetE1EEEvT1_ ; -- Begin function _ZN7rocprim17ROCPRIM_400000_NS6detail17trampoline_kernelINS0_14default_configENS1_25partition_config_selectorILNS1_17partition_subalgoE8EN3c104HalfENS0_10empty_typeEbEEZZNS1_14partition_implILS5_8ELb0ES3_jPKS7_PS8_PKS8_NS0_5tupleIJPS7_S8_EEENSG_IJSD_SD_EEENS0_18inequality_wrapperIN6hipcub16HIPCUB_304000_NS8EqualityEEEPlJS8_EEE10hipError_tPvRmT3_T4_T5_T6_T7_T9_mT8_P12ihipStream_tbDpT10_ENKUlT_T0_E_clISt17integral_constantIbLb0EES18_IbLb1EEEEDaS14_S15_EUlS14_E_NS1_11comp_targetILNS1_3genE4ELNS1_11target_archE910ELNS1_3gpuE8ELNS1_3repE0EEENS1_30default_config_static_selectorELNS0_4arch9wavefront6targetE1EEEvT1_
	.globl	_ZN7rocprim17ROCPRIM_400000_NS6detail17trampoline_kernelINS0_14default_configENS1_25partition_config_selectorILNS1_17partition_subalgoE8EN3c104HalfENS0_10empty_typeEbEEZZNS1_14partition_implILS5_8ELb0ES3_jPKS7_PS8_PKS8_NS0_5tupleIJPS7_S8_EEENSG_IJSD_SD_EEENS0_18inequality_wrapperIN6hipcub16HIPCUB_304000_NS8EqualityEEEPlJS8_EEE10hipError_tPvRmT3_T4_T5_T6_T7_T9_mT8_P12ihipStream_tbDpT10_ENKUlT_T0_E_clISt17integral_constantIbLb0EES18_IbLb1EEEEDaS14_S15_EUlS14_E_NS1_11comp_targetILNS1_3genE4ELNS1_11target_archE910ELNS1_3gpuE8ELNS1_3repE0EEENS1_30default_config_static_selectorELNS0_4arch9wavefront6targetE1EEEvT1_
	.p2align	8
	.type	_ZN7rocprim17ROCPRIM_400000_NS6detail17trampoline_kernelINS0_14default_configENS1_25partition_config_selectorILNS1_17partition_subalgoE8EN3c104HalfENS0_10empty_typeEbEEZZNS1_14partition_implILS5_8ELb0ES3_jPKS7_PS8_PKS8_NS0_5tupleIJPS7_S8_EEENSG_IJSD_SD_EEENS0_18inequality_wrapperIN6hipcub16HIPCUB_304000_NS8EqualityEEEPlJS8_EEE10hipError_tPvRmT3_T4_T5_T6_T7_T9_mT8_P12ihipStream_tbDpT10_ENKUlT_T0_E_clISt17integral_constantIbLb0EES18_IbLb1EEEEDaS14_S15_EUlS14_E_NS1_11comp_targetILNS1_3genE4ELNS1_11target_archE910ELNS1_3gpuE8ELNS1_3repE0EEENS1_30default_config_static_selectorELNS0_4arch9wavefront6targetE1EEEvT1_,@function
_ZN7rocprim17ROCPRIM_400000_NS6detail17trampoline_kernelINS0_14default_configENS1_25partition_config_selectorILNS1_17partition_subalgoE8EN3c104HalfENS0_10empty_typeEbEEZZNS1_14partition_implILS5_8ELb0ES3_jPKS7_PS8_PKS8_NS0_5tupleIJPS7_S8_EEENSG_IJSD_SD_EEENS0_18inequality_wrapperIN6hipcub16HIPCUB_304000_NS8EqualityEEEPlJS8_EEE10hipError_tPvRmT3_T4_T5_T6_T7_T9_mT8_P12ihipStream_tbDpT10_ENKUlT_T0_E_clISt17integral_constantIbLb0EES18_IbLb1EEEEDaS14_S15_EUlS14_E_NS1_11comp_targetILNS1_3genE4ELNS1_11target_archE910ELNS1_3gpuE8ELNS1_3repE0EEENS1_30default_config_static_selectorELNS0_4arch9wavefront6targetE1EEEvT1_: ; @_ZN7rocprim17ROCPRIM_400000_NS6detail17trampoline_kernelINS0_14default_configENS1_25partition_config_selectorILNS1_17partition_subalgoE8EN3c104HalfENS0_10empty_typeEbEEZZNS1_14partition_implILS5_8ELb0ES3_jPKS7_PS8_PKS8_NS0_5tupleIJPS7_S8_EEENSG_IJSD_SD_EEENS0_18inequality_wrapperIN6hipcub16HIPCUB_304000_NS8EqualityEEEPlJS8_EEE10hipError_tPvRmT3_T4_T5_T6_T7_T9_mT8_P12ihipStream_tbDpT10_ENKUlT_T0_E_clISt17integral_constantIbLb0EES18_IbLb1EEEEDaS14_S15_EUlS14_E_NS1_11comp_targetILNS1_3genE4ELNS1_11target_archE910ELNS1_3gpuE8ELNS1_3repE0EEENS1_30default_config_static_selectorELNS0_4arch9wavefront6targetE1EEEvT1_
; %bb.0:
	s_load_dwordx2 s[24:25], s[4:5], 0x28
	s_load_dwordx4 s[20:23], s[4:5], 0x40
	s_load_dwordx2 s[6:7], s[4:5], 0x50
	s_load_dwordx2 s[26:27], s[4:5], 0x60
	v_cmp_ne_u32_e64 s[2:3], 0, v0
	v_cmp_eq_u32_e64 s[0:1], 0, v0
	s_and_saveexec_b64 s[8:9], s[0:1]
	s_cbranch_execz .LBB919_4
; %bb.1:
	s_mov_b64 s[12:13], exec
	v_mbcnt_lo_u32_b32 v1, s12, 0
	v_mbcnt_hi_u32_b32 v1, s13, v1
	v_cmp_eq_u32_e32 vcc, 0, v1
                                        ; implicit-def: $vgpr2
	s_and_saveexec_b64 s[10:11], vcc
	s_cbranch_execz .LBB919_3
; %bb.2:
	s_load_dwordx2 s[14:15], s[4:5], 0x70
	s_bcnt1_i32_b64 s12, s[12:13]
	v_mov_b32_e32 v2, 0
	v_mov_b32_e32 v3, s12
	s_waitcnt lgkmcnt(0)
	global_atomic_add v2, v2, v3, s[14:15] glc
.LBB919_3:
	s_or_b64 exec, exec, s[10:11]
	s_waitcnt vmcnt(0)
	v_readfirstlane_b32 s10, v2
	v_add_u32_e32 v1, s10, v1
	v_mov_b32_e32 v2, 0
	ds_write_b32 v2, v1
.LBB919_4:
	s_or_b64 exec, exec, s[8:9]
	v_mov_b32_e32 v3, 0
	s_load_dwordx4 s[8:11], s[4:5], 0x8
	s_load_dword s12, s[4:5], 0x68
	s_waitcnt lgkmcnt(0)
	s_barrier
	ds_read_b32 v1, v3
	s_waitcnt lgkmcnt(0)
	s_barrier
	global_load_dwordx2 v[8:9], v3, s[22:23]
	s_lshl_b64 s[4:5], s[10:11], 1
	s_add_u32 s8, s8, s4
	s_movk_i32 s4, 0x1600
	v_mul_lo_u32 v2, v1, s4
	s_mul_i32 s4, s12, 0x1600
	s_addc_u32 s9, s9, s5
	s_add_i32 s5, s4, s10
	v_mov_b32_e32 v5, s7
	s_add_i32 s7, s12, -1
	s_sub_i32 s64, s6, s5
	s_add_u32 s4, s10, s4
	v_readfirstlane_b32 s33, v1
	s_addc_u32 s5, s11, 0
	v_mov_b32_e32 v4, s6
	s_cmp_eq_u32 s33, s7
	v_cmp_ge_u64_e32 vcc, s[4:5], v[4:5]
	s_cselect_b64 s[18:19], -1, 0
	v_lshlrev_b64 v[2:3], 1, v[2:3]
	s_and_b64 s[6:7], vcc, s[18:19]
	v_mov_b32_e32 v1, s9
	v_add_co_u32_e32 v14, vcc, s8, v2
	s_xor_b64 s[22:23], s[6:7], -1
	v_addc_co_u32_e32 v15, vcc, v1, v3, vcc
	s_mov_b64 s[4:5], -1
	s_and_b64 vcc, exec, s[22:23]
	s_cbranch_vccz .LBB919_6
; %bb.5:
	v_lshlrev_b32_e32 v1, 1, v0
	v_add_co_u32_e32 v4, vcc, v14, v1
	v_addc_co_u32_e32 v5, vcc, 0, v15, vcc
	v_add_co_u32_e32 v2, vcc, 0x1000, v4
	v_readfirstlane_b32 s4, v14
	v_readfirstlane_b32 s5, v15
	v_addc_co_u32_e32 v3, vcc, 0, v5, vcc
	s_nop 3
	global_load_ushort v6, v1, s[4:5]
	global_load_ushort v7, v1, s[4:5] offset:512
	global_load_ushort v10, v1, s[4:5] offset:1024
	;; [unrolled: 1-line block ×7, first 2 shown]
	global_load_ushort v18, v[2:3], off
	global_load_ushort v19, v[2:3], off offset:512
	global_load_ushort v20, v[2:3], off offset:1024
	;; [unrolled: 1-line block ×7, first 2 shown]
	v_add_co_u32_e32 v2, vcc, 0x2000, v4
	v_addc_co_u32_e32 v3, vcc, 0, v5, vcc
	global_load_ushort v4, v[2:3], off
	global_load_ushort v5, v[2:3], off offset:512
	global_load_ushort v26, v[2:3], off offset:1024
	;; [unrolled: 1-line block ×5, first 2 shown]
	s_mov_b64 s[4:5], 0
	s_waitcnt vmcnt(21)
	ds_write_b16 v1, v6
	s_waitcnt vmcnt(20)
	ds_write_b16 v1, v7 offset:512
	s_waitcnt vmcnt(19)
	ds_write_b16 v1, v10 offset:1024
	;; [unrolled: 2-line block ×21, first 2 shown]
	s_waitcnt lgkmcnt(0)
	s_barrier
.LBB919_6:
	s_andn2_b64 vcc, exec, s[4:5]
	s_addk_i32 s64, 0x1600
	s_cbranch_vccnz .LBB919_52
; %bb.7:
	v_cmp_gt_u32_e32 vcc, s64, v0
                                        ; implicit-def: $vgpr1
	s_and_saveexec_b64 s[4:5], vcc
	s_cbranch_execz .LBB919_9
; %bb.8:
	v_lshlrev_b32_e32 v1, 1, v0
	v_readfirstlane_b32 s8, v14
	v_readfirstlane_b32 s9, v15
	s_nop 4
	global_load_ushort v1, v1, s[8:9]
.LBB919_9:
	s_or_b64 exec, exec, s[4:5]
	v_or_b32_e32 v2, 0x100, v0
	v_cmp_gt_u32_e32 vcc, s64, v2
                                        ; implicit-def: $vgpr2
	s_and_saveexec_b64 s[4:5], vcc
	s_cbranch_execz .LBB919_11
; %bb.10:
	v_lshlrev_b32_e32 v2, 1, v0
	v_readfirstlane_b32 s8, v14
	v_readfirstlane_b32 s9, v15
	s_nop 4
	global_load_ushort v2, v2, s[8:9] offset:512
.LBB919_11:
	s_or_b64 exec, exec, s[4:5]
	v_or_b32_e32 v3, 0x200, v0
	v_cmp_gt_u32_e32 vcc, s64, v3
                                        ; implicit-def: $vgpr3
	s_and_saveexec_b64 s[4:5], vcc
	s_cbranch_execz .LBB919_13
; %bb.12:
	v_lshlrev_b32_e32 v3, 1, v0
	v_readfirstlane_b32 s8, v14
	v_readfirstlane_b32 s9, v15
	s_nop 4
	global_load_ushort v3, v3, s[8:9] offset:1024
.LBB919_13:
	s_or_b64 exec, exec, s[4:5]
	v_or_b32_e32 v4, 0x300, v0
	v_cmp_gt_u32_e32 vcc, s64, v4
                                        ; implicit-def: $vgpr4
	s_and_saveexec_b64 s[4:5], vcc
	s_cbranch_execz .LBB919_15
; %bb.14:
	v_lshlrev_b32_e32 v4, 1, v0
	v_readfirstlane_b32 s8, v14
	v_readfirstlane_b32 s9, v15
	s_nop 4
	global_load_ushort v4, v4, s[8:9] offset:1536
.LBB919_15:
	s_or_b64 exec, exec, s[4:5]
	v_or_b32_e32 v5, 0x400, v0
	v_cmp_gt_u32_e32 vcc, s64, v5
                                        ; implicit-def: $vgpr5
	s_and_saveexec_b64 s[4:5], vcc
	s_cbranch_execz .LBB919_17
; %bb.16:
	v_lshlrev_b32_e32 v5, 1, v0
	v_readfirstlane_b32 s8, v14
	v_readfirstlane_b32 s9, v15
	s_nop 4
	global_load_ushort v5, v5, s[8:9] offset:2048
.LBB919_17:
	s_or_b64 exec, exec, s[4:5]
	v_or_b32_e32 v6, 0x500, v0
	v_cmp_gt_u32_e32 vcc, s64, v6
                                        ; implicit-def: $vgpr6
	s_and_saveexec_b64 s[4:5], vcc
	s_cbranch_execz .LBB919_19
; %bb.18:
	v_lshlrev_b32_e32 v6, 1, v0
	v_readfirstlane_b32 s8, v14
	v_readfirstlane_b32 s9, v15
	s_nop 4
	global_load_ushort v6, v6, s[8:9] offset:2560
.LBB919_19:
	s_or_b64 exec, exec, s[4:5]
	v_or_b32_e32 v7, 0x600, v0
	v_cmp_gt_u32_e32 vcc, s64, v7
                                        ; implicit-def: $vgpr7
	s_and_saveexec_b64 s[4:5], vcc
	s_cbranch_execz .LBB919_21
; %bb.20:
	v_lshlrev_b32_e32 v7, 1, v0
	v_readfirstlane_b32 s8, v14
	v_readfirstlane_b32 s9, v15
	s_nop 4
	global_load_ushort v7, v7, s[8:9] offset:3072
.LBB919_21:
	s_or_b64 exec, exec, s[4:5]
	v_or_b32_e32 v10, 0x700, v0
	v_cmp_gt_u32_e32 vcc, s64, v10
                                        ; implicit-def: $vgpr10
	s_and_saveexec_b64 s[4:5], vcc
	s_cbranch_execz .LBB919_23
; %bb.22:
	v_lshlrev_b32_e32 v10, 1, v0
	v_readfirstlane_b32 s8, v14
	v_readfirstlane_b32 s9, v15
	s_nop 4
	global_load_ushort v10, v10, s[8:9] offset:3584
.LBB919_23:
	s_or_b64 exec, exec, s[4:5]
	v_or_b32_e32 v12, 0x800, v0
	v_cmp_gt_u32_e32 vcc, s64, v12
                                        ; implicit-def: $vgpr11
	s_and_saveexec_b64 s[4:5], vcc
	s_cbranch_execz .LBB919_25
; %bb.24:
	v_lshlrev_b32_e32 v11, 1, v12
	v_readfirstlane_b32 s8, v14
	v_readfirstlane_b32 s9, v15
	s_nop 4
	global_load_ushort v11, v11, s[8:9]
.LBB919_25:
	s_or_b64 exec, exec, s[4:5]
	v_or_b32_e32 v13, 0x900, v0
	v_cmp_gt_u32_e32 vcc, s64, v13
                                        ; implicit-def: $vgpr12
	s_and_saveexec_b64 s[4:5], vcc
	s_cbranch_execz .LBB919_27
; %bb.26:
	v_lshlrev_b32_e32 v12, 1, v13
	v_readfirstlane_b32 s8, v14
	v_readfirstlane_b32 s9, v15
	s_nop 4
	global_load_ushort v12, v12, s[8:9]
.LBB919_27:
	s_or_b64 exec, exec, s[4:5]
	v_or_b32_e32 v16, 0xa00, v0
	v_cmp_gt_u32_e32 vcc, s64, v16
                                        ; implicit-def: $vgpr13
	s_and_saveexec_b64 s[4:5], vcc
	s_cbranch_execz .LBB919_29
; %bb.28:
	v_lshlrev_b32_e32 v13, 1, v16
	v_readfirstlane_b32 s8, v14
	v_readfirstlane_b32 s9, v15
	s_nop 4
	global_load_ushort v13, v13, s[8:9]
.LBB919_29:
	s_or_b64 exec, exec, s[4:5]
	v_or_b32_e32 v17, 0xb00, v0
	v_cmp_gt_u32_e32 vcc, s64, v17
                                        ; implicit-def: $vgpr16
	s_and_saveexec_b64 s[4:5], vcc
	s_cbranch_execz .LBB919_31
; %bb.30:
	v_lshlrev_b32_e32 v16, 1, v17
	v_readfirstlane_b32 s8, v14
	v_readfirstlane_b32 s9, v15
	s_nop 4
	global_load_ushort v16, v16, s[8:9]
.LBB919_31:
	s_or_b64 exec, exec, s[4:5]
	v_or_b32_e32 v18, 0xc00, v0
	v_cmp_gt_u32_e32 vcc, s64, v18
                                        ; implicit-def: $vgpr17
	s_and_saveexec_b64 s[4:5], vcc
	s_cbranch_execz .LBB919_33
; %bb.32:
	v_lshlrev_b32_e32 v17, 1, v18
	v_readfirstlane_b32 s8, v14
	v_readfirstlane_b32 s9, v15
	s_nop 4
	global_load_ushort v17, v17, s[8:9]
.LBB919_33:
	s_or_b64 exec, exec, s[4:5]
	v_or_b32_e32 v19, 0xd00, v0
	v_cmp_gt_u32_e32 vcc, s64, v19
                                        ; implicit-def: $vgpr18
	s_and_saveexec_b64 s[4:5], vcc
	s_cbranch_execz .LBB919_35
; %bb.34:
	v_lshlrev_b32_e32 v18, 1, v19
	v_readfirstlane_b32 s8, v14
	v_readfirstlane_b32 s9, v15
	s_nop 4
	global_load_ushort v18, v18, s[8:9]
.LBB919_35:
	s_or_b64 exec, exec, s[4:5]
	v_or_b32_e32 v20, 0xe00, v0
	v_cmp_gt_u32_e32 vcc, s64, v20
                                        ; implicit-def: $vgpr19
	s_and_saveexec_b64 s[4:5], vcc
	s_cbranch_execz .LBB919_37
; %bb.36:
	v_lshlrev_b32_e32 v19, 1, v20
	v_readfirstlane_b32 s8, v14
	v_readfirstlane_b32 s9, v15
	s_nop 4
	global_load_ushort v19, v19, s[8:9]
.LBB919_37:
	s_or_b64 exec, exec, s[4:5]
	v_or_b32_e32 v21, 0xf00, v0
	v_cmp_gt_u32_e32 vcc, s64, v21
                                        ; implicit-def: $vgpr20
	s_and_saveexec_b64 s[4:5], vcc
	s_cbranch_execz .LBB919_39
; %bb.38:
	v_lshlrev_b32_e32 v20, 1, v21
	v_readfirstlane_b32 s8, v14
	v_readfirstlane_b32 s9, v15
	s_nop 4
	global_load_ushort v20, v20, s[8:9]
.LBB919_39:
	s_or_b64 exec, exec, s[4:5]
	v_or_b32_e32 v22, 0x1000, v0
	v_cmp_gt_u32_e32 vcc, s64, v22
                                        ; implicit-def: $vgpr21
	s_and_saveexec_b64 s[4:5], vcc
	s_cbranch_execz .LBB919_41
; %bb.40:
	v_lshlrev_b32_e32 v21, 1, v22
	v_readfirstlane_b32 s8, v14
	v_readfirstlane_b32 s9, v15
	s_nop 4
	global_load_ushort v21, v21, s[8:9]
.LBB919_41:
	s_or_b64 exec, exec, s[4:5]
	v_or_b32_e32 v23, 0x1100, v0
	v_cmp_gt_u32_e32 vcc, s64, v23
                                        ; implicit-def: $vgpr22
	s_and_saveexec_b64 s[4:5], vcc
	s_cbranch_execz .LBB919_43
; %bb.42:
	v_lshlrev_b32_e32 v22, 1, v23
	v_readfirstlane_b32 s8, v14
	v_readfirstlane_b32 s9, v15
	s_nop 4
	global_load_ushort v22, v22, s[8:9]
.LBB919_43:
	s_or_b64 exec, exec, s[4:5]
	v_or_b32_e32 v24, 0x1200, v0
	v_cmp_gt_u32_e32 vcc, s64, v24
                                        ; implicit-def: $vgpr23
	s_and_saveexec_b64 s[4:5], vcc
	s_cbranch_execz .LBB919_45
; %bb.44:
	v_lshlrev_b32_e32 v23, 1, v24
	v_readfirstlane_b32 s8, v14
	v_readfirstlane_b32 s9, v15
	s_nop 4
	global_load_ushort v23, v23, s[8:9]
.LBB919_45:
	s_or_b64 exec, exec, s[4:5]
	v_or_b32_e32 v25, 0x1300, v0
	v_cmp_gt_u32_e32 vcc, s64, v25
                                        ; implicit-def: $vgpr24
	s_and_saveexec_b64 s[4:5], vcc
	s_cbranch_execz .LBB919_47
; %bb.46:
	v_lshlrev_b32_e32 v24, 1, v25
	v_readfirstlane_b32 s8, v14
	v_readfirstlane_b32 s9, v15
	s_nop 4
	global_load_ushort v24, v24, s[8:9]
.LBB919_47:
	s_or_b64 exec, exec, s[4:5]
	v_or_b32_e32 v26, 0x1400, v0
	v_cmp_gt_u32_e32 vcc, s64, v26
                                        ; implicit-def: $vgpr25
	s_and_saveexec_b64 s[4:5], vcc
	s_cbranch_execz .LBB919_49
; %bb.48:
	v_lshlrev_b32_e32 v25, 1, v26
	v_readfirstlane_b32 s8, v14
	v_readfirstlane_b32 s9, v15
	s_nop 4
	global_load_ushort v25, v25, s[8:9]
.LBB919_49:
	s_or_b64 exec, exec, s[4:5]
	v_or_b32_e32 v27, 0x1500, v0
	v_cmp_gt_u32_e32 vcc, s64, v27
                                        ; implicit-def: $vgpr26
	s_and_saveexec_b64 s[4:5], vcc
	s_cbranch_execz .LBB919_51
; %bb.50:
	v_lshlrev_b32_e32 v26, 1, v27
	v_readfirstlane_b32 s8, v14
	v_readfirstlane_b32 s9, v15
	s_nop 4
	global_load_ushort v26, v26, s[8:9]
.LBB919_51:
	s_or_b64 exec, exec, s[4:5]
	v_lshlrev_b32_e32 v27, 1, v0
	s_waitcnt vmcnt(0)
	ds_write_b16 v27, v1
	ds_write_b16 v27, v2 offset:512
	ds_write_b16 v27, v3 offset:1024
	;; [unrolled: 1-line block ×21, first 2 shown]
	s_waitcnt lgkmcnt(0)
	s_barrier
.LBB919_52:
	v_mul_u32_u24_e32 v24, 22, v0
	v_lshlrev_b32_e32 v38, 1, v24
	ds_read_b32 v62, v38 offset:40
	ds_read2_b32 v[2:3], v38 offset0:8 offset1:9
	ds_read2_b32 v[12:13], v38 offset1:1
	ds_read2_b32 v[10:11], v38 offset0:2 offset1:3
	ds_read2_b32 v[4:5], v38 offset0:6 offset1:7
	;; [unrolled: 1-line block ×3, first 2 shown]
	s_cmp_lg_u32 s33, 0
	s_cselect_b64 s[16:17], -1, 0
	s_cmp_lg_u64 s[10:11], 0
	s_cselect_b64 s[4:5], -1, 0
	s_or_b64 s[4:5], s[4:5], s[16:17]
	v_mad_u32_u24 v16, v0, 22, 21
	v_mad_u32_u24 v17, v0, 22, 20
	s_waitcnt lgkmcnt(5)
	v_lshrrev_b32_e32 v1, 16, v62
	v_mad_u32_u24 v18, v0, 22, 19
	v_mad_u32_u24 v19, v0, 22, 18
	;; [unrolled: 1-line block ×6, first 2 shown]
	v_or_b32_e32 v36, 1, v24
	v_mad_u32_u24 v37, v0, 22, 2
	v_mad_u32_u24 v35, v0, 22, 3
	;; [unrolled: 1-line block ×12, first 2 shown]
	s_mov_b64 s[8:9], 0
	s_and_b64 vcc, exec, s[4:5]
	s_waitcnt lgkmcnt(0)
	s_barrier
	s_cbranch_vccz .LBB919_57
; %bb.53:
	global_load_ushort v14, v[14:15], off offset:-2
	v_lshlrev_b32_e32 v15, 1, v0
	s_and_b64 vcc, exec, s[22:23]
	ds_write_b16 v15, v1
	s_cbranch_vccz .LBB919_59
; %bb.54:
	s_waitcnt vmcnt(0)
	v_mov_b32_e32 v39, v14
	s_waitcnt lgkmcnt(0)
	s_barrier
	s_and_saveexec_b64 s[4:5], s[2:3]
	s_cbranch_execz .LBB919_56
; %bb.55:
	v_add_u32_e32 v39, -2, v15
	ds_read_u16 v39, v39
.LBB919_56:
	s_or_b64 exec, exec, s[4:5]
	v_cmp_neq_f16_sdwa s[4:5], v3, v62 src0_sel:WORD_1 src1_sel:DWORD
	v_cndmask_b32_e64 v64, 0, 1, s[4:5]
	v_cmp_neq_f16_sdwa s[4:5], v3, v3 src0_sel:DWORD src1_sel:WORD_1
	v_cndmask_b32_e64 v65, 0, 1, s[4:5]
	v_cmp_neq_f16_sdwa s[4:5], v2, v3 src0_sel:WORD_1 src1_sel:DWORD
	v_cndmask_b32_e64 v66, 0, 1, s[4:5]
	v_cmp_neq_f16_sdwa s[4:5], v2, v2 src0_sel:DWORD src1_sel:WORD_1
	v_cndmask_b32_e64 v67, 0, 1, s[4:5]
	v_cmp_neq_f16_sdwa s[4:5], v5, v2 src0_sel:WORD_1 src1_sel:DWORD
	v_cndmask_b32_e64 v68, 0, 1, s[4:5]
	v_cmp_neq_f16_sdwa s[4:5], v5, v5 src0_sel:DWORD src1_sel:WORD_1
	v_cndmask_b32_e64 v69, 0, 1, s[4:5]
	v_cmp_neq_f16_sdwa s[4:5], v4, v5 src0_sel:WORD_1 src1_sel:DWORD
	v_cndmask_b32_e64 v70, 0, 1, s[4:5]
	v_cmp_neq_f16_sdwa s[4:5], v4, v4 src0_sel:DWORD src1_sel:WORD_1
	v_cndmask_b32_e64 v71, 0, 1, s[4:5]
	v_cmp_neq_f16_sdwa s[4:5], v7, v4 src0_sel:WORD_1 src1_sel:DWORD
	v_cndmask_b32_e64 v72, 0, 1, s[4:5]
	v_cmp_neq_f16_sdwa s[4:5], v7, v7 src0_sel:DWORD src1_sel:WORD_1
	v_cndmask_b32_e64 v73, 0, 1, s[4:5]
	v_cmp_neq_f16_sdwa s[4:5], v6, v7 src0_sel:WORD_1 src1_sel:DWORD
	v_cndmask_b32_e64 v74, 0, 1, s[4:5]
	v_cmp_neq_f16_sdwa s[4:5], v6, v6 src0_sel:DWORD src1_sel:WORD_1
	v_cndmask_b32_e64 v75, 0, 1, s[4:5]
	v_cmp_neq_f16_sdwa s[4:5], v11, v6 src0_sel:WORD_1 src1_sel:DWORD
	v_cndmask_b32_e64 v76, 0, 1, s[4:5]
	v_cmp_neq_f16_sdwa s[4:5], v11, v11 src0_sel:DWORD src1_sel:WORD_1
	v_cndmask_b32_e64 v77, 0, 1, s[4:5]
	v_cmp_neq_f16_sdwa s[4:5], v10, v11 src0_sel:WORD_1 src1_sel:DWORD
	v_cndmask_b32_e64 v78, 0, 1, s[4:5]
	v_cmp_neq_f16_sdwa s[4:5], v10, v10 src0_sel:DWORD src1_sel:WORD_1
	v_cndmask_b32_e64 v79, 0, 1, s[4:5]
	v_cmp_neq_f16_sdwa s[4:5], v13, v10 src0_sel:WORD_1 src1_sel:DWORD
	v_cndmask_b32_e64 v80, 0, 1, s[4:5]
	v_cmp_neq_f16_sdwa s[4:5], v13, v13 src0_sel:DWORD src1_sel:WORD_1
	v_cndmask_b32_e64 v81, 0, 1, s[4:5]
	v_cmp_neq_f16_sdwa s[4:5], v12, v13 src0_sel:WORD_1 src1_sel:DWORD
	v_cmp_neq_f16_e32 vcc, v62, v1
	v_cndmask_b32_e64 v82, 0, 1, s[4:5]
	v_cmp_neq_f16_sdwa s[4:5], v12, v12 src0_sel:DWORD src1_sel:WORD_1
	v_cndmask_b32_e64 v63, 0, 1, vcc
	v_cndmask_b32_e64 v83, 0, 1, s[4:5]
	s_waitcnt lgkmcnt(0)
	v_cmp_neq_f16_e64 s[4:5], v12, v39
	s_and_b64 vcc, exec, s[8:9]
	s_cbranch_vccnz .LBB919_60
	s_branch .LBB919_63
.LBB919_57:
                                        ; implicit-def: $sgpr4_sgpr5
                                        ; implicit-def: $vgpr83
                                        ; implicit-def: $vgpr82
                                        ; implicit-def: $vgpr81
                                        ; implicit-def: $vgpr80
                                        ; implicit-def: $vgpr79
                                        ; implicit-def: $vgpr78
                                        ; implicit-def: $vgpr77
                                        ; implicit-def: $vgpr76
                                        ; implicit-def: $vgpr75
                                        ; implicit-def: $vgpr74
                                        ; implicit-def: $vgpr73
                                        ; implicit-def: $vgpr72
                                        ; implicit-def: $vgpr71
                                        ; implicit-def: $vgpr70
                                        ; implicit-def: $vgpr69
                                        ; implicit-def: $vgpr68
                                        ; implicit-def: $vgpr67
                                        ; implicit-def: $vgpr66
                                        ; implicit-def: $vgpr65
                                        ; implicit-def: $vgpr64
                                        ; implicit-def: $vgpr63
	s_branch .LBB919_64
.LBB919_58:
                                        ; implicit-def: $sgpr12
	s_branch .LBB919_72
.LBB919_59:
                                        ; implicit-def: $sgpr4_sgpr5
                                        ; implicit-def: $vgpr83
                                        ; implicit-def: $vgpr82
                                        ; implicit-def: $vgpr81
                                        ; implicit-def: $vgpr80
                                        ; implicit-def: $vgpr79
                                        ; implicit-def: $vgpr78
                                        ; implicit-def: $vgpr77
                                        ; implicit-def: $vgpr76
                                        ; implicit-def: $vgpr75
                                        ; implicit-def: $vgpr74
                                        ; implicit-def: $vgpr73
                                        ; implicit-def: $vgpr72
                                        ; implicit-def: $vgpr71
                                        ; implicit-def: $vgpr70
                                        ; implicit-def: $vgpr69
                                        ; implicit-def: $vgpr68
                                        ; implicit-def: $vgpr67
                                        ; implicit-def: $vgpr66
                                        ; implicit-def: $vgpr65
                                        ; implicit-def: $vgpr64
                                        ; implicit-def: $vgpr63
	s_cbranch_execz .LBB919_63
.LBB919_60:
	s_waitcnt lgkmcnt(0)
	s_barrier
	s_and_saveexec_b64 s[4:5], s[2:3]
	s_cbranch_execz .LBB919_62
; %bb.61:
	s_waitcnt vmcnt(0)
	v_add_u32_e32 v14, -2, v15
	ds_read_u16 v14, v14
.LBB919_62:
	s_or_b64 exec, exec, s[4:5]
	v_cmp_gt_u32_e32 vcc, s64, v16
	v_cmp_neq_f16_e64 s[4:5], v62, v1
	s_and_b64 s[4:5], vcc, s[4:5]
	v_cndmask_b32_e64 v63, 0, 1, s[4:5]
	v_cmp_gt_u32_e32 vcc, s64, v17
	v_cmp_neq_f16_sdwa s[4:5], v3, v62 src0_sel:WORD_1 src1_sel:DWORD
	s_and_b64 s[4:5], vcc, s[4:5]
	v_cndmask_b32_e64 v64, 0, 1, s[4:5]
	v_cmp_gt_u32_e32 vcc, s64, v18
	v_cmp_neq_f16_sdwa s[4:5], v3, v3 src0_sel:DWORD src1_sel:WORD_1
	s_and_b64 s[4:5], vcc, s[4:5]
	v_cndmask_b32_e64 v65, 0, 1, s[4:5]
	v_cmp_gt_u32_e32 vcc, s64, v19
	v_cmp_neq_f16_sdwa s[4:5], v2, v3 src0_sel:WORD_1 src1_sel:DWORD
	s_and_b64 s[4:5], vcc, s[4:5]
	v_cndmask_b32_e64 v66, 0, 1, s[4:5]
	v_cmp_gt_u32_e32 vcc, s64, v20
	v_cmp_neq_f16_sdwa s[4:5], v2, v2 src0_sel:DWORD src1_sel:WORD_1
	;; [unrolled: 8-line block ×10, first 2 shown]
	s_and_b64 s[4:5], vcc, s[4:5]
	v_cndmask_b32_e64 v83, 0, 1, s[4:5]
	v_cmp_gt_u32_e32 vcc, s64, v24
	s_waitcnt vmcnt(0) lgkmcnt(0)
	v_cmp_neq_f16_e64 s[4:5], v12, v14
	s_and_b64 s[4:5], vcc, s[4:5]
.LBB919_63:
	s_mov_b64 s[8:9], -1
	s_cbranch_execnz .LBB919_58
.LBB919_64:
	s_movk_i32 s4, 0xffd6
	s_waitcnt vmcnt(0)
	v_mad_i32_i24 v14, v0, s4, v38
	s_and_b64 vcc, exec, s[22:23]
	v_cmp_neq_f16_e64 s[4:5], v62, v1
	v_cmp_neq_f16_sdwa s[10:11], v3, v62 src0_sel:WORD_1 src1_sel:DWORD
	v_cmp_neq_f16_sdwa s[12:13], v3, v3 src0_sel:DWORD src1_sel:WORD_1
	v_cmp_neq_f16_sdwa s[14:15], v2, v3 src0_sel:WORD_1 src1_sel:DWORD
	v_cmp_neq_f16_sdwa s[28:29], v2, v2 src0_sel:DWORD src1_sel:WORD_1
	;; [unrolled: 2-line block ×10, first 2 shown]
	ds_write_b16 v14, v1
	s_cbranch_vccz .LBB919_68
; %bb.65:
	v_cndmask_b32_e64 v63, 0, 1, s[4:5]
	v_cndmask_b32_e64 v64, 0, 1, s[10:11]
	;; [unrolled: 1-line block ×21, first 2 shown]
	s_waitcnt lgkmcnt(0)
	s_barrier
	s_waitcnt lgkmcnt(0)
                                        ; implicit-def: $sgpr4_sgpr5
	s_and_saveexec_b64 s[10:11], s[2:3]
	s_xor_b64 s[10:11], exec, s[10:11]
	s_cbranch_execz .LBB919_67
; %bb.66:
	v_add_u32_e32 v15, -2, v14
	ds_read_u16 v15, v15
	s_or_b64 s[8:9], s[8:9], exec
	s_waitcnt lgkmcnt(0)
	v_cmp_neq_f16_e32 vcc, v15, v12
	s_and_b64 s[4:5], vcc, exec
.LBB919_67:
	s_or_b64 exec, exec, s[10:11]
	s_mov_b32 s12, 1
	s_branch .LBB919_72
.LBB919_68:
                                        ; implicit-def: $sgpr4_sgpr5
                                        ; implicit-def: $vgpr83
                                        ; implicit-def: $vgpr82
                                        ; implicit-def: $vgpr81
                                        ; implicit-def: $vgpr80
                                        ; implicit-def: $vgpr79
                                        ; implicit-def: $vgpr78
                                        ; implicit-def: $vgpr77
                                        ; implicit-def: $vgpr76
                                        ; implicit-def: $vgpr75
                                        ; implicit-def: $vgpr74
                                        ; implicit-def: $vgpr73
                                        ; implicit-def: $vgpr72
                                        ; implicit-def: $vgpr71
                                        ; implicit-def: $vgpr70
                                        ; implicit-def: $vgpr69
                                        ; implicit-def: $vgpr68
                                        ; implicit-def: $vgpr67
                                        ; implicit-def: $vgpr66
                                        ; implicit-def: $vgpr65
                                        ; implicit-def: $vgpr64
                                        ; implicit-def: $vgpr63
                                        ; implicit-def: $sgpr12
	s_cbranch_execz .LBB919_72
; %bb.69:
	v_cmp_gt_u32_e32 vcc, s64, v16
	v_cmp_neq_f16_e64 s[4:5], v62, v1
	s_and_b64 s[4:5], vcc, s[4:5]
	v_cndmask_b32_e64 v63, 0, 1, s[4:5]
	v_cmp_gt_u32_e32 vcc, s64, v17
	v_cmp_neq_f16_sdwa s[4:5], v3, v62 src0_sel:WORD_1 src1_sel:DWORD
	s_and_b64 s[4:5], vcc, s[4:5]
	v_cndmask_b32_e64 v64, 0, 1, s[4:5]
	v_cmp_gt_u32_e32 vcc, s64, v18
	v_cmp_neq_f16_sdwa s[4:5], v3, v3 src0_sel:DWORD src1_sel:WORD_1
	s_and_b64 s[4:5], vcc, s[4:5]
	v_cndmask_b32_e64 v65, 0, 1, s[4:5]
	v_cmp_gt_u32_e32 vcc, s64, v19
	v_cmp_neq_f16_sdwa s[4:5], v2, v3 src0_sel:WORD_1 src1_sel:DWORD
	s_and_b64 s[4:5], vcc, s[4:5]
	v_cndmask_b32_e64 v66, 0, 1, s[4:5]
	v_cmp_gt_u32_e32 vcc, s64, v20
	v_cmp_neq_f16_sdwa s[4:5], v2, v2 src0_sel:DWORD src1_sel:WORD_1
	;; [unrolled: 8-line block ×10, first 2 shown]
	s_and_b64 s[4:5], vcc, s[4:5]
	v_cndmask_b32_e64 v83, 0, 1, s[4:5]
	s_waitcnt lgkmcnt(0)
	s_barrier
	s_waitcnt lgkmcnt(0)
                                        ; implicit-def: $sgpr4_sgpr5
	s_and_saveexec_b64 s[10:11], s[2:3]
	s_cbranch_execz .LBB919_71
; %bb.70:
	v_add_u32_e32 v14, -2, v14
	ds_read_u16 v14, v14
	v_cmp_gt_u32_e32 vcc, s64, v24
	s_or_b64 s[8:9], s[8:9], exec
	s_waitcnt lgkmcnt(0)
	v_cmp_neq_f16_e64 s[2:3], v14, v12
	s_and_b64 s[2:3], vcc, s[2:3]
	s_and_b64 s[4:5], s[2:3], exec
.LBB919_71:
	s_or_b64 exec, exec, s[10:11]
	s_mov_b32 s12, 1
.LBB919_72:
	v_mov_b32_e32 v84, s12
	s_and_saveexec_b64 s[2:3], s[8:9]
; %bb.73:
	v_cndmask_b32_e64 v84, 0, 1, s[4:5]
; %bb.74:
	s_or_b64 exec, exec, s[2:3]
	s_andn2_b64 vcc, exec, s[6:7]
	s_cbranch_vccnz .LBB919_76
; %bb.75:
	v_cmp_gt_u32_e32 vcc, s64, v24
	v_cndmask_b32_e32 v84, 0, v84, vcc
	v_cmp_gt_u32_e32 vcc, s64, v36
	v_cndmask_b32_e32 v83, 0, v83, vcc
	;; [unrolled: 2-line block ×22, first 2 shown]
.LBB919_76:
	v_and_b32_e32 v49, 0xff, v66
	v_and_b32_e32 v51, 0xff, v65
	s_waitcnt vmcnt(0)
	v_add_u32_sdwa v14, v64, v63 dst_sel:DWORD dst_unused:UNUSED_PAD src0_sel:BYTE_0 src1_sel:BYTE_0
	v_and_b32_e32 v45, 0xff, v68
	v_and_b32_e32 v47, 0xff, v67
	v_add3_u32 v14, v14, v51, v49
	v_and_b32_e32 v41, 0xff, v70
	v_and_b32_e32 v43, 0xff, v69
	v_add3_u32 v14, v14, v47, v45
	;; [unrolled: 3-line block ×9, first 2 shown]
	v_add3_u32 v40, v14, v25, v24
	v_mbcnt_lo_u32_b32 v14, -1, 0
	v_mbcnt_hi_u32_b32 v36, -1, v14
	v_and_b32_e32 v14, 15, v36
	v_cmp_eq_u32_e64 s[14:15], 0, v14
	v_cmp_lt_u32_e64 s[12:13], 1, v14
	v_cmp_lt_u32_e64 s[10:11], 3, v14
	;; [unrolled: 1-line block ×3, first 2 shown]
	v_and_b32_e32 v14, 16, v36
	v_cmp_eq_u32_e64 s[6:7], 0, v14
	v_or_b32_e32 v14, 63, v0
	v_cmp_lt_u32_e64 s[2:3], 31, v36
	v_lshrrev_b32_e32 v38, 6, v0
	v_cmp_eq_u32_e64 s[4:5], v14, v0
	s_and_b64 vcc, exec, s[16:17]
	s_waitcnt lgkmcnt(0)
	s_barrier
	s_cbranch_vccz .LBB919_103
; %bb.77:
	v_mov_b32_dpp v14, v40 row_shr:1 row_mask:0xf bank_mask:0xf
	v_cndmask_b32_e64 v14, v14, 0, s[14:15]
	v_add_u32_e32 v14, v14, v40
	s_nop 1
	v_mov_b32_dpp v15, v14 row_shr:2 row_mask:0xf bank_mask:0xf
	v_cndmask_b32_e64 v15, 0, v15, s[12:13]
	v_add_u32_e32 v14, v14, v15
	s_nop 1
	;; [unrolled: 4-line block ×4, first 2 shown]
	v_mov_b32_dpp v15, v14 row_bcast:15 row_mask:0xf bank_mask:0xf
	v_cndmask_b32_e64 v15, v15, 0, s[6:7]
	v_add_u32_e32 v14, v14, v15
	s_nop 1
	v_mov_b32_dpp v15, v14 row_bcast:31 row_mask:0xf bank_mask:0xf
	v_cndmask_b32_e64 v15, 0, v15, s[2:3]
	v_add_u32_e32 v14, v14, v15
	s_and_saveexec_b64 s[16:17], s[4:5]
	s_cbranch_execz .LBB919_79
; %bb.78:
	v_lshlrev_b32_e32 v15, 2, v38
	ds_write_b32 v15, v14
.LBB919_79:
	s_or_b64 exec, exec, s[16:17]
	v_cmp_gt_u32_e32 vcc, 4, v0
	s_waitcnt lgkmcnt(0)
	s_barrier
	s_and_saveexec_b64 s[16:17], vcc
	s_cbranch_execz .LBB919_81
; %bb.80:
	v_lshlrev_b32_e32 v15, 2, v0
	ds_read_b32 v16, v15
	v_and_b32_e32 v17, 3, v36
	v_cmp_ne_u32_e32 vcc, 0, v17
	s_waitcnt lgkmcnt(0)
	v_mov_b32_dpp v18, v16 row_shr:1 row_mask:0xf bank_mask:0xf
	v_cndmask_b32_e32 v18, 0, v18, vcc
	v_add_u32_e32 v16, v18, v16
	v_cmp_lt_u32_e32 vcc, 1, v17
	s_nop 0
	v_mov_b32_dpp v18, v16 row_shr:2 row_mask:0xf bank_mask:0xf
	v_cndmask_b32_e32 v17, 0, v18, vcc
	v_add_u32_e32 v16, v16, v17
	ds_write_b32 v15, v16
.LBB919_81:
	s_or_b64 exec, exec, s[16:17]
	v_cmp_gt_u32_e32 vcc, 64, v0
	v_cmp_lt_u32_e64 s[16:17], 63, v0
	s_waitcnt lgkmcnt(0)
	s_barrier
	s_waitcnt lgkmcnt(0)
                                        ; implicit-def: $vgpr42
	s_and_saveexec_b64 s[28:29], s[16:17]
	s_cbranch_execz .LBB919_83
; %bb.82:
	v_lshl_add_u32 v15, v38, 2, -4
	ds_read_b32 v42, v15
	s_waitcnt lgkmcnt(0)
	v_add_u32_e32 v14, v42, v14
.LBB919_83:
	s_or_b64 exec, exec, s[28:29]
	v_add_u32_e32 v15, -1, v36
	v_and_b32_e32 v16, 64, v36
	v_cmp_lt_i32_e64 s[16:17], v15, v16
	v_cndmask_b32_e64 v15, v15, v36, s[16:17]
	v_lshlrev_b32_e32 v15, 2, v15
	ds_bpermute_b32 v44, v15, v14
	v_cmp_eq_u32_e64 s[16:17], 0, v36
	s_and_saveexec_b64 s[28:29], vcc
	s_cbranch_execz .LBB919_102
; %bb.84:
	v_mov_b32_e32 v21, 0
	ds_read_b32 v14, v21 offset:12
	s_and_saveexec_b64 s[30:31], s[16:17]
	s_cbranch_execz .LBB919_86
; %bb.85:
	s_add_i32 s34, s33, 64
	s_mov_b32 s35, 0
	s_lshl_b64 s[34:35], s[34:35], 3
	s_add_u32 s34, s26, s34
	v_mov_b32_e32 v15, 1
	s_addc_u32 s35, s27, s35
	s_waitcnt lgkmcnt(0)
	global_store_dwordx2 v21, v[14:15], s[34:35]
.LBB919_86:
	s_or_b64 exec, exec, s[30:31]
	v_xad_u32 v16, v36, -1, s33
	v_add_u32_e32 v20, 64, v16
	v_lshlrev_b64 v[18:19], 3, v[20:21]
	v_mov_b32_e32 v15, s27
	v_add_co_u32_e32 v22, vcc, s26, v18
	v_addc_co_u32_e32 v23, vcc, v15, v19, vcc
	global_load_dwordx2 v[18:19], v[22:23], off glc
	s_waitcnt vmcnt(0)
	v_cmp_eq_u16_sdwa s[34:35], v19, v21 src0_sel:BYTE_0 src1_sel:DWORD
	s_and_saveexec_b64 s[30:31], s[34:35]
	s_cbranch_execz .LBB919_90
; %bb.87:
	s_mov_b64 s[34:35], 0
	v_mov_b32_e32 v15, 0
.LBB919_88:                             ; =>This Inner Loop Header: Depth=1
	global_load_dwordx2 v[18:19], v[22:23], off glc
	s_waitcnt vmcnt(0)
	v_cmp_ne_u16_sdwa s[36:37], v19, v15 src0_sel:BYTE_0 src1_sel:DWORD
	s_or_b64 s[34:35], s[36:37], s[34:35]
	s_andn2_b64 exec, exec, s[34:35]
	s_cbranch_execnz .LBB919_88
; %bb.89:
	s_or_b64 exec, exec, s[34:35]
.LBB919_90:
	s_or_b64 exec, exec, s[30:31]
	v_and_b32_e32 v48, 63, v36
	v_mov_b32_e32 v46, 2
	v_cmp_ne_u32_e32 vcc, 63, v48
	v_cmp_eq_u16_sdwa s[30:31], v19, v46 src0_sel:BYTE_0 src1_sel:DWORD
	v_lshlrev_b64 v[20:21], v36, -1
	v_addc_co_u32_e32 v22, vcc, 0, v36, vcc
	v_and_b32_e32 v15, s31, v21
	v_lshlrev_b32_e32 v50, 2, v22
	v_or_b32_e32 v15, 0x80000000, v15
	ds_bpermute_b32 v22, v50, v18
	v_and_b32_e32 v17, s30, v20
	v_ffbl_b32_e32 v15, v15
	v_add_u32_e32 v15, 32, v15
	v_ffbl_b32_e32 v17, v17
	v_min_u32_e32 v15, v17, v15
	v_cmp_lt_u32_e32 vcc, v48, v15
	s_waitcnt lgkmcnt(0)
	v_cndmask_b32_e32 v17, 0, v22, vcc
	v_cmp_gt_u32_e32 vcc, 62, v48
	v_add_u32_e32 v17, v17, v18
	v_cndmask_b32_e64 v18, 0, 1, vcc
	v_lshlrev_b32_e32 v18, 1, v18
	v_add_lshl_u32 v52, v18, v36, 2
	ds_bpermute_b32 v18, v52, v17
	v_add_u32_e32 v53, 2, v48
	v_cmp_le_u32_e32 vcc, v53, v15
	v_add_u32_e32 v55, 4, v48
	v_add_u32_e32 v57, 8, v48
	s_waitcnt lgkmcnt(0)
	v_cndmask_b32_e32 v18, 0, v18, vcc
	v_cmp_gt_u32_e32 vcc, 60, v48
	v_add_u32_e32 v17, v17, v18
	v_cndmask_b32_e64 v18, 0, 1, vcc
	v_lshlrev_b32_e32 v18, 2, v18
	v_add_lshl_u32 v54, v18, v36, 2
	ds_bpermute_b32 v18, v54, v17
	v_cmp_le_u32_e32 vcc, v55, v15
	v_add_u32_e32 v59, 16, v48
	v_add_u32_e32 v61, 32, v48
	s_waitcnt lgkmcnt(0)
	v_cndmask_b32_e32 v18, 0, v18, vcc
	v_cmp_gt_u32_e32 vcc, 56, v48
	v_add_u32_e32 v17, v17, v18
	v_cndmask_b32_e64 v18, 0, 1, vcc
	v_lshlrev_b32_e32 v18, 3, v18
	v_add_lshl_u32 v56, v18, v36, 2
	ds_bpermute_b32 v18, v56, v17
	v_cmp_le_u32_e32 vcc, v57, v15
	s_waitcnt lgkmcnt(0)
	v_cndmask_b32_e32 v18, 0, v18, vcc
	v_cmp_gt_u32_e32 vcc, 48, v48
	v_add_u32_e32 v17, v17, v18
	v_cndmask_b32_e64 v18, 0, 1, vcc
	v_lshlrev_b32_e32 v18, 4, v18
	v_add_lshl_u32 v58, v18, v36, 2
	ds_bpermute_b32 v18, v58, v17
	v_cmp_le_u32_e32 vcc, v59, v15
	;; [unrolled: 9-line block ×3, first 2 shown]
	s_waitcnt lgkmcnt(0)
	v_cndmask_b32_e32 v15, 0, v18, vcc
	v_add_u32_e32 v18, v17, v15
	v_mov_b32_e32 v17, 0
	s_branch .LBB919_92
.LBB919_91:                             ;   in Loop: Header=BB919_92 Depth=1
	s_or_b64 exec, exec, s[30:31]
	v_cmp_eq_u16_sdwa s[30:31], v19, v46 src0_sel:BYTE_0 src1_sel:DWORD
	v_and_b32_e32 v22, s31, v21
	v_or_b32_e32 v22, 0x80000000, v22
	ds_bpermute_b32 v85, v50, v18
	v_and_b32_e32 v23, s30, v20
	v_ffbl_b32_e32 v22, v22
	v_add_u32_e32 v22, 32, v22
	v_ffbl_b32_e32 v23, v23
	v_min_u32_e32 v22, v23, v22
	v_cmp_lt_u32_e32 vcc, v48, v22
	s_waitcnt lgkmcnt(0)
	v_cndmask_b32_e32 v23, 0, v85, vcc
	v_add_u32_e32 v18, v23, v18
	ds_bpermute_b32 v23, v52, v18
	v_cmp_le_u32_e32 vcc, v53, v22
	v_subrev_u32_e32 v16, 64, v16
	s_waitcnt lgkmcnt(0)
	v_cndmask_b32_e32 v23, 0, v23, vcc
	v_add_u32_e32 v18, v18, v23
	ds_bpermute_b32 v23, v54, v18
	v_cmp_le_u32_e32 vcc, v55, v22
	s_waitcnt lgkmcnt(0)
	v_cndmask_b32_e32 v23, 0, v23, vcc
	v_add_u32_e32 v18, v18, v23
	ds_bpermute_b32 v23, v56, v18
	v_cmp_le_u32_e32 vcc, v57, v22
	s_waitcnt lgkmcnt(0)
	v_cndmask_b32_e32 v23, 0, v23, vcc
	v_add_u32_e32 v18, v18, v23
	ds_bpermute_b32 v23, v58, v18
	v_cmp_le_u32_e32 vcc, v59, v22
	s_waitcnt lgkmcnt(0)
	v_cndmask_b32_e32 v23, 0, v23, vcc
	v_add_u32_e32 v18, v18, v23
	ds_bpermute_b32 v23, v60, v18
	v_cmp_le_u32_e32 vcc, v61, v22
	s_waitcnt lgkmcnt(0)
	v_cndmask_b32_e32 v22, 0, v23, vcc
	v_add3_u32 v18, v22, v15, v18
.LBB919_92:                             ; =>This Loop Header: Depth=1
                                        ;     Child Loop BB919_95 Depth 2
	v_cmp_ne_u16_sdwa s[30:31], v19, v46 src0_sel:BYTE_0 src1_sel:DWORD
	v_cndmask_b32_e64 v15, 0, 1, s[30:31]
	;;#ASMSTART
	;;#ASMEND
	v_cmp_ne_u32_e32 vcc, 0, v15
	s_cmp_lg_u64 vcc, exec
	v_mov_b32_e32 v15, v18
	s_cbranch_scc1 .LBB919_97
; %bb.93:                               ;   in Loop: Header=BB919_92 Depth=1
	v_lshlrev_b64 v[18:19], 3, v[16:17]
	v_mov_b32_e32 v23, s27
	v_add_co_u32_e32 v22, vcc, s26, v18
	v_addc_co_u32_e32 v23, vcc, v23, v19, vcc
	global_load_dwordx2 v[18:19], v[22:23], off glc
	s_waitcnt vmcnt(0)
	v_cmp_eq_u16_sdwa s[34:35], v19, v17 src0_sel:BYTE_0 src1_sel:DWORD
	s_and_saveexec_b64 s[30:31], s[34:35]
	s_cbranch_execz .LBB919_91
; %bb.94:                               ;   in Loop: Header=BB919_92 Depth=1
	s_mov_b64 s[34:35], 0
.LBB919_95:                             ;   Parent Loop BB919_92 Depth=1
                                        ; =>  This Inner Loop Header: Depth=2
	global_load_dwordx2 v[18:19], v[22:23], off glc
	s_waitcnt vmcnt(0)
	v_cmp_ne_u16_sdwa s[36:37], v19, v17 src0_sel:BYTE_0 src1_sel:DWORD
	s_or_b64 s[34:35], s[36:37], s[34:35]
	s_andn2_b64 exec, exec, s[34:35]
	s_cbranch_execnz .LBB919_95
; %bb.96:                               ;   in Loop: Header=BB919_92 Depth=1
	s_or_b64 exec, exec, s[34:35]
	s_branch .LBB919_91
.LBB919_97:                             ;   in Loop: Header=BB919_92 Depth=1
                                        ; implicit-def: $vgpr18
                                        ; implicit-def: $vgpr19
	s_cbranch_execz .LBB919_92
; %bb.98:
	s_and_saveexec_b64 s[30:31], s[16:17]
	s_cbranch_execz .LBB919_100
; %bb.99:
	s_add_i32 s34, s33, 64
	s_mov_b32 s35, 0
	s_lshl_b64 s[34:35], s[34:35], 3
	s_add_u32 s34, s26, s34
	v_add_u32_e32 v16, v15, v14
	v_mov_b32_e32 v17, 2
	s_addc_u32 s35, s27, s35
	v_mov_b32_e32 v18, 0
	global_store_dwordx2 v18, v[16:17], s[34:35]
	ds_write_b64 v18, v[14:15] offset:11264
.LBB919_100:
	s_or_b64 exec, exec, s[30:31]
	s_and_b64 exec, exec, s[0:1]
	s_cbranch_execz .LBB919_102
; %bb.101:
	v_mov_b32_e32 v14, 0
	ds_write_b32 v14, v15 offset:12
.LBB919_102:
	s_or_b64 exec, exec, s[28:29]
	v_mov_b32_e32 v14, 0
	s_waitcnt lgkmcnt(0)
	s_barrier
	ds_read_b32 v16, v14 offset:12
	s_waitcnt lgkmcnt(0)
	s_barrier
	ds_read_b64 v[14:15], v14 offset:11264
	v_cndmask_b32_e64 v17, v44, v42, s[16:17]
	v_cndmask_b32_e64 v17, v17, 0, s[0:1]
	v_add_u32_e32 v56, v16, v17
	s_waitcnt lgkmcnt(0)
	v_mov_b32_e32 v16, v15
	s_branch .LBB919_113
.LBB919_103:
                                        ; implicit-def: $vgpr16
                                        ; implicit-def: $vgpr14
                                        ; implicit-def: $vgpr56
	s_cbranch_execz .LBB919_113
; %bb.104:
	s_nop 0
	v_mov_b32_dpp v14, v40 row_shr:1 row_mask:0xf bank_mask:0xf
	v_cndmask_b32_e64 v14, v14, 0, s[14:15]
	v_add_u32_e32 v14, v14, v40
	s_nop 1
	v_mov_b32_dpp v15, v14 row_shr:2 row_mask:0xf bank_mask:0xf
	v_cndmask_b32_e64 v15, 0, v15, s[12:13]
	v_add_u32_e32 v14, v14, v15
	;; [unrolled: 4-line block ×4, first 2 shown]
	s_nop 1
	v_mov_b32_dpp v15, v14 row_bcast:15 row_mask:0xf bank_mask:0xf
	v_cndmask_b32_e64 v15, v15, 0, s[6:7]
	v_add_u32_e32 v14, v14, v15
	s_nop 1
	v_mov_b32_dpp v15, v14 row_bcast:31 row_mask:0xf bank_mask:0xf
	v_cndmask_b32_e64 v15, 0, v15, s[2:3]
	v_add_u32_e32 v14, v14, v15
	s_and_saveexec_b64 s[2:3], s[4:5]
	s_cbranch_execz .LBB919_106
; %bb.105:
	v_lshlrev_b32_e32 v15, 2, v38
	ds_write_b32 v15, v14
.LBB919_106:
	s_or_b64 exec, exec, s[2:3]
	v_cmp_gt_u32_e32 vcc, 4, v0
	s_waitcnt lgkmcnt(0)
	s_barrier
	s_and_saveexec_b64 s[2:3], vcc
	s_cbranch_execz .LBB919_108
; %bb.107:
	v_lshlrev_b32_e32 v15, 2, v0
	ds_read_b32 v16, v15
	v_and_b32_e32 v17, 3, v36
	v_cmp_ne_u32_e32 vcc, 0, v17
	s_waitcnt lgkmcnt(0)
	v_mov_b32_dpp v18, v16 row_shr:1 row_mask:0xf bank_mask:0xf
	v_cndmask_b32_e32 v18, 0, v18, vcc
	v_add_u32_e32 v16, v18, v16
	v_cmp_lt_u32_e32 vcc, 1, v17
	s_nop 0
	v_mov_b32_dpp v18, v16 row_shr:2 row_mask:0xf bank_mask:0xf
	v_cndmask_b32_e32 v17, 0, v18, vcc
	v_add_u32_e32 v16, v16, v17
	ds_write_b32 v15, v16
.LBB919_108:
	s_or_b64 exec, exec, s[2:3]
	v_cmp_lt_u32_e32 vcc, 63, v0
	v_mov_b32_e32 v15, 0
	v_mov_b32_e32 v16, 0
	s_waitcnt lgkmcnt(0)
	s_barrier
	s_and_saveexec_b64 s[2:3], vcc
	s_cbranch_execz .LBB919_110
; %bb.109:
	v_lshl_add_u32 v16, v38, 2, -4
	ds_read_b32 v16, v16
.LBB919_110:
	s_or_b64 exec, exec, s[2:3]
	v_add_u32_e32 v17, -1, v36
	v_and_b32_e32 v18, 64, v36
	v_cmp_lt_i32_e32 vcc, v17, v18
	v_cndmask_b32_e32 v17, v17, v36, vcc
	s_waitcnt lgkmcnt(0)
	v_add_u32_e32 v14, v16, v14
	v_lshlrev_b32_e32 v17, 2, v17
	ds_bpermute_b32 v17, v17, v14
	ds_read_b32 v14, v15 offset:12
	s_and_saveexec_b64 s[2:3], s[0:1]
	s_cbranch_execz .LBB919_112
; %bb.111:
	v_mov_b32_e32 v18, 0
	v_mov_b32_e32 v15, 2
	s_waitcnt lgkmcnt(0)
	global_store_dwordx2 v18, v[14:15], s[26:27] offset:512
.LBB919_112:
	s_or_b64 exec, exec, s[2:3]
	v_cmp_eq_u32_e32 vcc, 0, v36
	s_waitcnt lgkmcnt(1)
	v_cndmask_b32_e32 v15, v17, v16, vcc
	v_mov_b32_e32 v16, 0
	v_cndmask_b32_e64 v56, v15, 0, s[0:1]
	s_waitcnt lgkmcnt(0)
	s_barrier
.LBB919_113:
	v_add_u32_e32 v60, v56, v24
	v_add_u32_e32 v58, v60, v25
	;; [unrolled: 1-line block ×19, first 2 shown]
	s_movk_i32 s2, 0x101
	v_add_u32_e32 v20, v22, v51
	v_cmp_gt_u32_e32 vcc, s2, v14
	v_add_u32_sdwa v18, v20, v64 dst_sel:DWORD dst_unused:UNUSED_PAD src0_sel:DWORD src1_sel:BYTE_0
	s_mov_b64 s[2:3], -1
	s_cbranch_vccnz .LBB919_117
; %bb.114:
	s_and_b64 vcc, exec, s[2:3]
	s_cbranch_vccnz .LBB919_184
.LBB919_115:
	s_and_b64 s[0:1], s[0:1], s[18:19]
	s_and_saveexec_b64 s[2:3], s[0:1]
	s_cbranch_execnz .LBB919_244
.LBB919_116:
	s_endpgm
.LBB919_117:
	v_lshlrev_b64 v[86:87], 1, v[8:9]
	v_mov_b32_e32 v17, s25
	v_add_co_u32_e32 v15, vcc, s24, v86
	v_add_u32_e32 v19, v16, v14
	v_addc_co_u32_e32 v17, vcc, v17, v87, vcc
	v_cmp_lt_u32_e32 vcc, v56, v19
	s_or_b64 s[4:5], s[22:23], vcc
	s_and_saveexec_b64 s[2:3], s[4:5]
	s_cbranch_execz .LBB919_120
; %bb.118:
	v_and_b32_e32 v21, 1, v84
	v_cmp_eq_u32_e32 vcc, 1, v21
	s_and_b64 exec, exec, vcc
	s_cbranch_execz .LBB919_120
; %bb.119:
	v_mov_b32_e32 v57, 0
	v_lshlrev_b64 v[86:87], 1, v[56:57]
	v_add_co_u32_e32 v86, vcc, v15, v86
	v_addc_co_u32_e32 v87, vcc, v17, v87, vcc
	global_store_short v[86:87], v12, off
.LBB919_120:
	s_or_b64 exec, exec, s[2:3]
	v_cmp_lt_u32_e32 vcc, v60, v19
	s_or_b64 s[4:5], s[22:23], vcc
	s_and_saveexec_b64 s[2:3], s[4:5]
	s_cbranch_execz .LBB919_123
; %bb.121:
	v_and_b32_e32 v21, 1, v83
	v_cmp_eq_u32_e32 vcc, 1, v21
	s_and_b64 exec, exec, vcc
	s_cbranch_execz .LBB919_123
; %bb.122:
	v_mov_b32_e32 v61, 0
	v_lshlrev_b64 v[86:87], 1, v[60:61]
	v_add_co_u32_e32 v86, vcc, v15, v86
	v_addc_co_u32_e32 v87, vcc, v17, v87, vcc
	global_store_short_d16_hi v[86:87], v12, off
.LBB919_123:
	s_or_b64 exec, exec, s[2:3]
	v_cmp_lt_u32_e32 vcc, v58, v19
	s_or_b64 s[4:5], s[22:23], vcc
	s_and_saveexec_b64 s[2:3], s[4:5]
	s_cbranch_execz .LBB919_126
; %bb.124:
	v_and_b32_e32 v21, 1, v82
	v_cmp_eq_u32_e32 vcc, 1, v21
	s_and_b64 exec, exec, vcc
	s_cbranch_execz .LBB919_126
; %bb.125:
	v_mov_b32_e32 v59, 0
	v_lshlrev_b64 v[86:87], 1, v[58:59]
	v_add_co_u32_e32 v86, vcc, v15, v86
	v_addc_co_u32_e32 v87, vcc, v17, v87, vcc
	global_store_short v[86:87], v13, off
.LBB919_126:
	s_or_b64 exec, exec, s[2:3]
	v_cmp_lt_u32_e32 vcc, v54, v19
	s_or_b64 s[4:5], s[22:23], vcc
	s_and_saveexec_b64 s[2:3], s[4:5]
	s_cbranch_execz .LBB919_129
; %bb.127:
	v_and_b32_e32 v21, 1, v81
	v_cmp_eq_u32_e32 vcc, 1, v21
	s_and_b64 exec, exec, vcc
	s_cbranch_execz .LBB919_129
; %bb.128:
	v_mov_b32_e32 v55, 0
	v_lshlrev_b64 v[86:87], 1, v[54:55]
	v_add_co_u32_e32 v86, vcc, v15, v86
	v_addc_co_u32_e32 v87, vcc, v17, v87, vcc
	global_store_short_d16_hi v[86:87], v13, off
.LBB919_129:
	s_or_b64 exec, exec, s[2:3]
	;; [unrolled: 34-line block ×10, first 2 shown]
	v_cmp_lt_u32_e32 vcc, v20, v19
	s_or_b64 s[4:5], s[22:23], vcc
	s_and_saveexec_b64 s[2:3], s[4:5]
	s_cbranch_execz .LBB919_180
; %bb.178:
	v_and_b32_e32 v21, 1, v64
	v_cmp_eq_u32_e32 vcc, 1, v21
	s_and_b64 exec, exec, vcc
	s_cbranch_execz .LBB919_180
; %bb.179:
	v_mov_b32_e32 v21, 0
	v_lshlrev_b64 v[86:87], 1, v[20:21]
	v_add_co_u32_e32 v86, vcc, v15, v86
	v_addc_co_u32_e32 v87, vcc, v17, v87, vcc
	global_store_short v[86:87], v62, off
.LBB919_180:
	s_or_b64 exec, exec, s[2:3]
	v_cmp_lt_u32_e32 vcc, v18, v19
	s_or_b64 s[4:5], s[22:23], vcc
	s_and_saveexec_b64 s[2:3], s[4:5]
	s_cbranch_execz .LBB919_183
; %bb.181:
	v_and_b32_e32 v19, 1, v63
	v_cmp_eq_u32_e32 vcc, 1, v19
	s_and_b64 exec, exec, vcc
	s_cbranch_execz .LBB919_183
; %bb.182:
	v_mov_b32_e32 v19, 0
	v_lshlrev_b64 v[86:87], 1, v[18:19]
	v_add_co_u32_e32 v86, vcc, v15, v86
	v_addc_co_u32_e32 v87, vcc, v17, v87, vcc
	global_store_short v[86:87], v1, off
.LBB919_183:
	s_or_b64 exec, exec, s[2:3]
	s_branch .LBB919_115
.LBB919_184:
	v_and_b32_e32 v15, 1, v84
	v_cmp_eq_u32_e32 vcc, 1, v15
	s_and_saveexec_b64 s[2:3], vcc
	s_cbranch_execz .LBB919_186
; %bb.185:
	v_sub_u32_e32 v15, v56, v16
	v_lshlrev_b32_e32 v15, 1, v15
	ds_write_b16 v15, v12
.LBB919_186:
	s_or_b64 exec, exec, s[2:3]
	v_and_b32_e32 v15, 1, v83
	v_cmp_eq_u32_e32 vcc, 1, v15
	s_and_saveexec_b64 s[2:3], vcc
	s_cbranch_execz .LBB919_188
; %bb.187:
	v_sub_u32_e32 v15, v60, v16
	v_lshlrev_b32_e32 v15, 1, v15
	ds_write_b16_d16_hi v15, v12
.LBB919_188:
	s_or_b64 exec, exec, s[2:3]
	v_and_b32_e32 v12, 1, v82
	v_cmp_eq_u32_e32 vcc, 1, v12
	s_and_saveexec_b64 s[2:3], vcc
	s_cbranch_execz .LBB919_190
; %bb.189:
	v_sub_u32_e32 v12, v58, v16
	v_lshlrev_b32_e32 v12, 1, v12
	ds_write_b16 v12, v13
.LBB919_190:
	s_or_b64 exec, exec, s[2:3]
	v_and_b32_e32 v12, 1, v81
	v_cmp_eq_u32_e32 vcc, 1, v12
	s_and_saveexec_b64 s[2:3], vcc
	s_cbranch_execz .LBB919_192
; %bb.191:
	v_sub_u32_e32 v12, v54, v16
	v_lshlrev_b32_e32 v12, 1, v12
	ds_write_b16_d16_hi v12, v13
.LBB919_192:
	s_or_b64 exec, exec, s[2:3]
	;; [unrolled: 20-line block ×10, first 2 shown]
	v_and_b32_e32 v2, 1, v64
	v_cmp_eq_u32_e32 vcc, 1, v2
	s_and_saveexec_b64 s[2:3], vcc
	s_cbranch_execz .LBB919_226
; %bb.225:
	v_sub_u32_e32 v2, v20, v16
	v_lshlrev_b32_e32 v2, 1, v2
	ds_write_b16 v2, v62
.LBB919_226:
	s_or_b64 exec, exec, s[2:3]
	v_and_b32_e32 v2, 1, v63
	v_cmp_eq_u32_e32 vcc, 1, v2
	s_and_saveexec_b64 s[2:3], vcc
	s_cbranch_execz .LBB919_228
; %bb.227:
	v_sub_u32_e32 v2, v18, v16
	v_lshlrev_b32_e32 v2, 1, v2
	ds_write_b16 v2, v1
.LBB919_228:
	s_or_b64 exec, exec, s[2:3]
	v_cmp_lt_u32_e32 vcc, v0, v14
	s_waitcnt lgkmcnt(0)
	s_barrier
	s_and_saveexec_b64 s[6:7], vcc
	s_cbranch_execz .LBB919_243
; %bb.229:
	v_lshlrev_b64 v[2:3], 1, v[8:9]
	v_mov_b32_e32 v17, 0
	v_mov_b32_e32 v1, s25
	v_add_co_u32_e32 v4, vcc, s24, v2
	v_addc_co_u32_e32 v1, vcc, v1, v3, vcc
	v_lshlrev_b64 v[2:3], 1, v[16:17]
	v_add_co_u32_e32 v12, vcc, v4, v2
	v_addc_co_u32_e32 v13, vcc, v1, v3, vcc
	v_xad_u32 v1, v0, -1, v14
	s_movk_i32 s2, 0x1700
	v_cmp_gt_u32_e32 vcc, s2, v1
	s_movk_i32 s2, 0x16ff
	v_cmp_lt_u32_e64 s[2:3], s2, v1
	s_and_saveexec_b64 s[8:9], s[2:3]
	s_cbranch_execz .LBB919_240
; %bb.230:
	v_sub_u32_e32 v2, v0, v14
	v_or_b32_e32 v2, 0xff, v2
	v_cmp_ge_u32_e64 s[2:3], v2, v0
	s_mov_b64 s[4:5], -1
	s_and_saveexec_b64 s[10:11], s[2:3]
	s_cbranch_execz .LBB919_239
; %bb.231:
	v_lshrrev_b32_e32 v15, 8, v1
	v_add_u32_e32 v4, -3, v15
	v_or_b32_e32 v3, 0x300, v0
	v_or_b32_e32 v2, 0x200, v0
	v_lshrrev_b32_e32 v5, 2, v4
	v_or_b32_e32 v1, 0x100, v0
	v_add_u32_e32 v18, 1, v5
	v_cmp_lt_u32_e64 s[2:3], 11, v4
	v_pk_mov_b32 v[6:7], v[2:3], v[2:3] op_sel:[0,1]
	v_mov_b32_e32 v21, 0
	v_lshlrev_b32_e32 v17, 1, v0
	v_pk_mov_b32 v[4:5], v[0:1], v[0:1] op_sel:[0,1]
	s_and_saveexec_b64 s[12:13], s[2:3]
	s_cbranch_execz .LBB919_235
; %bb.232:
	v_pk_mov_b32 v[6:7], v[2:3], v[2:3] op_sel:[0,1]
	v_and_b32_e32 v19, 0x7ffffffc, v18
	s_mov_b32 s16, 0
	s_mov_b64 s[14:15], 0
	v_mov_b32_e32 v11, 0
	v_mov_b32_e32 v20, v17
	v_pk_mov_b32 v[4:5], v[0:1], v[0:1] op_sel:[0,1]
.LBB919_233:                            ; =>This Inner Loop Header: Depth=1
	v_mov_b32_e32 v10, v4
	v_lshlrev_b64 v[38:39], 1, v[10:11]
	v_add_u32_e32 v24, 0x400, v5
	v_mov_b32_e32 v25, v11
	v_add_co_u32_e64 v38, s[4:5], v12, v38
	v_lshlrev_b64 v[24:25], 1, v[24:25]
	v_addc_co_u32_e64 v39, s[4:5], v13, v39, s[4:5]
	v_add_u32_e32 v22, 0x400, v6
	v_mov_b32_e32 v23, v11
	v_add_co_u32_e64 v24, s[4:5], v12, v24
	v_lshlrev_b64 v[22:23], 1, v[22:23]
	v_addc_co_u32_e64 v25, s[4:5], v13, v25, s[4:5]
	v_add_u32_e32 v2, 0x400, v7
	v_mov_b32_e32 v3, v11
	v_add_co_u32_e64 v22, s[4:5], v12, v22
	v_add_u32_e32 v19, -4, v19
	v_mov_b32_e32 v10, v5
	v_lshlrev_b64 v[2:3], 1, v[2:3]
	v_addc_co_u32_e64 v23, s[4:5], v13, v23, s[4:5]
	v_add_u32_e32 v30, 0x800, v5
	v_mov_b32_e32 v31, v11
	s_add_i32 s16, s16, 16
	v_cmp_eq_u32_e64 s[2:3], 0, v19
	v_lshlrev_b64 v[40:41], 1, v[10:11]
	v_add_co_u32_e64 v2, s[4:5], v12, v2
	v_lshlrev_b64 v[30:31], 1, v[30:31]
	v_mov_b32_e32 v10, v6
	v_addc_co_u32_e64 v3, s[4:5], v13, v3, s[4:5]
	s_or_b64 s[14:15], s[2:3], s[14:15]
	v_add_co_u32_e64 v40, s[2:3], v12, v40
	v_add_u32_e32 v28, 0x800, v6
	v_mov_b32_e32 v29, v11
	v_add_co_u32_e64 v30, s[4:5], v12, v30
	v_addc_co_u32_e64 v41, s[2:3], v13, v41, s[2:3]
	v_lshlrev_b64 v[42:43], 1, v[10:11]
	v_lshlrev_b64 v[28:29], 1, v[28:29]
	v_addc_co_u32_e64 v31, s[4:5], v13, v31, s[4:5]
	v_mov_b32_e32 v10, v7
	v_add_co_u32_e64 v42, s[2:3], v12, v42
	ds_read_u16 v1, v20
	ds_read_u16 v46, v20 offset:512
	ds_read_u16 v47, v20 offset:1024
	ds_read_u16 v48, v20 offset:1536
	ds_read_u16 v49, v20 offset:2048
	ds_read_u16 v50, v20 offset:2560
	ds_read_u16 v51, v20 offset:3072
	ds_read_u16 v52, v20 offset:3584
	v_add_u32_e32 v26, 0x800, v7
	v_mov_b32_e32 v27, v11
	v_add_co_u32_e64 v28, s[4:5], v12, v28
	v_addc_co_u32_e64 v43, s[2:3], v13, v43, s[2:3]
	v_lshlrev_b64 v[44:45], 1, v[10:11]
	v_lshlrev_b64 v[26:27], 1, v[26:27]
	v_addc_co_u32_e64 v29, s[4:5], v13, v29, s[4:5]
	v_add_u32_e32 v10, 0x400, v4
	v_add_co_u32_e64 v44, s[2:3], v12, v44
	v_add_u32_e32 v36, 0xc00, v5
	v_mov_b32_e32 v37, v11
	ds_read_u16 v53, v20 offset:4096
	ds_read_u16 v54, v20 offset:4608
	;; [unrolled: 1-line block ×8, first 2 shown]
	v_add_co_u32_e64 v26, s[4:5], v12, v26
	v_addc_co_u32_e64 v45, s[2:3], v13, v45, s[2:3]
	s_waitcnt lgkmcnt(14)
	global_store_short v[38:39], v1, off
	global_store_short v[40:41], v46, off
	s_waitcnt lgkmcnt(13)
	global_store_short v[42:43], v47, off
	v_lshlrev_b64 v[38:39], 1, v[10:11]
	v_lshlrev_b64 v[36:37], 1, v[36:37]
	v_addc_co_u32_e64 v27, s[4:5], v13, v27, s[4:5]
	v_add_u32_e32 v10, 0x800, v4
	v_add_co_u32_e64 v38, s[2:3], v12, v38
	v_add_u32_e32 v34, 0xc00, v6
	v_mov_b32_e32 v35, v11
	v_add_co_u32_e64 v36, s[4:5], v12, v36
	v_addc_co_u32_e64 v39, s[2:3], v13, v39, s[2:3]
	v_lshlrev_b64 v[40:41], 1, v[10:11]
	v_lshlrev_b64 v[34:35], 1, v[34:35]
	v_addc_co_u32_e64 v37, s[4:5], v13, v37, s[4:5]
	s_waitcnt lgkmcnt(12)
	global_store_short v[44:45], v48, off
	v_add_u32_e32 v10, 0xc00, v4
	s_waitcnt lgkmcnt(11)
	global_store_short v[38:39], v49, off
	s_waitcnt lgkmcnt(10)
	global_store_short v[24:25], v50, off
	;; [unrolled: 2-line block ×4, first 2 shown]
	v_add_co_u32_e64 v2, s[2:3], v12, v40
	v_add_u32_e32 v32, 0xc00, v7
	v_mov_b32_e32 v33, v11
	v_add_co_u32_e64 v34, s[4:5], v12, v34
	v_addc_co_u32_e64 v3, s[2:3], v13, v41, s[2:3]
	v_lshlrev_b64 v[22:23], 1, v[10:11]
	v_lshlrev_b64 v[32:33], 1, v[32:33]
	v_addc_co_u32_e64 v35, s[4:5], v13, v35, s[4:5]
	s_waitcnt lgkmcnt(7)
	global_store_short v[2:3], v53, off
	s_waitcnt lgkmcnt(6)
	global_store_short v[30:31], v54, off
	s_waitcnt lgkmcnt(5)
	global_store_short v[28:29], v55, off
	s_waitcnt lgkmcnt(4)
	global_store_short v[26:27], v56, off
	v_add_co_u32_e64 v2, s[2:3], v12, v22
	v_add_u32_e32 v20, 0x2000, v20
	v_add_u32_e32 v5, 0x1000, v5
	v_mov_b32_e32 v21, s16
	v_add_co_u32_e64 v32, s[4:5], v12, v32
	v_add_u32_e32 v6, 0x1000, v6
	v_add_u32_e32 v7, 0x1000, v7
	;; [unrolled: 1-line block ×3, first 2 shown]
	v_addc_co_u32_e64 v3, s[2:3], v13, v23, s[2:3]
	v_addc_co_u32_e64 v33, s[4:5], v13, v33, s[4:5]
	s_waitcnt lgkmcnt(3)
	global_store_short v[2:3], v57, off
	s_waitcnt lgkmcnt(2)
	global_store_short v[36:37], v58, off
	;; [unrolled: 2-line block ×4, first 2 shown]
	s_andn2_b64 exec, exec, s[14:15]
	s_cbranch_execnz .LBB919_233
; %bb.234:
	s_or_b64 exec, exec, s[14:15]
.LBB919_235:
	s_or_b64 exec, exec, s[12:13]
	v_and_b32_e32 v1, 3, v18
	v_cmp_ne_u32_e64 s[2:3], 0, v1
	s_and_saveexec_b64 s[12:13], s[2:3]
	s_cbranch_execz .LBB919_238
; %bb.236:
	v_lshl_or_b32 v10, v21, 9, v17
	s_mov_b64 s[14:15], 0
	v_mov_b32_e32 v3, 0
.LBB919_237:                            ; =>This Inner Loop Header: Depth=1
	v_mov_b32_e32 v2, v4
	v_add_u32_e32 v1, -1, v1
	v_lshlrev_b64 v[18:19], 1, v[2:3]
	v_mov_b32_e32 v2, v5
	v_cmp_eq_u32_e64 s[2:3], 0, v1
	v_lshlrev_b64 v[20:21], 1, v[2:3]
	ds_read_u16 v11, v10
	ds_read_u16 v17, v10 offset:512
	ds_read_u16 v26, v10 offset:1024
	ds_read_u16 v27, v10 offset:1536
	v_mov_b32_e32 v2, v6
	s_or_b64 s[14:15], s[2:3], s[14:15]
	v_add_co_u32_e64 v20, s[2:3], v12, v20
	v_addc_co_u32_e64 v21, s[2:3], v13, v21, s[2:3]
	v_lshlrev_b64 v[22:23], 1, v[2:3]
	v_mov_b32_e32 v2, v7
	v_add_co_u32_e64 v22, s[2:3], v12, v22
	v_add_co_u32_e64 v18, s[4:5], v12, v18
	v_addc_co_u32_e64 v23, s[2:3], v13, v23, s[2:3]
	v_lshlrev_b64 v[24:25], 1, v[2:3]
	v_add_u32_e32 v4, 0x400, v4
	v_add_u32_e32 v10, 0x800, v10
	;; [unrolled: 1-line block ×3, first 2 shown]
	v_addc_co_u32_e64 v19, s[4:5], v13, v19, s[4:5]
	v_add_u32_e32 v6, 0x400, v6
	v_add_u32_e32 v7, 0x400, v7
	v_add_co_u32_e64 v24, s[2:3], v12, v24
	v_addc_co_u32_e64 v25, s[2:3], v13, v25, s[2:3]
	s_waitcnt lgkmcnt(3)
	global_store_short v[18:19], v11, off
	s_waitcnt lgkmcnt(2)
	global_store_short v[20:21], v17, off
	;; [unrolled: 2-line block ×4, first 2 shown]
	s_andn2_b64 exec, exec, s[14:15]
	s_cbranch_execnz .LBB919_237
.LBB919_238:
	s_or_b64 exec, exec, s[12:13]
	v_add_u32_e32 v1, 1, v15
	v_and_b32_e32 v2, 0x1fffffc, v1
	v_cmp_ne_u32_e64 s[2:3], v1, v2
	v_lshl_or_b32 v0, v2, 8, v0
	s_orn2_b64 s[4:5], s[2:3], exec
.LBB919_239:
	s_or_b64 exec, exec, s[10:11]
	s_andn2_b64 s[2:3], vcc, exec
	s_and_b64 s[4:5], s[4:5], exec
	s_or_b64 vcc, s[2:3], s[4:5]
.LBB919_240:
	s_or_b64 exec, exec, s[8:9]
	s_and_b64 exec, exec, vcc
	s_cbranch_execz .LBB919_243
; %bb.241:
	v_lshlrev_b32_e32 v2, 1, v0
	s_mov_b64 s[2:3], 0
	v_mov_b32_e32 v1, 0
.LBB919_242:                            ; =>This Inner Loop Header: Depth=1
	v_lshlrev_b64 v[4:5], 1, v[0:1]
	ds_read_u16 v3, v2
	v_add_co_u32_e32 v4, vcc, v12, v4
	v_add_u32_e32 v0, 0x100, v0
	v_addc_co_u32_e32 v5, vcc, v13, v5, vcc
	v_cmp_ge_u32_e32 vcc, v0, v14
	v_add_u32_e32 v2, 0x200, v2
	s_or_b64 s[2:3], vcc, s[2:3]
	s_waitcnt lgkmcnt(0)
	global_store_short v[4:5], v3, off
	s_andn2_b64 exec, exec, s[2:3]
	s_cbranch_execnz .LBB919_242
.LBB919_243:
	s_or_b64 exec, exec, s[6:7]
	s_and_b64 s[0:1], s[0:1], s[18:19]
	s_and_saveexec_b64 s[2:3], s[0:1]
	s_cbranch_execz .LBB919_116
.LBB919_244:
	v_add_co_u32_e32 v0, vcc, v8, v14
	v_addc_co_u32_e32 v1, vcc, 0, v9, vcc
	v_add_co_u32_e32 v0, vcc, v0, v16
	v_mov_b32_e32 v2, 0
	v_addc_co_u32_e32 v1, vcc, 0, v1, vcc
	global_store_dwordx2 v2, v[0:1], s[20:21]
	s_endpgm
	.section	.rodata,"a",@progbits
	.p2align	6, 0x0
	.amdhsa_kernel _ZN7rocprim17ROCPRIM_400000_NS6detail17trampoline_kernelINS0_14default_configENS1_25partition_config_selectorILNS1_17partition_subalgoE8EN3c104HalfENS0_10empty_typeEbEEZZNS1_14partition_implILS5_8ELb0ES3_jPKS7_PS8_PKS8_NS0_5tupleIJPS7_S8_EEENSG_IJSD_SD_EEENS0_18inequality_wrapperIN6hipcub16HIPCUB_304000_NS8EqualityEEEPlJS8_EEE10hipError_tPvRmT3_T4_T5_T6_T7_T9_mT8_P12ihipStream_tbDpT10_ENKUlT_T0_E_clISt17integral_constantIbLb0EES18_IbLb1EEEEDaS14_S15_EUlS14_E_NS1_11comp_targetILNS1_3genE4ELNS1_11target_archE910ELNS1_3gpuE8ELNS1_3repE0EEENS1_30default_config_static_selectorELNS0_4arch9wavefront6targetE1EEEvT1_
		.amdhsa_group_segment_fixed_size 11272
		.amdhsa_private_segment_fixed_size 0
		.amdhsa_kernarg_size 128
		.amdhsa_user_sgpr_count 6
		.amdhsa_user_sgpr_private_segment_buffer 1
		.amdhsa_user_sgpr_dispatch_ptr 0
		.amdhsa_user_sgpr_queue_ptr 0
		.amdhsa_user_sgpr_kernarg_segment_ptr 1
		.amdhsa_user_sgpr_dispatch_id 0
		.amdhsa_user_sgpr_flat_scratch_init 0
		.amdhsa_user_sgpr_kernarg_preload_length 0
		.amdhsa_user_sgpr_kernarg_preload_offset 0
		.amdhsa_user_sgpr_private_segment_size 0
		.amdhsa_uses_dynamic_stack 0
		.amdhsa_system_sgpr_private_segment_wavefront_offset 0
		.amdhsa_system_sgpr_workgroup_id_x 1
		.amdhsa_system_sgpr_workgroup_id_y 0
		.amdhsa_system_sgpr_workgroup_id_z 0
		.amdhsa_system_sgpr_workgroup_info 0
		.amdhsa_system_vgpr_workitem_id 0
		.amdhsa_next_free_vgpr 88
		.amdhsa_next_free_sgpr 65
		.amdhsa_accum_offset 88
		.amdhsa_reserve_vcc 1
		.amdhsa_reserve_flat_scratch 0
		.amdhsa_float_round_mode_32 0
		.amdhsa_float_round_mode_16_64 0
		.amdhsa_float_denorm_mode_32 3
		.amdhsa_float_denorm_mode_16_64 3
		.amdhsa_dx10_clamp 1
		.amdhsa_ieee_mode 1
		.amdhsa_fp16_overflow 0
		.amdhsa_tg_split 0
		.amdhsa_exception_fp_ieee_invalid_op 0
		.amdhsa_exception_fp_denorm_src 0
		.amdhsa_exception_fp_ieee_div_zero 0
		.amdhsa_exception_fp_ieee_overflow 0
		.amdhsa_exception_fp_ieee_underflow 0
		.amdhsa_exception_fp_ieee_inexact 0
		.amdhsa_exception_int_div_zero 0
	.end_amdhsa_kernel
	.section	.text._ZN7rocprim17ROCPRIM_400000_NS6detail17trampoline_kernelINS0_14default_configENS1_25partition_config_selectorILNS1_17partition_subalgoE8EN3c104HalfENS0_10empty_typeEbEEZZNS1_14partition_implILS5_8ELb0ES3_jPKS7_PS8_PKS8_NS0_5tupleIJPS7_S8_EEENSG_IJSD_SD_EEENS0_18inequality_wrapperIN6hipcub16HIPCUB_304000_NS8EqualityEEEPlJS8_EEE10hipError_tPvRmT3_T4_T5_T6_T7_T9_mT8_P12ihipStream_tbDpT10_ENKUlT_T0_E_clISt17integral_constantIbLb0EES18_IbLb1EEEEDaS14_S15_EUlS14_E_NS1_11comp_targetILNS1_3genE4ELNS1_11target_archE910ELNS1_3gpuE8ELNS1_3repE0EEENS1_30default_config_static_selectorELNS0_4arch9wavefront6targetE1EEEvT1_,"axG",@progbits,_ZN7rocprim17ROCPRIM_400000_NS6detail17trampoline_kernelINS0_14default_configENS1_25partition_config_selectorILNS1_17partition_subalgoE8EN3c104HalfENS0_10empty_typeEbEEZZNS1_14partition_implILS5_8ELb0ES3_jPKS7_PS8_PKS8_NS0_5tupleIJPS7_S8_EEENSG_IJSD_SD_EEENS0_18inequality_wrapperIN6hipcub16HIPCUB_304000_NS8EqualityEEEPlJS8_EEE10hipError_tPvRmT3_T4_T5_T6_T7_T9_mT8_P12ihipStream_tbDpT10_ENKUlT_T0_E_clISt17integral_constantIbLb0EES18_IbLb1EEEEDaS14_S15_EUlS14_E_NS1_11comp_targetILNS1_3genE4ELNS1_11target_archE910ELNS1_3gpuE8ELNS1_3repE0EEENS1_30default_config_static_selectorELNS0_4arch9wavefront6targetE1EEEvT1_,comdat
.Lfunc_end919:
	.size	_ZN7rocprim17ROCPRIM_400000_NS6detail17trampoline_kernelINS0_14default_configENS1_25partition_config_selectorILNS1_17partition_subalgoE8EN3c104HalfENS0_10empty_typeEbEEZZNS1_14partition_implILS5_8ELb0ES3_jPKS7_PS8_PKS8_NS0_5tupleIJPS7_S8_EEENSG_IJSD_SD_EEENS0_18inequality_wrapperIN6hipcub16HIPCUB_304000_NS8EqualityEEEPlJS8_EEE10hipError_tPvRmT3_T4_T5_T6_T7_T9_mT8_P12ihipStream_tbDpT10_ENKUlT_T0_E_clISt17integral_constantIbLb0EES18_IbLb1EEEEDaS14_S15_EUlS14_E_NS1_11comp_targetILNS1_3genE4ELNS1_11target_archE910ELNS1_3gpuE8ELNS1_3repE0EEENS1_30default_config_static_selectorELNS0_4arch9wavefront6targetE1EEEvT1_, .Lfunc_end919-_ZN7rocprim17ROCPRIM_400000_NS6detail17trampoline_kernelINS0_14default_configENS1_25partition_config_selectorILNS1_17partition_subalgoE8EN3c104HalfENS0_10empty_typeEbEEZZNS1_14partition_implILS5_8ELb0ES3_jPKS7_PS8_PKS8_NS0_5tupleIJPS7_S8_EEENSG_IJSD_SD_EEENS0_18inequality_wrapperIN6hipcub16HIPCUB_304000_NS8EqualityEEEPlJS8_EEE10hipError_tPvRmT3_T4_T5_T6_T7_T9_mT8_P12ihipStream_tbDpT10_ENKUlT_T0_E_clISt17integral_constantIbLb0EES18_IbLb1EEEEDaS14_S15_EUlS14_E_NS1_11comp_targetILNS1_3genE4ELNS1_11target_archE910ELNS1_3gpuE8ELNS1_3repE0EEENS1_30default_config_static_selectorELNS0_4arch9wavefront6targetE1EEEvT1_
                                        ; -- End function
	.section	.AMDGPU.csdata,"",@progbits
; Kernel info:
; codeLenInByte = 10728
; NumSgprs: 69
; NumVgprs: 88
; NumAgprs: 0
; TotalNumVgprs: 88
; ScratchSize: 0
; MemoryBound: 0
; FloatMode: 240
; IeeeMode: 1
; LDSByteSize: 11272 bytes/workgroup (compile time only)
; SGPRBlocks: 8
; VGPRBlocks: 10
; NumSGPRsForWavesPerEU: 69
; NumVGPRsForWavesPerEU: 88
; AccumOffset: 88
; Occupancy: 5
; WaveLimiterHint : 1
; COMPUTE_PGM_RSRC2:SCRATCH_EN: 0
; COMPUTE_PGM_RSRC2:USER_SGPR: 6
; COMPUTE_PGM_RSRC2:TRAP_HANDLER: 0
; COMPUTE_PGM_RSRC2:TGID_X_EN: 1
; COMPUTE_PGM_RSRC2:TGID_Y_EN: 0
; COMPUTE_PGM_RSRC2:TGID_Z_EN: 0
; COMPUTE_PGM_RSRC2:TIDIG_COMP_CNT: 0
; COMPUTE_PGM_RSRC3_GFX90A:ACCUM_OFFSET: 21
; COMPUTE_PGM_RSRC3_GFX90A:TG_SPLIT: 0
	.section	.text._ZN7rocprim17ROCPRIM_400000_NS6detail17trampoline_kernelINS0_14default_configENS1_25partition_config_selectorILNS1_17partition_subalgoE8EN3c104HalfENS0_10empty_typeEbEEZZNS1_14partition_implILS5_8ELb0ES3_jPKS7_PS8_PKS8_NS0_5tupleIJPS7_S8_EEENSG_IJSD_SD_EEENS0_18inequality_wrapperIN6hipcub16HIPCUB_304000_NS8EqualityEEEPlJS8_EEE10hipError_tPvRmT3_T4_T5_T6_T7_T9_mT8_P12ihipStream_tbDpT10_ENKUlT_T0_E_clISt17integral_constantIbLb0EES18_IbLb1EEEEDaS14_S15_EUlS14_E_NS1_11comp_targetILNS1_3genE3ELNS1_11target_archE908ELNS1_3gpuE7ELNS1_3repE0EEENS1_30default_config_static_selectorELNS0_4arch9wavefront6targetE1EEEvT1_,"axG",@progbits,_ZN7rocprim17ROCPRIM_400000_NS6detail17trampoline_kernelINS0_14default_configENS1_25partition_config_selectorILNS1_17partition_subalgoE8EN3c104HalfENS0_10empty_typeEbEEZZNS1_14partition_implILS5_8ELb0ES3_jPKS7_PS8_PKS8_NS0_5tupleIJPS7_S8_EEENSG_IJSD_SD_EEENS0_18inequality_wrapperIN6hipcub16HIPCUB_304000_NS8EqualityEEEPlJS8_EEE10hipError_tPvRmT3_T4_T5_T6_T7_T9_mT8_P12ihipStream_tbDpT10_ENKUlT_T0_E_clISt17integral_constantIbLb0EES18_IbLb1EEEEDaS14_S15_EUlS14_E_NS1_11comp_targetILNS1_3genE3ELNS1_11target_archE908ELNS1_3gpuE7ELNS1_3repE0EEENS1_30default_config_static_selectorELNS0_4arch9wavefront6targetE1EEEvT1_,comdat
	.protected	_ZN7rocprim17ROCPRIM_400000_NS6detail17trampoline_kernelINS0_14default_configENS1_25partition_config_selectorILNS1_17partition_subalgoE8EN3c104HalfENS0_10empty_typeEbEEZZNS1_14partition_implILS5_8ELb0ES3_jPKS7_PS8_PKS8_NS0_5tupleIJPS7_S8_EEENSG_IJSD_SD_EEENS0_18inequality_wrapperIN6hipcub16HIPCUB_304000_NS8EqualityEEEPlJS8_EEE10hipError_tPvRmT3_T4_T5_T6_T7_T9_mT8_P12ihipStream_tbDpT10_ENKUlT_T0_E_clISt17integral_constantIbLb0EES18_IbLb1EEEEDaS14_S15_EUlS14_E_NS1_11comp_targetILNS1_3genE3ELNS1_11target_archE908ELNS1_3gpuE7ELNS1_3repE0EEENS1_30default_config_static_selectorELNS0_4arch9wavefront6targetE1EEEvT1_ ; -- Begin function _ZN7rocprim17ROCPRIM_400000_NS6detail17trampoline_kernelINS0_14default_configENS1_25partition_config_selectorILNS1_17partition_subalgoE8EN3c104HalfENS0_10empty_typeEbEEZZNS1_14partition_implILS5_8ELb0ES3_jPKS7_PS8_PKS8_NS0_5tupleIJPS7_S8_EEENSG_IJSD_SD_EEENS0_18inequality_wrapperIN6hipcub16HIPCUB_304000_NS8EqualityEEEPlJS8_EEE10hipError_tPvRmT3_T4_T5_T6_T7_T9_mT8_P12ihipStream_tbDpT10_ENKUlT_T0_E_clISt17integral_constantIbLb0EES18_IbLb1EEEEDaS14_S15_EUlS14_E_NS1_11comp_targetILNS1_3genE3ELNS1_11target_archE908ELNS1_3gpuE7ELNS1_3repE0EEENS1_30default_config_static_selectorELNS0_4arch9wavefront6targetE1EEEvT1_
	.globl	_ZN7rocprim17ROCPRIM_400000_NS6detail17trampoline_kernelINS0_14default_configENS1_25partition_config_selectorILNS1_17partition_subalgoE8EN3c104HalfENS0_10empty_typeEbEEZZNS1_14partition_implILS5_8ELb0ES3_jPKS7_PS8_PKS8_NS0_5tupleIJPS7_S8_EEENSG_IJSD_SD_EEENS0_18inequality_wrapperIN6hipcub16HIPCUB_304000_NS8EqualityEEEPlJS8_EEE10hipError_tPvRmT3_T4_T5_T6_T7_T9_mT8_P12ihipStream_tbDpT10_ENKUlT_T0_E_clISt17integral_constantIbLb0EES18_IbLb1EEEEDaS14_S15_EUlS14_E_NS1_11comp_targetILNS1_3genE3ELNS1_11target_archE908ELNS1_3gpuE7ELNS1_3repE0EEENS1_30default_config_static_selectorELNS0_4arch9wavefront6targetE1EEEvT1_
	.p2align	8
	.type	_ZN7rocprim17ROCPRIM_400000_NS6detail17trampoline_kernelINS0_14default_configENS1_25partition_config_selectorILNS1_17partition_subalgoE8EN3c104HalfENS0_10empty_typeEbEEZZNS1_14partition_implILS5_8ELb0ES3_jPKS7_PS8_PKS8_NS0_5tupleIJPS7_S8_EEENSG_IJSD_SD_EEENS0_18inequality_wrapperIN6hipcub16HIPCUB_304000_NS8EqualityEEEPlJS8_EEE10hipError_tPvRmT3_T4_T5_T6_T7_T9_mT8_P12ihipStream_tbDpT10_ENKUlT_T0_E_clISt17integral_constantIbLb0EES18_IbLb1EEEEDaS14_S15_EUlS14_E_NS1_11comp_targetILNS1_3genE3ELNS1_11target_archE908ELNS1_3gpuE7ELNS1_3repE0EEENS1_30default_config_static_selectorELNS0_4arch9wavefront6targetE1EEEvT1_,@function
_ZN7rocprim17ROCPRIM_400000_NS6detail17trampoline_kernelINS0_14default_configENS1_25partition_config_selectorILNS1_17partition_subalgoE8EN3c104HalfENS0_10empty_typeEbEEZZNS1_14partition_implILS5_8ELb0ES3_jPKS7_PS8_PKS8_NS0_5tupleIJPS7_S8_EEENSG_IJSD_SD_EEENS0_18inequality_wrapperIN6hipcub16HIPCUB_304000_NS8EqualityEEEPlJS8_EEE10hipError_tPvRmT3_T4_T5_T6_T7_T9_mT8_P12ihipStream_tbDpT10_ENKUlT_T0_E_clISt17integral_constantIbLb0EES18_IbLb1EEEEDaS14_S15_EUlS14_E_NS1_11comp_targetILNS1_3genE3ELNS1_11target_archE908ELNS1_3gpuE7ELNS1_3repE0EEENS1_30default_config_static_selectorELNS0_4arch9wavefront6targetE1EEEvT1_: ; @_ZN7rocprim17ROCPRIM_400000_NS6detail17trampoline_kernelINS0_14default_configENS1_25partition_config_selectorILNS1_17partition_subalgoE8EN3c104HalfENS0_10empty_typeEbEEZZNS1_14partition_implILS5_8ELb0ES3_jPKS7_PS8_PKS8_NS0_5tupleIJPS7_S8_EEENSG_IJSD_SD_EEENS0_18inequality_wrapperIN6hipcub16HIPCUB_304000_NS8EqualityEEEPlJS8_EEE10hipError_tPvRmT3_T4_T5_T6_T7_T9_mT8_P12ihipStream_tbDpT10_ENKUlT_T0_E_clISt17integral_constantIbLb0EES18_IbLb1EEEEDaS14_S15_EUlS14_E_NS1_11comp_targetILNS1_3genE3ELNS1_11target_archE908ELNS1_3gpuE7ELNS1_3repE0EEENS1_30default_config_static_selectorELNS0_4arch9wavefront6targetE1EEEvT1_
; %bb.0:
	.section	.rodata,"a",@progbits
	.p2align	6, 0x0
	.amdhsa_kernel _ZN7rocprim17ROCPRIM_400000_NS6detail17trampoline_kernelINS0_14default_configENS1_25partition_config_selectorILNS1_17partition_subalgoE8EN3c104HalfENS0_10empty_typeEbEEZZNS1_14partition_implILS5_8ELb0ES3_jPKS7_PS8_PKS8_NS0_5tupleIJPS7_S8_EEENSG_IJSD_SD_EEENS0_18inequality_wrapperIN6hipcub16HIPCUB_304000_NS8EqualityEEEPlJS8_EEE10hipError_tPvRmT3_T4_T5_T6_T7_T9_mT8_P12ihipStream_tbDpT10_ENKUlT_T0_E_clISt17integral_constantIbLb0EES18_IbLb1EEEEDaS14_S15_EUlS14_E_NS1_11comp_targetILNS1_3genE3ELNS1_11target_archE908ELNS1_3gpuE7ELNS1_3repE0EEENS1_30default_config_static_selectorELNS0_4arch9wavefront6targetE1EEEvT1_
		.amdhsa_group_segment_fixed_size 0
		.amdhsa_private_segment_fixed_size 0
		.amdhsa_kernarg_size 128
		.amdhsa_user_sgpr_count 6
		.amdhsa_user_sgpr_private_segment_buffer 1
		.amdhsa_user_sgpr_dispatch_ptr 0
		.amdhsa_user_sgpr_queue_ptr 0
		.amdhsa_user_sgpr_kernarg_segment_ptr 1
		.amdhsa_user_sgpr_dispatch_id 0
		.amdhsa_user_sgpr_flat_scratch_init 0
		.amdhsa_user_sgpr_kernarg_preload_length 0
		.amdhsa_user_sgpr_kernarg_preload_offset 0
		.amdhsa_user_sgpr_private_segment_size 0
		.amdhsa_uses_dynamic_stack 0
		.amdhsa_system_sgpr_private_segment_wavefront_offset 0
		.amdhsa_system_sgpr_workgroup_id_x 1
		.amdhsa_system_sgpr_workgroup_id_y 0
		.amdhsa_system_sgpr_workgroup_id_z 0
		.amdhsa_system_sgpr_workgroup_info 0
		.amdhsa_system_vgpr_workitem_id 0
		.amdhsa_next_free_vgpr 1
		.amdhsa_next_free_sgpr 0
		.amdhsa_accum_offset 4
		.amdhsa_reserve_vcc 0
		.amdhsa_reserve_flat_scratch 0
		.amdhsa_float_round_mode_32 0
		.amdhsa_float_round_mode_16_64 0
		.amdhsa_float_denorm_mode_32 3
		.amdhsa_float_denorm_mode_16_64 3
		.amdhsa_dx10_clamp 1
		.amdhsa_ieee_mode 1
		.amdhsa_fp16_overflow 0
		.amdhsa_tg_split 0
		.amdhsa_exception_fp_ieee_invalid_op 0
		.amdhsa_exception_fp_denorm_src 0
		.amdhsa_exception_fp_ieee_div_zero 0
		.amdhsa_exception_fp_ieee_overflow 0
		.amdhsa_exception_fp_ieee_underflow 0
		.amdhsa_exception_fp_ieee_inexact 0
		.amdhsa_exception_int_div_zero 0
	.end_amdhsa_kernel
	.section	.text._ZN7rocprim17ROCPRIM_400000_NS6detail17trampoline_kernelINS0_14default_configENS1_25partition_config_selectorILNS1_17partition_subalgoE8EN3c104HalfENS0_10empty_typeEbEEZZNS1_14partition_implILS5_8ELb0ES3_jPKS7_PS8_PKS8_NS0_5tupleIJPS7_S8_EEENSG_IJSD_SD_EEENS0_18inequality_wrapperIN6hipcub16HIPCUB_304000_NS8EqualityEEEPlJS8_EEE10hipError_tPvRmT3_T4_T5_T6_T7_T9_mT8_P12ihipStream_tbDpT10_ENKUlT_T0_E_clISt17integral_constantIbLb0EES18_IbLb1EEEEDaS14_S15_EUlS14_E_NS1_11comp_targetILNS1_3genE3ELNS1_11target_archE908ELNS1_3gpuE7ELNS1_3repE0EEENS1_30default_config_static_selectorELNS0_4arch9wavefront6targetE1EEEvT1_,"axG",@progbits,_ZN7rocprim17ROCPRIM_400000_NS6detail17trampoline_kernelINS0_14default_configENS1_25partition_config_selectorILNS1_17partition_subalgoE8EN3c104HalfENS0_10empty_typeEbEEZZNS1_14partition_implILS5_8ELb0ES3_jPKS7_PS8_PKS8_NS0_5tupleIJPS7_S8_EEENSG_IJSD_SD_EEENS0_18inequality_wrapperIN6hipcub16HIPCUB_304000_NS8EqualityEEEPlJS8_EEE10hipError_tPvRmT3_T4_T5_T6_T7_T9_mT8_P12ihipStream_tbDpT10_ENKUlT_T0_E_clISt17integral_constantIbLb0EES18_IbLb1EEEEDaS14_S15_EUlS14_E_NS1_11comp_targetILNS1_3genE3ELNS1_11target_archE908ELNS1_3gpuE7ELNS1_3repE0EEENS1_30default_config_static_selectorELNS0_4arch9wavefront6targetE1EEEvT1_,comdat
.Lfunc_end920:
	.size	_ZN7rocprim17ROCPRIM_400000_NS6detail17trampoline_kernelINS0_14default_configENS1_25partition_config_selectorILNS1_17partition_subalgoE8EN3c104HalfENS0_10empty_typeEbEEZZNS1_14partition_implILS5_8ELb0ES3_jPKS7_PS8_PKS8_NS0_5tupleIJPS7_S8_EEENSG_IJSD_SD_EEENS0_18inequality_wrapperIN6hipcub16HIPCUB_304000_NS8EqualityEEEPlJS8_EEE10hipError_tPvRmT3_T4_T5_T6_T7_T9_mT8_P12ihipStream_tbDpT10_ENKUlT_T0_E_clISt17integral_constantIbLb0EES18_IbLb1EEEEDaS14_S15_EUlS14_E_NS1_11comp_targetILNS1_3genE3ELNS1_11target_archE908ELNS1_3gpuE7ELNS1_3repE0EEENS1_30default_config_static_selectorELNS0_4arch9wavefront6targetE1EEEvT1_, .Lfunc_end920-_ZN7rocprim17ROCPRIM_400000_NS6detail17trampoline_kernelINS0_14default_configENS1_25partition_config_selectorILNS1_17partition_subalgoE8EN3c104HalfENS0_10empty_typeEbEEZZNS1_14partition_implILS5_8ELb0ES3_jPKS7_PS8_PKS8_NS0_5tupleIJPS7_S8_EEENSG_IJSD_SD_EEENS0_18inequality_wrapperIN6hipcub16HIPCUB_304000_NS8EqualityEEEPlJS8_EEE10hipError_tPvRmT3_T4_T5_T6_T7_T9_mT8_P12ihipStream_tbDpT10_ENKUlT_T0_E_clISt17integral_constantIbLb0EES18_IbLb1EEEEDaS14_S15_EUlS14_E_NS1_11comp_targetILNS1_3genE3ELNS1_11target_archE908ELNS1_3gpuE7ELNS1_3repE0EEENS1_30default_config_static_selectorELNS0_4arch9wavefront6targetE1EEEvT1_
                                        ; -- End function
	.section	.AMDGPU.csdata,"",@progbits
; Kernel info:
; codeLenInByte = 0
; NumSgprs: 4
; NumVgprs: 0
; NumAgprs: 0
; TotalNumVgprs: 0
; ScratchSize: 0
; MemoryBound: 0
; FloatMode: 240
; IeeeMode: 1
; LDSByteSize: 0 bytes/workgroup (compile time only)
; SGPRBlocks: 0
; VGPRBlocks: 0
; NumSGPRsForWavesPerEU: 4
; NumVGPRsForWavesPerEU: 1
; AccumOffset: 4
; Occupancy: 8
; WaveLimiterHint : 0
; COMPUTE_PGM_RSRC2:SCRATCH_EN: 0
; COMPUTE_PGM_RSRC2:USER_SGPR: 6
; COMPUTE_PGM_RSRC2:TRAP_HANDLER: 0
; COMPUTE_PGM_RSRC2:TGID_X_EN: 1
; COMPUTE_PGM_RSRC2:TGID_Y_EN: 0
; COMPUTE_PGM_RSRC2:TGID_Z_EN: 0
; COMPUTE_PGM_RSRC2:TIDIG_COMP_CNT: 0
; COMPUTE_PGM_RSRC3_GFX90A:ACCUM_OFFSET: 0
; COMPUTE_PGM_RSRC3_GFX90A:TG_SPLIT: 0
	.section	.text._ZN7rocprim17ROCPRIM_400000_NS6detail17trampoline_kernelINS0_14default_configENS1_25partition_config_selectorILNS1_17partition_subalgoE8EN3c104HalfENS0_10empty_typeEbEEZZNS1_14partition_implILS5_8ELb0ES3_jPKS7_PS8_PKS8_NS0_5tupleIJPS7_S8_EEENSG_IJSD_SD_EEENS0_18inequality_wrapperIN6hipcub16HIPCUB_304000_NS8EqualityEEEPlJS8_EEE10hipError_tPvRmT3_T4_T5_T6_T7_T9_mT8_P12ihipStream_tbDpT10_ENKUlT_T0_E_clISt17integral_constantIbLb0EES18_IbLb1EEEEDaS14_S15_EUlS14_E_NS1_11comp_targetILNS1_3genE2ELNS1_11target_archE906ELNS1_3gpuE6ELNS1_3repE0EEENS1_30default_config_static_selectorELNS0_4arch9wavefront6targetE1EEEvT1_,"axG",@progbits,_ZN7rocprim17ROCPRIM_400000_NS6detail17trampoline_kernelINS0_14default_configENS1_25partition_config_selectorILNS1_17partition_subalgoE8EN3c104HalfENS0_10empty_typeEbEEZZNS1_14partition_implILS5_8ELb0ES3_jPKS7_PS8_PKS8_NS0_5tupleIJPS7_S8_EEENSG_IJSD_SD_EEENS0_18inequality_wrapperIN6hipcub16HIPCUB_304000_NS8EqualityEEEPlJS8_EEE10hipError_tPvRmT3_T4_T5_T6_T7_T9_mT8_P12ihipStream_tbDpT10_ENKUlT_T0_E_clISt17integral_constantIbLb0EES18_IbLb1EEEEDaS14_S15_EUlS14_E_NS1_11comp_targetILNS1_3genE2ELNS1_11target_archE906ELNS1_3gpuE6ELNS1_3repE0EEENS1_30default_config_static_selectorELNS0_4arch9wavefront6targetE1EEEvT1_,comdat
	.protected	_ZN7rocprim17ROCPRIM_400000_NS6detail17trampoline_kernelINS0_14default_configENS1_25partition_config_selectorILNS1_17partition_subalgoE8EN3c104HalfENS0_10empty_typeEbEEZZNS1_14partition_implILS5_8ELb0ES3_jPKS7_PS8_PKS8_NS0_5tupleIJPS7_S8_EEENSG_IJSD_SD_EEENS0_18inequality_wrapperIN6hipcub16HIPCUB_304000_NS8EqualityEEEPlJS8_EEE10hipError_tPvRmT3_T4_T5_T6_T7_T9_mT8_P12ihipStream_tbDpT10_ENKUlT_T0_E_clISt17integral_constantIbLb0EES18_IbLb1EEEEDaS14_S15_EUlS14_E_NS1_11comp_targetILNS1_3genE2ELNS1_11target_archE906ELNS1_3gpuE6ELNS1_3repE0EEENS1_30default_config_static_selectorELNS0_4arch9wavefront6targetE1EEEvT1_ ; -- Begin function _ZN7rocprim17ROCPRIM_400000_NS6detail17trampoline_kernelINS0_14default_configENS1_25partition_config_selectorILNS1_17partition_subalgoE8EN3c104HalfENS0_10empty_typeEbEEZZNS1_14partition_implILS5_8ELb0ES3_jPKS7_PS8_PKS8_NS0_5tupleIJPS7_S8_EEENSG_IJSD_SD_EEENS0_18inequality_wrapperIN6hipcub16HIPCUB_304000_NS8EqualityEEEPlJS8_EEE10hipError_tPvRmT3_T4_T5_T6_T7_T9_mT8_P12ihipStream_tbDpT10_ENKUlT_T0_E_clISt17integral_constantIbLb0EES18_IbLb1EEEEDaS14_S15_EUlS14_E_NS1_11comp_targetILNS1_3genE2ELNS1_11target_archE906ELNS1_3gpuE6ELNS1_3repE0EEENS1_30default_config_static_selectorELNS0_4arch9wavefront6targetE1EEEvT1_
	.globl	_ZN7rocprim17ROCPRIM_400000_NS6detail17trampoline_kernelINS0_14default_configENS1_25partition_config_selectorILNS1_17partition_subalgoE8EN3c104HalfENS0_10empty_typeEbEEZZNS1_14partition_implILS5_8ELb0ES3_jPKS7_PS8_PKS8_NS0_5tupleIJPS7_S8_EEENSG_IJSD_SD_EEENS0_18inequality_wrapperIN6hipcub16HIPCUB_304000_NS8EqualityEEEPlJS8_EEE10hipError_tPvRmT3_T4_T5_T6_T7_T9_mT8_P12ihipStream_tbDpT10_ENKUlT_T0_E_clISt17integral_constantIbLb0EES18_IbLb1EEEEDaS14_S15_EUlS14_E_NS1_11comp_targetILNS1_3genE2ELNS1_11target_archE906ELNS1_3gpuE6ELNS1_3repE0EEENS1_30default_config_static_selectorELNS0_4arch9wavefront6targetE1EEEvT1_
	.p2align	8
	.type	_ZN7rocprim17ROCPRIM_400000_NS6detail17trampoline_kernelINS0_14default_configENS1_25partition_config_selectorILNS1_17partition_subalgoE8EN3c104HalfENS0_10empty_typeEbEEZZNS1_14partition_implILS5_8ELb0ES3_jPKS7_PS8_PKS8_NS0_5tupleIJPS7_S8_EEENSG_IJSD_SD_EEENS0_18inequality_wrapperIN6hipcub16HIPCUB_304000_NS8EqualityEEEPlJS8_EEE10hipError_tPvRmT3_T4_T5_T6_T7_T9_mT8_P12ihipStream_tbDpT10_ENKUlT_T0_E_clISt17integral_constantIbLb0EES18_IbLb1EEEEDaS14_S15_EUlS14_E_NS1_11comp_targetILNS1_3genE2ELNS1_11target_archE906ELNS1_3gpuE6ELNS1_3repE0EEENS1_30default_config_static_selectorELNS0_4arch9wavefront6targetE1EEEvT1_,@function
_ZN7rocprim17ROCPRIM_400000_NS6detail17trampoline_kernelINS0_14default_configENS1_25partition_config_selectorILNS1_17partition_subalgoE8EN3c104HalfENS0_10empty_typeEbEEZZNS1_14partition_implILS5_8ELb0ES3_jPKS7_PS8_PKS8_NS0_5tupleIJPS7_S8_EEENSG_IJSD_SD_EEENS0_18inequality_wrapperIN6hipcub16HIPCUB_304000_NS8EqualityEEEPlJS8_EEE10hipError_tPvRmT3_T4_T5_T6_T7_T9_mT8_P12ihipStream_tbDpT10_ENKUlT_T0_E_clISt17integral_constantIbLb0EES18_IbLb1EEEEDaS14_S15_EUlS14_E_NS1_11comp_targetILNS1_3genE2ELNS1_11target_archE906ELNS1_3gpuE6ELNS1_3repE0EEENS1_30default_config_static_selectorELNS0_4arch9wavefront6targetE1EEEvT1_: ; @_ZN7rocprim17ROCPRIM_400000_NS6detail17trampoline_kernelINS0_14default_configENS1_25partition_config_selectorILNS1_17partition_subalgoE8EN3c104HalfENS0_10empty_typeEbEEZZNS1_14partition_implILS5_8ELb0ES3_jPKS7_PS8_PKS8_NS0_5tupleIJPS7_S8_EEENSG_IJSD_SD_EEENS0_18inequality_wrapperIN6hipcub16HIPCUB_304000_NS8EqualityEEEPlJS8_EEE10hipError_tPvRmT3_T4_T5_T6_T7_T9_mT8_P12ihipStream_tbDpT10_ENKUlT_T0_E_clISt17integral_constantIbLb0EES18_IbLb1EEEEDaS14_S15_EUlS14_E_NS1_11comp_targetILNS1_3genE2ELNS1_11target_archE906ELNS1_3gpuE6ELNS1_3repE0EEENS1_30default_config_static_selectorELNS0_4arch9wavefront6targetE1EEEvT1_
; %bb.0:
	.section	.rodata,"a",@progbits
	.p2align	6, 0x0
	.amdhsa_kernel _ZN7rocprim17ROCPRIM_400000_NS6detail17trampoline_kernelINS0_14default_configENS1_25partition_config_selectorILNS1_17partition_subalgoE8EN3c104HalfENS0_10empty_typeEbEEZZNS1_14partition_implILS5_8ELb0ES3_jPKS7_PS8_PKS8_NS0_5tupleIJPS7_S8_EEENSG_IJSD_SD_EEENS0_18inequality_wrapperIN6hipcub16HIPCUB_304000_NS8EqualityEEEPlJS8_EEE10hipError_tPvRmT3_T4_T5_T6_T7_T9_mT8_P12ihipStream_tbDpT10_ENKUlT_T0_E_clISt17integral_constantIbLb0EES18_IbLb1EEEEDaS14_S15_EUlS14_E_NS1_11comp_targetILNS1_3genE2ELNS1_11target_archE906ELNS1_3gpuE6ELNS1_3repE0EEENS1_30default_config_static_selectorELNS0_4arch9wavefront6targetE1EEEvT1_
		.amdhsa_group_segment_fixed_size 0
		.amdhsa_private_segment_fixed_size 0
		.amdhsa_kernarg_size 128
		.amdhsa_user_sgpr_count 6
		.amdhsa_user_sgpr_private_segment_buffer 1
		.amdhsa_user_sgpr_dispatch_ptr 0
		.amdhsa_user_sgpr_queue_ptr 0
		.amdhsa_user_sgpr_kernarg_segment_ptr 1
		.amdhsa_user_sgpr_dispatch_id 0
		.amdhsa_user_sgpr_flat_scratch_init 0
		.amdhsa_user_sgpr_kernarg_preload_length 0
		.amdhsa_user_sgpr_kernarg_preload_offset 0
		.amdhsa_user_sgpr_private_segment_size 0
		.amdhsa_uses_dynamic_stack 0
		.amdhsa_system_sgpr_private_segment_wavefront_offset 0
		.amdhsa_system_sgpr_workgroup_id_x 1
		.amdhsa_system_sgpr_workgroup_id_y 0
		.amdhsa_system_sgpr_workgroup_id_z 0
		.amdhsa_system_sgpr_workgroup_info 0
		.amdhsa_system_vgpr_workitem_id 0
		.amdhsa_next_free_vgpr 1
		.amdhsa_next_free_sgpr 0
		.amdhsa_accum_offset 4
		.amdhsa_reserve_vcc 0
		.amdhsa_reserve_flat_scratch 0
		.amdhsa_float_round_mode_32 0
		.amdhsa_float_round_mode_16_64 0
		.amdhsa_float_denorm_mode_32 3
		.amdhsa_float_denorm_mode_16_64 3
		.amdhsa_dx10_clamp 1
		.amdhsa_ieee_mode 1
		.amdhsa_fp16_overflow 0
		.amdhsa_tg_split 0
		.amdhsa_exception_fp_ieee_invalid_op 0
		.amdhsa_exception_fp_denorm_src 0
		.amdhsa_exception_fp_ieee_div_zero 0
		.amdhsa_exception_fp_ieee_overflow 0
		.amdhsa_exception_fp_ieee_underflow 0
		.amdhsa_exception_fp_ieee_inexact 0
		.amdhsa_exception_int_div_zero 0
	.end_amdhsa_kernel
	.section	.text._ZN7rocprim17ROCPRIM_400000_NS6detail17trampoline_kernelINS0_14default_configENS1_25partition_config_selectorILNS1_17partition_subalgoE8EN3c104HalfENS0_10empty_typeEbEEZZNS1_14partition_implILS5_8ELb0ES3_jPKS7_PS8_PKS8_NS0_5tupleIJPS7_S8_EEENSG_IJSD_SD_EEENS0_18inequality_wrapperIN6hipcub16HIPCUB_304000_NS8EqualityEEEPlJS8_EEE10hipError_tPvRmT3_T4_T5_T6_T7_T9_mT8_P12ihipStream_tbDpT10_ENKUlT_T0_E_clISt17integral_constantIbLb0EES18_IbLb1EEEEDaS14_S15_EUlS14_E_NS1_11comp_targetILNS1_3genE2ELNS1_11target_archE906ELNS1_3gpuE6ELNS1_3repE0EEENS1_30default_config_static_selectorELNS0_4arch9wavefront6targetE1EEEvT1_,"axG",@progbits,_ZN7rocprim17ROCPRIM_400000_NS6detail17trampoline_kernelINS0_14default_configENS1_25partition_config_selectorILNS1_17partition_subalgoE8EN3c104HalfENS0_10empty_typeEbEEZZNS1_14partition_implILS5_8ELb0ES3_jPKS7_PS8_PKS8_NS0_5tupleIJPS7_S8_EEENSG_IJSD_SD_EEENS0_18inequality_wrapperIN6hipcub16HIPCUB_304000_NS8EqualityEEEPlJS8_EEE10hipError_tPvRmT3_T4_T5_T6_T7_T9_mT8_P12ihipStream_tbDpT10_ENKUlT_T0_E_clISt17integral_constantIbLb0EES18_IbLb1EEEEDaS14_S15_EUlS14_E_NS1_11comp_targetILNS1_3genE2ELNS1_11target_archE906ELNS1_3gpuE6ELNS1_3repE0EEENS1_30default_config_static_selectorELNS0_4arch9wavefront6targetE1EEEvT1_,comdat
.Lfunc_end921:
	.size	_ZN7rocprim17ROCPRIM_400000_NS6detail17trampoline_kernelINS0_14default_configENS1_25partition_config_selectorILNS1_17partition_subalgoE8EN3c104HalfENS0_10empty_typeEbEEZZNS1_14partition_implILS5_8ELb0ES3_jPKS7_PS8_PKS8_NS0_5tupleIJPS7_S8_EEENSG_IJSD_SD_EEENS0_18inequality_wrapperIN6hipcub16HIPCUB_304000_NS8EqualityEEEPlJS8_EEE10hipError_tPvRmT3_T4_T5_T6_T7_T9_mT8_P12ihipStream_tbDpT10_ENKUlT_T0_E_clISt17integral_constantIbLb0EES18_IbLb1EEEEDaS14_S15_EUlS14_E_NS1_11comp_targetILNS1_3genE2ELNS1_11target_archE906ELNS1_3gpuE6ELNS1_3repE0EEENS1_30default_config_static_selectorELNS0_4arch9wavefront6targetE1EEEvT1_, .Lfunc_end921-_ZN7rocprim17ROCPRIM_400000_NS6detail17trampoline_kernelINS0_14default_configENS1_25partition_config_selectorILNS1_17partition_subalgoE8EN3c104HalfENS0_10empty_typeEbEEZZNS1_14partition_implILS5_8ELb0ES3_jPKS7_PS8_PKS8_NS0_5tupleIJPS7_S8_EEENSG_IJSD_SD_EEENS0_18inequality_wrapperIN6hipcub16HIPCUB_304000_NS8EqualityEEEPlJS8_EEE10hipError_tPvRmT3_T4_T5_T6_T7_T9_mT8_P12ihipStream_tbDpT10_ENKUlT_T0_E_clISt17integral_constantIbLb0EES18_IbLb1EEEEDaS14_S15_EUlS14_E_NS1_11comp_targetILNS1_3genE2ELNS1_11target_archE906ELNS1_3gpuE6ELNS1_3repE0EEENS1_30default_config_static_selectorELNS0_4arch9wavefront6targetE1EEEvT1_
                                        ; -- End function
	.section	.AMDGPU.csdata,"",@progbits
; Kernel info:
; codeLenInByte = 0
; NumSgprs: 4
; NumVgprs: 0
; NumAgprs: 0
; TotalNumVgprs: 0
; ScratchSize: 0
; MemoryBound: 0
; FloatMode: 240
; IeeeMode: 1
; LDSByteSize: 0 bytes/workgroup (compile time only)
; SGPRBlocks: 0
; VGPRBlocks: 0
; NumSGPRsForWavesPerEU: 4
; NumVGPRsForWavesPerEU: 1
; AccumOffset: 4
; Occupancy: 8
; WaveLimiterHint : 0
; COMPUTE_PGM_RSRC2:SCRATCH_EN: 0
; COMPUTE_PGM_RSRC2:USER_SGPR: 6
; COMPUTE_PGM_RSRC2:TRAP_HANDLER: 0
; COMPUTE_PGM_RSRC2:TGID_X_EN: 1
; COMPUTE_PGM_RSRC2:TGID_Y_EN: 0
; COMPUTE_PGM_RSRC2:TGID_Z_EN: 0
; COMPUTE_PGM_RSRC2:TIDIG_COMP_CNT: 0
; COMPUTE_PGM_RSRC3_GFX90A:ACCUM_OFFSET: 0
; COMPUTE_PGM_RSRC3_GFX90A:TG_SPLIT: 0
	.section	.text._ZN7rocprim17ROCPRIM_400000_NS6detail17trampoline_kernelINS0_14default_configENS1_25partition_config_selectorILNS1_17partition_subalgoE8EN3c104HalfENS0_10empty_typeEbEEZZNS1_14partition_implILS5_8ELb0ES3_jPKS7_PS8_PKS8_NS0_5tupleIJPS7_S8_EEENSG_IJSD_SD_EEENS0_18inequality_wrapperIN6hipcub16HIPCUB_304000_NS8EqualityEEEPlJS8_EEE10hipError_tPvRmT3_T4_T5_T6_T7_T9_mT8_P12ihipStream_tbDpT10_ENKUlT_T0_E_clISt17integral_constantIbLb0EES18_IbLb1EEEEDaS14_S15_EUlS14_E_NS1_11comp_targetILNS1_3genE10ELNS1_11target_archE1200ELNS1_3gpuE4ELNS1_3repE0EEENS1_30default_config_static_selectorELNS0_4arch9wavefront6targetE1EEEvT1_,"axG",@progbits,_ZN7rocprim17ROCPRIM_400000_NS6detail17trampoline_kernelINS0_14default_configENS1_25partition_config_selectorILNS1_17partition_subalgoE8EN3c104HalfENS0_10empty_typeEbEEZZNS1_14partition_implILS5_8ELb0ES3_jPKS7_PS8_PKS8_NS0_5tupleIJPS7_S8_EEENSG_IJSD_SD_EEENS0_18inequality_wrapperIN6hipcub16HIPCUB_304000_NS8EqualityEEEPlJS8_EEE10hipError_tPvRmT3_T4_T5_T6_T7_T9_mT8_P12ihipStream_tbDpT10_ENKUlT_T0_E_clISt17integral_constantIbLb0EES18_IbLb1EEEEDaS14_S15_EUlS14_E_NS1_11comp_targetILNS1_3genE10ELNS1_11target_archE1200ELNS1_3gpuE4ELNS1_3repE0EEENS1_30default_config_static_selectorELNS0_4arch9wavefront6targetE1EEEvT1_,comdat
	.protected	_ZN7rocprim17ROCPRIM_400000_NS6detail17trampoline_kernelINS0_14default_configENS1_25partition_config_selectorILNS1_17partition_subalgoE8EN3c104HalfENS0_10empty_typeEbEEZZNS1_14partition_implILS5_8ELb0ES3_jPKS7_PS8_PKS8_NS0_5tupleIJPS7_S8_EEENSG_IJSD_SD_EEENS0_18inequality_wrapperIN6hipcub16HIPCUB_304000_NS8EqualityEEEPlJS8_EEE10hipError_tPvRmT3_T4_T5_T6_T7_T9_mT8_P12ihipStream_tbDpT10_ENKUlT_T0_E_clISt17integral_constantIbLb0EES18_IbLb1EEEEDaS14_S15_EUlS14_E_NS1_11comp_targetILNS1_3genE10ELNS1_11target_archE1200ELNS1_3gpuE4ELNS1_3repE0EEENS1_30default_config_static_selectorELNS0_4arch9wavefront6targetE1EEEvT1_ ; -- Begin function _ZN7rocprim17ROCPRIM_400000_NS6detail17trampoline_kernelINS0_14default_configENS1_25partition_config_selectorILNS1_17partition_subalgoE8EN3c104HalfENS0_10empty_typeEbEEZZNS1_14partition_implILS5_8ELb0ES3_jPKS7_PS8_PKS8_NS0_5tupleIJPS7_S8_EEENSG_IJSD_SD_EEENS0_18inequality_wrapperIN6hipcub16HIPCUB_304000_NS8EqualityEEEPlJS8_EEE10hipError_tPvRmT3_T4_T5_T6_T7_T9_mT8_P12ihipStream_tbDpT10_ENKUlT_T0_E_clISt17integral_constantIbLb0EES18_IbLb1EEEEDaS14_S15_EUlS14_E_NS1_11comp_targetILNS1_3genE10ELNS1_11target_archE1200ELNS1_3gpuE4ELNS1_3repE0EEENS1_30default_config_static_selectorELNS0_4arch9wavefront6targetE1EEEvT1_
	.globl	_ZN7rocprim17ROCPRIM_400000_NS6detail17trampoline_kernelINS0_14default_configENS1_25partition_config_selectorILNS1_17partition_subalgoE8EN3c104HalfENS0_10empty_typeEbEEZZNS1_14partition_implILS5_8ELb0ES3_jPKS7_PS8_PKS8_NS0_5tupleIJPS7_S8_EEENSG_IJSD_SD_EEENS0_18inequality_wrapperIN6hipcub16HIPCUB_304000_NS8EqualityEEEPlJS8_EEE10hipError_tPvRmT3_T4_T5_T6_T7_T9_mT8_P12ihipStream_tbDpT10_ENKUlT_T0_E_clISt17integral_constantIbLb0EES18_IbLb1EEEEDaS14_S15_EUlS14_E_NS1_11comp_targetILNS1_3genE10ELNS1_11target_archE1200ELNS1_3gpuE4ELNS1_3repE0EEENS1_30default_config_static_selectorELNS0_4arch9wavefront6targetE1EEEvT1_
	.p2align	8
	.type	_ZN7rocprim17ROCPRIM_400000_NS6detail17trampoline_kernelINS0_14default_configENS1_25partition_config_selectorILNS1_17partition_subalgoE8EN3c104HalfENS0_10empty_typeEbEEZZNS1_14partition_implILS5_8ELb0ES3_jPKS7_PS8_PKS8_NS0_5tupleIJPS7_S8_EEENSG_IJSD_SD_EEENS0_18inequality_wrapperIN6hipcub16HIPCUB_304000_NS8EqualityEEEPlJS8_EEE10hipError_tPvRmT3_T4_T5_T6_T7_T9_mT8_P12ihipStream_tbDpT10_ENKUlT_T0_E_clISt17integral_constantIbLb0EES18_IbLb1EEEEDaS14_S15_EUlS14_E_NS1_11comp_targetILNS1_3genE10ELNS1_11target_archE1200ELNS1_3gpuE4ELNS1_3repE0EEENS1_30default_config_static_selectorELNS0_4arch9wavefront6targetE1EEEvT1_,@function
_ZN7rocprim17ROCPRIM_400000_NS6detail17trampoline_kernelINS0_14default_configENS1_25partition_config_selectorILNS1_17partition_subalgoE8EN3c104HalfENS0_10empty_typeEbEEZZNS1_14partition_implILS5_8ELb0ES3_jPKS7_PS8_PKS8_NS0_5tupleIJPS7_S8_EEENSG_IJSD_SD_EEENS0_18inequality_wrapperIN6hipcub16HIPCUB_304000_NS8EqualityEEEPlJS8_EEE10hipError_tPvRmT3_T4_T5_T6_T7_T9_mT8_P12ihipStream_tbDpT10_ENKUlT_T0_E_clISt17integral_constantIbLb0EES18_IbLb1EEEEDaS14_S15_EUlS14_E_NS1_11comp_targetILNS1_3genE10ELNS1_11target_archE1200ELNS1_3gpuE4ELNS1_3repE0EEENS1_30default_config_static_selectorELNS0_4arch9wavefront6targetE1EEEvT1_: ; @_ZN7rocprim17ROCPRIM_400000_NS6detail17trampoline_kernelINS0_14default_configENS1_25partition_config_selectorILNS1_17partition_subalgoE8EN3c104HalfENS0_10empty_typeEbEEZZNS1_14partition_implILS5_8ELb0ES3_jPKS7_PS8_PKS8_NS0_5tupleIJPS7_S8_EEENSG_IJSD_SD_EEENS0_18inequality_wrapperIN6hipcub16HIPCUB_304000_NS8EqualityEEEPlJS8_EEE10hipError_tPvRmT3_T4_T5_T6_T7_T9_mT8_P12ihipStream_tbDpT10_ENKUlT_T0_E_clISt17integral_constantIbLb0EES18_IbLb1EEEEDaS14_S15_EUlS14_E_NS1_11comp_targetILNS1_3genE10ELNS1_11target_archE1200ELNS1_3gpuE4ELNS1_3repE0EEENS1_30default_config_static_selectorELNS0_4arch9wavefront6targetE1EEEvT1_
; %bb.0:
	.section	.rodata,"a",@progbits
	.p2align	6, 0x0
	.amdhsa_kernel _ZN7rocprim17ROCPRIM_400000_NS6detail17trampoline_kernelINS0_14default_configENS1_25partition_config_selectorILNS1_17partition_subalgoE8EN3c104HalfENS0_10empty_typeEbEEZZNS1_14partition_implILS5_8ELb0ES3_jPKS7_PS8_PKS8_NS0_5tupleIJPS7_S8_EEENSG_IJSD_SD_EEENS0_18inequality_wrapperIN6hipcub16HIPCUB_304000_NS8EqualityEEEPlJS8_EEE10hipError_tPvRmT3_T4_T5_T6_T7_T9_mT8_P12ihipStream_tbDpT10_ENKUlT_T0_E_clISt17integral_constantIbLb0EES18_IbLb1EEEEDaS14_S15_EUlS14_E_NS1_11comp_targetILNS1_3genE10ELNS1_11target_archE1200ELNS1_3gpuE4ELNS1_3repE0EEENS1_30default_config_static_selectorELNS0_4arch9wavefront6targetE1EEEvT1_
		.amdhsa_group_segment_fixed_size 0
		.amdhsa_private_segment_fixed_size 0
		.amdhsa_kernarg_size 128
		.amdhsa_user_sgpr_count 6
		.amdhsa_user_sgpr_private_segment_buffer 1
		.amdhsa_user_sgpr_dispatch_ptr 0
		.amdhsa_user_sgpr_queue_ptr 0
		.amdhsa_user_sgpr_kernarg_segment_ptr 1
		.amdhsa_user_sgpr_dispatch_id 0
		.amdhsa_user_sgpr_flat_scratch_init 0
		.amdhsa_user_sgpr_kernarg_preload_length 0
		.amdhsa_user_sgpr_kernarg_preload_offset 0
		.amdhsa_user_sgpr_private_segment_size 0
		.amdhsa_uses_dynamic_stack 0
		.amdhsa_system_sgpr_private_segment_wavefront_offset 0
		.amdhsa_system_sgpr_workgroup_id_x 1
		.amdhsa_system_sgpr_workgroup_id_y 0
		.amdhsa_system_sgpr_workgroup_id_z 0
		.amdhsa_system_sgpr_workgroup_info 0
		.amdhsa_system_vgpr_workitem_id 0
		.amdhsa_next_free_vgpr 1
		.amdhsa_next_free_sgpr 0
		.amdhsa_accum_offset 4
		.amdhsa_reserve_vcc 0
		.amdhsa_reserve_flat_scratch 0
		.amdhsa_float_round_mode_32 0
		.amdhsa_float_round_mode_16_64 0
		.amdhsa_float_denorm_mode_32 3
		.amdhsa_float_denorm_mode_16_64 3
		.amdhsa_dx10_clamp 1
		.amdhsa_ieee_mode 1
		.amdhsa_fp16_overflow 0
		.amdhsa_tg_split 0
		.amdhsa_exception_fp_ieee_invalid_op 0
		.amdhsa_exception_fp_denorm_src 0
		.amdhsa_exception_fp_ieee_div_zero 0
		.amdhsa_exception_fp_ieee_overflow 0
		.amdhsa_exception_fp_ieee_underflow 0
		.amdhsa_exception_fp_ieee_inexact 0
		.amdhsa_exception_int_div_zero 0
	.end_amdhsa_kernel
	.section	.text._ZN7rocprim17ROCPRIM_400000_NS6detail17trampoline_kernelINS0_14default_configENS1_25partition_config_selectorILNS1_17partition_subalgoE8EN3c104HalfENS0_10empty_typeEbEEZZNS1_14partition_implILS5_8ELb0ES3_jPKS7_PS8_PKS8_NS0_5tupleIJPS7_S8_EEENSG_IJSD_SD_EEENS0_18inequality_wrapperIN6hipcub16HIPCUB_304000_NS8EqualityEEEPlJS8_EEE10hipError_tPvRmT3_T4_T5_T6_T7_T9_mT8_P12ihipStream_tbDpT10_ENKUlT_T0_E_clISt17integral_constantIbLb0EES18_IbLb1EEEEDaS14_S15_EUlS14_E_NS1_11comp_targetILNS1_3genE10ELNS1_11target_archE1200ELNS1_3gpuE4ELNS1_3repE0EEENS1_30default_config_static_selectorELNS0_4arch9wavefront6targetE1EEEvT1_,"axG",@progbits,_ZN7rocprim17ROCPRIM_400000_NS6detail17trampoline_kernelINS0_14default_configENS1_25partition_config_selectorILNS1_17partition_subalgoE8EN3c104HalfENS0_10empty_typeEbEEZZNS1_14partition_implILS5_8ELb0ES3_jPKS7_PS8_PKS8_NS0_5tupleIJPS7_S8_EEENSG_IJSD_SD_EEENS0_18inequality_wrapperIN6hipcub16HIPCUB_304000_NS8EqualityEEEPlJS8_EEE10hipError_tPvRmT3_T4_T5_T6_T7_T9_mT8_P12ihipStream_tbDpT10_ENKUlT_T0_E_clISt17integral_constantIbLb0EES18_IbLb1EEEEDaS14_S15_EUlS14_E_NS1_11comp_targetILNS1_3genE10ELNS1_11target_archE1200ELNS1_3gpuE4ELNS1_3repE0EEENS1_30default_config_static_selectorELNS0_4arch9wavefront6targetE1EEEvT1_,comdat
.Lfunc_end922:
	.size	_ZN7rocprim17ROCPRIM_400000_NS6detail17trampoline_kernelINS0_14default_configENS1_25partition_config_selectorILNS1_17partition_subalgoE8EN3c104HalfENS0_10empty_typeEbEEZZNS1_14partition_implILS5_8ELb0ES3_jPKS7_PS8_PKS8_NS0_5tupleIJPS7_S8_EEENSG_IJSD_SD_EEENS0_18inequality_wrapperIN6hipcub16HIPCUB_304000_NS8EqualityEEEPlJS8_EEE10hipError_tPvRmT3_T4_T5_T6_T7_T9_mT8_P12ihipStream_tbDpT10_ENKUlT_T0_E_clISt17integral_constantIbLb0EES18_IbLb1EEEEDaS14_S15_EUlS14_E_NS1_11comp_targetILNS1_3genE10ELNS1_11target_archE1200ELNS1_3gpuE4ELNS1_3repE0EEENS1_30default_config_static_selectorELNS0_4arch9wavefront6targetE1EEEvT1_, .Lfunc_end922-_ZN7rocprim17ROCPRIM_400000_NS6detail17trampoline_kernelINS0_14default_configENS1_25partition_config_selectorILNS1_17partition_subalgoE8EN3c104HalfENS0_10empty_typeEbEEZZNS1_14partition_implILS5_8ELb0ES3_jPKS7_PS8_PKS8_NS0_5tupleIJPS7_S8_EEENSG_IJSD_SD_EEENS0_18inequality_wrapperIN6hipcub16HIPCUB_304000_NS8EqualityEEEPlJS8_EEE10hipError_tPvRmT3_T4_T5_T6_T7_T9_mT8_P12ihipStream_tbDpT10_ENKUlT_T0_E_clISt17integral_constantIbLb0EES18_IbLb1EEEEDaS14_S15_EUlS14_E_NS1_11comp_targetILNS1_3genE10ELNS1_11target_archE1200ELNS1_3gpuE4ELNS1_3repE0EEENS1_30default_config_static_selectorELNS0_4arch9wavefront6targetE1EEEvT1_
                                        ; -- End function
	.section	.AMDGPU.csdata,"",@progbits
; Kernel info:
; codeLenInByte = 0
; NumSgprs: 4
; NumVgprs: 0
; NumAgprs: 0
; TotalNumVgprs: 0
; ScratchSize: 0
; MemoryBound: 0
; FloatMode: 240
; IeeeMode: 1
; LDSByteSize: 0 bytes/workgroup (compile time only)
; SGPRBlocks: 0
; VGPRBlocks: 0
; NumSGPRsForWavesPerEU: 4
; NumVGPRsForWavesPerEU: 1
; AccumOffset: 4
; Occupancy: 8
; WaveLimiterHint : 0
; COMPUTE_PGM_RSRC2:SCRATCH_EN: 0
; COMPUTE_PGM_RSRC2:USER_SGPR: 6
; COMPUTE_PGM_RSRC2:TRAP_HANDLER: 0
; COMPUTE_PGM_RSRC2:TGID_X_EN: 1
; COMPUTE_PGM_RSRC2:TGID_Y_EN: 0
; COMPUTE_PGM_RSRC2:TGID_Z_EN: 0
; COMPUTE_PGM_RSRC2:TIDIG_COMP_CNT: 0
; COMPUTE_PGM_RSRC3_GFX90A:ACCUM_OFFSET: 0
; COMPUTE_PGM_RSRC3_GFX90A:TG_SPLIT: 0
	.section	.text._ZN7rocprim17ROCPRIM_400000_NS6detail17trampoline_kernelINS0_14default_configENS1_25partition_config_selectorILNS1_17partition_subalgoE8EN3c104HalfENS0_10empty_typeEbEEZZNS1_14partition_implILS5_8ELb0ES3_jPKS7_PS8_PKS8_NS0_5tupleIJPS7_S8_EEENSG_IJSD_SD_EEENS0_18inequality_wrapperIN6hipcub16HIPCUB_304000_NS8EqualityEEEPlJS8_EEE10hipError_tPvRmT3_T4_T5_T6_T7_T9_mT8_P12ihipStream_tbDpT10_ENKUlT_T0_E_clISt17integral_constantIbLb0EES18_IbLb1EEEEDaS14_S15_EUlS14_E_NS1_11comp_targetILNS1_3genE9ELNS1_11target_archE1100ELNS1_3gpuE3ELNS1_3repE0EEENS1_30default_config_static_selectorELNS0_4arch9wavefront6targetE1EEEvT1_,"axG",@progbits,_ZN7rocprim17ROCPRIM_400000_NS6detail17trampoline_kernelINS0_14default_configENS1_25partition_config_selectorILNS1_17partition_subalgoE8EN3c104HalfENS0_10empty_typeEbEEZZNS1_14partition_implILS5_8ELb0ES3_jPKS7_PS8_PKS8_NS0_5tupleIJPS7_S8_EEENSG_IJSD_SD_EEENS0_18inequality_wrapperIN6hipcub16HIPCUB_304000_NS8EqualityEEEPlJS8_EEE10hipError_tPvRmT3_T4_T5_T6_T7_T9_mT8_P12ihipStream_tbDpT10_ENKUlT_T0_E_clISt17integral_constantIbLb0EES18_IbLb1EEEEDaS14_S15_EUlS14_E_NS1_11comp_targetILNS1_3genE9ELNS1_11target_archE1100ELNS1_3gpuE3ELNS1_3repE0EEENS1_30default_config_static_selectorELNS0_4arch9wavefront6targetE1EEEvT1_,comdat
	.protected	_ZN7rocprim17ROCPRIM_400000_NS6detail17trampoline_kernelINS0_14default_configENS1_25partition_config_selectorILNS1_17partition_subalgoE8EN3c104HalfENS0_10empty_typeEbEEZZNS1_14partition_implILS5_8ELb0ES3_jPKS7_PS8_PKS8_NS0_5tupleIJPS7_S8_EEENSG_IJSD_SD_EEENS0_18inequality_wrapperIN6hipcub16HIPCUB_304000_NS8EqualityEEEPlJS8_EEE10hipError_tPvRmT3_T4_T5_T6_T7_T9_mT8_P12ihipStream_tbDpT10_ENKUlT_T0_E_clISt17integral_constantIbLb0EES18_IbLb1EEEEDaS14_S15_EUlS14_E_NS1_11comp_targetILNS1_3genE9ELNS1_11target_archE1100ELNS1_3gpuE3ELNS1_3repE0EEENS1_30default_config_static_selectorELNS0_4arch9wavefront6targetE1EEEvT1_ ; -- Begin function _ZN7rocprim17ROCPRIM_400000_NS6detail17trampoline_kernelINS0_14default_configENS1_25partition_config_selectorILNS1_17partition_subalgoE8EN3c104HalfENS0_10empty_typeEbEEZZNS1_14partition_implILS5_8ELb0ES3_jPKS7_PS8_PKS8_NS0_5tupleIJPS7_S8_EEENSG_IJSD_SD_EEENS0_18inequality_wrapperIN6hipcub16HIPCUB_304000_NS8EqualityEEEPlJS8_EEE10hipError_tPvRmT3_T4_T5_T6_T7_T9_mT8_P12ihipStream_tbDpT10_ENKUlT_T0_E_clISt17integral_constantIbLb0EES18_IbLb1EEEEDaS14_S15_EUlS14_E_NS1_11comp_targetILNS1_3genE9ELNS1_11target_archE1100ELNS1_3gpuE3ELNS1_3repE0EEENS1_30default_config_static_selectorELNS0_4arch9wavefront6targetE1EEEvT1_
	.globl	_ZN7rocprim17ROCPRIM_400000_NS6detail17trampoline_kernelINS0_14default_configENS1_25partition_config_selectorILNS1_17partition_subalgoE8EN3c104HalfENS0_10empty_typeEbEEZZNS1_14partition_implILS5_8ELb0ES3_jPKS7_PS8_PKS8_NS0_5tupleIJPS7_S8_EEENSG_IJSD_SD_EEENS0_18inequality_wrapperIN6hipcub16HIPCUB_304000_NS8EqualityEEEPlJS8_EEE10hipError_tPvRmT3_T4_T5_T6_T7_T9_mT8_P12ihipStream_tbDpT10_ENKUlT_T0_E_clISt17integral_constantIbLb0EES18_IbLb1EEEEDaS14_S15_EUlS14_E_NS1_11comp_targetILNS1_3genE9ELNS1_11target_archE1100ELNS1_3gpuE3ELNS1_3repE0EEENS1_30default_config_static_selectorELNS0_4arch9wavefront6targetE1EEEvT1_
	.p2align	8
	.type	_ZN7rocprim17ROCPRIM_400000_NS6detail17trampoline_kernelINS0_14default_configENS1_25partition_config_selectorILNS1_17partition_subalgoE8EN3c104HalfENS0_10empty_typeEbEEZZNS1_14partition_implILS5_8ELb0ES3_jPKS7_PS8_PKS8_NS0_5tupleIJPS7_S8_EEENSG_IJSD_SD_EEENS0_18inequality_wrapperIN6hipcub16HIPCUB_304000_NS8EqualityEEEPlJS8_EEE10hipError_tPvRmT3_T4_T5_T6_T7_T9_mT8_P12ihipStream_tbDpT10_ENKUlT_T0_E_clISt17integral_constantIbLb0EES18_IbLb1EEEEDaS14_S15_EUlS14_E_NS1_11comp_targetILNS1_3genE9ELNS1_11target_archE1100ELNS1_3gpuE3ELNS1_3repE0EEENS1_30default_config_static_selectorELNS0_4arch9wavefront6targetE1EEEvT1_,@function
_ZN7rocprim17ROCPRIM_400000_NS6detail17trampoline_kernelINS0_14default_configENS1_25partition_config_selectorILNS1_17partition_subalgoE8EN3c104HalfENS0_10empty_typeEbEEZZNS1_14partition_implILS5_8ELb0ES3_jPKS7_PS8_PKS8_NS0_5tupleIJPS7_S8_EEENSG_IJSD_SD_EEENS0_18inequality_wrapperIN6hipcub16HIPCUB_304000_NS8EqualityEEEPlJS8_EEE10hipError_tPvRmT3_T4_T5_T6_T7_T9_mT8_P12ihipStream_tbDpT10_ENKUlT_T0_E_clISt17integral_constantIbLb0EES18_IbLb1EEEEDaS14_S15_EUlS14_E_NS1_11comp_targetILNS1_3genE9ELNS1_11target_archE1100ELNS1_3gpuE3ELNS1_3repE0EEENS1_30default_config_static_selectorELNS0_4arch9wavefront6targetE1EEEvT1_: ; @_ZN7rocprim17ROCPRIM_400000_NS6detail17trampoline_kernelINS0_14default_configENS1_25partition_config_selectorILNS1_17partition_subalgoE8EN3c104HalfENS0_10empty_typeEbEEZZNS1_14partition_implILS5_8ELb0ES3_jPKS7_PS8_PKS8_NS0_5tupleIJPS7_S8_EEENSG_IJSD_SD_EEENS0_18inequality_wrapperIN6hipcub16HIPCUB_304000_NS8EqualityEEEPlJS8_EEE10hipError_tPvRmT3_T4_T5_T6_T7_T9_mT8_P12ihipStream_tbDpT10_ENKUlT_T0_E_clISt17integral_constantIbLb0EES18_IbLb1EEEEDaS14_S15_EUlS14_E_NS1_11comp_targetILNS1_3genE9ELNS1_11target_archE1100ELNS1_3gpuE3ELNS1_3repE0EEENS1_30default_config_static_selectorELNS0_4arch9wavefront6targetE1EEEvT1_
; %bb.0:
	.section	.rodata,"a",@progbits
	.p2align	6, 0x0
	.amdhsa_kernel _ZN7rocprim17ROCPRIM_400000_NS6detail17trampoline_kernelINS0_14default_configENS1_25partition_config_selectorILNS1_17partition_subalgoE8EN3c104HalfENS0_10empty_typeEbEEZZNS1_14partition_implILS5_8ELb0ES3_jPKS7_PS8_PKS8_NS0_5tupleIJPS7_S8_EEENSG_IJSD_SD_EEENS0_18inequality_wrapperIN6hipcub16HIPCUB_304000_NS8EqualityEEEPlJS8_EEE10hipError_tPvRmT3_T4_T5_T6_T7_T9_mT8_P12ihipStream_tbDpT10_ENKUlT_T0_E_clISt17integral_constantIbLb0EES18_IbLb1EEEEDaS14_S15_EUlS14_E_NS1_11comp_targetILNS1_3genE9ELNS1_11target_archE1100ELNS1_3gpuE3ELNS1_3repE0EEENS1_30default_config_static_selectorELNS0_4arch9wavefront6targetE1EEEvT1_
		.amdhsa_group_segment_fixed_size 0
		.amdhsa_private_segment_fixed_size 0
		.amdhsa_kernarg_size 128
		.amdhsa_user_sgpr_count 6
		.amdhsa_user_sgpr_private_segment_buffer 1
		.amdhsa_user_sgpr_dispatch_ptr 0
		.amdhsa_user_sgpr_queue_ptr 0
		.amdhsa_user_sgpr_kernarg_segment_ptr 1
		.amdhsa_user_sgpr_dispatch_id 0
		.amdhsa_user_sgpr_flat_scratch_init 0
		.amdhsa_user_sgpr_kernarg_preload_length 0
		.amdhsa_user_sgpr_kernarg_preload_offset 0
		.amdhsa_user_sgpr_private_segment_size 0
		.amdhsa_uses_dynamic_stack 0
		.amdhsa_system_sgpr_private_segment_wavefront_offset 0
		.amdhsa_system_sgpr_workgroup_id_x 1
		.amdhsa_system_sgpr_workgroup_id_y 0
		.amdhsa_system_sgpr_workgroup_id_z 0
		.amdhsa_system_sgpr_workgroup_info 0
		.amdhsa_system_vgpr_workitem_id 0
		.amdhsa_next_free_vgpr 1
		.amdhsa_next_free_sgpr 0
		.amdhsa_accum_offset 4
		.amdhsa_reserve_vcc 0
		.amdhsa_reserve_flat_scratch 0
		.amdhsa_float_round_mode_32 0
		.amdhsa_float_round_mode_16_64 0
		.amdhsa_float_denorm_mode_32 3
		.amdhsa_float_denorm_mode_16_64 3
		.amdhsa_dx10_clamp 1
		.amdhsa_ieee_mode 1
		.amdhsa_fp16_overflow 0
		.amdhsa_tg_split 0
		.amdhsa_exception_fp_ieee_invalid_op 0
		.amdhsa_exception_fp_denorm_src 0
		.amdhsa_exception_fp_ieee_div_zero 0
		.amdhsa_exception_fp_ieee_overflow 0
		.amdhsa_exception_fp_ieee_underflow 0
		.amdhsa_exception_fp_ieee_inexact 0
		.amdhsa_exception_int_div_zero 0
	.end_amdhsa_kernel
	.section	.text._ZN7rocprim17ROCPRIM_400000_NS6detail17trampoline_kernelINS0_14default_configENS1_25partition_config_selectorILNS1_17partition_subalgoE8EN3c104HalfENS0_10empty_typeEbEEZZNS1_14partition_implILS5_8ELb0ES3_jPKS7_PS8_PKS8_NS0_5tupleIJPS7_S8_EEENSG_IJSD_SD_EEENS0_18inequality_wrapperIN6hipcub16HIPCUB_304000_NS8EqualityEEEPlJS8_EEE10hipError_tPvRmT3_T4_T5_T6_T7_T9_mT8_P12ihipStream_tbDpT10_ENKUlT_T0_E_clISt17integral_constantIbLb0EES18_IbLb1EEEEDaS14_S15_EUlS14_E_NS1_11comp_targetILNS1_3genE9ELNS1_11target_archE1100ELNS1_3gpuE3ELNS1_3repE0EEENS1_30default_config_static_selectorELNS0_4arch9wavefront6targetE1EEEvT1_,"axG",@progbits,_ZN7rocprim17ROCPRIM_400000_NS6detail17trampoline_kernelINS0_14default_configENS1_25partition_config_selectorILNS1_17partition_subalgoE8EN3c104HalfENS0_10empty_typeEbEEZZNS1_14partition_implILS5_8ELb0ES3_jPKS7_PS8_PKS8_NS0_5tupleIJPS7_S8_EEENSG_IJSD_SD_EEENS0_18inequality_wrapperIN6hipcub16HIPCUB_304000_NS8EqualityEEEPlJS8_EEE10hipError_tPvRmT3_T4_T5_T6_T7_T9_mT8_P12ihipStream_tbDpT10_ENKUlT_T0_E_clISt17integral_constantIbLb0EES18_IbLb1EEEEDaS14_S15_EUlS14_E_NS1_11comp_targetILNS1_3genE9ELNS1_11target_archE1100ELNS1_3gpuE3ELNS1_3repE0EEENS1_30default_config_static_selectorELNS0_4arch9wavefront6targetE1EEEvT1_,comdat
.Lfunc_end923:
	.size	_ZN7rocprim17ROCPRIM_400000_NS6detail17trampoline_kernelINS0_14default_configENS1_25partition_config_selectorILNS1_17partition_subalgoE8EN3c104HalfENS0_10empty_typeEbEEZZNS1_14partition_implILS5_8ELb0ES3_jPKS7_PS8_PKS8_NS0_5tupleIJPS7_S8_EEENSG_IJSD_SD_EEENS0_18inequality_wrapperIN6hipcub16HIPCUB_304000_NS8EqualityEEEPlJS8_EEE10hipError_tPvRmT3_T4_T5_T6_T7_T9_mT8_P12ihipStream_tbDpT10_ENKUlT_T0_E_clISt17integral_constantIbLb0EES18_IbLb1EEEEDaS14_S15_EUlS14_E_NS1_11comp_targetILNS1_3genE9ELNS1_11target_archE1100ELNS1_3gpuE3ELNS1_3repE0EEENS1_30default_config_static_selectorELNS0_4arch9wavefront6targetE1EEEvT1_, .Lfunc_end923-_ZN7rocprim17ROCPRIM_400000_NS6detail17trampoline_kernelINS0_14default_configENS1_25partition_config_selectorILNS1_17partition_subalgoE8EN3c104HalfENS0_10empty_typeEbEEZZNS1_14partition_implILS5_8ELb0ES3_jPKS7_PS8_PKS8_NS0_5tupleIJPS7_S8_EEENSG_IJSD_SD_EEENS0_18inequality_wrapperIN6hipcub16HIPCUB_304000_NS8EqualityEEEPlJS8_EEE10hipError_tPvRmT3_T4_T5_T6_T7_T9_mT8_P12ihipStream_tbDpT10_ENKUlT_T0_E_clISt17integral_constantIbLb0EES18_IbLb1EEEEDaS14_S15_EUlS14_E_NS1_11comp_targetILNS1_3genE9ELNS1_11target_archE1100ELNS1_3gpuE3ELNS1_3repE0EEENS1_30default_config_static_selectorELNS0_4arch9wavefront6targetE1EEEvT1_
                                        ; -- End function
	.section	.AMDGPU.csdata,"",@progbits
; Kernel info:
; codeLenInByte = 0
; NumSgprs: 4
; NumVgprs: 0
; NumAgprs: 0
; TotalNumVgprs: 0
; ScratchSize: 0
; MemoryBound: 0
; FloatMode: 240
; IeeeMode: 1
; LDSByteSize: 0 bytes/workgroup (compile time only)
; SGPRBlocks: 0
; VGPRBlocks: 0
; NumSGPRsForWavesPerEU: 4
; NumVGPRsForWavesPerEU: 1
; AccumOffset: 4
; Occupancy: 8
; WaveLimiterHint : 0
; COMPUTE_PGM_RSRC2:SCRATCH_EN: 0
; COMPUTE_PGM_RSRC2:USER_SGPR: 6
; COMPUTE_PGM_RSRC2:TRAP_HANDLER: 0
; COMPUTE_PGM_RSRC2:TGID_X_EN: 1
; COMPUTE_PGM_RSRC2:TGID_Y_EN: 0
; COMPUTE_PGM_RSRC2:TGID_Z_EN: 0
; COMPUTE_PGM_RSRC2:TIDIG_COMP_CNT: 0
; COMPUTE_PGM_RSRC3_GFX90A:ACCUM_OFFSET: 0
; COMPUTE_PGM_RSRC3_GFX90A:TG_SPLIT: 0
	.section	.text._ZN7rocprim17ROCPRIM_400000_NS6detail17trampoline_kernelINS0_14default_configENS1_25partition_config_selectorILNS1_17partition_subalgoE8EN3c104HalfENS0_10empty_typeEbEEZZNS1_14partition_implILS5_8ELb0ES3_jPKS7_PS8_PKS8_NS0_5tupleIJPS7_S8_EEENSG_IJSD_SD_EEENS0_18inequality_wrapperIN6hipcub16HIPCUB_304000_NS8EqualityEEEPlJS8_EEE10hipError_tPvRmT3_T4_T5_T6_T7_T9_mT8_P12ihipStream_tbDpT10_ENKUlT_T0_E_clISt17integral_constantIbLb0EES18_IbLb1EEEEDaS14_S15_EUlS14_E_NS1_11comp_targetILNS1_3genE8ELNS1_11target_archE1030ELNS1_3gpuE2ELNS1_3repE0EEENS1_30default_config_static_selectorELNS0_4arch9wavefront6targetE1EEEvT1_,"axG",@progbits,_ZN7rocprim17ROCPRIM_400000_NS6detail17trampoline_kernelINS0_14default_configENS1_25partition_config_selectorILNS1_17partition_subalgoE8EN3c104HalfENS0_10empty_typeEbEEZZNS1_14partition_implILS5_8ELb0ES3_jPKS7_PS8_PKS8_NS0_5tupleIJPS7_S8_EEENSG_IJSD_SD_EEENS0_18inequality_wrapperIN6hipcub16HIPCUB_304000_NS8EqualityEEEPlJS8_EEE10hipError_tPvRmT3_T4_T5_T6_T7_T9_mT8_P12ihipStream_tbDpT10_ENKUlT_T0_E_clISt17integral_constantIbLb0EES18_IbLb1EEEEDaS14_S15_EUlS14_E_NS1_11comp_targetILNS1_3genE8ELNS1_11target_archE1030ELNS1_3gpuE2ELNS1_3repE0EEENS1_30default_config_static_selectorELNS0_4arch9wavefront6targetE1EEEvT1_,comdat
	.protected	_ZN7rocprim17ROCPRIM_400000_NS6detail17trampoline_kernelINS0_14default_configENS1_25partition_config_selectorILNS1_17partition_subalgoE8EN3c104HalfENS0_10empty_typeEbEEZZNS1_14partition_implILS5_8ELb0ES3_jPKS7_PS8_PKS8_NS0_5tupleIJPS7_S8_EEENSG_IJSD_SD_EEENS0_18inequality_wrapperIN6hipcub16HIPCUB_304000_NS8EqualityEEEPlJS8_EEE10hipError_tPvRmT3_T4_T5_T6_T7_T9_mT8_P12ihipStream_tbDpT10_ENKUlT_T0_E_clISt17integral_constantIbLb0EES18_IbLb1EEEEDaS14_S15_EUlS14_E_NS1_11comp_targetILNS1_3genE8ELNS1_11target_archE1030ELNS1_3gpuE2ELNS1_3repE0EEENS1_30default_config_static_selectorELNS0_4arch9wavefront6targetE1EEEvT1_ ; -- Begin function _ZN7rocprim17ROCPRIM_400000_NS6detail17trampoline_kernelINS0_14default_configENS1_25partition_config_selectorILNS1_17partition_subalgoE8EN3c104HalfENS0_10empty_typeEbEEZZNS1_14partition_implILS5_8ELb0ES3_jPKS7_PS8_PKS8_NS0_5tupleIJPS7_S8_EEENSG_IJSD_SD_EEENS0_18inequality_wrapperIN6hipcub16HIPCUB_304000_NS8EqualityEEEPlJS8_EEE10hipError_tPvRmT3_T4_T5_T6_T7_T9_mT8_P12ihipStream_tbDpT10_ENKUlT_T0_E_clISt17integral_constantIbLb0EES18_IbLb1EEEEDaS14_S15_EUlS14_E_NS1_11comp_targetILNS1_3genE8ELNS1_11target_archE1030ELNS1_3gpuE2ELNS1_3repE0EEENS1_30default_config_static_selectorELNS0_4arch9wavefront6targetE1EEEvT1_
	.globl	_ZN7rocprim17ROCPRIM_400000_NS6detail17trampoline_kernelINS0_14default_configENS1_25partition_config_selectorILNS1_17partition_subalgoE8EN3c104HalfENS0_10empty_typeEbEEZZNS1_14partition_implILS5_8ELb0ES3_jPKS7_PS8_PKS8_NS0_5tupleIJPS7_S8_EEENSG_IJSD_SD_EEENS0_18inequality_wrapperIN6hipcub16HIPCUB_304000_NS8EqualityEEEPlJS8_EEE10hipError_tPvRmT3_T4_T5_T6_T7_T9_mT8_P12ihipStream_tbDpT10_ENKUlT_T0_E_clISt17integral_constantIbLb0EES18_IbLb1EEEEDaS14_S15_EUlS14_E_NS1_11comp_targetILNS1_3genE8ELNS1_11target_archE1030ELNS1_3gpuE2ELNS1_3repE0EEENS1_30default_config_static_selectorELNS0_4arch9wavefront6targetE1EEEvT1_
	.p2align	8
	.type	_ZN7rocprim17ROCPRIM_400000_NS6detail17trampoline_kernelINS0_14default_configENS1_25partition_config_selectorILNS1_17partition_subalgoE8EN3c104HalfENS0_10empty_typeEbEEZZNS1_14partition_implILS5_8ELb0ES3_jPKS7_PS8_PKS8_NS0_5tupleIJPS7_S8_EEENSG_IJSD_SD_EEENS0_18inequality_wrapperIN6hipcub16HIPCUB_304000_NS8EqualityEEEPlJS8_EEE10hipError_tPvRmT3_T4_T5_T6_T7_T9_mT8_P12ihipStream_tbDpT10_ENKUlT_T0_E_clISt17integral_constantIbLb0EES18_IbLb1EEEEDaS14_S15_EUlS14_E_NS1_11comp_targetILNS1_3genE8ELNS1_11target_archE1030ELNS1_3gpuE2ELNS1_3repE0EEENS1_30default_config_static_selectorELNS0_4arch9wavefront6targetE1EEEvT1_,@function
_ZN7rocprim17ROCPRIM_400000_NS6detail17trampoline_kernelINS0_14default_configENS1_25partition_config_selectorILNS1_17partition_subalgoE8EN3c104HalfENS0_10empty_typeEbEEZZNS1_14partition_implILS5_8ELb0ES3_jPKS7_PS8_PKS8_NS0_5tupleIJPS7_S8_EEENSG_IJSD_SD_EEENS0_18inequality_wrapperIN6hipcub16HIPCUB_304000_NS8EqualityEEEPlJS8_EEE10hipError_tPvRmT3_T4_T5_T6_T7_T9_mT8_P12ihipStream_tbDpT10_ENKUlT_T0_E_clISt17integral_constantIbLb0EES18_IbLb1EEEEDaS14_S15_EUlS14_E_NS1_11comp_targetILNS1_3genE8ELNS1_11target_archE1030ELNS1_3gpuE2ELNS1_3repE0EEENS1_30default_config_static_selectorELNS0_4arch9wavefront6targetE1EEEvT1_: ; @_ZN7rocprim17ROCPRIM_400000_NS6detail17trampoline_kernelINS0_14default_configENS1_25partition_config_selectorILNS1_17partition_subalgoE8EN3c104HalfENS0_10empty_typeEbEEZZNS1_14partition_implILS5_8ELb0ES3_jPKS7_PS8_PKS8_NS0_5tupleIJPS7_S8_EEENSG_IJSD_SD_EEENS0_18inequality_wrapperIN6hipcub16HIPCUB_304000_NS8EqualityEEEPlJS8_EEE10hipError_tPvRmT3_T4_T5_T6_T7_T9_mT8_P12ihipStream_tbDpT10_ENKUlT_T0_E_clISt17integral_constantIbLb0EES18_IbLb1EEEEDaS14_S15_EUlS14_E_NS1_11comp_targetILNS1_3genE8ELNS1_11target_archE1030ELNS1_3gpuE2ELNS1_3repE0EEENS1_30default_config_static_selectorELNS0_4arch9wavefront6targetE1EEEvT1_
; %bb.0:
	.section	.rodata,"a",@progbits
	.p2align	6, 0x0
	.amdhsa_kernel _ZN7rocprim17ROCPRIM_400000_NS6detail17trampoline_kernelINS0_14default_configENS1_25partition_config_selectorILNS1_17partition_subalgoE8EN3c104HalfENS0_10empty_typeEbEEZZNS1_14partition_implILS5_8ELb0ES3_jPKS7_PS8_PKS8_NS0_5tupleIJPS7_S8_EEENSG_IJSD_SD_EEENS0_18inequality_wrapperIN6hipcub16HIPCUB_304000_NS8EqualityEEEPlJS8_EEE10hipError_tPvRmT3_T4_T5_T6_T7_T9_mT8_P12ihipStream_tbDpT10_ENKUlT_T0_E_clISt17integral_constantIbLb0EES18_IbLb1EEEEDaS14_S15_EUlS14_E_NS1_11comp_targetILNS1_3genE8ELNS1_11target_archE1030ELNS1_3gpuE2ELNS1_3repE0EEENS1_30default_config_static_selectorELNS0_4arch9wavefront6targetE1EEEvT1_
		.amdhsa_group_segment_fixed_size 0
		.amdhsa_private_segment_fixed_size 0
		.amdhsa_kernarg_size 128
		.amdhsa_user_sgpr_count 6
		.amdhsa_user_sgpr_private_segment_buffer 1
		.amdhsa_user_sgpr_dispatch_ptr 0
		.amdhsa_user_sgpr_queue_ptr 0
		.amdhsa_user_sgpr_kernarg_segment_ptr 1
		.amdhsa_user_sgpr_dispatch_id 0
		.amdhsa_user_sgpr_flat_scratch_init 0
		.amdhsa_user_sgpr_kernarg_preload_length 0
		.amdhsa_user_sgpr_kernarg_preload_offset 0
		.amdhsa_user_sgpr_private_segment_size 0
		.amdhsa_uses_dynamic_stack 0
		.amdhsa_system_sgpr_private_segment_wavefront_offset 0
		.amdhsa_system_sgpr_workgroup_id_x 1
		.amdhsa_system_sgpr_workgroup_id_y 0
		.amdhsa_system_sgpr_workgroup_id_z 0
		.amdhsa_system_sgpr_workgroup_info 0
		.amdhsa_system_vgpr_workitem_id 0
		.amdhsa_next_free_vgpr 1
		.amdhsa_next_free_sgpr 0
		.amdhsa_accum_offset 4
		.amdhsa_reserve_vcc 0
		.amdhsa_reserve_flat_scratch 0
		.amdhsa_float_round_mode_32 0
		.amdhsa_float_round_mode_16_64 0
		.amdhsa_float_denorm_mode_32 3
		.amdhsa_float_denorm_mode_16_64 3
		.amdhsa_dx10_clamp 1
		.amdhsa_ieee_mode 1
		.amdhsa_fp16_overflow 0
		.amdhsa_tg_split 0
		.amdhsa_exception_fp_ieee_invalid_op 0
		.amdhsa_exception_fp_denorm_src 0
		.amdhsa_exception_fp_ieee_div_zero 0
		.amdhsa_exception_fp_ieee_overflow 0
		.amdhsa_exception_fp_ieee_underflow 0
		.amdhsa_exception_fp_ieee_inexact 0
		.amdhsa_exception_int_div_zero 0
	.end_amdhsa_kernel
	.section	.text._ZN7rocprim17ROCPRIM_400000_NS6detail17trampoline_kernelINS0_14default_configENS1_25partition_config_selectorILNS1_17partition_subalgoE8EN3c104HalfENS0_10empty_typeEbEEZZNS1_14partition_implILS5_8ELb0ES3_jPKS7_PS8_PKS8_NS0_5tupleIJPS7_S8_EEENSG_IJSD_SD_EEENS0_18inequality_wrapperIN6hipcub16HIPCUB_304000_NS8EqualityEEEPlJS8_EEE10hipError_tPvRmT3_T4_T5_T6_T7_T9_mT8_P12ihipStream_tbDpT10_ENKUlT_T0_E_clISt17integral_constantIbLb0EES18_IbLb1EEEEDaS14_S15_EUlS14_E_NS1_11comp_targetILNS1_3genE8ELNS1_11target_archE1030ELNS1_3gpuE2ELNS1_3repE0EEENS1_30default_config_static_selectorELNS0_4arch9wavefront6targetE1EEEvT1_,"axG",@progbits,_ZN7rocprim17ROCPRIM_400000_NS6detail17trampoline_kernelINS0_14default_configENS1_25partition_config_selectorILNS1_17partition_subalgoE8EN3c104HalfENS0_10empty_typeEbEEZZNS1_14partition_implILS5_8ELb0ES3_jPKS7_PS8_PKS8_NS0_5tupleIJPS7_S8_EEENSG_IJSD_SD_EEENS0_18inequality_wrapperIN6hipcub16HIPCUB_304000_NS8EqualityEEEPlJS8_EEE10hipError_tPvRmT3_T4_T5_T6_T7_T9_mT8_P12ihipStream_tbDpT10_ENKUlT_T0_E_clISt17integral_constantIbLb0EES18_IbLb1EEEEDaS14_S15_EUlS14_E_NS1_11comp_targetILNS1_3genE8ELNS1_11target_archE1030ELNS1_3gpuE2ELNS1_3repE0EEENS1_30default_config_static_selectorELNS0_4arch9wavefront6targetE1EEEvT1_,comdat
.Lfunc_end924:
	.size	_ZN7rocprim17ROCPRIM_400000_NS6detail17trampoline_kernelINS0_14default_configENS1_25partition_config_selectorILNS1_17partition_subalgoE8EN3c104HalfENS0_10empty_typeEbEEZZNS1_14partition_implILS5_8ELb0ES3_jPKS7_PS8_PKS8_NS0_5tupleIJPS7_S8_EEENSG_IJSD_SD_EEENS0_18inequality_wrapperIN6hipcub16HIPCUB_304000_NS8EqualityEEEPlJS8_EEE10hipError_tPvRmT3_T4_T5_T6_T7_T9_mT8_P12ihipStream_tbDpT10_ENKUlT_T0_E_clISt17integral_constantIbLb0EES18_IbLb1EEEEDaS14_S15_EUlS14_E_NS1_11comp_targetILNS1_3genE8ELNS1_11target_archE1030ELNS1_3gpuE2ELNS1_3repE0EEENS1_30default_config_static_selectorELNS0_4arch9wavefront6targetE1EEEvT1_, .Lfunc_end924-_ZN7rocprim17ROCPRIM_400000_NS6detail17trampoline_kernelINS0_14default_configENS1_25partition_config_selectorILNS1_17partition_subalgoE8EN3c104HalfENS0_10empty_typeEbEEZZNS1_14partition_implILS5_8ELb0ES3_jPKS7_PS8_PKS8_NS0_5tupleIJPS7_S8_EEENSG_IJSD_SD_EEENS0_18inequality_wrapperIN6hipcub16HIPCUB_304000_NS8EqualityEEEPlJS8_EEE10hipError_tPvRmT3_T4_T5_T6_T7_T9_mT8_P12ihipStream_tbDpT10_ENKUlT_T0_E_clISt17integral_constantIbLb0EES18_IbLb1EEEEDaS14_S15_EUlS14_E_NS1_11comp_targetILNS1_3genE8ELNS1_11target_archE1030ELNS1_3gpuE2ELNS1_3repE0EEENS1_30default_config_static_selectorELNS0_4arch9wavefront6targetE1EEEvT1_
                                        ; -- End function
	.section	.AMDGPU.csdata,"",@progbits
; Kernel info:
; codeLenInByte = 0
; NumSgprs: 4
; NumVgprs: 0
; NumAgprs: 0
; TotalNumVgprs: 0
; ScratchSize: 0
; MemoryBound: 0
; FloatMode: 240
; IeeeMode: 1
; LDSByteSize: 0 bytes/workgroup (compile time only)
; SGPRBlocks: 0
; VGPRBlocks: 0
; NumSGPRsForWavesPerEU: 4
; NumVGPRsForWavesPerEU: 1
; AccumOffset: 4
; Occupancy: 8
; WaveLimiterHint : 0
; COMPUTE_PGM_RSRC2:SCRATCH_EN: 0
; COMPUTE_PGM_RSRC2:USER_SGPR: 6
; COMPUTE_PGM_RSRC2:TRAP_HANDLER: 0
; COMPUTE_PGM_RSRC2:TGID_X_EN: 1
; COMPUTE_PGM_RSRC2:TGID_Y_EN: 0
; COMPUTE_PGM_RSRC2:TGID_Z_EN: 0
; COMPUTE_PGM_RSRC2:TIDIG_COMP_CNT: 0
; COMPUTE_PGM_RSRC3_GFX90A:ACCUM_OFFSET: 0
; COMPUTE_PGM_RSRC3_GFX90A:TG_SPLIT: 0
	.section	.text._ZN7rocprim17ROCPRIM_400000_NS6detail17trampoline_kernelINS0_14default_configENS1_33run_length_encode_config_selectorIN3c104HalfEjNS0_4plusIjEEEEZZNS1_33reduce_by_key_impl_wrapped_configILNS1_25lookback_scan_determinismE0ES3_S9_PKS6_NS0_17constant_iteratorIjlEEPS6_PlSH_S8_NS0_8equal_toIS6_EEEE10hipError_tPvRmT2_T3_mT4_T5_T6_T7_T8_P12ihipStream_tbENKUlT_T0_E_clISt17integral_constantIbLb0EES11_EEDaSW_SX_EUlSW_E_NS1_11comp_targetILNS1_3genE0ELNS1_11target_archE4294967295ELNS1_3gpuE0ELNS1_3repE0EEENS1_30default_config_static_selectorELNS0_4arch9wavefront6targetE1EEEvT1_,"axG",@progbits,_ZN7rocprim17ROCPRIM_400000_NS6detail17trampoline_kernelINS0_14default_configENS1_33run_length_encode_config_selectorIN3c104HalfEjNS0_4plusIjEEEEZZNS1_33reduce_by_key_impl_wrapped_configILNS1_25lookback_scan_determinismE0ES3_S9_PKS6_NS0_17constant_iteratorIjlEEPS6_PlSH_S8_NS0_8equal_toIS6_EEEE10hipError_tPvRmT2_T3_mT4_T5_T6_T7_T8_P12ihipStream_tbENKUlT_T0_E_clISt17integral_constantIbLb0EES11_EEDaSW_SX_EUlSW_E_NS1_11comp_targetILNS1_3genE0ELNS1_11target_archE4294967295ELNS1_3gpuE0ELNS1_3repE0EEENS1_30default_config_static_selectorELNS0_4arch9wavefront6targetE1EEEvT1_,comdat
	.protected	_ZN7rocprim17ROCPRIM_400000_NS6detail17trampoline_kernelINS0_14default_configENS1_33run_length_encode_config_selectorIN3c104HalfEjNS0_4plusIjEEEEZZNS1_33reduce_by_key_impl_wrapped_configILNS1_25lookback_scan_determinismE0ES3_S9_PKS6_NS0_17constant_iteratorIjlEEPS6_PlSH_S8_NS0_8equal_toIS6_EEEE10hipError_tPvRmT2_T3_mT4_T5_T6_T7_T8_P12ihipStream_tbENKUlT_T0_E_clISt17integral_constantIbLb0EES11_EEDaSW_SX_EUlSW_E_NS1_11comp_targetILNS1_3genE0ELNS1_11target_archE4294967295ELNS1_3gpuE0ELNS1_3repE0EEENS1_30default_config_static_selectorELNS0_4arch9wavefront6targetE1EEEvT1_ ; -- Begin function _ZN7rocprim17ROCPRIM_400000_NS6detail17trampoline_kernelINS0_14default_configENS1_33run_length_encode_config_selectorIN3c104HalfEjNS0_4plusIjEEEEZZNS1_33reduce_by_key_impl_wrapped_configILNS1_25lookback_scan_determinismE0ES3_S9_PKS6_NS0_17constant_iteratorIjlEEPS6_PlSH_S8_NS0_8equal_toIS6_EEEE10hipError_tPvRmT2_T3_mT4_T5_T6_T7_T8_P12ihipStream_tbENKUlT_T0_E_clISt17integral_constantIbLb0EES11_EEDaSW_SX_EUlSW_E_NS1_11comp_targetILNS1_3genE0ELNS1_11target_archE4294967295ELNS1_3gpuE0ELNS1_3repE0EEENS1_30default_config_static_selectorELNS0_4arch9wavefront6targetE1EEEvT1_
	.globl	_ZN7rocprim17ROCPRIM_400000_NS6detail17trampoline_kernelINS0_14default_configENS1_33run_length_encode_config_selectorIN3c104HalfEjNS0_4plusIjEEEEZZNS1_33reduce_by_key_impl_wrapped_configILNS1_25lookback_scan_determinismE0ES3_S9_PKS6_NS0_17constant_iteratorIjlEEPS6_PlSH_S8_NS0_8equal_toIS6_EEEE10hipError_tPvRmT2_T3_mT4_T5_T6_T7_T8_P12ihipStream_tbENKUlT_T0_E_clISt17integral_constantIbLb0EES11_EEDaSW_SX_EUlSW_E_NS1_11comp_targetILNS1_3genE0ELNS1_11target_archE4294967295ELNS1_3gpuE0ELNS1_3repE0EEENS1_30default_config_static_selectorELNS0_4arch9wavefront6targetE1EEEvT1_
	.p2align	8
	.type	_ZN7rocprim17ROCPRIM_400000_NS6detail17trampoline_kernelINS0_14default_configENS1_33run_length_encode_config_selectorIN3c104HalfEjNS0_4plusIjEEEEZZNS1_33reduce_by_key_impl_wrapped_configILNS1_25lookback_scan_determinismE0ES3_S9_PKS6_NS0_17constant_iteratorIjlEEPS6_PlSH_S8_NS0_8equal_toIS6_EEEE10hipError_tPvRmT2_T3_mT4_T5_T6_T7_T8_P12ihipStream_tbENKUlT_T0_E_clISt17integral_constantIbLb0EES11_EEDaSW_SX_EUlSW_E_NS1_11comp_targetILNS1_3genE0ELNS1_11target_archE4294967295ELNS1_3gpuE0ELNS1_3repE0EEENS1_30default_config_static_selectorELNS0_4arch9wavefront6targetE1EEEvT1_,@function
_ZN7rocprim17ROCPRIM_400000_NS6detail17trampoline_kernelINS0_14default_configENS1_33run_length_encode_config_selectorIN3c104HalfEjNS0_4plusIjEEEEZZNS1_33reduce_by_key_impl_wrapped_configILNS1_25lookback_scan_determinismE0ES3_S9_PKS6_NS0_17constant_iteratorIjlEEPS6_PlSH_S8_NS0_8equal_toIS6_EEEE10hipError_tPvRmT2_T3_mT4_T5_T6_T7_T8_P12ihipStream_tbENKUlT_T0_E_clISt17integral_constantIbLb0EES11_EEDaSW_SX_EUlSW_E_NS1_11comp_targetILNS1_3genE0ELNS1_11target_archE4294967295ELNS1_3gpuE0ELNS1_3repE0EEENS1_30default_config_static_selectorELNS0_4arch9wavefront6targetE1EEEvT1_: ; @_ZN7rocprim17ROCPRIM_400000_NS6detail17trampoline_kernelINS0_14default_configENS1_33run_length_encode_config_selectorIN3c104HalfEjNS0_4plusIjEEEEZZNS1_33reduce_by_key_impl_wrapped_configILNS1_25lookback_scan_determinismE0ES3_S9_PKS6_NS0_17constant_iteratorIjlEEPS6_PlSH_S8_NS0_8equal_toIS6_EEEE10hipError_tPvRmT2_T3_mT4_T5_T6_T7_T8_P12ihipStream_tbENKUlT_T0_E_clISt17integral_constantIbLb0EES11_EEDaSW_SX_EUlSW_E_NS1_11comp_targetILNS1_3genE0ELNS1_11target_archE4294967295ELNS1_3gpuE0ELNS1_3repE0EEENS1_30default_config_static_selectorELNS0_4arch9wavefront6targetE1EEEvT1_
; %bb.0:
	.section	.rodata,"a",@progbits
	.p2align	6, 0x0
	.amdhsa_kernel _ZN7rocprim17ROCPRIM_400000_NS6detail17trampoline_kernelINS0_14default_configENS1_33run_length_encode_config_selectorIN3c104HalfEjNS0_4plusIjEEEEZZNS1_33reduce_by_key_impl_wrapped_configILNS1_25lookback_scan_determinismE0ES3_S9_PKS6_NS0_17constant_iteratorIjlEEPS6_PlSH_S8_NS0_8equal_toIS6_EEEE10hipError_tPvRmT2_T3_mT4_T5_T6_T7_T8_P12ihipStream_tbENKUlT_T0_E_clISt17integral_constantIbLb0EES11_EEDaSW_SX_EUlSW_E_NS1_11comp_targetILNS1_3genE0ELNS1_11target_archE4294967295ELNS1_3gpuE0ELNS1_3repE0EEENS1_30default_config_static_selectorELNS0_4arch9wavefront6targetE1EEEvT1_
		.amdhsa_group_segment_fixed_size 0
		.amdhsa_private_segment_fixed_size 0
		.amdhsa_kernarg_size 128
		.amdhsa_user_sgpr_count 6
		.amdhsa_user_sgpr_private_segment_buffer 1
		.amdhsa_user_sgpr_dispatch_ptr 0
		.amdhsa_user_sgpr_queue_ptr 0
		.amdhsa_user_sgpr_kernarg_segment_ptr 1
		.amdhsa_user_sgpr_dispatch_id 0
		.amdhsa_user_sgpr_flat_scratch_init 0
		.amdhsa_user_sgpr_kernarg_preload_length 0
		.amdhsa_user_sgpr_kernarg_preload_offset 0
		.amdhsa_user_sgpr_private_segment_size 0
		.amdhsa_uses_dynamic_stack 0
		.amdhsa_system_sgpr_private_segment_wavefront_offset 0
		.amdhsa_system_sgpr_workgroup_id_x 1
		.amdhsa_system_sgpr_workgroup_id_y 0
		.amdhsa_system_sgpr_workgroup_id_z 0
		.amdhsa_system_sgpr_workgroup_info 0
		.amdhsa_system_vgpr_workitem_id 0
		.amdhsa_next_free_vgpr 1
		.amdhsa_next_free_sgpr 0
		.amdhsa_accum_offset 4
		.amdhsa_reserve_vcc 0
		.amdhsa_reserve_flat_scratch 0
		.amdhsa_float_round_mode_32 0
		.amdhsa_float_round_mode_16_64 0
		.amdhsa_float_denorm_mode_32 3
		.amdhsa_float_denorm_mode_16_64 3
		.amdhsa_dx10_clamp 1
		.amdhsa_ieee_mode 1
		.amdhsa_fp16_overflow 0
		.amdhsa_tg_split 0
		.amdhsa_exception_fp_ieee_invalid_op 0
		.amdhsa_exception_fp_denorm_src 0
		.amdhsa_exception_fp_ieee_div_zero 0
		.amdhsa_exception_fp_ieee_overflow 0
		.amdhsa_exception_fp_ieee_underflow 0
		.amdhsa_exception_fp_ieee_inexact 0
		.amdhsa_exception_int_div_zero 0
	.end_amdhsa_kernel
	.section	.text._ZN7rocprim17ROCPRIM_400000_NS6detail17trampoline_kernelINS0_14default_configENS1_33run_length_encode_config_selectorIN3c104HalfEjNS0_4plusIjEEEEZZNS1_33reduce_by_key_impl_wrapped_configILNS1_25lookback_scan_determinismE0ES3_S9_PKS6_NS0_17constant_iteratorIjlEEPS6_PlSH_S8_NS0_8equal_toIS6_EEEE10hipError_tPvRmT2_T3_mT4_T5_T6_T7_T8_P12ihipStream_tbENKUlT_T0_E_clISt17integral_constantIbLb0EES11_EEDaSW_SX_EUlSW_E_NS1_11comp_targetILNS1_3genE0ELNS1_11target_archE4294967295ELNS1_3gpuE0ELNS1_3repE0EEENS1_30default_config_static_selectorELNS0_4arch9wavefront6targetE1EEEvT1_,"axG",@progbits,_ZN7rocprim17ROCPRIM_400000_NS6detail17trampoline_kernelINS0_14default_configENS1_33run_length_encode_config_selectorIN3c104HalfEjNS0_4plusIjEEEEZZNS1_33reduce_by_key_impl_wrapped_configILNS1_25lookback_scan_determinismE0ES3_S9_PKS6_NS0_17constant_iteratorIjlEEPS6_PlSH_S8_NS0_8equal_toIS6_EEEE10hipError_tPvRmT2_T3_mT4_T5_T6_T7_T8_P12ihipStream_tbENKUlT_T0_E_clISt17integral_constantIbLb0EES11_EEDaSW_SX_EUlSW_E_NS1_11comp_targetILNS1_3genE0ELNS1_11target_archE4294967295ELNS1_3gpuE0ELNS1_3repE0EEENS1_30default_config_static_selectorELNS0_4arch9wavefront6targetE1EEEvT1_,comdat
.Lfunc_end925:
	.size	_ZN7rocprim17ROCPRIM_400000_NS6detail17trampoline_kernelINS0_14default_configENS1_33run_length_encode_config_selectorIN3c104HalfEjNS0_4plusIjEEEEZZNS1_33reduce_by_key_impl_wrapped_configILNS1_25lookback_scan_determinismE0ES3_S9_PKS6_NS0_17constant_iteratorIjlEEPS6_PlSH_S8_NS0_8equal_toIS6_EEEE10hipError_tPvRmT2_T3_mT4_T5_T6_T7_T8_P12ihipStream_tbENKUlT_T0_E_clISt17integral_constantIbLb0EES11_EEDaSW_SX_EUlSW_E_NS1_11comp_targetILNS1_3genE0ELNS1_11target_archE4294967295ELNS1_3gpuE0ELNS1_3repE0EEENS1_30default_config_static_selectorELNS0_4arch9wavefront6targetE1EEEvT1_, .Lfunc_end925-_ZN7rocprim17ROCPRIM_400000_NS6detail17trampoline_kernelINS0_14default_configENS1_33run_length_encode_config_selectorIN3c104HalfEjNS0_4plusIjEEEEZZNS1_33reduce_by_key_impl_wrapped_configILNS1_25lookback_scan_determinismE0ES3_S9_PKS6_NS0_17constant_iteratorIjlEEPS6_PlSH_S8_NS0_8equal_toIS6_EEEE10hipError_tPvRmT2_T3_mT4_T5_T6_T7_T8_P12ihipStream_tbENKUlT_T0_E_clISt17integral_constantIbLb0EES11_EEDaSW_SX_EUlSW_E_NS1_11comp_targetILNS1_3genE0ELNS1_11target_archE4294967295ELNS1_3gpuE0ELNS1_3repE0EEENS1_30default_config_static_selectorELNS0_4arch9wavefront6targetE1EEEvT1_
                                        ; -- End function
	.section	.AMDGPU.csdata,"",@progbits
; Kernel info:
; codeLenInByte = 0
; NumSgprs: 4
; NumVgprs: 0
; NumAgprs: 0
; TotalNumVgprs: 0
; ScratchSize: 0
; MemoryBound: 0
; FloatMode: 240
; IeeeMode: 1
; LDSByteSize: 0 bytes/workgroup (compile time only)
; SGPRBlocks: 0
; VGPRBlocks: 0
; NumSGPRsForWavesPerEU: 4
; NumVGPRsForWavesPerEU: 1
; AccumOffset: 4
; Occupancy: 8
; WaveLimiterHint : 0
; COMPUTE_PGM_RSRC2:SCRATCH_EN: 0
; COMPUTE_PGM_RSRC2:USER_SGPR: 6
; COMPUTE_PGM_RSRC2:TRAP_HANDLER: 0
; COMPUTE_PGM_RSRC2:TGID_X_EN: 1
; COMPUTE_PGM_RSRC2:TGID_Y_EN: 0
; COMPUTE_PGM_RSRC2:TGID_Z_EN: 0
; COMPUTE_PGM_RSRC2:TIDIG_COMP_CNT: 0
; COMPUTE_PGM_RSRC3_GFX90A:ACCUM_OFFSET: 0
; COMPUTE_PGM_RSRC3_GFX90A:TG_SPLIT: 0
	.section	.text._ZN7rocprim17ROCPRIM_400000_NS6detail17trampoline_kernelINS0_14default_configENS1_33run_length_encode_config_selectorIN3c104HalfEjNS0_4plusIjEEEEZZNS1_33reduce_by_key_impl_wrapped_configILNS1_25lookback_scan_determinismE0ES3_S9_PKS6_NS0_17constant_iteratorIjlEEPS6_PlSH_S8_NS0_8equal_toIS6_EEEE10hipError_tPvRmT2_T3_mT4_T5_T6_T7_T8_P12ihipStream_tbENKUlT_T0_E_clISt17integral_constantIbLb0EES11_EEDaSW_SX_EUlSW_E_NS1_11comp_targetILNS1_3genE5ELNS1_11target_archE942ELNS1_3gpuE9ELNS1_3repE0EEENS1_30default_config_static_selectorELNS0_4arch9wavefront6targetE1EEEvT1_,"axG",@progbits,_ZN7rocprim17ROCPRIM_400000_NS6detail17trampoline_kernelINS0_14default_configENS1_33run_length_encode_config_selectorIN3c104HalfEjNS0_4plusIjEEEEZZNS1_33reduce_by_key_impl_wrapped_configILNS1_25lookback_scan_determinismE0ES3_S9_PKS6_NS0_17constant_iteratorIjlEEPS6_PlSH_S8_NS0_8equal_toIS6_EEEE10hipError_tPvRmT2_T3_mT4_T5_T6_T7_T8_P12ihipStream_tbENKUlT_T0_E_clISt17integral_constantIbLb0EES11_EEDaSW_SX_EUlSW_E_NS1_11comp_targetILNS1_3genE5ELNS1_11target_archE942ELNS1_3gpuE9ELNS1_3repE0EEENS1_30default_config_static_selectorELNS0_4arch9wavefront6targetE1EEEvT1_,comdat
	.protected	_ZN7rocprim17ROCPRIM_400000_NS6detail17trampoline_kernelINS0_14default_configENS1_33run_length_encode_config_selectorIN3c104HalfEjNS0_4plusIjEEEEZZNS1_33reduce_by_key_impl_wrapped_configILNS1_25lookback_scan_determinismE0ES3_S9_PKS6_NS0_17constant_iteratorIjlEEPS6_PlSH_S8_NS0_8equal_toIS6_EEEE10hipError_tPvRmT2_T3_mT4_T5_T6_T7_T8_P12ihipStream_tbENKUlT_T0_E_clISt17integral_constantIbLb0EES11_EEDaSW_SX_EUlSW_E_NS1_11comp_targetILNS1_3genE5ELNS1_11target_archE942ELNS1_3gpuE9ELNS1_3repE0EEENS1_30default_config_static_selectorELNS0_4arch9wavefront6targetE1EEEvT1_ ; -- Begin function _ZN7rocprim17ROCPRIM_400000_NS6detail17trampoline_kernelINS0_14default_configENS1_33run_length_encode_config_selectorIN3c104HalfEjNS0_4plusIjEEEEZZNS1_33reduce_by_key_impl_wrapped_configILNS1_25lookback_scan_determinismE0ES3_S9_PKS6_NS0_17constant_iteratorIjlEEPS6_PlSH_S8_NS0_8equal_toIS6_EEEE10hipError_tPvRmT2_T3_mT4_T5_T6_T7_T8_P12ihipStream_tbENKUlT_T0_E_clISt17integral_constantIbLb0EES11_EEDaSW_SX_EUlSW_E_NS1_11comp_targetILNS1_3genE5ELNS1_11target_archE942ELNS1_3gpuE9ELNS1_3repE0EEENS1_30default_config_static_selectorELNS0_4arch9wavefront6targetE1EEEvT1_
	.globl	_ZN7rocprim17ROCPRIM_400000_NS6detail17trampoline_kernelINS0_14default_configENS1_33run_length_encode_config_selectorIN3c104HalfEjNS0_4plusIjEEEEZZNS1_33reduce_by_key_impl_wrapped_configILNS1_25lookback_scan_determinismE0ES3_S9_PKS6_NS0_17constant_iteratorIjlEEPS6_PlSH_S8_NS0_8equal_toIS6_EEEE10hipError_tPvRmT2_T3_mT4_T5_T6_T7_T8_P12ihipStream_tbENKUlT_T0_E_clISt17integral_constantIbLb0EES11_EEDaSW_SX_EUlSW_E_NS1_11comp_targetILNS1_3genE5ELNS1_11target_archE942ELNS1_3gpuE9ELNS1_3repE0EEENS1_30default_config_static_selectorELNS0_4arch9wavefront6targetE1EEEvT1_
	.p2align	8
	.type	_ZN7rocprim17ROCPRIM_400000_NS6detail17trampoline_kernelINS0_14default_configENS1_33run_length_encode_config_selectorIN3c104HalfEjNS0_4plusIjEEEEZZNS1_33reduce_by_key_impl_wrapped_configILNS1_25lookback_scan_determinismE0ES3_S9_PKS6_NS0_17constant_iteratorIjlEEPS6_PlSH_S8_NS0_8equal_toIS6_EEEE10hipError_tPvRmT2_T3_mT4_T5_T6_T7_T8_P12ihipStream_tbENKUlT_T0_E_clISt17integral_constantIbLb0EES11_EEDaSW_SX_EUlSW_E_NS1_11comp_targetILNS1_3genE5ELNS1_11target_archE942ELNS1_3gpuE9ELNS1_3repE0EEENS1_30default_config_static_selectorELNS0_4arch9wavefront6targetE1EEEvT1_,@function
_ZN7rocprim17ROCPRIM_400000_NS6detail17trampoline_kernelINS0_14default_configENS1_33run_length_encode_config_selectorIN3c104HalfEjNS0_4plusIjEEEEZZNS1_33reduce_by_key_impl_wrapped_configILNS1_25lookback_scan_determinismE0ES3_S9_PKS6_NS0_17constant_iteratorIjlEEPS6_PlSH_S8_NS0_8equal_toIS6_EEEE10hipError_tPvRmT2_T3_mT4_T5_T6_T7_T8_P12ihipStream_tbENKUlT_T0_E_clISt17integral_constantIbLb0EES11_EEDaSW_SX_EUlSW_E_NS1_11comp_targetILNS1_3genE5ELNS1_11target_archE942ELNS1_3gpuE9ELNS1_3repE0EEENS1_30default_config_static_selectorELNS0_4arch9wavefront6targetE1EEEvT1_: ; @_ZN7rocprim17ROCPRIM_400000_NS6detail17trampoline_kernelINS0_14default_configENS1_33run_length_encode_config_selectorIN3c104HalfEjNS0_4plusIjEEEEZZNS1_33reduce_by_key_impl_wrapped_configILNS1_25lookback_scan_determinismE0ES3_S9_PKS6_NS0_17constant_iteratorIjlEEPS6_PlSH_S8_NS0_8equal_toIS6_EEEE10hipError_tPvRmT2_T3_mT4_T5_T6_T7_T8_P12ihipStream_tbENKUlT_T0_E_clISt17integral_constantIbLb0EES11_EEDaSW_SX_EUlSW_E_NS1_11comp_targetILNS1_3genE5ELNS1_11target_archE942ELNS1_3gpuE9ELNS1_3repE0EEENS1_30default_config_static_selectorELNS0_4arch9wavefront6targetE1EEEvT1_
; %bb.0:
	.section	.rodata,"a",@progbits
	.p2align	6, 0x0
	.amdhsa_kernel _ZN7rocprim17ROCPRIM_400000_NS6detail17trampoline_kernelINS0_14default_configENS1_33run_length_encode_config_selectorIN3c104HalfEjNS0_4plusIjEEEEZZNS1_33reduce_by_key_impl_wrapped_configILNS1_25lookback_scan_determinismE0ES3_S9_PKS6_NS0_17constant_iteratorIjlEEPS6_PlSH_S8_NS0_8equal_toIS6_EEEE10hipError_tPvRmT2_T3_mT4_T5_T6_T7_T8_P12ihipStream_tbENKUlT_T0_E_clISt17integral_constantIbLb0EES11_EEDaSW_SX_EUlSW_E_NS1_11comp_targetILNS1_3genE5ELNS1_11target_archE942ELNS1_3gpuE9ELNS1_3repE0EEENS1_30default_config_static_selectorELNS0_4arch9wavefront6targetE1EEEvT1_
		.amdhsa_group_segment_fixed_size 0
		.amdhsa_private_segment_fixed_size 0
		.amdhsa_kernarg_size 128
		.amdhsa_user_sgpr_count 6
		.amdhsa_user_sgpr_private_segment_buffer 1
		.amdhsa_user_sgpr_dispatch_ptr 0
		.amdhsa_user_sgpr_queue_ptr 0
		.amdhsa_user_sgpr_kernarg_segment_ptr 1
		.amdhsa_user_sgpr_dispatch_id 0
		.amdhsa_user_sgpr_flat_scratch_init 0
		.amdhsa_user_sgpr_kernarg_preload_length 0
		.amdhsa_user_sgpr_kernarg_preload_offset 0
		.amdhsa_user_sgpr_private_segment_size 0
		.amdhsa_uses_dynamic_stack 0
		.amdhsa_system_sgpr_private_segment_wavefront_offset 0
		.amdhsa_system_sgpr_workgroup_id_x 1
		.amdhsa_system_sgpr_workgroup_id_y 0
		.amdhsa_system_sgpr_workgroup_id_z 0
		.amdhsa_system_sgpr_workgroup_info 0
		.amdhsa_system_vgpr_workitem_id 0
		.amdhsa_next_free_vgpr 1
		.amdhsa_next_free_sgpr 0
		.amdhsa_accum_offset 4
		.amdhsa_reserve_vcc 0
		.amdhsa_reserve_flat_scratch 0
		.amdhsa_float_round_mode_32 0
		.amdhsa_float_round_mode_16_64 0
		.amdhsa_float_denorm_mode_32 3
		.amdhsa_float_denorm_mode_16_64 3
		.amdhsa_dx10_clamp 1
		.amdhsa_ieee_mode 1
		.amdhsa_fp16_overflow 0
		.amdhsa_tg_split 0
		.amdhsa_exception_fp_ieee_invalid_op 0
		.amdhsa_exception_fp_denorm_src 0
		.amdhsa_exception_fp_ieee_div_zero 0
		.amdhsa_exception_fp_ieee_overflow 0
		.amdhsa_exception_fp_ieee_underflow 0
		.amdhsa_exception_fp_ieee_inexact 0
		.amdhsa_exception_int_div_zero 0
	.end_amdhsa_kernel
	.section	.text._ZN7rocprim17ROCPRIM_400000_NS6detail17trampoline_kernelINS0_14default_configENS1_33run_length_encode_config_selectorIN3c104HalfEjNS0_4plusIjEEEEZZNS1_33reduce_by_key_impl_wrapped_configILNS1_25lookback_scan_determinismE0ES3_S9_PKS6_NS0_17constant_iteratorIjlEEPS6_PlSH_S8_NS0_8equal_toIS6_EEEE10hipError_tPvRmT2_T3_mT4_T5_T6_T7_T8_P12ihipStream_tbENKUlT_T0_E_clISt17integral_constantIbLb0EES11_EEDaSW_SX_EUlSW_E_NS1_11comp_targetILNS1_3genE5ELNS1_11target_archE942ELNS1_3gpuE9ELNS1_3repE0EEENS1_30default_config_static_selectorELNS0_4arch9wavefront6targetE1EEEvT1_,"axG",@progbits,_ZN7rocprim17ROCPRIM_400000_NS6detail17trampoline_kernelINS0_14default_configENS1_33run_length_encode_config_selectorIN3c104HalfEjNS0_4plusIjEEEEZZNS1_33reduce_by_key_impl_wrapped_configILNS1_25lookback_scan_determinismE0ES3_S9_PKS6_NS0_17constant_iteratorIjlEEPS6_PlSH_S8_NS0_8equal_toIS6_EEEE10hipError_tPvRmT2_T3_mT4_T5_T6_T7_T8_P12ihipStream_tbENKUlT_T0_E_clISt17integral_constantIbLb0EES11_EEDaSW_SX_EUlSW_E_NS1_11comp_targetILNS1_3genE5ELNS1_11target_archE942ELNS1_3gpuE9ELNS1_3repE0EEENS1_30default_config_static_selectorELNS0_4arch9wavefront6targetE1EEEvT1_,comdat
.Lfunc_end926:
	.size	_ZN7rocprim17ROCPRIM_400000_NS6detail17trampoline_kernelINS0_14default_configENS1_33run_length_encode_config_selectorIN3c104HalfEjNS0_4plusIjEEEEZZNS1_33reduce_by_key_impl_wrapped_configILNS1_25lookback_scan_determinismE0ES3_S9_PKS6_NS0_17constant_iteratorIjlEEPS6_PlSH_S8_NS0_8equal_toIS6_EEEE10hipError_tPvRmT2_T3_mT4_T5_T6_T7_T8_P12ihipStream_tbENKUlT_T0_E_clISt17integral_constantIbLb0EES11_EEDaSW_SX_EUlSW_E_NS1_11comp_targetILNS1_3genE5ELNS1_11target_archE942ELNS1_3gpuE9ELNS1_3repE0EEENS1_30default_config_static_selectorELNS0_4arch9wavefront6targetE1EEEvT1_, .Lfunc_end926-_ZN7rocprim17ROCPRIM_400000_NS6detail17trampoline_kernelINS0_14default_configENS1_33run_length_encode_config_selectorIN3c104HalfEjNS0_4plusIjEEEEZZNS1_33reduce_by_key_impl_wrapped_configILNS1_25lookback_scan_determinismE0ES3_S9_PKS6_NS0_17constant_iteratorIjlEEPS6_PlSH_S8_NS0_8equal_toIS6_EEEE10hipError_tPvRmT2_T3_mT4_T5_T6_T7_T8_P12ihipStream_tbENKUlT_T0_E_clISt17integral_constantIbLb0EES11_EEDaSW_SX_EUlSW_E_NS1_11comp_targetILNS1_3genE5ELNS1_11target_archE942ELNS1_3gpuE9ELNS1_3repE0EEENS1_30default_config_static_selectorELNS0_4arch9wavefront6targetE1EEEvT1_
                                        ; -- End function
	.section	.AMDGPU.csdata,"",@progbits
; Kernel info:
; codeLenInByte = 0
; NumSgprs: 4
; NumVgprs: 0
; NumAgprs: 0
; TotalNumVgprs: 0
; ScratchSize: 0
; MemoryBound: 0
; FloatMode: 240
; IeeeMode: 1
; LDSByteSize: 0 bytes/workgroup (compile time only)
; SGPRBlocks: 0
; VGPRBlocks: 0
; NumSGPRsForWavesPerEU: 4
; NumVGPRsForWavesPerEU: 1
; AccumOffset: 4
; Occupancy: 8
; WaveLimiterHint : 0
; COMPUTE_PGM_RSRC2:SCRATCH_EN: 0
; COMPUTE_PGM_RSRC2:USER_SGPR: 6
; COMPUTE_PGM_RSRC2:TRAP_HANDLER: 0
; COMPUTE_PGM_RSRC2:TGID_X_EN: 1
; COMPUTE_PGM_RSRC2:TGID_Y_EN: 0
; COMPUTE_PGM_RSRC2:TGID_Z_EN: 0
; COMPUTE_PGM_RSRC2:TIDIG_COMP_CNT: 0
; COMPUTE_PGM_RSRC3_GFX90A:ACCUM_OFFSET: 0
; COMPUTE_PGM_RSRC3_GFX90A:TG_SPLIT: 0
	.section	.text._ZN7rocprim17ROCPRIM_400000_NS6detail17trampoline_kernelINS0_14default_configENS1_33run_length_encode_config_selectorIN3c104HalfEjNS0_4plusIjEEEEZZNS1_33reduce_by_key_impl_wrapped_configILNS1_25lookback_scan_determinismE0ES3_S9_PKS6_NS0_17constant_iteratorIjlEEPS6_PlSH_S8_NS0_8equal_toIS6_EEEE10hipError_tPvRmT2_T3_mT4_T5_T6_T7_T8_P12ihipStream_tbENKUlT_T0_E_clISt17integral_constantIbLb0EES11_EEDaSW_SX_EUlSW_E_NS1_11comp_targetILNS1_3genE4ELNS1_11target_archE910ELNS1_3gpuE8ELNS1_3repE0EEENS1_30default_config_static_selectorELNS0_4arch9wavefront6targetE1EEEvT1_,"axG",@progbits,_ZN7rocprim17ROCPRIM_400000_NS6detail17trampoline_kernelINS0_14default_configENS1_33run_length_encode_config_selectorIN3c104HalfEjNS0_4plusIjEEEEZZNS1_33reduce_by_key_impl_wrapped_configILNS1_25lookback_scan_determinismE0ES3_S9_PKS6_NS0_17constant_iteratorIjlEEPS6_PlSH_S8_NS0_8equal_toIS6_EEEE10hipError_tPvRmT2_T3_mT4_T5_T6_T7_T8_P12ihipStream_tbENKUlT_T0_E_clISt17integral_constantIbLb0EES11_EEDaSW_SX_EUlSW_E_NS1_11comp_targetILNS1_3genE4ELNS1_11target_archE910ELNS1_3gpuE8ELNS1_3repE0EEENS1_30default_config_static_selectorELNS0_4arch9wavefront6targetE1EEEvT1_,comdat
	.protected	_ZN7rocprim17ROCPRIM_400000_NS6detail17trampoline_kernelINS0_14default_configENS1_33run_length_encode_config_selectorIN3c104HalfEjNS0_4plusIjEEEEZZNS1_33reduce_by_key_impl_wrapped_configILNS1_25lookback_scan_determinismE0ES3_S9_PKS6_NS0_17constant_iteratorIjlEEPS6_PlSH_S8_NS0_8equal_toIS6_EEEE10hipError_tPvRmT2_T3_mT4_T5_T6_T7_T8_P12ihipStream_tbENKUlT_T0_E_clISt17integral_constantIbLb0EES11_EEDaSW_SX_EUlSW_E_NS1_11comp_targetILNS1_3genE4ELNS1_11target_archE910ELNS1_3gpuE8ELNS1_3repE0EEENS1_30default_config_static_selectorELNS0_4arch9wavefront6targetE1EEEvT1_ ; -- Begin function _ZN7rocprim17ROCPRIM_400000_NS6detail17trampoline_kernelINS0_14default_configENS1_33run_length_encode_config_selectorIN3c104HalfEjNS0_4plusIjEEEEZZNS1_33reduce_by_key_impl_wrapped_configILNS1_25lookback_scan_determinismE0ES3_S9_PKS6_NS0_17constant_iteratorIjlEEPS6_PlSH_S8_NS0_8equal_toIS6_EEEE10hipError_tPvRmT2_T3_mT4_T5_T6_T7_T8_P12ihipStream_tbENKUlT_T0_E_clISt17integral_constantIbLb0EES11_EEDaSW_SX_EUlSW_E_NS1_11comp_targetILNS1_3genE4ELNS1_11target_archE910ELNS1_3gpuE8ELNS1_3repE0EEENS1_30default_config_static_selectorELNS0_4arch9wavefront6targetE1EEEvT1_
	.globl	_ZN7rocprim17ROCPRIM_400000_NS6detail17trampoline_kernelINS0_14default_configENS1_33run_length_encode_config_selectorIN3c104HalfEjNS0_4plusIjEEEEZZNS1_33reduce_by_key_impl_wrapped_configILNS1_25lookback_scan_determinismE0ES3_S9_PKS6_NS0_17constant_iteratorIjlEEPS6_PlSH_S8_NS0_8equal_toIS6_EEEE10hipError_tPvRmT2_T3_mT4_T5_T6_T7_T8_P12ihipStream_tbENKUlT_T0_E_clISt17integral_constantIbLb0EES11_EEDaSW_SX_EUlSW_E_NS1_11comp_targetILNS1_3genE4ELNS1_11target_archE910ELNS1_3gpuE8ELNS1_3repE0EEENS1_30default_config_static_selectorELNS0_4arch9wavefront6targetE1EEEvT1_
	.p2align	8
	.type	_ZN7rocprim17ROCPRIM_400000_NS6detail17trampoline_kernelINS0_14default_configENS1_33run_length_encode_config_selectorIN3c104HalfEjNS0_4plusIjEEEEZZNS1_33reduce_by_key_impl_wrapped_configILNS1_25lookback_scan_determinismE0ES3_S9_PKS6_NS0_17constant_iteratorIjlEEPS6_PlSH_S8_NS0_8equal_toIS6_EEEE10hipError_tPvRmT2_T3_mT4_T5_T6_T7_T8_P12ihipStream_tbENKUlT_T0_E_clISt17integral_constantIbLb0EES11_EEDaSW_SX_EUlSW_E_NS1_11comp_targetILNS1_3genE4ELNS1_11target_archE910ELNS1_3gpuE8ELNS1_3repE0EEENS1_30default_config_static_selectorELNS0_4arch9wavefront6targetE1EEEvT1_,@function
_ZN7rocprim17ROCPRIM_400000_NS6detail17trampoline_kernelINS0_14default_configENS1_33run_length_encode_config_selectorIN3c104HalfEjNS0_4plusIjEEEEZZNS1_33reduce_by_key_impl_wrapped_configILNS1_25lookback_scan_determinismE0ES3_S9_PKS6_NS0_17constant_iteratorIjlEEPS6_PlSH_S8_NS0_8equal_toIS6_EEEE10hipError_tPvRmT2_T3_mT4_T5_T6_T7_T8_P12ihipStream_tbENKUlT_T0_E_clISt17integral_constantIbLb0EES11_EEDaSW_SX_EUlSW_E_NS1_11comp_targetILNS1_3genE4ELNS1_11target_archE910ELNS1_3gpuE8ELNS1_3repE0EEENS1_30default_config_static_selectorELNS0_4arch9wavefront6targetE1EEEvT1_: ; @_ZN7rocprim17ROCPRIM_400000_NS6detail17trampoline_kernelINS0_14default_configENS1_33run_length_encode_config_selectorIN3c104HalfEjNS0_4plusIjEEEEZZNS1_33reduce_by_key_impl_wrapped_configILNS1_25lookback_scan_determinismE0ES3_S9_PKS6_NS0_17constant_iteratorIjlEEPS6_PlSH_S8_NS0_8equal_toIS6_EEEE10hipError_tPvRmT2_T3_mT4_T5_T6_T7_T8_P12ihipStream_tbENKUlT_T0_E_clISt17integral_constantIbLb0EES11_EEDaSW_SX_EUlSW_E_NS1_11comp_targetILNS1_3genE4ELNS1_11target_archE910ELNS1_3gpuE8ELNS1_3repE0EEENS1_30default_config_static_selectorELNS0_4arch9wavefront6targetE1EEEvT1_
; %bb.0:
	s_load_dwordx4 s[0:3], s[4:5], 0x0
	s_load_dword s7, s[4:5], 0x10
	s_load_dwordx8 s[36:43], s[4:5], 0x40
	s_load_dwordx4 s[44:47], s[4:5], 0x20
	s_load_dwordx2 s[34:35], s[4:5], 0x30
	s_load_dwordx2 s[52:53], s[4:5], 0x70
	s_load_dwordx4 s[48:51], s[4:5], 0x60
	s_waitcnt lgkmcnt(0)
	s_mul_i32 s4, s40, s39
	s_mul_hi_u32 s5, s40, s38
	s_add_i32 s4, s5, s4
	s_mul_i32 s5, s41, s38
	s_add_i32 s9, s4, s5
	s_lshl_b64 s[2:3], s[2:3], 1
	s_add_u32 s2, s0, s2
	s_addc_u32 s3, s1, s3
	s_mul_i32 s0, s6, 0xf00
	s_mov_b32 s1, 0
	s_lshl_b64 s[0:1], s[0:1], 1
	s_add_u32 s4, s2, s0
	s_mul_i32 s8, s40, s38
	s_addc_u32 s5, s3, s1
	s_add_u32 s8, s8, s6
	s_addc_u32 s9, s9, 0
	s_add_u32 s10, s42, -1
	s_addc_u32 s11, s43, -1
	s_cmp_eq_u64 s[8:9], s[10:11]
	s_cselect_b64 s[40:41], -1, 0
	s_cmp_lg_u64 s[8:9], s[10:11]
	s_mov_b64 s[2:3], -1
	s_cselect_b64 s[0:1], -1, 0
	s_mul_i32 s33, s10, 0xfffff100
	s_and_b64 vcc, exec, s[40:41]
	v_mad_u32_u24 v6, v0, 15, 1
	v_mad_u32_u24 v8, v0, 15, 3
	;; [unrolled: 1-line block ×7, first 2 shown]
	s_cbranch_vccnz .LBB927_2
; %bb.1:
	v_lshlrev_b32_e32 v1, 1, v0
	v_mov_b32_e32 v2, s5
	v_add_co_u32_e32 v3, vcc, s4, v1
	v_addc_co_u32_e32 v4, vcc, 0, v2, vcc
	v_add_co_u32_e32 v2, vcc, 0x1000, v3
	v_addc_co_u32_e32 v3, vcc, 0, v4, vcc
	global_load_ushort v5, v1, s[4:5]
	global_load_ushort v12, v1, s[4:5] offset:512
	global_load_ushort v13, v1, s[4:5] offset:1024
	;; [unrolled: 1-line block ×7, first 2 shown]
	global_load_ushort v4, v[2:3], off
	global_load_ushort v28, v[2:3], off offset:512
	global_load_ushort v29, v[2:3], off offset:1024
	;; [unrolled: 1-line block ×6, first 2 shown]
	v_mad_u32_u24 v35, v0, 28, v1
	s_movk_i32 s2, 0xffe6
	v_mul_u32_u24_e32 v7, 15, v0
	v_mad_u32_u24 v21, v0, 15, 1
	v_mad_u32_u24 v23, v0, 15, 3
	;; [unrolled: 1-line block ×7, first 2 shown]
	v_mov_b32_e32 v34, s7
	v_mad_i32_i24 v36, v0, s2, v35
	s_waitcnt vmcnt(14)
	ds_write_b16 v1, v5
	s_waitcnt vmcnt(13)
	ds_write_b16 v1, v12 offset:512
	s_waitcnt vmcnt(12)
	ds_write_b16 v1, v13 offset:1024
	;; [unrolled: 2-line block ×14, first 2 shown]
	s_waitcnt lgkmcnt(0)
	s_barrier
	ds_read_u16 v1, v35
	ds_read_b128 v[2:5], v35 offset:2
	ds_read_b96 v[12:14], v35 offset:18
	s_waitcnt lgkmcnt(0)
	s_barrier
	ds_write2st64_b32 v36, v34, v34 offset1:4
	ds_write2st64_b32 v36, v34, v34 offset0:8 offset1:12
	ds_write2st64_b32 v36, v34, v34 offset0:16 offset1:20
	;; [unrolled: 1-line block ×6, first 2 shown]
	ds_write_b32 v36, v34 offset:14336
	s_waitcnt lgkmcnt(0)
	s_barrier
	s_add_i32 s33, s33, s48
	s_cbranch_execz .LBB927_3
	s_branch .LBB927_34
.LBB927_2:
                                        ; implicit-def: $vgpr2
                                        ; implicit-def: $vgpr12
                                        ; implicit-def: $vgpr9
                                        ; implicit-def: $vgpr11
                                        ; implicit-def: $vgpr15
                                        ; implicit-def: $vgpr17
                                        ; implicit-def: $vgpr19
                                        ; implicit-def: $vgpr23
                                        ; implicit-def: $vgpr21
                                        ; implicit-def: $vgpr7
                                        ; implicit-def: $vgpr1
	s_andn2_b64 vcc, exec, s[2:3]
	s_add_i32 s33, s33, s48
	s_cbranch_vccnz .LBB927_34
.LBB927_3:
	v_cmp_gt_u32_e32 vcc, s33, v0
                                        ; implicit-def: $vgpr1
	s_and_saveexec_b64 s[2:3], vcc
	s_cbranch_execz .LBB927_5
; %bb.4:
	v_lshlrev_b32_e32 v1, 1, v0
	global_load_ushort v1, v1, s[4:5]
.LBB927_5:
	s_or_b64 exec, exec, s[2:3]
	v_or_b32_e32 v2, 0x100, v0
	v_cmp_gt_u32_e32 vcc, s33, v2
                                        ; implicit-def: $vgpr2
	s_and_saveexec_b64 s[2:3], vcc
	s_cbranch_execz .LBB927_7
; %bb.6:
	v_lshlrev_b32_e32 v2, 1, v0
	global_load_ushort v2, v2, s[4:5] offset:512
.LBB927_7:
	s_or_b64 exec, exec, s[2:3]
	v_or_b32_e32 v3, 0x200, v0
	v_cmp_gt_u32_e32 vcc, s33, v3
                                        ; implicit-def: $vgpr3
	s_and_saveexec_b64 s[2:3], vcc
	s_cbranch_execz .LBB927_9
; %bb.8:
	v_lshlrev_b32_e32 v3, 1, v0
	global_load_ushort v3, v3, s[4:5] offset:1024
.LBB927_9:
	s_or_b64 exec, exec, s[2:3]
	v_or_b32_e32 v4, 0x300, v0
	v_cmp_gt_u32_e32 vcc, s33, v4
                                        ; implicit-def: $vgpr4
	s_and_saveexec_b64 s[2:3], vcc
	s_cbranch_execz .LBB927_11
; %bb.10:
	v_lshlrev_b32_e32 v4, 1, v0
	global_load_ushort v4, v4, s[4:5] offset:1536
.LBB927_11:
	s_or_b64 exec, exec, s[2:3]
	v_or_b32_e32 v5, 0x400, v0
	v_cmp_gt_u32_e32 vcc, s33, v5
                                        ; implicit-def: $vgpr5
	s_and_saveexec_b64 s[2:3], vcc
	s_cbranch_execz .LBB927_13
; %bb.12:
	v_lshlrev_b32_e32 v5, 1, v0
	global_load_ushort v5, v5, s[4:5] offset:2048
.LBB927_13:
	s_or_b64 exec, exec, s[2:3]
	v_or_b32_e32 v7, 0x500, v0
	v_cmp_gt_u32_e32 vcc, s33, v7
                                        ; implicit-def: $vgpr7
	s_and_saveexec_b64 s[2:3], vcc
	s_cbranch_execz .LBB927_15
; %bb.14:
	v_lshlrev_b32_e32 v7, 1, v0
	global_load_ushort v7, v7, s[4:5] offset:2560
.LBB927_15:
	s_or_b64 exec, exec, s[2:3]
	v_or_b32_e32 v9, 0x600, v0
	v_cmp_gt_u32_e32 vcc, s33, v9
                                        ; implicit-def: $vgpr9
	s_and_saveexec_b64 s[2:3], vcc
	s_cbranch_execz .LBB927_17
; %bb.16:
	v_lshlrev_b32_e32 v9, 1, v0
	global_load_ushort v9, v9, s[4:5] offset:3072
.LBB927_17:
	s_or_b64 exec, exec, s[2:3]
	v_or_b32_e32 v11, 0x700, v0
	v_cmp_gt_u32_e32 vcc, s33, v11
                                        ; implicit-def: $vgpr11
	s_and_saveexec_b64 s[2:3], vcc
	s_cbranch_execz .LBB927_19
; %bb.18:
	v_lshlrev_b32_e32 v11, 1, v0
	global_load_ushort v11, v11, s[4:5] offset:3584
.LBB927_19:
	s_or_b64 exec, exec, s[2:3]
	v_or_b32_e32 v13, 0x800, v0
	v_cmp_gt_u32_e32 vcc, s33, v13
                                        ; implicit-def: $vgpr12
	s_and_saveexec_b64 s[2:3], vcc
	s_cbranch_execz .LBB927_21
; %bb.20:
	v_lshlrev_b32_e32 v12, 1, v13
	global_load_ushort v12, v12, s[4:5]
.LBB927_21:
	s_or_b64 exec, exec, s[2:3]
	v_or_b32_e32 v14, 0x900, v0
	v_cmp_gt_u32_e32 vcc, s33, v14
                                        ; implicit-def: $vgpr13
	s_and_saveexec_b64 s[2:3], vcc
	s_cbranch_execz .LBB927_23
; %bb.22:
	v_lshlrev_b32_e32 v13, 1, v14
	global_load_ushort v13, v13, s[4:5]
.LBB927_23:
	s_or_b64 exec, exec, s[2:3]
	v_or_b32_e32 v15, 0xa00, v0
	v_cmp_gt_u32_e32 vcc, s33, v15
                                        ; implicit-def: $vgpr14
	s_and_saveexec_b64 s[2:3], vcc
	s_cbranch_execz .LBB927_25
; %bb.24:
	v_lshlrev_b32_e32 v14, 1, v15
	global_load_ushort v14, v14, s[4:5]
.LBB927_25:
	s_or_b64 exec, exec, s[2:3]
	v_or_b32_e32 v17, 0xb00, v0
	v_cmp_gt_u32_e32 vcc, s33, v17
                                        ; implicit-def: $vgpr15
	s_and_saveexec_b64 s[2:3], vcc
	s_cbranch_execz .LBB927_27
; %bb.26:
	v_lshlrev_b32_e32 v15, 1, v17
	global_load_ushort v15, v15, s[4:5]
.LBB927_27:
	s_or_b64 exec, exec, s[2:3]
	v_or_b32_e32 v19, 0xc00, v0
	v_cmp_gt_u32_e32 vcc, s33, v19
                                        ; implicit-def: $vgpr17
	s_and_saveexec_b64 s[2:3], vcc
	s_cbranch_execz .LBB927_29
; %bb.28:
	v_lshlrev_b32_e32 v17, 1, v19
	global_load_ushort v17, v17, s[4:5]
.LBB927_29:
	s_or_b64 exec, exec, s[2:3]
	v_or_b32_e32 v21, 0xd00, v0
	v_cmp_gt_u32_e32 vcc, s33, v21
                                        ; implicit-def: $vgpr19
	s_and_saveexec_b64 s[2:3], vcc
	s_cbranch_execz .LBB927_31
; %bb.30:
	v_lshlrev_b32_e32 v19, 1, v21
	global_load_ushort v19, v19, s[4:5]
.LBB927_31:
	s_or_b64 exec, exec, s[2:3]
	v_or_b32_e32 v23, 0xe00, v0
	v_cmp_gt_u32_e32 vcc, s33, v23
                                        ; implicit-def: $vgpr21
	s_and_saveexec_b64 s[2:3], vcc
	s_cbranch_execz .LBB927_33
; %bb.32:
	v_lshlrev_b32_e32 v21, 1, v23
	global_load_ushort v21, v21, s[4:5]
.LBB927_33:
	s_or_b64 exec, exec, s[2:3]
	v_lshlrev_b32_e32 v23, 1, v0
	s_waitcnt vmcnt(0)
	ds_write_b16 v23, v1
	ds_write_b16 v23, v2 offset:512
	ds_write_b16 v23, v3 offset:1024
	;; [unrolled: 1-line block ×14, first 2 shown]
	v_mad_u32_u24 v9, v0, 28, v23
	s_waitcnt lgkmcnt(0)
	s_barrier
	ds_read_u16 v1, v9
	ds_read_b128 v[2:5], v9 offset:2
	ds_read_b96 v[12:14], v9 offset:18
	s_movk_i32 s2, 0xffe6
	v_mad_i32_i24 v9, v0, s2, v9
	v_mov_b32_e32 v11, s7
	v_mul_u32_u24_e32 v7, 15, v0
	s_waitcnt lgkmcnt(0)
	s_barrier
	ds_write2st64_b32 v9, v11, v11 offset1:4
	ds_write2st64_b32 v9, v11, v11 offset0:8 offset1:12
	ds_write2st64_b32 v9, v11, v11 offset0:16 offset1:20
	;; [unrolled: 1-line block ×6, first 2 shown]
	ds_write_b32 v9, v11 offset:14336
	v_mov_b32_e32 v9, v22
	v_mov_b32_e32 v11, v20
	;; [unrolled: 1-line block ×7, first 2 shown]
	s_waitcnt lgkmcnt(0)
	s_barrier
.LBB927_34:
	v_lshlrev_b32_e32 v7, 2, v7
	ds_read2_b32 v[54:55], v7 offset1:2
	ds_read2_b32 v[52:53], v7 offset0:4 offset1:6
	ds_read2_b32 v[50:51], v7 offset0:8 offset1:10
	ds_read2_b32 v[48:49], v7 offset0:12 offset1:14
	v_lshlrev_b32_e32 v7, 2, v21
	v_lshlrev_b32_e32 v21, 2, v23
	;; [unrolled: 1-line block ×7, first 2 shown]
	ds_read_b32 v76, v7
	ds_read_b32 v75, v21
	;; [unrolled: 1-line block ×7, first 2 shown]
	s_cmp_eq_u64 s[8:9], 0
	s_cselect_b64 s[42:43], -1, 0
	s_cmp_lg_u64 s[8:9], 0
	s_mov_b64 s[10:11], 0
	s_cselect_b64 s[12:13], -1, 0
	s_and_b64 vcc, exec, s[0:1]
	s_waitcnt lgkmcnt(0)
	s_barrier
	s_cbranch_vccz .LBB927_40
; %bb.35:
	s_and_b64 vcc, exec, s[12:13]
	s_cbranch_vccz .LBB927_41
; %bb.36:
	v_mov_b32_e32 v7, 0
	global_load_ushort v7, v7, s[4:5] offset:-2
	v_lshrrev_b32_e32 v11, 16, v14
	v_lshlrev_b32_e32 v9, 1, v0
	v_cmp_neq_f16_e32 vcc, v14, v11
	v_cmp_neq_f16_sdwa s[10:11], v13, v14 src0_sel:WORD_1 src1_sel:DWORD
	v_cmp_neq_f16_sdwa s[14:15], v13, v13 src0_sel:DWORD src1_sel:WORD_1
	v_cmp_neq_f16_sdwa s[16:17], v12, v13 src0_sel:WORD_1 src1_sel:DWORD
	v_cmp_neq_f16_sdwa s[18:19], v12, v12 src0_sel:DWORD src1_sel:WORD_1
	;; [unrolled: 2-line block ×6, first 2 shown]
	v_cmp_neq_f16_e64 s[0:1], v1, v2
	v_cmp_ne_u32_e64 s[2:3], 0, v0
	ds_write_b16 v9, v11
	s_waitcnt lgkmcnt(0)
	s_barrier
	s_and_saveexec_b64 s[58:59], s[2:3]
	s_cbranch_execz .LBB927_38
; %bb.37:
	s_waitcnt vmcnt(0)
	v_add_u32_e32 v7, -2, v9
	ds_read_u16 v7, v7
.LBB927_38:
	s_or_b64 exec, exec, s[58:59]
	v_cndmask_b32_e64 v15, 0, 1, vcc
	v_cndmask_b32_e64 v56, 0, 1, s[10:11]
	v_cndmask_b32_e64 v57, 0, 1, s[14:15]
	;; [unrolled: 1-line block ×13, first 2 shown]
	s_waitcnt vmcnt(0) lgkmcnt(0)
	v_cmp_neq_f16_e64 s[0:1], v1, v7
	s_mov_b64 s[10:11], -1
.LBB927_39:
                                        ; implicit-def: $sgpr7
	s_branch .LBB927_53
.LBB927_40:
                                        ; implicit-def: $sgpr0_sgpr1
                                        ; implicit-def: $vgpr15
                                        ; implicit-def: $vgpr56
                                        ; implicit-def: $vgpr57
                                        ; implicit-def: $vgpr58
                                        ; implicit-def: $vgpr59
                                        ; implicit-def: $vgpr60
                                        ; implicit-def: $vgpr61
                                        ; implicit-def: $vgpr62
                                        ; implicit-def: $vgpr63
                                        ; implicit-def: $vgpr64
                                        ; implicit-def: $vgpr65
                                        ; implicit-def: $vgpr66
                                        ; implicit-def: $vgpr67
                                        ; implicit-def: $vgpr68
                                        ; implicit-def: $sgpr7
	s_cbranch_execnz .LBB927_45
	s_branch .LBB927_53
.LBB927_41:
                                        ; implicit-def: $sgpr0_sgpr1
                                        ; implicit-def: $vgpr15
                                        ; implicit-def: $vgpr56
                                        ; implicit-def: $vgpr57
                                        ; implicit-def: $vgpr58
                                        ; implicit-def: $vgpr59
                                        ; implicit-def: $vgpr60
                                        ; implicit-def: $vgpr61
                                        ; implicit-def: $vgpr62
                                        ; implicit-def: $vgpr63
                                        ; implicit-def: $vgpr64
                                        ; implicit-def: $vgpr65
                                        ; implicit-def: $vgpr66
                                        ; implicit-def: $vgpr67
                                        ; implicit-def: $vgpr68
	s_cbranch_execz .LBB927_39
; %bb.42:
	v_cmp_neq_f16_sdwa s[0:1], v13, v14 src0_sel:WORD_1 src1_sel:DWORD
	v_cndmask_b32_e64 v56, 0, 1, s[0:1]
	v_cmp_neq_f16_sdwa s[0:1], v13, v13 src0_sel:DWORD src1_sel:WORD_1
	v_cndmask_b32_e64 v57, 0, 1, s[0:1]
	v_cmp_neq_f16_sdwa s[0:1], v12, v13 src0_sel:WORD_1 src1_sel:DWORD
	v_cndmask_b32_e64 v58, 0, 1, s[0:1]
	v_cmp_neq_f16_sdwa s[0:1], v12, v12 src0_sel:DWORD src1_sel:WORD_1
	v_cndmask_b32_e64 v59, 0, 1, s[0:1]
	;; [unrolled: 4-line block ×4, first 2 shown]
	v_cmp_neq_f16_sdwa s[0:1], v3, v4 src0_sel:WORD_1 src1_sel:DWORD
	v_lshrrev_b32_e32 v9, 16, v14
	v_cndmask_b32_e64 v64, 0, 1, s[0:1]
	v_cmp_neq_f16_sdwa s[0:1], v3, v3 src0_sel:DWORD src1_sel:WORD_1
	v_cmp_neq_f16_e32 vcc, v14, v9
	v_cndmask_b32_e64 v65, 0, 1, s[0:1]
	v_cmp_neq_f16_sdwa s[0:1], v2, v3 src0_sel:WORD_1 src1_sel:DWORD
	v_cndmask_b32_e64 v15, 0, 1, vcc
	v_cndmask_b32_e64 v66, 0, 1, s[0:1]
	v_cmp_neq_f16_sdwa s[0:1], v2, v2 src0_sel:DWORD src1_sel:WORD_1
	v_cmp_neq_f16_e32 vcc, v1, v2
	s_mov_b32 s7, 1
	v_lshlrev_b32_e32 v7, 1, v0
	v_cndmask_b32_e64 v67, 0, 1, s[0:1]
	v_cndmask_b32_e64 v68, 0, 1, vcc
	v_cmp_ne_u32_e32 vcc, 0, v0
	ds_write_b16 v7, v9
	s_waitcnt lgkmcnt(0)
	s_barrier
	s_waitcnt lgkmcnt(0)
                                        ; implicit-def: $sgpr0_sgpr1
	s_and_saveexec_b64 s[2:3], vcc
	s_xor_b64 s[2:3], exec, s[2:3]
	s_cbranch_execz .LBB927_44
; %bb.43:
	v_add_u32_e32 v7, -2, v7
	ds_read_u16 v7, v7
	s_or_b64 s[10:11], s[10:11], exec
	s_waitcnt lgkmcnt(0)
	v_cmp_neq_f16_e32 vcc, v7, v1
	s_and_b64 s[0:1], vcc, exec
.LBB927_44:
	s_or_b64 exec, exec, s[2:3]
	s_branch .LBB927_53
.LBB927_45:
	s_mul_hi_u32 s1, s8, 0xfffff100
	s_mul_i32 s0, s9, 0xfffff100
	s_sub_i32 s1, s1, s8
	s_add_i32 s1, s1, s0
	s_mul_i32 s0, s8, 0xfffff100
	s_add_u32 s8, s0, s48
	s_addc_u32 s9, s1, s49
	s_and_b64 vcc, exec, s[12:13]
	v_lshrrev_b32_e32 v40, 16, v14
	v_mad_u32_u24 v24, v0, 15, 14
	v_cmp_neq_f16_sdwa s[54:55], v13, v14 src0_sel:WORD_1 src1_sel:DWORD
	v_mad_u32_u24 v36, v0, 15, 12
	v_cmp_neq_f16_sdwa s[12:13], v13, v13 src0_sel:DWORD src1_sel:WORD_1
	v_cmp_neq_f16_sdwa s[16:17], v12, v13 src0_sel:WORD_1 src1_sel:DWORD
	v_mad_u32_u24 v34, v0, 15, 10
	v_cmp_neq_f16_sdwa s[20:21], v12, v12 src0_sel:DWORD src1_sel:WORD_1
	;; [unrolled: 3-line block ×6, first 2 shown]
	v_cmp_neq_f16_e64 s[2:3], v1, v2
	v_cmp_ne_u32_e64 s[0:1], 0, v0
	s_cbranch_vccz .LBB927_50
; %bb.46:
	v_mov_b32_e32 v25, 0
	global_load_ushort v41, v25, s[4:5] offset:-2
	v_cmp_gt_u64_e32 vcc, s[8:9], v[24:25]
	v_cmp_neq_f16_e64 s[4:5], v14, v40
	v_mov_b32_e32 v23, v25
	s_and_b64 s[4:5], vcc, s[4:5]
	v_cmp_gt_u64_e32 vcc, s[8:9], v[22:23]
	v_mov_b32_e32 v37, v25
	s_and_b64 s[10:11], vcc, s[54:55]
	v_cmp_gt_u64_e32 vcc, s[8:9], v[36:37]
	;; [unrolled: 3-line block ×13, first 2 shown]
	v_lshlrev_b32_e32 v15, 1, v0
	v_mul_u32_u24_e32 v38, 15, v0
	s_and_b64 s[2:3], vcc, s[2:3]
	ds_write_b16 v15, v40
	s_waitcnt lgkmcnt(0)
	s_barrier
	s_and_saveexec_b64 s[54:55], s[0:1]
	s_cbranch_execz .LBB927_48
; %bb.47:
	v_add_u32_e32 v7, -2, v15
	s_waitcnt vmcnt(0)
	ds_read_u16 v41, v7
.LBB927_48:
	s_or_b64 exec, exec, s[54:55]
	v_mov_b32_e32 v39, v25
	v_cmp_gt_u64_e32 vcc, s[8:9], v[38:39]
	s_waitcnt vmcnt(0) lgkmcnt(0)
	v_cmp_neq_f16_e64 s[0:1], v1, v41
	v_cndmask_b32_e64 v15, 0, 1, s[4:5]
	v_cndmask_b32_e64 v56, 0, 1, s[10:11]
	;; [unrolled: 1-line block ×14, first 2 shown]
	s_and_b64 s[0:1], vcc, s[0:1]
	s_mov_b64 s[10:11], -1
.LBB927_49:
                                        ; implicit-def: $sgpr7
	v_mov_b32_e32 v69, s7
	s_and_saveexec_b64 s[2:3], s[10:11]
	s_cbranch_execnz .LBB927_54
	s_branch .LBB927_55
.LBB927_50:
                                        ; implicit-def: $sgpr0_sgpr1
                                        ; implicit-def: $vgpr15
                                        ; implicit-def: $vgpr56
                                        ; implicit-def: $vgpr57
                                        ; implicit-def: $vgpr58
                                        ; implicit-def: $vgpr59
                                        ; implicit-def: $vgpr60
                                        ; implicit-def: $vgpr61
                                        ; implicit-def: $vgpr62
                                        ; implicit-def: $vgpr63
                                        ; implicit-def: $vgpr64
                                        ; implicit-def: $vgpr65
                                        ; implicit-def: $vgpr66
                                        ; implicit-def: $vgpr67
                                        ; implicit-def: $vgpr68
	s_cbranch_execz .LBB927_49
; %bb.51:
	v_mov_b32_e32 v25, 0
	v_cmp_gt_u64_e32 vcc, s[8:9], v[24:25]
	v_cmp_neq_f16_e64 s[0:1], v14, v40
	s_and_b64 s[0:1], vcc, s[0:1]
	v_mov_b32_e32 v23, v25
	v_cndmask_b32_e64 v15, 0, 1, s[0:1]
	v_cmp_gt_u64_e32 vcc, s[8:9], v[22:23]
	v_cmp_neq_f16_sdwa s[0:1], v13, v14 src0_sel:WORD_1 src1_sel:DWORD
	s_and_b64 s[0:1], vcc, s[0:1]
	v_mov_b32_e32 v37, v25
	v_cndmask_b32_e64 v56, 0, 1, s[0:1]
	v_cmp_gt_u64_e32 vcc, s[8:9], v[36:37]
	v_cmp_neq_f16_sdwa s[0:1], v13, v13 src0_sel:DWORD src1_sel:WORD_1
	s_and_b64 s[0:1], vcc, s[0:1]
	v_mov_b32_e32 v21, v25
	v_cndmask_b32_e64 v57, 0, 1, s[0:1]
	v_cmp_gt_u64_e32 vcc, s[8:9], v[20:21]
	v_cmp_neq_f16_sdwa s[0:1], v12, v13 src0_sel:WORD_1 src1_sel:DWORD
	s_and_b64 s[0:1], vcc, s[0:1]
	v_mov_b32_e32 v35, v25
	v_cndmask_b32_e64 v58, 0, 1, s[0:1]
	v_cmp_gt_u64_e32 vcc, s[8:9], v[34:35]
	v_cmp_neq_f16_sdwa s[0:1], v12, v12 src0_sel:DWORD src1_sel:WORD_1
	s_and_b64 s[0:1], vcc, s[0:1]
	v_mov_b32_e32 v19, v25
	v_cndmask_b32_e64 v59, 0, 1, s[0:1]
	v_cmp_gt_u64_e32 vcc, s[8:9], v[18:19]
	v_cmp_neq_f16_sdwa s[0:1], v5, v12 src0_sel:WORD_1 src1_sel:DWORD
	s_and_b64 s[0:1], vcc, s[0:1]
	v_mov_b32_e32 v33, v25
	v_cndmask_b32_e64 v60, 0, 1, s[0:1]
	v_cmp_gt_u64_e32 vcc, s[8:9], v[32:33]
	v_cmp_neq_f16_sdwa s[0:1], v5, v5 src0_sel:DWORD src1_sel:WORD_1
	s_and_b64 s[0:1], vcc, s[0:1]
	v_mov_b32_e32 v17, v25
	v_cndmask_b32_e64 v61, 0, 1, s[0:1]
	v_cmp_gt_u64_e32 vcc, s[8:9], v[16:17]
	v_cmp_neq_f16_sdwa s[0:1], v4, v5 src0_sel:WORD_1 src1_sel:DWORD
	s_and_b64 s[0:1], vcc, s[0:1]
	v_mov_b32_e32 v31, v25
	v_cndmask_b32_e64 v62, 0, 1, s[0:1]
	v_cmp_gt_u64_e32 vcc, s[8:9], v[30:31]
	v_cmp_neq_f16_sdwa s[0:1], v4, v4 src0_sel:DWORD src1_sel:WORD_1
	s_and_b64 s[0:1], vcc, s[0:1]
	v_mov_b32_e32 v11, v25
	v_cndmask_b32_e64 v63, 0, 1, s[0:1]
	v_cmp_gt_u64_e32 vcc, s[8:9], v[10:11]
	v_cmp_neq_f16_sdwa s[0:1], v3, v4 src0_sel:WORD_1 src1_sel:DWORD
	s_and_b64 s[0:1], vcc, s[0:1]
	v_mov_b32_e32 v29, v25
	v_cndmask_b32_e64 v64, 0, 1, s[0:1]
	v_cmp_gt_u64_e32 vcc, s[8:9], v[28:29]
	v_cmp_neq_f16_sdwa s[0:1], v3, v3 src0_sel:DWORD src1_sel:WORD_1
	s_and_b64 s[0:1], vcc, s[0:1]
	v_mov_b32_e32 v9, v25
	v_cndmask_b32_e64 v65, 0, 1, s[0:1]
	v_cmp_gt_u64_e32 vcc, s[8:9], v[8:9]
	v_cmp_neq_f16_sdwa s[0:1], v2, v3 src0_sel:WORD_1 src1_sel:DWORD
	s_and_b64 s[0:1], vcc, s[0:1]
	v_mov_b32_e32 v27, v25
	v_cndmask_b32_e64 v66, 0, 1, s[0:1]
	v_cmp_gt_u64_e32 vcc, s[8:9], v[26:27]
	v_cmp_neq_f16_sdwa s[0:1], v2, v2 src0_sel:DWORD src1_sel:WORD_1
	s_and_b64 s[0:1], vcc, s[0:1]
	v_mov_b32_e32 v7, v25
	v_cndmask_b32_e64 v67, 0, 1, s[0:1]
	v_cmp_gt_u64_e32 vcc, s[8:9], v[6:7]
	v_cmp_neq_f16_e64 s[0:1], v1, v2
	s_and_b64 s[0:1], vcc, s[0:1]
	s_mov_b32 s7, 1
	v_lshlrev_b32_e32 v38, 1, v0
	v_cndmask_b32_e64 v68, 0, 1, s[0:1]
	v_cmp_ne_u32_e32 vcc, 0, v0
	ds_write_b16 v38, v40
	s_waitcnt lgkmcnt(0)
	s_barrier
	s_waitcnt lgkmcnt(0)
                                        ; implicit-def: $sgpr0_sgpr1
	s_and_saveexec_b64 s[2:3], vcc
	s_cbranch_execz .LBB927_146
; %bb.52:
	v_add_u32_e32 v6, -2, v38
	ds_read_u16 v6, v6
	v_mul_u32_u24_e32 v24, 15, v0
	v_cmp_gt_u64_e32 vcc, s[8:9], v[24:25]
	s_or_b64 s[10:11], s[10:11], exec
	s_waitcnt lgkmcnt(0)
	v_cmp_neq_f16_e64 s[0:1], v6, v1
	s_and_b64 s[0:1], vcc, s[0:1]
	s_and_b64 s[0:1], s[0:1], exec
	s_or_b64 exec, exec, s[2:3]
.LBB927_53:
	v_mov_b32_e32 v69, s7
	s_and_saveexec_b64 s[2:3], s[10:11]
.LBB927_54:
	v_cndmask_b32_e64 v69, 0, 1, s[0:1]
.LBB927_55:
	s_or_b64 exec, exec, s[2:3]
	s_cmp_eq_u64 s[38:39], 0
	v_add3_u32 v6, v68, v69, v67
	s_cselect_b64 s[38:39], -1, 0
	s_cmp_lg_u32 s6, 0
	v_cmp_eq_u32_e64 s[24:25], 0, v68
	v_cmp_eq_u32_e64 s[22:23], 0, v67
	;; [unrolled: 1-line block ×3, first 2 shown]
	v_add3_u32 v80, v6, v66, v65
	v_cmp_eq_u32_e64 s[18:19], 0, v65
	v_cmp_eq_u32_e64 s[16:17], 0, v64
	;; [unrolled: 1-line block ×10, first 2 shown]
	v_cmp_eq_u32_e32 vcc, 0, v15
	v_mbcnt_lo_u32_b32 v79, -1, 0
	v_lshrrev_b32_e32 v77, 6, v0
	v_or_b32_e32 v78, 63, v0
	s_cbranch_scc0 .LBB927_82
; %bb.56:
	v_cndmask_b32_e64 v6, 0, v54, s[24:25]
	v_add_u32_e32 v6, v6, v76
	v_cndmask_b32_e64 v6, 0, v6, s[22:23]
	v_add_u32_e32 v6, v6, v55
	;; [unrolled: 2-line block ×11, first 2 shown]
	v_cndmask_b32_e64 v6, 0, v6, s[2:3]
	v_add3_u32 v7, v80, v64, v63
	v_add_u32_e32 v6, v6, v48
	v_add3_u32 v7, v7, v62, v61
	v_cndmask_b32_e64 v6, 0, v6, s[0:1]
	v_add3_u32 v7, v7, v60, v59
	v_add_u32_e32 v6, v6, v70
	v_add3_u32 v7, v7, v58, v57
	v_cndmask_b32_e32 v6, 0, v6, vcc
	v_add3_u32 v7, v7, v56, v15
	v_add_u32_e32 v6, v6, v49
	v_mbcnt_hi_u32_b32 v19, -1, v79
	v_and_b32_e32 v8, 15, v19
	v_mov_b32_dpp v10, v6 row_shr:1 row_mask:0xf bank_mask:0xf
	v_cmp_eq_u32_e32 vcc, 0, v7
	v_mov_b32_dpp v9, v7 row_shr:1 row_mask:0xf bank_mask:0xf
	v_cndmask_b32_e32 v10, 0, v10, vcc
	v_cmp_eq_u32_e32 vcc, 0, v8
	v_cndmask_b32_e64 v9, v9, 0, vcc
	v_add_u32_e32 v7, v9, v7
	v_cndmask_b32_e64 v9, v10, 0, vcc
	v_add_u32_e32 v6, v9, v6
	v_cmp_eq_u32_e32 vcc, 0, v7
	v_mov_b32_dpp v9, v7 row_shr:2 row_mask:0xf bank_mask:0xf
	v_cmp_lt_u32_e64 s[26:27], 1, v8
	v_mov_b32_dpp v10, v6 row_shr:2 row_mask:0xf bank_mask:0xf
	v_cndmask_b32_e64 v9, 0, v9, s[26:27]
	s_and_b64 vcc, s[26:27], vcc
	v_cndmask_b32_e32 v10, 0, v10, vcc
	v_add_u32_e32 v7, v7, v9
	v_add_u32_e32 v6, v10, v6
	v_cmp_eq_u32_e32 vcc, 0, v7
	v_mov_b32_dpp v9, v7 row_shr:4 row_mask:0xf bank_mask:0xf
	v_cmp_lt_u32_e64 s[26:27], 3, v8
	v_mov_b32_dpp v10, v6 row_shr:4 row_mask:0xf bank_mask:0xf
	v_cndmask_b32_e64 v9, 0, v9, s[26:27]
	s_and_b64 vcc, s[26:27], vcc
	v_cndmask_b32_e32 v10, 0, v10, vcc
	v_add_u32_e32 v7, v9, v7
	v_add_u32_e32 v6, v6, v10
	v_cmp_eq_u32_e32 vcc, 0, v7
	v_cmp_lt_u32_e64 s[26:27], 7, v8
	v_mov_b32_dpp v9, v7 row_shr:8 row_mask:0xf bank_mask:0xf
	v_mov_b32_dpp v10, v6 row_shr:8 row_mask:0xf bank_mask:0xf
	s_and_b64 vcc, s[26:27], vcc
	v_cndmask_b32_e64 v8, 0, v9, s[26:27]
	v_cndmask_b32_e32 v9, 0, v10, vcc
	v_add_u32_e32 v6, v9, v6
	v_add_u32_e32 v7, v8, v7
	v_bfe_i32 v10, v19, 4, 1
	v_mov_b32_dpp v9, v6 row_bcast:15 row_mask:0xf bank_mask:0xf
	v_mov_b32_dpp v8, v7 row_bcast:15 row_mask:0xf bank_mask:0xf
	v_cmp_eq_u32_e32 vcc, 0, v7
	v_cndmask_b32_e32 v9, 0, v9, vcc
	v_and_b32_e32 v8, v10, v8
	v_add_u32_e32 v7, v8, v7
	v_and_b32_e32 v8, v10, v9
	v_add_u32_e32 v8, v8, v6
	v_mov_b32_dpp v6, v7 row_bcast:31 row_mask:0xf bank_mask:0xf
	v_cmp_eq_u32_e32 vcc, 0, v7
	v_cmp_lt_u32_e64 s[26:27], 31, v19
	v_mov_b32_dpp v9, v8 row_bcast:31 row_mask:0xf bank_mask:0xf
	v_cndmask_b32_e64 v6, 0, v6, s[26:27]
	s_and_b64 vcc, s[26:27], vcc
	v_add_u32_e32 v6, v6, v7
	v_cndmask_b32_e32 v7, 0, v9, vcc
	v_add_u32_e32 v7, v7, v8
	v_cmp_eq_u32_e32 vcc, v78, v0
	v_lshlrev_b32_e32 v8, 3, v77
	s_and_saveexec_b64 s[26:27], vcc
	s_cbranch_execz .LBB927_58
; %bb.57:
	ds_write_b64 v8, v[6:7] offset:1040
.LBB927_58:
	s_or_b64 exec, exec, s[26:27]
	v_cmp_gt_u32_e32 vcc, 4, v0
	s_waitcnt lgkmcnt(0)
	s_barrier
	s_and_saveexec_b64 s[30:31], vcc
	s_cbranch_execz .LBB927_60
; %bb.59:
	v_lshlrev_b32_e32 v9, 3, v0
	ds_read_b64 v[10:11], v9 offset:1040
	v_and_b32_e32 v16, 3, v19
	v_cmp_lt_u32_e64 s[26:27], 1, v16
	s_waitcnt lgkmcnt(0)
	v_mov_b32_dpp v18, v11 row_shr:1 row_mask:0xf bank_mask:0xf
	v_cmp_eq_u32_e32 vcc, 0, v10
	v_mov_b32_dpp v17, v10 row_shr:1 row_mask:0xf bank_mask:0xf
	v_cndmask_b32_e32 v18, 0, v18, vcc
	v_cmp_eq_u32_e32 vcc, 0, v16
	v_cndmask_b32_e64 v17, v17, 0, vcc
	v_add_u32_e32 v10, v17, v10
	v_cndmask_b32_e64 v17, v18, 0, vcc
	v_add_u32_e32 v11, v17, v11
	v_cmp_eq_u32_e32 vcc, 0, v10
	v_mov_b32_dpp v17, v10 row_shr:2 row_mask:0xf bank_mask:0xf
	v_mov_b32_dpp v18, v11 row_shr:2 row_mask:0xf bank_mask:0xf
	v_cndmask_b32_e64 v16, 0, v17, s[26:27]
	s_and_b64 vcc, s[26:27], vcc
	v_add_u32_e32 v10, v16, v10
	v_cndmask_b32_e32 v16, 0, v18, vcc
	v_add_u32_e32 v11, v16, v11
	ds_write_b64 v9, v[10:11] offset:1040
.LBB927_60:
	s_or_b64 exec, exec, s[30:31]
	v_cmp_gt_u32_e32 vcc, 64, v0
	v_cmp_lt_u32_e64 s[26:27], 63, v0
	v_mov_b32_e32 v16, 0
	v_mov_b32_e32 v17, 0
	s_waitcnt lgkmcnt(0)
	s_barrier
	s_and_saveexec_b64 s[30:31], s[26:27]
	s_cbranch_execz .LBB927_62
; %bb.61:
	ds_read_b64 v[16:17], v8 offset:1032
	v_cmp_eq_u32_e64 s[26:27], 0, v6
	s_waitcnt lgkmcnt(0)
	v_add_u32_e32 v8, v16, v6
	v_cndmask_b32_e64 v6, 0, v17, s[26:27]
	v_add_u32_e32 v7, v6, v7
	v_mov_b32_e32 v6, v8
.LBB927_62:
	s_or_b64 exec, exec, s[30:31]
	v_add_u32_e32 v8, -1, v19
	v_and_b32_e32 v9, 64, v19
	v_cmp_lt_i32_e64 s[26:27], v8, v9
	v_cndmask_b32_e64 v8, v8, v19, s[26:27]
	v_lshlrev_b32_e32 v8, 2, v8
	ds_bpermute_b32 v24, v8, v6
	ds_bpermute_b32 v25, v8, v7
	v_cmp_eq_u32_e64 s[26:27], 0, v19
	s_and_saveexec_b64 s[48:49], vcc
	s_cbranch_execz .LBB927_81
; %bb.63:
	v_mov_b32_e32 v11, 0
	ds_read_b64 v[6:7], v11 offset:1064
	s_waitcnt lgkmcnt(0)
	v_readfirstlane_b32 s7, v6
	v_readfirstlane_b32 s56, v7
	s_and_saveexec_b64 s[30:31], s[26:27]
	s_cbranch_execz .LBB927_65
; %bb.64:
	s_add_i32 s54, s6, 64
	s_mov_b32 s55, 0
	s_lshl_b64 s[58:59], s[54:55], 4
	s_add_u32 s58, s36, s58
	s_addc_u32 s59, s37, s59
	s_and_b32 s61, s56, 0xff000000
	s_mov_b32 s60, s55
	s_and_b32 s63, s56, 0xff0000
	s_mov_b32 s62, s55
	s_or_b64 s[60:61], s[62:63], s[60:61]
	s_and_b32 s63, s56, 0xff00
	s_or_b64 s[60:61], s[60:61], s[62:63]
	s_and_b32 s63, s56, 0xff
	s_or_b64 s[54:55], s[60:61], s[62:63]
	v_mov_b32_e32 v8, s7
	v_mov_b32_e32 v9, s55
	;; [unrolled: 1-line block ×3, first 2 shown]
	v_pk_mov_b32 v[6:7], s[58:59], s[58:59] op_sel:[0,1]
	;;#ASMSTART
	global_store_dwordx4 v[6:7], v[8:11] off	
s_waitcnt vmcnt(0)
	;;#ASMEND
.LBB927_65:
	s_or_b64 exec, exec, s[30:31]
	v_xad_u32 v18, v19, -1, s6
	v_add_u32_e32 v10, 64, v18
	v_lshlrev_b64 v[6:7], 4, v[10:11]
	v_mov_b32_e32 v8, s37
	v_add_co_u32_e32 v20, vcc, s36, v6
	v_addc_co_u32_e32 v21, vcc, v8, v7, vcc
	;;#ASMSTART
	global_load_dwordx4 v[6:9], v[20:21] off glc	
s_waitcnt vmcnt(0)
	;;#ASMEND
	v_and_b32_e32 v9, 0xff, v7
	v_and_b32_e32 v10, 0xff00, v7
	v_or3_b32 v9, 0, v9, v10
	v_or3_b32 v6, v6, 0, 0
	v_and_b32_e32 v10, 0xff000000, v7
	v_and_b32_e32 v7, 0xff0000, v7
	v_or3_b32 v7, v9, v7, v10
	v_or3_b32 v6, v6, 0, 0
	v_cmp_eq_u16_sdwa s[54:55], v8, v11 src0_sel:BYTE_0 src1_sel:DWORD
	s_and_saveexec_b64 s[30:31], s[54:55]
	s_cbranch_execz .LBB927_69
; %bb.66:
	s_mov_b64 s[54:55], 0
	v_mov_b32_e32 v10, 0
.LBB927_67:                             ; =>This Inner Loop Header: Depth=1
	;;#ASMSTART
	global_load_dwordx4 v[6:9], v[20:21] off glc	
s_waitcnt vmcnt(0)
	;;#ASMEND
	v_cmp_ne_u16_sdwa s[58:59], v8, v10 src0_sel:BYTE_0 src1_sel:DWORD
	s_or_b64 s[54:55], s[58:59], s[54:55]
	s_andn2_b64 exec, exec, s[54:55]
	s_cbranch_execnz .LBB927_67
; %bb.68:
	s_or_b64 exec, exec, s[54:55]
.LBB927_69:
	s_or_b64 exec, exec, s[30:31]
	v_mov_b32_e32 v26, 2
	v_cmp_eq_u16_sdwa s[30:31], v8, v26 src0_sel:BYTE_0 src1_sel:DWORD
	v_lshlrev_b64 v[20:21], v19, -1
	v_and_b32_e32 v9, s31, v21
	v_and_b32_e32 v27, 63, v19
	v_or_b32_e32 v9, 0x80000000, v9
	v_cmp_ne_u32_e32 vcc, 63, v27
	v_and_b32_e32 v10, s30, v20
	v_ffbl_b32_e32 v9, v9
	v_addc_co_u32_e32 v11, vcc, 0, v19, vcc
	v_add_u32_e32 v9, 32, v9
	v_ffbl_b32_e32 v10, v10
	v_lshlrev_b32_e32 v28, 2, v11
	v_min_u32_e32 v9, v10, v9
	ds_bpermute_b32 v10, v28, v7
	v_cmp_eq_u32_e32 vcc, 0, v6
	v_cmp_lt_u32_e64 s[30:31], v27, v9
	ds_bpermute_b32 v11, v28, v6
	s_and_b64 vcc, s[30:31], vcc
	s_waitcnt lgkmcnt(1)
	v_cndmask_b32_e32 v10, 0, v10, vcc
	v_cmp_gt_u32_e32 vcc, 62, v27
	v_add_u32_e32 v7, v10, v7
	v_cndmask_b32_e64 v10, 0, 1, vcc
	v_lshlrev_b32_e32 v10, 1, v10
	v_add_lshl_u32 v29, v10, v19, 2
	s_waitcnt lgkmcnt(0)
	v_cndmask_b32_e64 v11, 0, v11, s[30:31]
	ds_bpermute_b32 v10, v29, v7
	v_add_u32_e32 v6, v11, v6
	ds_bpermute_b32 v11, v29, v6
	v_add_u32_e32 v30, 2, v27
	v_cmp_eq_u32_e32 vcc, 0, v6
	s_waitcnt lgkmcnt(1)
	v_cndmask_b32_e32 v10, 0, v10, vcc
	v_cmp_gt_u32_e32 vcc, v30, v9
	v_cndmask_b32_e64 v10, v10, 0, vcc
	v_add_u32_e32 v7, v10, v7
	s_waitcnt lgkmcnt(0)
	v_cndmask_b32_e64 v10, v11, 0, vcc
	v_cmp_gt_u32_e32 vcc, 60, v27
	v_cndmask_b32_e64 v11, 0, 1, vcc
	v_lshlrev_b32_e32 v11, 2, v11
	v_add_lshl_u32 v31, v11, v19, 2
	ds_bpermute_b32 v11, v31, v7
	v_add_u32_e32 v6, v6, v10
	ds_bpermute_b32 v10, v31, v6
	v_add_u32_e32 v32, 4, v27
	v_cmp_eq_u32_e32 vcc, 0, v6
	s_waitcnt lgkmcnt(1)
	v_cndmask_b32_e32 v11, 0, v11, vcc
	v_cmp_gt_u32_e32 vcc, v32, v9
	v_cndmask_b32_e64 v11, v11, 0, vcc
	s_waitcnt lgkmcnt(0)
	v_cndmask_b32_e64 v10, v10, 0, vcc
	v_cmp_gt_u32_e32 vcc, 56, v27
	v_add_u32_e32 v7, v7, v11
	v_cndmask_b32_e64 v11, 0, 1, vcc
	v_lshlrev_b32_e32 v11, 3, v11
	v_add_lshl_u32 v33, v11, v19, 2
	ds_bpermute_b32 v11, v33, v7
	v_add_u32_e32 v6, v6, v10
	ds_bpermute_b32 v10, v33, v6
	v_add_u32_e32 v34, 8, v27
	v_cmp_eq_u32_e32 vcc, 0, v6
	s_waitcnt lgkmcnt(1)
	v_cndmask_b32_e32 v11, 0, v11, vcc
	v_cmp_gt_u32_e32 vcc, v34, v9
	v_cndmask_b32_e64 v11, v11, 0, vcc
	s_waitcnt lgkmcnt(0)
	v_cndmask_b32_e64 v10, v10, 0, vcc
	v_cmp_gt_u32_e32 vcc, 48, v27
	v_add_u32_e32 v7, v7, v11
	;; [unrolled: 16-line block ×3, first 2 shown]
	v_cndmask_b32_e64 v11, 0, 1, vcc
	v_lshlrev_b32_e32 v11, 5, v11
	v_add_lshl_u32 v37, v11, v19, 2
	ds_bpermute_b32 v11, v37, v7
	v_add_u32_e32 v6, v6, v10
	ds_bpermute_b32 v10, v37, v6
	v_add_u32_e32 v38, 32, v27
	v_cmp_eq_u32_e32 vcc, 0, v6
	s_waitcnt lgkmcnt(1)
	v_cndmask_b32_e32 v11, 0, v11, vcc
	v_cmp_gt_u32_e32 vcc, v38, v9
	v_cndmask_b32_e64 v9, v11, 0, vcc
	v_add_u32_e32 v7, v9, v7
	s_waitcnt lgkmcnt(0)
	v_cndmask_b32_e64 v9, v10, 0, vcc
	v_add_u32_e32 v6, v9, v6
	v_mov_b32_e32 v19, 0
	s_branch .LBB927_71
.LBB927_70:                             ;   in Loop: Header=BB927_71 Depth=1
	s_or_b64 exec, exec, s[30:31]
	v_cmp_eq_u16_sdwa s[30:31], v8, v26 src0_sel:BYTE_0 src1_sel:DWORD
	v_and_b32_e32 v9, s31, v21
	v_or_b32_e32 v9, 0x80000000, v9
	v_and_b32_e32 v22, s30, v20
	v_ffbl_b32_e32 v9, v9
	v_add_u32_e32 v9, 32, v9
	v_ffbl_b32_e32 v22, v22
	v_min_u32_e32 v9, v22, v9
	ds_bpermute_b32 v22, v28, v7
	v_cmp_eq_u32_e32 vcc, 0, v6
	v_cmp_lt_u32_e64 s[30:31], v27, v9
	ds_bpermute_b32 v23, v28, v6
	s_and_b64 vcc, s[30:31], vcc
	s_waitcnt lgkmcnt(1)
	v_cndmask_b32_e32 v22, 0, v22, vcc
	v_add_u32_e32 v7, v22, v7
	ds_bpermute_b32 v22, v29, v7
	s_waitcnt lgkmcnt(1)
	v_cndmask_b32_e64 v23, 0, v23, s[30:31]
	v_add_u32_e32 v6, v23, v6
	v_cmp_eq_u32_e32 vcc, 0, v6
	ds_bpermute_b32 v23, v29, v6
	s_waitcnt lgkmcnt(1)
	v_cndmask_b32_e32 v22, 0, v22, vcc
	v_cmp_gt_u32_e32 vcc, v30, v9
	v_cndmask_b32_e64 v22, v22, 0, vcc
	v_add_u32_e32 v7, v22, v7
	ds_bpermute_b32 v22, v31, v7
	s_waitcnt lgkmcnt(1)
	v_cndmask_b32_e64 v23, v23, 0, vcc
	v_add_u32_e32 v6, v6, v23
	v_cmp_eq_u32_e32 vcc, 0, v6
	ds_bpermute_b32 v23, v31, v6
	s_waitcnt lgkmcnt(1)
	v_cndmask_b32_e32 v22, 0, v22, vcc
	v_cmp_gt_u32_e32 vcc, v32, v9
	v_cndmask_b32_e64 v22, v22, 0, vcc
	v_add_u32_e32 v7, v7, v22
	ds_bpermute_b32 v22, v33, v7
	s_waitcnt lgkmcnt(1)
	v_cndmask_b32_e64 v23, v23, 0, vcc
	v_add_u32_e32 v6, v6, v23
	ds_bpermute_b32 v23, v33, v6
	v_cmp_eq_u32_e32 vcc, 0, v6
	s_waitcnt lgkmcnt(1)
	v_cndmask_b32_e32 v22, 0, v22, vcc
	v_cmp_gt_u32_e32 vcc, v34, v9
	v_cndmask_b32_e64 v22, v22, 0, vcc
	v_add_u32_e32 v7, v7, v22
	ds_bpermute_b32 v22, v35, v7
	s_waitcnt lgkmcnt(1)
	v_cndmask_b32_e64 v23, v23, 0, vcc
	v_add_u32_e32 v6, v6, v23
	ds_bpermute_b32 v23, v35, v6
	v_cmp_eq_u32_e32 vcc, 0, v6
	;; [unrolled: 11-line block ×3, first 2 shown]
	s_waitcnt lgkmcnt(1)
	v_cndmask_b32_e32 v22, 0, v22, vcc
	v_cmp_gt_u32_e32 vcc, v38, v9
	v_cndmask_b32_e64 v9, v22, 0, vcc
	v_add_u32_e32 v7, v9, v7
	s_waitcnt lgkmcnt(0)
	v_cndmask_b32_e64 v9, v23, 0, vcc
	v_cmp_eq_u32_e32 vcc, 0, v10
	v_cndmask_b32_e32 v7, 0, v7, vcc
	v_subrev_u32_e32 v18, 64, v18
	v_add3_u32 v6, v6, v10, v9
	v_add_u32_e32 v7, v7, v11
.LBB927_71:                             ; =>This Loop Header: Depth=1
                                        ;     Child Loop BB927_74 Depth 2
	v_cmp_ne_u16_sdwa s[30:31], v8, v26 src0_sel:BYTE_0 src1_sel:DWORD
	v_mov_b32_e32 v11, v7
	v_cndmask_b32_e64 v7, 0, 1, s[30:31]
	;;#ASMSTART
	;;#ASMEND
	v_cmp_ne_u32_e32 vcc, 0, v7
	s_cmp_lg_u64 vcc, exec
	v_mov_b32_e32 v10, v6
	s_cbranch_scc1 .LBB927_76
; %bb.72:                               ;   in Loop: Header=BB927_71 Depth=1
	v_lshlrev_b64 v[6:7], 4, v[18:19]
	v_mov_b32_e32 v8, s37
	v_add_co_u32_e32 v22, vcc, s36, v6
	v_addc_co_u32_e32 v23, vcc, v8, v7, vcc
	;;#ASMSTART
	global_load_dwordx4 v[6:9], v[22:23] off glc	
s_waitcnt vmcnt(0)
	;;#ASMEND
	v_and_b32_e32 v9, 0xff, v7
	v_and_b32_e32 v39, 0xff00, v7
	v_or3_b32 v9, 0, v9, v39
	v_or3_b32 v6, v6, 0, 0
	v_and_b32_e32 v39, 0xff000000, v7
	v_and_b32_e32 v7, 0xff0000, v7
	v_or3_b32 v7, v9, v7, v39
	v_or3_b32 v6, v6, 0, 0
	v_cmp_eq_u16_sdwa s[54:55], v8, v19 src0_sel:BYTE_0 src1_sel:DWORD
	s_and_saveexec_b64 s[30:31], s[54:55]
	s_cbranch_execz .LBB927_70
; %bb.73:                               ;   in Loop: Header=BB927_71 Depth=1
	s_mov_b64 s[54:55], 0
.LBB927_74:                             ;   Parent Loop BB927_71 Depth=1
                                        ; =>  This Inner Loop Header: Depth=2
	;;#ASMSTART
	global_load_dwordx4 v[6:9], v[22:23] off glc	
s_waitcnt vmcnt(0)
	;;#ASMEND
	v_cmp_ne_u16_sdwa s[58:59], v8, v19 src0_sel:BYTE_0 src1_sel:DWORD
	s_or_b64 s[54:55], s[58:59], s[54:55]
	s_andn2_b64 exec, exec, s[54:55]
	s_cbranch_execnz .LBB927_74
; %bb.75:                               ;   in Loop: Header=BB927_71 Depth=1
	s_or_b64 exec, exec, s[54:55]
	s_branch .LBB927_70
.LBB927_76:                             ;   in Loop: Header=BB927_71 Depth=1
                                        ; implicit-def: $vgpr7
                                        ; implicit-def: $vgpr6
                                        ; implicit-def: $vgpr8
	s_cbranch_execz .LBB927_71
; %bb.77:
	s_and_saveexec_b64 s[30:31], s[26:27]
	s_cbranch_execz .LBB927_79
; %bb.78:
	s_cmp_eq_u32 s7, 0
	s_cselect_b64 vcc, -1, 0
	s_mov_b32 s55, 0
	v_cndmask_b32_e32 v6, 0, v11, vcc
	s_add_i32 s54, s6, 64
	v_add_u32_e32 v6, s56, v6
	s_lshl_b64 s[54:55], s[54:55], 4
	s_add_u32 s54, s36, s54
	v_and_b32_e32 v7, 0xff000000, v6
	v_and_b32_e32 v8, 0xff0000, v6
	s_addc_u32 s55, s37, s55
	v_or_b32_e32 v7, v8, v7
	v_and_b32_e32 v8, 0xff00, v6
	v_and_b32_e32 v6, 0xff, v6
	v_add_u32_e32 v18, s7, v10
	v_mov_b32_e32 v21, 0
	v_or3_b32 v19, v7, v8, v6
	v_mov_b32_e32 v20, 2
	v_pk_mov_b32 v[6:7], s[54:55], s[54:55] op_sel:[0,1]
	;;#ASMSTART
	global_store_dwordx4 v[6:7], v[18:21] off	
s_waitcnt vmcnt(0)
	;;#ASMEND
	v_mov_b32_e32 v8, s7
	v_mov_b32_e32 v9, s56
	ds_write_b128 v21, v[8:11] offset:1024
.LBB927_79:
	s_or_b64 exec, exec, s[30:31]
	v_cmp_eq_u32_e32 vcc, 0, v0
	s_and_b64 exec, exec, vcc
	s_cbranch_execz .LBB927_81
; %bb.80:
	v_mov_b32_e32 v6, 0
	ds_write_b64 v6, v[10:11] offset:1064
.LBB927_81:
	s_or_b64 exec, exec, s[48:49]
	v_mov_b32_e32 v8, 0
	s_waitcnt lgkmcnt(0)
	s_barrier
	ds_read_b64 v[6:7], v8 offset:1064
	v_cndmask_b32_e64 v10, v24, v16, s[26:27]
	v_cmp_eq_u32_e32 vcc, 0, v10
	v_cndmask_b32_e64 v9, v25, v17, s[26:27]
	s_waitcnt lgkmcnt(0)
	v_cndmask_b32_e32 v11, 0, v7, vcc
	v_add_u32_e32 v9, v11, v9
	v_cmp_eq_u32_e32 vcc, 0, v0
	v_cndmask_b32_e32 v47, v9, v7, vcc
	v_cndmask_b32_e64 v7, v10, 0, vcc
	v_cmp_eq_u32_e32 vcc, 0, v69
	v_add_u32_e32 v46, v6, v7
	v_cndmask_b32_e32 v6, 0, v47, vcc
	v_add_u32_e32 v45, v6, v54
	v_cndmask_b32_e64 v6, 0, v45, s[24:25]
	v_add_u32_e32 v43, v6, v76
	v_cndmask_b32_e64 v6, 0, v43, s[22:23]
	;; [unrolled: 2-line block ×8, first 2 shown]
	v_add_u32_e32 v44, v46, v69
	v_add_u32_e32 v29, v6, v50
	v_add_u32_e32 v42, v44, v68
	v_cndmask_b32_e64 v6, 0, v29, s[8:9]
	v_add_u32_e32 v40, v42, v67
	v_add_u32_e32 v27, v6, v72
	v_add_u32_e32 v38, v40, v66
	v_cndmask_b32_e64 v6, 0, v27, s[28:29]
	;; [unrolled: 4-line block ×3, first 2 shown]
	v_add_u32_e32 v32, v34, v63
	v_add_u32_e32 v23, v6, v71
	s_barrier
	ds_read_b128 v[6:9], v8 offset:1024
	v_add_u32_e32 v30, v32, v62
	v_add_u32_e32 v28, v30, v61
	;; [unrolled: 1-line block ×4, first 2 shown]
	v_cndmask_b32_e64 v10, 0, v23, s[2:3]
	v_add_u32_e32 v22, v24, v58
	v_add_u32_e32 v21, v10, v48
	s_waitcnt lgkmcnt(0)
	v_cmp_eq_u32_e32 vcc, 0, v6
	v_add_u32_e32 v20, v22, v57
	v_cndmask_b32_e64 v10, 0, v21, s[0:1]
	v_cndmask_b32_e32 v9, 0, v9, vcc
	v_add_u32_e32 v18, v20, v56
	v_add_u32_e32 v19, v10, v70
	v_add_u32_e32 v16, v9, v7
	s_branch .LBB927_94
.LBB927_82:
                                        ; implicit-def: $vgpr6
                                        ; implicit-def: $vgpr16
                                        ; implicit-def: $vgpr46_vgpr47
                                        ; implicit-def: $vgpr44_vgpr45
                                        ; implicit-def: $vgpr42_vgpr43
                                        ; implicit-def: $vgpr40_vgpr41
                                        ; implicit-def: $vgpr38_vgpr39
                                        ; implicit-def: $vgpr36_vgpr37
                                        ; implicit-def: $vgpr34_vgpr35
                                        ; implicit-def: $vgpr32_vgpr33
                                        ; implicit-def: $vgpr30_vgpr31
                                        ; implicit-def: $vgpr28_vgpr29
                                        ; implicit-def: $vgpr26_vgpr27
                                        ; implicit-def: $vgpr24_vgpr25
                                        ; implicit-def: $vgpr22_vgpr23
                                        ; implicit-def: $vgpr20_vgpr21
                                        ; implicit-def: $vgpr18_vgpr19
	s_cbranch_execz .LBB927_94
; %bb.83:
	s_and_b64 s[0:1], s[38:39], exec
	s_cselect_b32 s1, 0, s53
	s_cselect_b32 s0, 0, s52
	s_cmp_eq_u64 s[0:1], 0
	v_mov_b32_e32 v10, v54
	s_cbranch_scc1 .LBB927_85
; %bb.84:
	v_mov_b32_e32 v6, 0
	global_load_dword v10, v6, s[0:1]
.LBB927_85:
	v_cmp_eq_u32_e64 s[0:1], 0, v68
	v_cndmask_b32_e64 v6, 0, v54, s[0:1]
	v_add_u32_e32 v6, v6, v76
	v_cmp_eq_u32_e64 s[2:3], 0, v67
	v_cndmask_b32_e64 v6, 0, v6, s[2:3]
	v_add_u32_e32 v6, v6, v55
	;; [unrolled: 3-line block ×11, first 2 shown]
	v_cmp_eq_u32_e64 s[22:23], 0, v57
	v_cndmask_b32_e64 v6, 0, v6, s[22:23]
	v_add3_u32 v7, v80, v64, v63
	v_add_u32_e32 v6, v6, v48
	v_cmp_eq_u32_e32 vcc, 0, v56
	v_add3_u32 v7, v7, v62, v61
	v_cndmask_b32_e32 v6, 0, v6, vcc
	v_add3_u32 v7, v7, v60, v59
	v_add_u32_e32 v6, v6, v70
	v_cmp_eq_u32_e64 s[24:25], 0, v15
	v_add3_u32 v7, v7, v58, v57
	v_cndmask_b32_e64 v6, 0, v6, s[24:25]
	v_add3_u32 v7, v7, v56, v15
	v_add_u32_e32 v6, v6, v49
	v_mbcnt_hi_u32_b32 v11, -1, v79
	v_and_b32_e32 v8, 15, v11
	v_mov_b32_dpp v16, v6 row_shr:1 row_mask:0xf bank_mask:0xf
	v_cmp_eq_u32_e64 s[24:25], 0, v7
	v_mov_b32_dpp v9, v7 row_shr:1 row_mask:0xf bank_mask:0xf
	v_cndmask_b32_e64 v16, 0, v16, s[24:25]
	v_cmp_eq_u32_e64 s[24:25], 0, v8
	v_cndmask_b32_e64 v9, v9, 0, s[24:25]
	v_add_u32_e32 v7, v9, v7
	v_cndmask_b32_e64 v9, v16, 0, s[24:25]
	v_add_u32_e32 v6, v9, v6
	v_cmp_eq_u32_e64 s[24:25], 0, v7
	v_mov_b32_dpp v9, v7 row_shr:2 row_mask:0xf bank_mask:0xf
	v_cmp_lt_u32_e64 s[26:27], 1, v8
	v_mov_b32_dpp v16, v6 row_shr:2 row_mask:0xf bank_mask:0xf
	v_cndmask_b32_e64 v9, 0, v9, s[26:27]
	s_and_b64 s[24:25], s[26:27], s[24:25]
	v_cndmask_b32_e64 v16, 0, v16, s[24:25]
	v_add_u32_e32 v7, v7, v9
	v_add_u32_e32 v6, v16, v6
	v_cmp_eq_u32_e64 s[24:25], 0, v7
	v_mov_b32_dpp v9, v7 row_shr:4 row_mask:0xf bank_mask:0xf
	v_cmp_lt_u32_e64 s[26:27], 3, v8
	v_mov_b32_dpp v16, v6 row_shr:4 row_mask:0xf bank_mask:0xf
	v_cndmask_b32_e64 v9, 0, v9, s[26:27]
	s_and_b64 s[24:25], s[26:27], s[24:25]
	v_cndmask_b32_e64 v16, 0, v16, s[24:25]
	v_add_u32_e32 v7, v9, v7
	v_add_u32_e32 v6, v6, v16
	v_cmp_eq_u32_e64 s[24:25], 0, v7
	v_cmp_lt_u32_e64 s[26:27], 7, v8
	v_mov_b32_dpp v9, v7 row_shr:8 row_mask:0xf bank_mask:0xf
	v_mov_b32_dpp v16, v6 row_shr:8 row_mask:0xf bank_mask:0xf
	s_and_b64 s[24:25], s[26:27], s[24:25]
	v_cndmask_b32_e64 v8, 0, v9, s[26:27]
	v_cndmask_b32_e64 v9, 0, v16, s[24:25]
	v_add_u32_e32 v6, v9, v6
	v_add_u32_e32 v7, v8, v7
	v_bfe_i32 v16, v11, 4, 1
	v_mov_b32_dpp v9, v6 row_bcast:15 row_mask:0xf bank_mask:0xf
	v_mov_b32_dpp v8, v7 row_bcast:15 row_mask:0xf bank_mask:0xf
	v_cmp_eq_u32_e64 s[24:25], 0, v7
	v_cndmask_b32_e64 v9, 0, v9, s[24:25]
	v_and_b32_e32 v8, v16, v8
	v_add_u32_e32 v7, v8, v7
	v_and_b32_e32 v8, v16, v9
	v_add_u32_e32 v8, v8, v6
	v_mov_b32_dpp v6, v7 row_bcast:31 row_mask:0xf bank_mask:0xf
	v_cmp_eq_u32_e64 s[24:25], 0, v7
	v_cmp_lt_u32_e64 s[26:27], 31, v11
	v_mov_b32_dpp v9, v8 row_bcast:31 row_mask:0xf bank_mask:0xf
	v_cndmask_b32_e64 v6, 0, v6, s[26:27]
	s_and_b64 s[24:25], s[26:27], s[24:25]
	v_add_u32_e32 v6, v6, v7
	v_cndmask_b32_e64 v7, 0, v9, s[24:25]
	v_add_u32_e32 v7, v7, v8
	v_cmp_eq_u32_e64 s[24:25], v78, v0
	v_lshlrev_b32_e32 v9, 3, v77
	s_and_saveexec_b64 s[26:27], s[24:25]
	s_cbranch_execz .LBB927_87
; %bb.86:
	ds_write_b64 v9, v[6:7] offset:1040
.LBB927_87:
	s_or_b64 exec, exec, s[26:27]
	v_cmp_gt_u32_e64 s[24:25], 4, v0
	s_waitcnt lgkmcnt(0)
	s_barrier
	s_and_saveexec_b64 s[28:29], s[24:25]
	s_cbranch_execz .LBB927_89
; %bb.88:
	v_lshlrev_b32_e32 v8, 3, v0
	ds_read_b64 v[16:17], v8 offset:1040
	v_and_b32_e32 v18, 3, v11
	v_cmp_lt_u32_e64 s[26:27], 1, v18
	s_waitcnt lgkmcnt(0)
	v_mov_b32_dpp v20, v17 row_shr:1 row_mask:0xf bank_mask:0xf
	v_cmp_eq_u32_e64 s[24:25], 0, v16
	v_mov_b32_dpp v19, v16 row_shr:1 row_mask:0xf bank_mask:0xf
	v_cndmask_b32_e64 v20, 0, v20, s[24:25]
	v_cmp_eq_u32_e64 s[24:25], 0, v18
	v_cndmask_b32_e64 v19, v19, 0, s[24:25]
	v_add_u32_e32 v16, v19, v16
	v_cndmask_b32_e64 v19, v20, 0, s[24:25]
	v_add_u32_e32 v17, v19, v17
	v_cmp_eq_u32_e64 s[24:25], 0, v16
	v_mov_b32_dpp v19, v16 row_shr:2 row_mask:0xf bank_mask:0xf
	v_mov_b32_dpp v20, v17 row_shr:2 row_mask:0xf bank_mask:0xf
	v_cndmask_b32_e64 v18, 0, v19, s[26:27]
	s_and_b64 s[24:25], s[26:27], s[24:25]
	v_add_u32_e32 v16, v18, v16
	v_cndmask_b32_e64 v18, 0, v20, s[24:25]
	v_add_u32_e32 v17, v18, v17
	ds_write_b64 v8, v[16:17] offset:1040
.LBB927_89:
	s_or_b64 exec, exec, s[28:29]
	v_cmp_lt_u32_e64 s[24:25], 63, v0
	v_mov_b32_e32 v16, 0
	v_mov_b32_e32 v8, 0
	s_waitcnt vmcnt(0)
	v_mov_b32_e32 v17, v10
	s_waitcnt lgkmcnt(0)
	s_barrier
	s_and_saveexec_b64 s[26:27], s[24:25]
	s_cbranch_execz .LBB927_91
; %bb.90:
	ds_read_b64 v[8:9], v9 offset:1032
	s_waitcnt lgkmcnt(0)
	v_cmp_eq_u32_e64 s[24:25], 0, v8
	v_cndmask_b32_e64 v17, 0, v10, s[24:25]
	v_add_u32_e32 v17, v17, v9
.LBB927_91:
	s_or_b64 exec, exec, s[26:27]
	v_cmp_eq_u32_e64 s[24:25], 0, v6
	v_add_u32_e32 v9, v8, v6
	v_cndmask_b32_e64 v6, 0, v17, s[24:25]
	v_add_u32_e32 v6, v6, v7
	v_add_u32_e32 v7, -1, v11
	v_and_b32_e32 v18, 64, v11
	v_cmp_lt_i32_e64 s[24:25], v7, v18
	v_cndmask_b32_e64 v7, v7, v11, s[24:25]
	v_lshlrev_b32_e32 v7, 2, v7
	ds_bpermute_b32 v9, v7, v9
	ds_bpermute_b32 v6, v7, v6
	v_cmp_eq_u32_e64 s[24:25], 0, v11
	v_cmp_eq_u32_e64 s[26:27], 0, v69
	s_waitcnt lgkmcnt(1)
	v_cndmask_b32_e64 v7, v9, v8, s[24:25]
	s_waitcnt lgkmcnt(0)
	v_cndmask_b32_e64 v6, v6, v17, s[24:25]
	v_cmp_eq_u32_e64 s[24:25], 0, v0
	v_cndmask_b32_e64 v47, v6, v10, s[24:25]
	v_cndmask_b32_e64 v6, 0, v47, s[26:27]
	v_add_u32_e32 v45, v6, v54
	v_cndmask_b32_e64 v6, 0, v45, s[0:1]
	v_add_u32_e32 v43, v6, v76
	;; [unrolled: 2-line block ×8, first 2 shown]
	v_cndmask_b32_e64 v46, v7, 0, s[24:25]
	v_cndmask_b32_e64 v6, 0, v31, s[14:15]
	v_add_u32_e32 v44, v46, v69
	v_add_u32_e32 v29, v6, v50
	v_add_u32_e32 v42, v44, v68
	v_cndmask_b32_e64 v6, 0, v29, s[16:17]
	v_add_u32_e32 v40, v42, v67
	v_add_u32_e32 v27, v6, v72
	v_add_u32_e32 v38, v40, v66
	v_cndmask_b32_e64 v6, 0, v27, s[18:19]
	v_add_u32_e32 v36, v38, v65
	v_add_u32_e32 v25, v6, v51
	v_add_u32_e32 v34, v36, v64
	v_cndmask_b32_e64 v6, 0, v25, s[20:21]
	v_add_u32_e32 v32, v34, v63
	v_add_u32_e32 v23, v6, v71
	ds_read_b64 v[6:7], v16 offset:1064
	v_add_u32_e32 v30, v32, v62
	v_add_u32_e32 v28, v30, v61
	;; [unrolled: 1-line block ×3, first 2 shown]
	v_cndmask_b32_e64 v8, 0, v23, s[22:23]
	v_add_u32_e32 v24, v26, v59
	v_add_u32_e32 v21, v8, v48
	;; [unrolled: 1-line block ×3, first 2 shown]
	v_cndmask_b32_e32 v8, 0, v21, vcc
	s_waitcnt lgkmcnt(0)
	v_cmp_eq_u32_e32 vcc, 0, v6
	v_add_u32_e32 v20, v22, v57
	v_add_u32_e32 v19, v8, v70
	v_cndmask_b32_e32 v8, 0, v10, vcc
	v_add_u32_e32 v18, v20, v56
	v_add_u32_e32 v16, v8, v7
	s_and_saveexec_b64 s[0:1], s[24:25]
	s_cbranch_execz .LBB927_93
; %bb.92:
	s_add_u32 s2, s36, 0x400
	v_and_b32_e32 v7, 0xff000000, v16
	v_and_b32_e32 v8, 0xff0000, v16
	s_addc_u32 s3, s37, 0
	v_or_b32_e32 v7, v8, v7
	v_and_b32_e32 v8, 0xff00, v16
	v_and_b32_e32 v10, 0xff, v16
	v_mov_b32_e32 v9, 0
	v_or3_b32 v7, v7, v8, v10
	v_mov_b32_e32 v8, 2
	v_pk_mov_b32 v[10:11], s[2:3], s[2:3] op_sel:[0,1]
	;;#ASMSTART
	global_store_dwordx4 v[10:11], v[6:9] off	
s_waitcnt vmcnt(0)
	;;#ASMEND
.LBB927_93:
	s_or_b64 exec, exec, s[0:1]
	v_mov_b32_e32 v8, 0
.LBB927_94:
	s_and_b64 s[0:1], s[38:39], exec
	s_cselect_b32 s1, 0, s51
	s_cselect_b32 s0, 0, s50
	s_cmp_eq_u64 s[0:1], 0
	v_pk_mov_b32 v[48:49], 0, 0
	s_barrier
	s_cbranch_scc1 .LBB927_96
; %bb.95:
	v_mov_b32_e32 v7, 0
	global_load_dwordx2 v[48:49], v7, s[0:1]
.LBB927_96:
	s_waitcnt vmcnt(0)
	v_lshlrev_b64 v[10:11], 1, v[48:49]
	v_mov_b32_e32 v7, s45
	v_add_co_u32_e32 v17, vcc, s44, v10
	v_mov_b32_e32 v9, 0
	v_addc_co_u32_e32 v50, vcc, v7, v11, vcc
	v_lshlrev_b64 v[10:11], 1, v[8:9]
	v_add_co_u32_e32 v7, vcc, v17, v10
	v_addc_co_u32_e32 v17, vcc, v50, v11, vcc
	v_cmp_eq_u32_e32 vcc, 0, v69
	v_cndmask_b32_e64 v10, 1, 2, vcc
	v_cmp_eq_u32_e32 vcc, 0, v68
	v_cndmask_b32_e64 v11, 1, 2, vcc
	v_cmp_eq_u32_e32 vcc, 0, v67
	v_and_b32_e32 v10, v11, v10
	v_cndmask_b32_e64 v11, 1, 2, vcc
	v_cmp_eq_u32_e32 vcc, 0, v66
	v_and_b32_e32 v10, v10, v11
	v_cndmask_b32_e64 v11, 1, 2, vcc
	v_cmp_eq_u32_e32 vcc, 0, v65
	v_and_b32_e32 v10, v10, v11
	v_cndmask_b32_e64 v11, 1, 2, vcc
	v_cmp_eq_u32_e32 vcc, 0, v64
	v_and_b32_e32 v10, v10, v11
	v_cndmask_b32_e64 v11, 1, 2, vcc
	v_cmp_eq_u32_e32 vcc, 0, v63
	v_and_b32_e32 v10, v10, v11
	v_cndmask_b32_e64 v11, 1, 2, vcc
	v_cmp_eq_u32_e32 vcc, 0, v62
	v_and_b32_e32 v10, v10, v11
	v_cndmask_b32_e64 v11, 1, 2, vcc
	v_cmp_eq_u32_e32 vcc, 0, v61
	v_and_b32_e32 v10, v10, v11
	v_cndmask_b32_e64 v11, 1, 2, vcc
	v_cmp_eq_u32_e32 vcc, 0, v60
	v_and_b32_e32 v10, v10, v11
	v_cndmask_b32_e64 v11, 1, 2, vcc
	v_cmp_eq_u32_e32 vcc, 0, v59
	v_and_b32_e32 v10, v10, v11
	v_cndmask_b32_e64 v11, 1, 2, vcc
	v_cmp_eq_u32_e32 vcc, 0, v58
	v_and_b32_e32 v10, v10, v11
	v_cndmask_b32_e64 v11, 1, 2, vcc
	v_cmp_eq_u32_e32 vcc, 0, v57
	v_and_b32_e32 v10, v10, v11
	v_cndmask_b32_e64 v11, 1, 2, vcc
	v_cmp_eq_u32_e32 vcc, 0, v56
	v_and_b32_e32 v10, v10, v11
	v_cndmask_b32_e64 v11, 1, 2, vcc
	v_cmp_eq_u32_e32 vcc, 0, v15
	v_and_b32_e32 v10, v10, v11
	v_cndmask_b32_e64 v11, 1, 2, vcc
	s_movk_i32 s30, 0x100
	v_and_b32_e32 v10, v10, v11
	v_cmp_gt_u32_e32 vcc, s30, v6
	v_cmp_ne_u32_e64 s[28:29], 0, v69
	v_cmp_ne_u32_e64 s[26:27], 0, v68
	;; [unrolled: 1-line block ×15, first 2 shown]
	s_mov_b64 s[36:37], -1
	v_cmp_gt_i16_e64 s[30:31], 2, v10
	s_cbranch_vccz .LBB927_103
; %bb.97:
	s_and_saveexec_b64 s[36:37], s[30:31]
	s_cbranch_execz .LBB927_102
; %bb.98:
	v_cmp_ne_u16_e32 vcc, 1, v10
	s_mov_b64 s[38:39], 0
	s_and_saveexec_b64 s[30:31], vcc
	s_xor_b64 s[30:31], exec, s[30:31]
	s_cbranch_execnz .LBB927_147
; %bb.99:
	s_andn2_saveexec_b64 s[30:31], s[30:31]
	s_cbranch_execnz .LBB927_163
.LBB927_100:
	s_or_b64 exec, exec, s[30:31]
	s_and_b64 exec, exec, s[38:39]
	s_cbranch_execz .LBB927_102
.LBB927_101:
	v_sub_u32_e32 v50, v18, v8
	v_mov_b32_e32 v51, 0
	v_lshlrev_b64 v[50:51], 1, v[50:51]
	v_add_co_u32_e32 v50, vcc, v7, v50
	v_addc_co_u32_e32 v51, vcc, v17, v51, vcc
	global_store_short_d16_hi v[50:51], v14, off
.LBB927_102:
	s_or_b64 exec, exec, s[36:37]
	s_mov_b64 s[36:37], 0
.LBB927_103:
	s_and_b64 vcc, exec, s[36:37]
	s_cbranch_vccz .LBB927_125
; %bb.104:
	v_cmp_gt_i16_e32 vcc, 2, v10
	s_and_saveexec_b64 s[30:31], vcc
	s_cbranch_execz .LBB927_109
; %bb.105:
	v_cmp_ne_u16_e32 vcc, 1, v10
	s_mov_b64 s[38:39], 0
	s_and_saveexec_b64 s[36:37], vcc
	s_xor_b64 s[36:37], exec, s[36:37]
	s_cbranch_execnz .LBB927_164
; %bb.106:
	s_andn2_saveexec_b64 s[0:1], s[36:37]
	s_cbranch_execnz .LBB927_180
.LBB927_107:
	s_or_b64 exec, exec, s[0:1]
	s_and_b64 exec, exec, s[38:39]
	s_cbranch_execz .LBB927_109
.LBB927_108:
	v_sub_u32_e32 v1, v18, v8
	v_lshlrev_b32_e32 v1, 1, v1
	ds_write_b16_d16_hi v1, v14
.LBB927_109:
	s_or_b64 exec, exec, s[30:31]
	v_cmp_lt_u32_e32 vcc, v0, v6
	s_waitcnt lgkmcnt(0)
	s_barrier
	s_and_saveexec_b64 s[2:3], vcc
	s_cbranch_execz .LBB927_124
; %bb.110:
	v_xad_u32 v1, v0, -1, v6
	s_movk_i32 s0, 0x1700
	v_cmp_gt_u32_e64 s[4:5], s0, v1
	s_movk_i32 s0, 0x16ff
	v_cmp_lt_u32_e32 vcc, s0, v1
	v_mov_b32_e32 v2, v0
	s_and_saveexec_b64 s[6:7], vcc
	s_cbranch_execz .LBB927_121
; %bb.111:
	v_sub_u32_e32 v2, v0, v6
	v_or_b32_e32 v2, 0xff, v2
	v_cmp_ge_u32_e32 vcc, v2, v0
	s_mov_b64 s[0:1], -1
	v_mov_b32_e32 v2, v0
	s_and_saveexec_b64 s[8:9], vcc
	s_cbranch_execz .LBB927_120
; %bb.112:
	v_lshrrev_b32_e32 v14, 8, v1
	v_or_b32_e32 v3, 0x300, v0
	v_or_b32_e32 v2, 0x200, v0
	v_add_u32_e32 v4, -3, v14
	v_or_b32_e32 v1, 0x100, v0
	v_lshrrev_b32_e32 v5, 2, v4
	v_pk_mov_b32 v[12:13], v[2:3], v[2:3] op_sel:[0,1]
	v_add_u32_e32 v51, 1, v5
	v_cmp_lt_u32_e32 vcc, 11, v4
	v_mov_b32_e32 v54, 0
	v_lshlrev_b32_e32 v50, 1, v0
	v_pk_mov_b32 v[10:11], v[0:1], v[0:1] op_sel:[0,1]
	s_and_saveexec_b64 s[10:11], vcc
	s_cbranch_execz .LBB927_116
; %bb.113:
	v_pk_mov_b32 v[12:13], v[2:3], v[2:3] op_sel:[0,1]
	v_and_b32_e32 v52, 0x7ffffffc, v51
	s_mov_b32 s14, 0
	s_mov_b64 s[12:13], 0
	v_mov_b32_e32 v5, 0
	v_mov_b32_e32 v53, v50
	v_pk_mov_b32 v[10:11], v[0:1], v[0:1] op_sel:[0,1]
.LBB927_114:                            ; =>This Inner Loop Header: Depth=1
	v_mov_b32_e32 v4, v10
	v_lshlrev_b64 v[84:85], 1, v[4:5]
	v_add_u32_e32 v70, 0x400, v11
	v_mov_b32_e32 v71, v5
	v_add_co_u32_e64 v84, s[0:1], v7, v84
	v_lshlrev_b64 v[70:71], 1, v[70:71]
	v_addc_co_u32_e64 v85, s[0:1], v17, v85, s[0:1]
	v_add_u32_e32 v54, 0x400, v12
	v_mov_b32_e32 v55, v5
	v_add_co_u32_e64 v70, s[0:1], v7, v70
	v_lshlrev_b64 v[86:87], 1, v[54:55]
	v_addc_co_u32_e64 v71, s[0:1], v17, v71, s[0:1]
	v_add_u32_e32 v2, 0x400, v13
	v_mov_b32_e32 v3, v5
	v_add_co_u32_e64 v86, s[0:1], v7, v86
	v_add_u32_e32 v52, -4, v52
	v_mov_b32_e32 v4, v11
	v_lshlrev_b64 v[2:3], 1, v[2:3]
	v_addc_co_u32_e64 v87, s[0:1], v17, v87, s[0:1]
	v_add_u32_e32 v76, 0x800, v11
	v_mov_b32_e32 v77, v5
	s_add_i32 s14, s14, 16
	v_cmp_eq_u32_e32 vcc, 0, v52
	v_lshlrev_b64 v[88:89], 1, v[4:5]
	v_add_co_u32_e64 v2, s[0:1], v7, v2
	v_lshlrev_b64 v[76:77], 1, v[76:77]
	v_mov_b32_e32 v4, v12
	v_addc_co_u32_e64 v3, s[0:1], v17, v3, s[0:1]
	s_or_b64 s[12:13], vcc, s[12:13]
	v_add_co_u32_e32 v88, vcc, v7, v88
	v_add_u32_e32 v74, 0x800, v12
	v_mov_b32_e32 v75, v5
	v_add_co_u32_e64 v76, s[0:1], v7, v76
	v_addc_co_u32_e32 v89, vcc, v17, v89, vcc
	v_lshlrev_b64 v[90:91], 1, v[4:5]
	v_lshlrev_b64 v[74:75], 1, v[74:75]
	v_addc_co_u32_e64 v77, s[0:1], v17, v77, s[0:1]
	v_mov_b32_e32 v4, v13
	v_add_co_u32_e32 v90, vcc, v7, v90
	ds_read_u16 v1, v53
	ds_read_u16 v94, v53 offset:512
	ds_read_u16 v95, v53 offset:1024
	;; [unrolled: 1-line block ×7, first 2 shown]
	v_add_u32_e32 v72, 0x800, v13
	v_mov_b32_e32 v73, v5
	v_add_co_u32_e64 v74, s[0:1], v7, v74
	v_addc_co_u32_e32 v91, vcc, v17, v91, vcc
	v_lshlrev_b64 v[92:93], 1, v[4:5]
	v_lshlrev_b64 v[72:73], 1, v[72:73]
	v_addc_co_u32_e64 v75, s[0:1], v17, v75, s[0:1]
	v_add_u32_e32 v4, 0x400, v10
	v_add_co_u32_e32 v92, vcc, v7, v92
	v_add_u32_e32 v82, 0xc00, v11
	v_mov_b32_e32 v83, v5
	ds_read_u16 v101, v53 offset:4096
	ds_read_u16 v102, v53 offset:4608
	;; [unrolled: 1-line block ×8, first 2 shown]
	v_add_co_u32_e64 v72, s[0:1], v7, v72
	v_addc_co_u32_e32 v93, vcc, v17, v93, vcc
	s_waitcnt lgkmcnt(14)
	global_store_short v[84:85], v1, off
	global_store_short v[88:89], v94, off
	s_waitcnt lgkmcnt(13)
	global_store_short v[90:91], v95, off
	v_lshlrev_b64 v[84:85], 1, v[4:5]
	v_lshlrev_b64 v[82:83], 1, v[82:83]
	v_addc_co_u32_e64 v73, s[0:1], v17, v73, s[0:1]
	v_add_u32_e32 v4, 0x800, v10
	v_add_co_u32_e32 v84, vcc, v7, v84
	v_add_u32_e32 v80, 0xc00, v12
	v_mov_b32_e32 v81, v5
	v_add_co_u32_e64 v82, s[0:1], v7, v82
	v_addc_co_u32_e32 v85, vcc, v17, v85, vcc
	v_lshlrev_b64 v[88:89], 1, v[4:5]
	v_lshlrev_b64 v[80:81], 1, v[80:81]
	v_addc_co_u32_e64 v83, s[0:1], v17, v83, s[0:1]
	s_waitcnt lgkmcnt(12)
	global_store_short v[92:93], v96, off
	v_add_u32_e32 v4, 0xc00, v10
	s_waitcnt lgkmcnt(11)
	global_store_short v[84:85], v97, off
	s_waitcnt lgkmcnt(10)
	global_store_short v[70:71], v98, off
	;; [unrolled: 2-line block ×4, first 2 shown]
	v_add_co_u32_e32 v2, vcc, v7, v88
	v_add_u32_e32 v78, 0xc00, v13
	v_mov_b32_e32 v79, v5
	v_add_co_u32_e64 v80, s[0:1], v7, v80
	v_addc_co_u32_e32 v3, vcc, v17, v89, vcc
	v_lshlrev_b64 v[70:71], 1, v[4:5]
	v_lshlrev_b64 v[78:79], 1, v[78:79]
	v_addc_co_u32_e64 v81, s[0:1], v17, v81, s[0:1]
	s_waitcnt lgkmcnt(7)
	global_store_short v[2:3], v101, off
	s_waitcnt lgkmcnt(6)
	global_store_short v[76:77], v102, off
	;; [unrolled: 2-line block ×4, first 2 shown]
	v_add_co_u32_e32 v2, vcc, v7, v70
	v_add_u32_e32 v53, 0x2000, v53
	v_add_u32_e32 v11, 0x1000, v11
	v_mov_b32_e32 v54, s14
	v_add_co_u32_e64 v78, s[0:1], v7, v78
	v_add_u32_e32 v12, 0x1000, v12
	v_add_u32_e32 v13, 0x1000, v13
	;; [unrolled: 1-line block ×3, first 2 shown]
	v_addc_co_u32_e32 v3, vcc, v17, v71, vcc
	v_addc_co_u32_e64 v79, s[0:1], v17, v79, s[0:1]
	s_waitcnt lgkmcnt(3)
	global_store_short v[2:3], v105, off
	s_waitcnt lgkmcnt(2)
	global_store_short v[82:83], v106, off
	;; [unrolled: 2-line block ×4, first 2 shown]
	s_andn2_b64 exec, exec, s[12:13]
	s_cbranch_execnz .LBB927_114
; %bb.115:
	s_or_b64 exec, exec, s[12:13]
.LBB927_116:
	s_or_b64 exec, exec, s[10:11]
	v_and_b32_e32 v1, 3, v51
	v_cmp_ne_u32_e32 vcc, 0, v1
	s_and_saveexec_b64 s[10:11], vcc
	s_cbranch_execz .LBB927_119
; %bb.117:
	v_lshl_or_b32 v4, v54, 9, v50
	s_mov_b64 s[12:13], 0
	v_mov_b32_e32 v3, 0
.LBB927_118:                            ; =>This Inner Loop Header: Depth=1
	v_mov_b32_e32 v2, v10
	v_add_u32_e32 v1, -1, v1
	v_lshlrev_b64 v[50:51], 1, v[2:3]
	v_mov_b32_e32 v2, v11
	v_cmp_eq_u32_e32 vcc, 0, v1
	v_lshlrev_b64 v[52:53], 1, v[2:3]
	ds_read_u16 v5, v4
	ds_read_u16 v72, v4 offset:512
	ds_read_u16 v73, v4 offset:1024
	;; [unrolled: 1-line block ×3, first 2 shown]
	v_mov_b32_e32 v2, v12
	s_or_b64 s[12:13], vcc, s[12:13]
	v_add_co_u32_e32 v52, vcc, v7, v52
	v_addc_co_u32_e32 v53, vcc, v17, v53, vcc
	v_lshlrev_b64 v[54:55], 1, v[2:3]
	v_mov_b32_e32 v2, v13
	v_add_co_u32_e32 v54, vcc, v7, v54
	v_add_co_u32_e64 v50, s[0:1], v7, v50
	v_addc_co_u32_e32 v55, vcc, v17, v55, vcc
	v_lshlrev_b64 v[70:71], 1, v[2:3]
	v_add_u32_e32 v10, 0x400, v10
	v_add_u32_e32 v4, 0x800, v4
	v_add_u32_e32 v11, 0x400, v11
	v_addc_co_u32_e64 v51, s[0:1], v17, v51, s[0:1]
	v_add_u32_e32 v12, 0x400, v12
	v_add_u32_e32 v13, 0x400, v13
	v_add_co_u32_e32 v70, vcc, v7, v70
	v_addc_co_u32_e32 v71, vcc, v17, v71, vcc
	s_waitcnt lgkmcnt(3)
	global_store_short v[50:51], v5, off
	s_waitcnt lgkmcnt(2)
	global_store_short v[52:53], v72, off
	;; [unrolled: 2-line block ×4, first 2 shown]
	s_andn2_b64 exec, exec, s[12:13]
	s_cbranch_execnz .LBB927_118
.LBB927_119:
	s_or_b64 exec, exec, s[10:11]
	v_add_u32_e32 v1, 1, v14
	v_and_b32_e32 v3, 0x1fffffc, v1
	v_cmp_ne_u32_e32 vcc, v1, v3
	v_lshl_or_b32 v2, v3, 8, v0
	s_orn2_b64 s[0:1], vcc, exec
.LBB927_120:
	s_or_b64 exec, exec, s[8:9]
	s_andn2_b64 s[4:5], s[4:5], exec
	s_and_b64 s[0:1], s[0:1], exec
	s_or_b64 s[4:5], s[4:5], s[0:1]
.LBB927_121:
	s_or_b64 exec, exec, s[6:7]
	s_and_b64 exec, exec, s[4:5]
	s_cbranch_execz .LBB927_124
; %bb.122:
	v_lshlrev_b32_e32 v1, 1, v2
	s_mov_b64 s[0:1], 0
	v_mov_b32_e32 v3, 0
.LBB927_123:                            ; =>This Inner Loop Header: Depth=1
	v_lshlrev_b64 v[4:5], 1, v[2:3]
	ds_read_u16 v10, v1
	v_add_co_u32_e32 v4, vcc, v7, v4
	v_add_u32_e32 v2, 0x100, v2
	v_addc_co_u32_e32 v5, vcc, v17, v5, vcc
	v_cmp_ge_u32_e32 vcc, v2, v6
	v_add_u32_e32 v1, 0x200, v1
	s_or_b64 s[0:1], vcc, s[0:1]
	s_waitcnt lgkmcnt(0)
	global_store_short v[4:5], v10, off
	s_andn2_b64 exec, exec, s[0:1]
	s_cbranch_execnz .LBB927_123
.LBB927_124:
	s_or_b64 exec, exec, s[2:3]
.LBB927_125:
	s_cmpk_lg_i32 s33, 0xf00
	s_cselect_b64 s[0:1], -1, 0
	v_cndmask_b32_e64 v10, 0, 1, s[42:43]
	s_and_b64 s[0:1], s[40:41], s[0:1]
	v_cmp_eq_u32_e32 vcc, 0, v0
	v_sub_u32_e32 v1, v6, v10
	v_cndmask_b32_e64 v2, 0, 1, s[0:1]
	s_and_b64 s[0:1], vcc, s[42:43]
	v_add_u32_e32 v1, v1, v2
	v_cndmask_b32_e64 v2, v69, 0, s[0:1]
	s_mul_hi_u32 s0, s33, 0x88888889
	s_lshr_b32 s0, s0, 3
	v_mad_i32_i24 v3, v0, -15, s33
	v_cmp_eq_u32_e32 vcc, s0, v0
	v_cmp_ne_u32_e64 s[0:1], 0, v3
	v_cndmask_b32_e64 v4, 1, v2, s[0:1]
	v_cmp_ne_u32_e64 s[0:1], 1, v3
	v_cndmask_b32_e64 v5, 1, v68, s[0:1]
	;; [unrolled: 2-line block ×15, first 2 shown]
	s_and_b64 vcc, s[40:41], vcc
	v_cndmask_b32_e32 v15, v15, v3, vcc
	v_cndmask_b32_e32 v53, v58, v53, vcc
	;; [unrolled: 1-line block ×3, first 2 shown]
	v_lshlrev_b64 v[2:3], 3, v[48:49]
	v_cndmask_b32_e32 v55, v56, v55, vcc
	v_cndmask_b32_e32 v54, v57, v54, vcc
	;; [unrolled: 1-line block ×12, first 2 shown]
	v_mov_b32_e32 v4, s47
	v_add_co_u32_e32 v5, vcc, s46, v2
	v_addc_co_u32_e32 v7, vcc, v4, v3, vcc
	v_lshlrev_b64 v[2:3], 3, v[8:9]
	v_add_co_u32_e32 v4, vcc, v5, v2
	v_addc_co_u32_e32 v5, vcc, v7, v3, vcc
	v_lshlrev_b32_e32 v2, 3, v10
	v_add_co_u32_e32 v2, vcc, v2, v4
	v_addc_co_u32_e32 v3, vcc, 0, v5, vcc
	v_add_co_u32_e32 v7, vcc, -8, v2
	v_addc_co_u32_e32 v9, vcc, -1, v3, vcc
	v_cmp_eq_u32_e32 vcc, 0, v58
	v_cndmask_b32_e64 v3, 1, 2, vcc
	v_cmp_eq_u32_e32 vcc, 0, v57
	v_add_u32_e32 v2, v8, v10
	v_cndmask_b32_e64 v10, 1, 2, vcc
	v_cmp_eq_u32_e32 vcc, 0, v56
	v_and_b32_e32 v3, v10, v3
	v_cndmask_b32_e64 v10, 1, 2, vcc
	v_cmp_eq_u32_e32 vcc, 0, v11
	v_and_b32_e32 v3, v3, v10
	v_cndmask_b32_e64 v10, 1, 2, vcc
	v_cmp_eq_u32_e32 vcc, 0, v12
	v_and_b32_e32 v3, v3, v10
	v_cndmask_b32_e64 v10, 1, 2, vcc
	v_cmp_eq_u32_e32 vcc, 0, v13
	v_and_b32_e32 v3, v3, v10
	v_cndmask_b32_e64 v10, 1, 2, vcc
	v_cmp_eq_u32_e32 vcc, 0, v14
	v_and_b32_e32 v3, v3, v10
	v_cndmask_b32_e64 v10, 1, 2, vcc
	v_cmp_eq_u32_e32 vcc, 0, v17
	v_and_b32_e32 v3, v3, v10
	v_cndmask_b32_e64 v10, 1, 2, vcc
	v_cmp_eq_u32_e32 vcc, 0, v50
	v_and_b32_e32 v3, v3, v10
	v_cndmask_b32_e64 v10, 1, 2, vcc
	v_cmp_eq_u32_e32 vcc, 0, v51
	v_and_b32_e32 v3, v3, v10
	v_cndmask_b32_e64 v10, 1, 2, vcc
	v_cmp_eq_u32_e32 vcc, 0, v52
	v_and_b32_e32 v3, v3, v10
	v_cndmask_b32_e64 v10, 1, 2, vcc
	v_cmp_eq_u32_e32 vcc, 0, v53
	v_and_b32_e32 v3, v3, v10
	v_cndmask_b32_e64 v10, 1, 2, vcc
	v_cmp_eq_u32_e32 vcc, 0, v54
	v_and_b32_e32 v3, v3, v10
	v_cndmask_b32_e64 v10, 1, 2, vcc
	v_cmp_eq_u32_e32 vcc, 0, v55
	v_and_b32_e32 v3, v3, v10
	v_cndmask_b32_e64 v10, 1, 2, vcc
	v_cmp_eq_u32_e32 vcc, 0, v15
	v_and_b32_e32 v3, v3, v10
	v_cndmask_b32_e64 v10, 1, 2, vcc
	s_movk_i32 s30, 0x100
	v_and_b32_e32 v3, v3, v10
	v_cmp_gt_u32_e32 vcc, s30, v1
	v_cmp_ne_u32_e64 s[28:29], 0, v58
	v_cmp_ne_u32_e64 s[26:27], 0, v57
	;; [unrolled: 1-line block ×15, first 2 shown]
	s_mov_b64 s[36:37], -1
	v_cmp_gt_i16_e64 s[30:31], 2, v3
	s_barrier
	s_cbranch_vccz .LBB927_132
; %bb.126:
	s_and_saveexec_b64 s[36:37], s[30:31]
	s_cbranch_execz .LBB927_131
; %bb.127:
	v_cmp_ne_u16_e32 vcc, 1, v3
	s_mov_b64 s[38:39], 0
	s_and_saveexec_b64 s[30:31], vcc
	s_xor_b64 s[30:31], exec, s[30:31]
	s_cbranch_execnz .LBB927_181
; %bb.128:
	s_andn2_saveexec_b64 s[30:31], s[30:31]
	s_cbranch_execnz .LBB927_197
.LBB927_129:
	s_or_b64 exec, exec, s[30:31]
	s_and_b64 exec, exec, s[38:39]
	s_cbranch_execz .LBB927_131
.LBB927_130:
	v_mov_b32_e32 v11, 0
	v_sub_u32_e32 v12, v18, v2
	v_mov_b32_e32 v13, v11
	v_lshlrev_b64 v[12:13], 3, v[12:13]
	v_add_co_u32_e32 v12, vcc, v7, v12
	v_mov_b32_e32 v10, v19
	v_addc_co_u32_e32 v13, vcc, v9, v13, vcc
	global_store_dwordx2 v[12:13], v[10:11], off
.LBB927_131:
	s_or_b64 exec, exec, s[36:37]
	s_mov_b64 s[36:37], 0
.LBB927_132:
	s_and_b64 vcc, exec, s[36:37]
	s_cbranch_vccz .LBB927_142
; %bb.133:
	v_cmp_gt_i16_e32 vcc, 2, v3
	s_and_saveexec_b64 s[30:31], vcc
	s_cbranch_execz .LBB927_138
; %bb.134:
	v_cmp_ne_u16_e32 vcc, 1, v3
	s_mov_b64 s[38:39], 0
	s_and_saveexec_b64 s[36:37], vcc
	s_xor_b64 s[36:37], exec, s[36:37]
	s_cbranch_execnz .LBB927_198
; %bb.135:
	s_andn2_saveexec_b64 s[0:1], s[36:37]
	s_cbranch_execnz .LBB927_214
.LBB927_136:
	s_or_b64 exec, exec, s[0:1]
	s_and_b64 exec, exec, s[38:39]
	s_cbranch_execz .LBB927_138
.LBB927_137:
	v_sub_u32_e32 v2, v18, v2
	v_lshlrev_b32_e32 v2, 2, v2
	ds_write_b32 v2, v19
.LBB927_138:
	s_or_b64 exec, exec, s[30:31]
	v_cmp_lt_u32_e32 vcc, v0, v1
	s_waitcnt lgkmcnt(0)
	s_barrier
	s_and_saveexec_b64 s[0:1], vcc
	s_cbranch_execz .LBB927_141
; %bb.139:
	v_lshlrev_b32_e32 v10, 2, v0
	s_mov_b64 s[2:3], 0
	v_mov_b32_e32 v3, 0
	v_mov_b32_e32 v2, v0
.LBB927_140:                            ; =>This Inner Loop Header: Depth=1
	ds_read_b32 v12, v10
	v_lshlrev_b64 v[14:15], 3, v[2:3]
	v_add_co_u32_e32 v14, vcc, v7, v14
	v_add_u32_e32 v2, 0x100, v2
	v_addc_co_u32_e32 v15, vcc, v9, v15, vcc
	v_cmp_ge_u32_e32 vcc, v2, v1
	v_mov_b32_e32 v13, v3
	v_add_u32_e32 v10, 0x400, v10
	s_or_b64 s[2:3], vcc, s[2:3]
	s_waitcnt lgkmcnt(0)
	global_store_dwordx2 v[14:15], v[12:13], off
	s_andn2_b64 exec, exec, s[2:3]
	s_cbranch_execnz .LBB927_140
.LBB927_141:
	s_or_b64 exec, exec, s[0:1]
.LBB927_142:
	s_movk_i32 s0, 0xff
	v_cmp_eq_u32_e32 vcc, s0, v0
	s_and_b64 s[0:1], vcc, s[40:41]
	s_and_saveexec_b64 s[2:3], s[0:1]
	s_cbranch_execz .LBB927_145
; %bb.143:
	v_add_co_u32_e32 v0, vcc, v6, v8
	v_addc_co_u32_e64 v1, s[0:1], 0, 0, vcc
	v_add_co_u32_e32 v0, vcc, v0, v48
	v_mov_b32_e32 v7, 0
	v_addc_co_u32_e32 v1, vcc, v1, v49, vcc
	s_cmpk_lg_i32 s33, 0xf00
	global_store_dwordx2 v7, v[0:1], s[34:35]
	s_cbranch_scc1 .LBB927_145
; %bb.144:
	v_lshlrev_b64 v[0:1], 3, v[6:7]
	v_add_co_u32_e32 v0, vcc, v4, v0
	v_mov_b32_e32 v17, v7
	v_addc_co_u32_e32 v1, vcc, v5, v1, vcc
	global_store_dwordx2 v[0:1], v[16:17], off offset:-8
.LBB927_145:
	s_endpgm
.LBB927_146:
	s_or_b64 exec, exec, s[2:3]
	v_mov_b32_e32 v69, s7
	s_and_saveexec_b64 s[2:3], s[10:11]
	s_cbranch_execnz .LBB927_54
	s_branch .LBB927_55
.LBB927_147:
	s_and_saveexec_b64 s[38:39], s[28:29]
	s_cbranch_execnz .LBB927_215
; %bb.148:
	s_or_b64 exec, exec, s[38:39]
	s_and_saveexec_b64 s[38:39], s[26:27]
	s_cbranch_execnz .LBB927_216
.LBB927_149:
	s_or_b64 exec, exec, s[38:39]
	s_and_saveexec_b64 s[38:39], s[24:25]
	s_cbranch_execnz .LBB927_217
.LBB927_150:
	s_or_b64 exec, exec, s[38:39]
	s_and_saveexec_b64 s[38:39], s[22:23]
	s_cbranch_execnz .LBB927_218
.LBB927_151:
	s_or_b64 exec, exec, s[38:39]
	s_and_saveexec_b64 s[38:39], s[20:21]
	s_cbranch_execnz .LBB927_219
.LBB927_152:
	s_or_b64 exec, exec, s[38:39]
	s_and_saveexec_b64 s[38:39], s[18:19]
	s_cbranch_execnz .LBB927_220
.LBB927_153:
	s_or_b64 exec, exec, s[38:39]
	s_and_saveexec_b64 s[38:39], s[16:17]
	s_cbranch_execnz .LBB927_221
.LBB927_154:
	s_or_b64 exec, exec, s[38:39]
	s_and_saveexec_b64 s[38:39], s[14:15]
	s_cbranch_execnz .LBB927_222
.LBB927_155:
	s_or_b64 exec, exec, s[38:39]
	s_and_saveexec_b64 s[38:39], s[12:13]
	s_cbranch_execnz .LBB927_223
.LBB927_156:
	s_or_b64 exec, exec, s[38:39]
	s_and_saveexec_b64 s[38:39], s[10:11]
	s_cbranch_execnz .LBB927_224
.LBB927_157:
	s_or_b64 exec, exec, s[38:39]
	s_and_saveexec_b64 s[38:39], s[8:9]
	s_cbranch_execnz .LBB927_225
.LBB927_158:
	s_or_b64 exec, exec, s[38:39]
	s_and_saveexec_b64 s[38:39], s[6:7]
	s_cbranch_execnz .LBB927_226
.LBB927_159:
	s_or_b64 exec, exec, s[38:39]
	s_and_saveexec_b64 s[38:39], s[4:5]
	s_cbranch_execnz .LBB927_227
.LBB927_160:
	s_or_b64 exec, exec, s[38:39]
	s_and_saveexec_b64 s[38:39], s[2:3]
	s_cbranch_execz .LBB927_162
.LBB927_161:
	v_sub_u32_e32 v50, v20, v8
	v_mov_b32_e32 v51, 0
	v_lshlrev_b64 v[50:51], 1, v[50:51]
	v_add_co_u32_e32 v50, vcc, v7, v50
	v_addc_co_u32_e32 v51, vcc, v17, v51, vcc
	global_store_short v[50:51], v14, off
.LBB927_162:
	s_or_b64 exec, exec, s[38:39]
	s_and_b64 s[38:39], s[0:1], exec
	s_andn2_saveexec_b64 s[30:31], s[30:31]
	s_cbranch_execz .LBB927_100
.LBB927_163:
	v_sub_u32_e32 v50, v46, v8
	v_mov_b32_e32 v51, 0
	v_lshlrev_b64 v[52:53], 1, v[50:51]
	v_add_co_u32_e32 v52, vcc, v7, v52
	v_addc_co_u32_e32 v53, vcc, v17, v53, vcc
	v_sub_u32_e32 v50, v44, v8
	global_store_short v[52:53], v1, off
	v_lshlrev_b64 v[52:53], 1, v[50:51]
	v_add_co_u32_e32 v52, vcc, v7, v52
	v_addc_co_u32_e32 v53, vcc, v17, v53, vcc
	v_sub_u32_e32 v50, v42, v8
	global_store_short v[52:53], v2, off
	v_lshlrev_b64 v[52:53], 1, v[50:51]
	v_add_co_u32_e32 v52, vcc, v7, v52
	v_addc_co_u32_e32 v53, vcc, v17, v53, vcc
	v_sub_u32_e32 v50, v40, v8
	global_store_short_d16_hi v[52:53], v2, off
	v_lshlrev_b64 v[52:53], 1, v[50:51]
	v_add_co_u32_e32 v52, vcc, v7, v52
	v_addc_co_u32_e32 v53, vcc, v17, v53, vcc
	v_sub_u32_e32 v50, v38, v8
	global_store_short v[52:53], v3, off
	v_lshlrev_b64 v[52:53], 1, v[50:51]
	v_add_co_u32_e32 v52, vcc, v7, v52
	v_addc_co_u32_e32 v53, vcc, v17, v53, vcc
	v_sub_u32_e32 v50, v36, v8
	global_store_short_d16_hi v[52:53], v3, off
	;; [unrolled: 10-line block ×5, first 2 shown]
	v_lshlrev_b64 v[52:53], 1, v[50:51]
	v_add_co_u32_e32 v52, vcc, v7, v52
	v_addc_co_u32_e32 v53, vcc, v17, v53, vcc
	v_sub_u32_e32 v50, v22, v8
	global_store_short v[52:53], v13, off
	v_lshlrev_b64 v[52:53], 1, v[50:51]
	v_add_co_u32_e32 v52, vcc, v7, v52
	v_sub_u32_e32 v50, v20, v8
	v_addc_co_u32_e32 v53, vcc, v17, v53, vcc
	v_lshlrev_b64 v[50:51], 1, v[50:51]
	v_add_co_u32_e32 v50, vcc, v7, v50
	v_addc_co_u32_e32 v51, vcc, v17, v51, vcc
	s_or_b64 s[38:39], s[38:39], exec
	global_store_short_d16_hi v[52:53], v13, off
	global_store_short v[50:51], v14, off
	s_or_b64 exec, exec, s[30:31]
	s_and_b64 exec, exec, s[38:39]
	s_cbranch_execnz .LBB927_101
	s_branch .LBB927_102
.LBB927_164:
	s_and_saveexec_b64 s[38:39], s[28:29]
	s_cbranch_execnz .LBB927_228
; %bb.165:
	s_or_b64 exec, exec, s[38:39]
	s_and_saveexec_b64 s[28:29], s[26:27]
	s_cbranch_execnz .LBB927_229
.LBB927_166:
	s_or_b64 exec, exec, s[28:29]
	s_and_saveexec_b64 s[26:27], s[24:25]
	s_cbranch_execnz .LBB927_230
.LBB927_167:
	s_or_b64 exec, exec, s[26:27]
	s_and_saveexec_b64 s[24:25], s[22:23]
	s_cbranch_execnz .LBB927_231
.LBB927_168:
	s_or_b64 exec, exec, s[24:25]
	s_and_saveexec_b64 s[22:23], s[20:21]
	s_cbranch_execnz .LBB927_232
.LBB927_169:
	s_or_b64 exec, exec, s[22:23]
	s_and_saveexec_b64 s[20:21], s[18:19]
	s_cbranch_execnz .LBB927_233
.LBB927_170:
	s_or_b64 exec, exec, s[20:21]
	s_and_saveexec_b64 s[18:19], s[16:17]
	s_cbranch_execnz .LBB927_234
.LBB927_171:
	s_or_b64 exec, exec, s[18:19]
	s_and_saveexec_b64 s[16:17], s[14:15]
	s_cbranch_execnz .LBB927_235
.LBB927_172:
	s_or_b64 exec, exec, s[16:17]
	s_and_saveexec_b64 s[14:15], s[12:13]
	s_cbranch_execnz .LBB927_236
.LBB927_173:
	s_or_b64 exec, exec, s[14:15]
	s_and_saveexec_b64 s[12:13], s[10:11]
	s_cbranch_execnz .LBB927_237
.LBB927_174:
	s_or_b64 exec, exec, s[12:13]
	s_and_saveexec_b64 s[10:11], s[8:9]
	s_cbranch_execnz .LBB927_238
.LBB927_175:
	s_or_b64 exec, exec, s[10:11]
	s_and_saveexec_b64 s[8:9], s[6:7]
	s_cbranch_execnz .LBB927_239
.LBB927_176:
	s_or_b64 exec, exec, s[8:9]
	s_and_saveexec_b64 s[6:7], s[4:5]
	s_cbranch_execnz .LBB927_240
.LBB927_177:
	s_or_b64 exec, exec, s[6:7]
	s_and_saveexec_b64 s[4:5], s[2:3]
	s_cbranch_execz .LBB927_179
.LBB927_178:
	v_sub_u32_e32 v1, v20, v8
	v_lshlrev_b32_e32 v1, 1, v1
	ds_write_b16 v1, v14
.LBB927_179:
	s_or_b64 exec, exec, s[4:5]
	s_and_b64 s[38:39], s[0:1], exec
                                        ; implicit-def: $vgpr1
                                        ; implicit-def: $vgpr2
	s_andn2_saveexec_b64 s[0:1], s[36:37]
	s_cbranch_execz .LBB927_107
.LBB927_180:
	v_sub_u32_e32 v10, v46, v8
	v_lshlrev_b32_e32 v10, 1, v10
	ds_write_b16 v10, v1
	v_sub_u32_e32 v1, v44, v8
	v_lshlrev_b32_e32 v1, 1, v1
	ds_write_b16 v1, v2
	v_sub_u32_e32 v1, v42, v8
	v_lshlrev_b32_e32 v1, 1, v1
	ds_write_b16_d16_hi v1, v2
	v_sub_u32_e32 v1, v40, v8
	v_lshlrev_b32_e32 v1, 1, v1
	ds_write_b16 v1, v3
	v_sub_u32_e32 v1, v38, v8
	v_lshlrev_b32_e32 v1, 1, v1
	ds_write_b16_d16_hi v1, v3
	;; [unrolled: 6-line block ×6, first 2 shown]
	v_sub_u32_e32 v1, v20, v8
	v_lshlrev_b32_e32 v1, 1, v1
	s_or_b64 s[38:39], s[38:39], exec
	ds_write_b16 v1, v14
	s_or_b64 exec, exec, s[0:1]
	s_and_b64 exec, exec, s[38:39]
	s_cbranch_execnz .LBB927_108
	s_branch .LBB927_109
.LBB927_181:
	s_and_saveexec_b64 s[38:39], s[28:29]
	s_cbranch_execnz .LBB927_241
; %bb.182:
	s_or_b64 exec, exec, s[38:39]
	s_and_saveexec_b64 s[38:39], s[26:27]
	s_cbranch_execnz .LBB927_242
.LBB927_183:
	s_or_b64 exec, exec, s[38:39]
	s_and_saveexec_b64 s[38:39], s[24:25]
	s_cbranch_execnz .LBB927_243
.LBB927_184:
	s_or_b64 exec, exec, s[38:39]
	s_and_saveexec_b64 s[38:39], s[22:23]
	s_cbranch_execnz .LBB927_244
.LBB927_185:
	s_or_b64 exec, exec, s[38:39]
	s_and_saveexec_b64 s[38:39], s[20:21]
	s_cbranch_execnz .LBB927_245
.LBB927_186:
	s_or_b64 exec, exec, s[38:39]
	s_and_saveexec_b64 s[38:39], s[18:19]
	s_cbranch_execnz .LBB927_246
.LBB927_187:
	s_or_b64 exec, exec, s[38:39]
	s_and_saveexec_b64 s[38:39], s[16:17]
	s_cbranch_execnz .LBB927_247
.LBB927_188:
	s_or_b64 exec, exec, s[38:39]
	s_and_saveexec_b64 s[38:39], s[14:15]
	s_cbranch_execnz .LBB927_248
.LBB927_189:
	s_or_b64 exec, exec, s[38:39]
	s_and_saveexec_b64 s[38:39], s[12:13]
	s_cbranch_execnz .LBB927_249
.LBB927_190:
	s_or_b64 exec, exec, s[38:39]
	s_and_saveexec_b64 s[38:39], s[10:11]
	s_cbranch_execnz .LBB927_250
.LBB927_191:
	s_or_b64 exec, exec, s[38:39]
	s_and_saveexec_b64 s[38:39], s[8:9]
	s_cbranch_execnz .LBB927_251
.LBB927_192:
	s_or_b64 exec, exec, s[38:39]
	s_and_saveexec_b64 s[38:39], s[6:7]
	s_cbranch_execnz .LBB927_252
.LBB927_193:
	s_or_b64 exec, exec, s[38:39]
	s_and_saveexec_b64 s[38:39], s[4:5]
	s_cbranch_execnz .LBB927_253
.LBB927_194:
	s_or_b64 exec, exec, s[38:39]
	s_and_saveexec_b64 s[38:39], s[2:3]
	s_cbranch_execz .LBB927_196
.LBB927_195:
	v_sub_u32_e32 v10, v20, v2
	v_mov_b32_e32 v11, 0
	v_lshlrev_b64 v[12:13], 3, v[10:11]
	v_add_co_u32_e32 v12, vcc, v7, v12
	v_addc_co_u32_e32 v13, vcc, v9, v13, vcc
	v_mov_b32_e32 v10, v21
	global_store_dwordx2 v[12:13], v[10:11], off
.LBB927_196:
	s_or_b64 exec, exec, s[38:39]
	s_and_b64 s[38:39], s[0:1], exec
	s_andn2_saveexec_b64 s[30:31], s[30:31]
	s_cbranch_execz .LBB927_129
.LBB927_197:
	v_mov_b32_e32 v11, 0
	v_sub_u32_e32 v12, v46, v2
	v_mov_b32_e32 v13, v11
	v_lshlrev_b64 v[12:13], 3, v[12:13]
	v_add_co_u32_e32 v12, vcc, v7, v12
	v_mov_b32_e32 v10, v47
	v_addc_co_u32_e32 v13, vcc, v9, v13, vcc
	global_store_dwordx2 v[12:13], v[10:11], off
	v_sub_u32_e32 v12, v44, v2
	v_mov_b32_e32 v13, v11
	v_lshlrev_b64 v[12:13], 3, v[12:13]
	v_add_co_u32_e32 v12, vcc, v7, v12
	v_mov_b32_e32 v10, v45
	v_addc_co_u32_e32 v13, vcc, v9, v13, vcc
	global_store_dwordx2 v[12:13], v[10:11], off
	;; [unrolled: 7-line block ×13, first 2 shown]
	v_sub_u32_e32 v12, v20, v2
	v_mov_b32_e32 v13, v11
	v_lshlrev_b64 v[12:13], 3, v[12:13]
	v_add_co_u32_e32 v12, vcc, v7, v12
	v_mov_b32_e32 v10, v21
	v_addc_co_u32_e32 v13, vcc, v9, v13, vcc
	s_or_b64 s[38:39], s[38:39], exec
	global_store_dwordx2 v[12:13], v[10:11], off
	s_or_b64 exec, exec, s[30:31]
	s_and_b64 exec, exec, s[38:39]
	s_cbranch_execnz .LBB927_130
	s_branch .LBB927_131
.LBB927_198:
	s_and_saveexec_b64 s[38:39], s[28:29]
	s_cbranch_execnz .LBB927_254
; %bb.199:
	s_or_b64 exec, exec, s[38:39]
	s_and_saveexec_b64 s[28:29], s[26:27]
	s_cbranch_execnz .LBB927_255
.LBB927_200:
	s_or_b64 exec, exec, s[28:29]
	s_and_saveexec_b64 s[26:27], s[24:25]
	s_cbranch_execnz .LBB927_256
.LBB927_201:
	s_or_b64 exec, exec, s[26:27]
	s_and_saveexec_b64 s[24:25], s[22:23]
	s_cbranch_execnz .LBB927_257
.LBB927_202:
	s_or_b64 exec, exec, s[24:25]
	s_and_saveexec_b64 s[22:23], s[20:21]
	s_cbranch_execnz .LBB927_258
.LBB927_203:
	s_or_b64 exec, exec, s[22:23]
	s_and_saveexec_b64 s[20:21], s[18:19]
	s_cbranch_execnz .LBB927_259
.LBB927_204:
	s_or_b64 exec, exec, s[20:21]
	s_and_saveexec_b64 s[18:19], s[16:17]
	s_cbranch_execnz .LBB927_260
.LBB927_205:
	s_or_b64 exec, exec, s[18:19]
	s_and_saveexec_b64 s[16:17], s[14:15]
	s_cbranch_execnz .LBB927_261
.LBB927_206:
	s_or_b64 exec, exec, s[16:17]
	s_and_saveexec_b64 s[14:15], s[12:13]
	s_cbranch_execnz .LBB927_262
.LBB927_207:
	s_or_b64 exec, exec, s[14:15]
	s_and_saveexec_b64 s[12:13], s[10:11]
	s_cbranch_execnz .LBB927_263
.LBB927_208:
	s_or_b64 exec, exec, s[12:13]
	s_and_saveexec_b64 s[10:11], s[8:9]
	s_cbranch_execnz .LBB927_264
.LBB927_209:
	s_or_b64 exec, exec, s[10:11]
	s_and_saveexec_b64 s[8:9], s[6:7]
	s_cbranch_execnz .LBB927_265
.LBB927_210:
	s_or_b64 exec, exec, s[8:9]
	s_and_saveexec_b64 s[6:7], s[4:5]
	s_cbranch_execnz .LBB927_266
.LBB927_211:
	s_or_b64 exec, exec, s[6:7]
	s_and_saveexec_b64 s[4:5], s[2:3]
	s_cbranch_execz .LBB927_213
.LBB927_212:
	v_sub_u32_e32 v3, v20, v2
	v_lshlrev_b32_e32 v3, 2, v3
	ds_write_b32 v3, v21
.LBB927_213:
	s_or_b64 exec, exec, s[4:5]
	s_and_b64 s[38:39], s[0:1], exec
                                        ; implicit-def: $vgpr46_vgpr47
                                        ; implicit-def: $vgpr44_vgpr45
                                        ; implicit-def: $vgpr42_vgpr43
                                        ; implicit-def: $vgpr40_vgpr41
                                        ; implicit-def: $vgpr38_vgpr39
                                        ; implicit-def: $vgpr36_vgpr37
                                        ; implicit-def: $vgpr34_vgpr35
                                        ; implicit-def: $vgpr32_vgpr33
                                        ; implicit-def: $vgpr30_vgpr31
                                        ; implicit-def: $vgpr28_vgpr29
                                        ; implicit-def: $vgpr26_vgpr27
                                        ; implicit-def: $vgpr24_vgpr25
                                        ; implicit-def: $vgpr22_vgpr23
                                        ; implicit-def: $vgpr20_vgpr21
	s_andn2_saveexec_b64 s[0:1], s[36:37]
	s_cbranch_execz .LBB927_136
.LBB927_214:
	v_sub_u32_e32 v3, v46, v2
	v_lshlrev_b32_e32 v3, 2, v3
	ds_write_b32 v3, v47
	v_sub_u32_e32 v3, v44, v2
	v_lshlrev_b32_e32 v3, 2, v3
	ds_write_b32 v3, v45
	;; [unrolled: 3-line block ×13, first 2 shown]
	v_sub_u32_e32 v3, v20, v2
	v_lshlrev_b32_e32 v3, 2, v3
	s_or_b64 s[38:39], s[38:39], exec
	ds_write_b32 v3, v21
	s_or_b64 exec, exec, s[0:1]
	s_and_b64 exec, exec, s[38:39]
	s_cbranch_execnz .LBB927_137
	s_branch .LBB927_138
.LBB927_215:
	v_sub_u32_e32 v50, v46, v8
	v_mov_b32_e32 v51, 0
	v_lshlrev_b64 v[50:51], 1, v[50:51]
	v_add_co_u32_e32 v50, vcc, v7, v50
	v_addc_co_u32_e32 v51, vcc, v17, v51, vcc
	global_store_short v[50:51], v1, off
	s_or_b64 exec, exec, s[38:39]
	s_and_saveexec_b64 s[38:39], s[26:27]
	s_cbranch_execz .LBB927_149
.LBB927_216:
	v_sub_u32_e32 v50, v44, v8
	v_mov_b32_e32 v51, 0
	v_lshlrev_b64 v[50:51], 1, v[50:51]
	v_add_co_u32_e32 v50, vcc, v7, v50
	v_addc_co_u32_e32 v51, vcc, v17, v51, vcc
	global_store_short v[50:51], v2, off
	s_or_b64 exec, exec, s[38:39]
	s_and_saveexec_b64 s[38:39], s[24:25]
	s_cbranch_execz .LBB927_150
.LBB927_217:
	v_sub_u32_e32 v50, v42, v8
	v_mov_b32_e32 v51, 0
	v_lshlrev_b64 v[50:51], 1, v[50:51]
	v_add_co_u32_e32 v50, vcc, v7, v50
	v_addc_co_u32_e32 v51, vcc, v17, v51, vcc
	global_store_short_d16_hi v[50:51], v2, off
	s_or_b64 exec, exec, s[38:39]
	s_and_saveexec_b64 s[38:39], s[22:23]
	s_cbranch_execz .LBB927_151
.LBB927_218:
	v_sub_u32_e32 v50, v40, v8
	v_mov_b32_e32 v51, 0
	v_lshlrev_b64 v[50:51], 1, v[50:51]
	v_add_co_u32_e32 v50, vcc, v7, v50
	v_addc_co_u32_e32 v51, vcc, v17, v51, vcc
	global_store_short v[50:51], v3, off
	s_or_b64 exec, exec, s[38:39]
	s_and_saveexec_b64 s[38:39], s[20:21]
	s_cbranch_execz .LBB927_152
.LBB927_219:
	v_sub_u32_e32 v50, v38, v8
	v_mov_b32_e32 v51, 0
	v_lshlrev_b64 v[50:51], 1, v[50:51]
	v_add_co_u32_e32 v50, vcc, v7, v50
	v_addc_co_u32_e32 v51, vcc, v17, v51, vcc
	global_store_short_d16_hi v[50:51], v3, off
	s_or_b64 exec, exec, s[38:39]
	s_and_saveexec_b64 s[38:39], s[18:19]
	s_cbranch_execz .LBB927_153
.LBB927_220:
	v_sub_u32_e32 v50, v36, v8
	v_mov_b32_e32 v51, 0
	v_lshlrev_b64 v[50:51], 1, v[50:51]
	v_add_co_u32_e32 v50, vcc, v7, v50
	v_addc_co_u32_e32 v51, vcc, v17, v51, vcc
	global_store_short v[50:51], v4, off
	s_or_b64 exec, exec, s[38:39]
	s_and_saveexec_b64 s[38:39], s[16:17]
	s_cbranch_execz .LBB927_154
.LBB927_221:
	v_sub_u32_e32 v50, v34, v8
	v_mov_b32_e32 v51, 0
	v_lshlrev_b64 v[50:51], 1, v[50:51]
	v_add_co_u32_e32 v50, vcc, v7, v50
	v_addc_co_u32_e32 v51, vcc, v17, v51, vcc
	global_store_short_d16_hi v[50:51], v4, off
	s_or_b64 exec, exec, s[38:39]
	s_and_saveexec_b64 s[38:39], s[14:15]
	s_cbranch_execz .LBB927_155
.LBB927_222:
	v_sub_u32_e32 v50, v32, v8
	v_mov_b32_e32 v51, 0
	v_lshlrev_b64 v[50:51], 1, v[50:51]
	v_add_co_u32_e32 v50, vcc, v7, v50
	v_addc_co_u32_e32 v51, vcc, v17, v51, vcc
	global_store_short v[50:51], v5, off
	s_or_b64 exec, exec, s[38:39]
	s_and_saveexec_b64 s[38:39], s[12:13]
	s_cbranch_execz .LBB927_156
.LBB927_223:
	v_sub_u32_e32 v50, v30, v8
	v_mov_b32_e32 v51, 0
	v_lshlrev_b64 v[50:51], 1, v[50:51]
	v_add_co_u32_e32 v50, vcc, v7, v50
	v_addc_co_u32_e32 v51, vcc, v17, v51, vcc
	global_store_short_d16_hi v[50:51], v5, off
	s_or_b64 exec, exec, s[38:39]
	s_and_saveexec_b64 s[38:39], s[10:11]
	s_cbranch_execz .LBB927_157
.LBB927_224:
	v_sub_u32_e32 v50, v28, v8
	v_mov_b32_e32 v51, 0
	v_lshlrev_b64 v[50:51], 1, v[50:51]
	v_add_co_u32_e32 v50, vcc, v7, v50
	v_addc_co_u32_e32 v51, vcc, v17, v51, vcc
	global_store_short v[50:51], v12, off
	s_or_b64 exec, exec, s[38:39]
	s_and_saveexec_b64 s[38:39], s[8:9]
	s_cbranch_execz .LBB927_158
.LBB927_225:
	v_sub_u32_e32 v50, v26, v8
	v_mov_b32_e32 v51, 0
	v_lshlrev_b64 v[50:51], 1, v[50:51]
	v_add_co_u32_e32 v50, vcc, v7, v50
	v_addc_co_u32_e32 v51, vcc, v17, v51, vcc
	global_store_short_d16_hi v[50:51], v12, off
	s_or_b64 exec, exec, s[38:39]
	s_and_saveexec_b64 s[38:39], s[6:7]
	s_cbranch_execz .LBB927_159
.LBB927_226:
	v_sub_u32_e32 v50, v24, v8
	v_mov_b32_e32 v51, 0
	v_lshlrev_b64 v[50:51], 1, v[50:51]
	v_add_co_u32_e32 v50, vcc, v7, v50
	v_addc_co_u32_e32 v51, vcc, v17, v51, vcc
	global_store_short v[50:51], v13, off
	s_or_b64 exec, exec, s[38:39]
	s_and_saveexec_b64 s[38:39], s[4:5]
	s_cbranch_execz .LBB927_160
.LBB927_227:
	v_sub_u32_e32 v50, v22, v8
	v_mov_b32_e32 v51, 0
	v_lshlrev_b64 v[50:51], 1, v[50:51]
	v_add_co_u32_e32 v50, vcc, v7, v50
	v_addc_co_u32_e32 v51, vcc, v17, v51, vcc
	global_store_short_d16_hi v[50:51], v13, off
	s_or_b64 exec, exec, s[38:39]
	s_and_saveexec_b64 s[38:39], s[2:3]
	s_cbranch_execnz .LBB927_161
	s_branch .LBB927_162
.LBB927_228:
	v_sub_u32_e32 v10, v46, v8
	v_lshlrev_b32_e32 v10, 1, v10
	ds_write_b16 v10, v1
	s_or_b64 exec, exec, s[38:39]
	s_and_saveexec_b64 s[28:29], s[26:27]
	s_cbranch_execz .LBB927_166
.LBB927_229:
	v_sub_u32_e32 v1, v44, v8
	v_lshlrev_b32_e32 v1, 1, v1
	ds_write_b16 v1, v2
	s_or_b64 exec, exec, s[28:29]
	s_and_saveexec_b64 s[26:27], s[24:25]
	s_cbranch_execz .LBB927_167
.LBB927_230:
	v_sub_u32_e32 v1, v42, v8
	v_lshlrev_b32_e32 v1, 1, v1
	ds_write_b16_d16_hi v1, v2
	s_or_b64 exec, exec, s[26:27]
	s_and_saveexec_b64 s[24:25], s[22:23]
	s_cbranch_execz .LBB927_168
.LBB927_231:
	v_sub_u32_e32 v1, v40, v8
	v_lshlrev_b32_e32 v1, 1, v1
	ds_write_b16 v1, v3
	s_or_b64 exec, exec, s[24:25]
	s_and_saveexec_b64 s[22:23], s[20:21]
	s_cbranch_execz .LBB927_169
.LBB927_232:
	v_sub_u32_e32 v1, v38, v8
	v_lshlrev_b32_e32 v1, 1, v1
	ds_write_b16_d16_hi v1, v3
	s_or_b64 exec, exec, s[22:23]
	s_and_saveexec_b64 s[20:21], s[18:19]
	s_cbranch_execz .LBB927_170
.LBB927_233:
	v_sub_u32_e32 v1, v36, v8
	v_lshlrev_b32_e32 v1, 1, v1
	ds_write_b16 v1, v4
	s_or_b64 exec, exec, s[20:21]
	s_and_saveexec_b64 s[18:19], s[16:17]
	s_cbranch_execz .LBB927_171
.LBB927_234:
	v_sub_u32_e32 v1, v34, v8
	v_lshlrev_b32_e32 v1, 1, v1
	ds_write_b16_d16_hi v1, v4
	s_or_b64 exec, exec, s[18:19]
	s_and_saveexec_b64 s[16:17], s[14:15]
	s_cbranch_execz .LBB927_172
.LBB927_235:
	v_sub_u32_e32 v1, v32, v8
	v_lshlrev_b32_e32 v1, 1, v1
	ds_write_b16 v1, v5
	s_or_b64 exec, exec, s[16:17]
	s_and_saveexec_b64 s[14:15], s[12:13]
	s_cbranch_execz .LBB927_173
.LBB927_236:
	v_sub_u32_e32 v1, v30, v8
	v_lshlrev_b32_e32 v1, 1, v1
	ds_write_b16_d16_hi v1, v5
	s_or_b64 exec, exec, s[14:15]
	s_and_saveexec_b64 s[12:13], s[10:11]
	s_cbranch_execz .LBB927_174
.LBB927_237:
	v_sub_u32_e32 v1, v28, v8
	v_lshlrev_b32_e32 v1, 1, v1
	ds_write_b16 v1, v12
	s_or_b64 exec, exec, s[12:13]
	s_and_saveexec_b64 s[10:11], s[8:9]
	s_cbranch_execz .LBB927_175
.LBB927_238:
	v_sub_u32_e32 v1, v26, v8
	v_lshlrev_b32_e32 v1, 1, v1
	ds_write_b16_d16_hi v1, v12
	s_or_b64 exec, exec, s[10:11]
	s_and_saveexec_b64 s[8:9], s[6:7]
	s_cbranch_execz .LBB927_176
.LBB927_239:
	v_sub_u32_e32 v1, v24, v8
	v_lshlrev_b32_e32 v1, 1, v1
	ds_write_b16 v1, v13
	s_or_b64 exec, exec, s[8:9]
	s_and_saveexec_b64 s[6:7], s[4:5]
	s_cbranch_execz .LBB927_177
.LBB927_240:
	v_sub_u32_e32 v1, v22, v8
	v_lshlrev_b32_e32 v1, 1, v1
	ds_write_b16_d16_hi v1, v13
	s_or_b64 exec, exec, s[6:7]
	s_and_saveexec_b64 s[4:5], s[2:3]
	s_cbranch_execnz .LBB927_178
	s_branch .LBB927_179
.LBB927_241:
	v_sub_u32_e32 v10, v46, v2
	v_mov_b32_e32 v11, 0
	v_lshlrev_b64 v[12:13], 3, v[10:11]
	v_add_co_u32_e32 v12, vcc, v7, v12
	v_addc_co_u32_e32 v13, vcc, v9, v13, vcc
	v_mov_b32_e32 v10, v47
	global_store_dwordx2 v[12:13], v[10:11], off
	s_or_b64 exec, exec, s[38:39]
	s_and_saveexec_b64 s[38:39], s[26:27]
	s_cbranch_execz .LBB927_183
.LBB927_242:
	v_sub_u32_e32 v10, v44, v2
	v_mov_b32_e32 v11, 0
	v_lshlrev_b64 v[12:13], 3, v[10:11]
	v_add_co_u32_e32 v12, vcc, v7, v12
	v_addc_co_u32_e32 v13, vcc, v9, v13, vcc
	v_mov_b32_e32 v10, v45
	global_store_dwordx2 v[12:13], v[10:11], off
	s_or_b64 exec, exec, s[38:39]
	s_and_saveexec_b64 s[38:39], s[24:25]
	s_cbranch_execz .LBB927_184
.LBB927_243:
	v_sub_u32_e32 v10, v42, v2
	v_mov_b32_e32 v11, 0
	v_lshlrev_b64 v[12:13], 3, v[10:11]
	v_add_co_u32_e32 v12, vcc, v7, v12
	v_addc_co_u32_e32 v13, vcc, v9, v13, vcc
	v_mov_b32_e32 v10, v43
	global_store_dwordx2 v[12:13], v[10:11], off
	s_or_b64 exec, exec, s[38:39]
	s_and_saveexec_b64 s[38:39], s[22:23]
	s_cbranch_execz .LBB927_185
.LBB927_244:
	v_sub_u32_e32 v10, v40, v2
	v_mov_b32_e32 v11, 0
	v_lshlrev_b64 v[12:13], 3, v[10:11]
	v_add_co_u32_e32 v12, vcc, v7, v12
	v_addc_co_u32_e32 v13, vcc, v9, v13, vcc
	v_mov_b32_e32 v10, v41
	global_store_dwordx2 v[12:13], v[10:11], off
	s_or_b64 exec, exec, s[38:39]
	s_and_saveexec_b64 s[38:39], s[20:21]
	s_cbranch_execz .LBB927_186
.LBB927_245:
	v_sub_u32_e32 v10, v38, v2
	v_mov_b32_e32 v11, 0
	v_lshlrev_b64 v[12:13], 3, v[10:11]
	v_add_co_u32_e32 v12, vcc, v7, v12
	v_addc_co_u32_e32 v13, vcc, v9, v13, vcc
	v_mov_b32_e32 v10, v39
	global_store_dwordx2 v[12:13], v[10:11], off
	s_or_b64 exec, exec, s[38:39]
	s_and_saveexec_b64 s[38:39], s[18:19]
	s_cbranch_execz .LBB927_187
.LBB927_246:
	v_sub_u32_e32 v10, v36, v2
	v_mov_b32_e32 v11, 0
	v_lshlrev_b64 v[12:13], 3, v[10:11]
	v_add_co_u32_e32 v12, vcc, v7, v12
	v_addc_co_u32_e32 v13, vcc, v9, v13, vcc
	v_mov_b32_e32 v10, v37
	global_store_dwordx2 v[12:13], v[10:11], off
	s_or_b64 exec, exec, s[38:39]
	s_and_saveexec_b64 s[38:39], s[16:17]
	s_cbranch_execz .LBB927_188
.LBB927_247:
	v_sub_u32_e32 v10, v34, v2
	v_mov_b32_e32 v11, 0
	v_lshlrev_b64 v[12:13], 3, v[10:11]
	v_add_co_u32_e32 v12, vcc, v7, v12
	v_addc_co_u32_e32 v13, vcc, v9, v13, vcc
	v_mov_b32_e32 v10, v35
	global_store_dwordx2 v[12:13], v[10:11], off
	s_or_b64 exec, exec, s[38:39]
	s_and_saveexec_b64 s[38:39], s[14:15]
	s_cbranch_execz .LBB927_189
.LBB927_248:
	v_sub_u32_e32 v10, v32, v2
	v_mov_b32_e32 v11, 0
	v_lshlrev_b64 v[12:13], 3, v[10:11]
	v_add_co_u32_e32 v12, vcc, v7, v12
	v_addc_co_u32_e32 v13, vcc, v9, v13, vcc
	v_mov_b32_e32 v10, v33
	global_store_dwordx2 v[12:13], v[10:11], off
	s_or_b64 exec, exec, s[38:39]
	s_and_saveexec_b64 s[38:39], s[12:13]
	s_cbranch_execz .LBB927_190
.LBB927_249:
	v_sub_u32_e32 v10, v30, v2
	v_mov_b32_e32 v11, 0
	v_lshlrev_b64 v[12:13], 3, v[10:11]
	v_add_co_u32_e32 v12, vcc, v7, v12
	v_addc_co_u32_e32 v13, vcc, v9, v13, vcc
	v_mov_b32_e32 v10, v31
	global_store_dwordx2 v[12:13], v[10:11], off
	s_or_b64 exec, exec, s[38:39]
	s_and_saveexec_b64 s[38:39], s[10:11]
	s_cbranch_execz .LBB927_191
.LBB927_250:
	v_sub_u32_e32 v10, v28, v2
	v_mov_b32_e32 v11, 0
	v_lshlrev_b64 v[12:13], 3, v[10:11]
	v_add_co_u32_e32 v12, vcc, v7, v12
	v_addc_co_u32_e32 v13, vcc, v9, v13, vcc
	v_mov_b32_e32 v10, v29
	global_store_dwordx2 v[12:13], v[10:11], off
	s_or_b64 exec, exec, s[38:39]
	s_and_saveexec_b64 s[38:39], s[8:9]
	s_cbranch_execz .LBB927_192
.LBB927_251:
	v_sub_u32_e32 v10, v26, v2
	v_mov_b32_e32 v11, 0
	v_lshlrev_b64 v[12:13], 3, v[10:11]
	v_add_co_u32_e32 v12, vcc, v7, v12
	v_addc_co_u32_e32 v13, vcc, v9, v13, vcc
	v_mov_b32_e32 v10, v27
	global_store_dwordx2 v[12:13], v[10:11], off
	s_or_b64 exec, exec, s[38:39]
	s_and_saveexec_b64 s[38:39], s[6:7]
	s_cbranch_execz .LBB927_193
.LBB927_252:
	v_sub_u32_e32 v10, v24, v2
	v_mov_b32_e32 v11, 0
	v_lshlrev_b64 v[12:13], 3, v[10:11]
	v_add_co_u32_e32 v12, vcc, v7, v12
	v_addc_co_u32_e32 v13, vcc, v9, v13, vcc
	v_mov_b32_e32 v10, v25
	global_store_dwordx2 v[12:13], v[10:11], off
	s_or_b64 exec, exec, s[38:39]
	s_and_saveexec_b64 s[38:39], s[4:5]
	s_cbranch_execz .LBB927_194
.LBB927_253:
	v_sub_u32_e32 v10, v22, v2
	v_mov_b32_e32 v11, 0
	v_lshlrev_b64 v[12:13], 3, v[10:11]
	v_add_co_u32_e32 v12, vcc, v7, v12
	v_addc_co_u32_e32 v13, vcc, v9, v13, vcc
	v_mov_b32_e32 v10, v23
	global_store_dwordx2 v[12:13], v[10:11], off
	s_or_b64 exec, exec, s[38:39]
	s_and_saveexec_b64 s[38:39], s[2:3]
	s_cbranch_execnz .LBB927_195
	s_branch .LBB927_196
.LBB927_254:
	v_sub_u32_e32 v3, v46, v2
	v_lshlrev_b32_e32 v3, 2, v3
	ds_write_b32 v3, v47
	s_or_b64 exec, exec, s[38:39]
	s_and_saveexec_b64 s[28:29], s[26:27]
	s_cbranch_execz .LBB927_200
.LBB927_255:
	v_sub_u32_e32 v3, v44, v2
	v_lshlrev_b32_e32 v3, 2, v3
	ds_write_b32 v3, v45
	s_or_b64 exec, exec, s[28:29]
	s_and_saveexec_b64 s[26:27], s[24:25]
	s_cbranch_execz .LBB927_201
.LBB927_256:
	v_sub_u32_e32 v3, v42, v2
	v_lshlrev_b32_e32 v3, 2, v3
	ds_write_b32 v3, v43
	s_or_b64 exec, exec, s[26:27]
	s_and_saveexec_b64 s[24:25], s[22:23]
	s_cbranch_execz .LBB927_202
.LBB927_257:
	v_sub_u32_e32 v3, v40, v2
	v_lshlrev_b32_e32 v3, 2, v3
	ds_write_b32 v3, v41
	s_or_b64 exec, exec, s[24:25]
	s_and_saveexec_b64 s[22:23], s[20:21]
	s_cbranch_execz .LBB927_203
.LBB927_258:
	v_sub_u32_e32 v3, v38, v2
	v_lshlrev_b32_e32 v3, 2, v3
	ds_write_b32 v3, v39
	s_or_b64 exec, exec, s[22:23]
	s_and_saveexec_b64 s[20:21], s[18:19]
	s_cbranch_execz .LBB927_204
.LBB927_259:
	v_sub_u32_e32 v3, v36, v2
	v_lshlrev_b32_e32 v3, 2, v3
	ds_write_b32 v3, v37
	s_or_b64 exec, exec, s[20:21]
	s_and_saveexec_b64 s[18:19], s[16:17]
	s_cbranch_execz .LBB927_205
.LBB927_260:
	v_sub_u32_e32 v3, v34, v2
	v_lshlrev_b32_e32 v3, 2, v3
	ds_write_b32 v3, v35
	s_or_b64 exec, exec, s[18:19]
	s_and_saveexec_b64 s[16:17], s[14:15]
	s_cbranch_execz .LBB927_206
.LBB927_261:
	v_sub_u32_e32 v3, v32, v2
	v_lshlrev_b32_e32 v3, 2, v3
	ds_write_b32 v3, v33
	s_or_b64 exec, exec, s[16:17]
	s_and_saveexec_b64 s[14:15], s[12:13]
	s_cbranch_execz .LBB927_207
.LBB927_262:
	v_sub_u32_e32 v3, v30, v2
	v_lshlrev_b32_e32 v3, 2, v3
	ds_write_b32 v3, v31
	s_or_b64 exec, exec, s[14:15]
	s_and_saveexec_b64 s[12:13], s[10:11]
	s_cbranch_execz .LBB927_208
.LBB927_263:
	v_sub_u32_e32 v3, v28, v2
	v_lshlrev_b32_e32 v3, 2, v3
	ds_write_b32 v3, v29
	s_or_b64 exec, exec, s[12:13]
	s_and_saveexec_b64 s[10:11], s[8:9]
	s_cbranch_execz .LBB927_209
.LBB927_264:
	v_sub_u32_e32 v3, v26, v2
	v_lshlrev_b32_e32 v3, 2, v3
	ds_write_b32 v3, v27
	s_or_b64 exec, exec, s[10:11]
	s_and_saveexec_b64 s[8:9], s[6:7]
	s_cbranch_execz .LBB927_210
.LBB927_265:
	v_sub_u32_e32 v3, v24, v2
	v_lshlrev_b32_e32 v3, 2, v3
	ds_write_b32 v3, v25
	s_or_b64 exec, exec, s[8:9]
	s_and_saveexec_b64 s[6:7], s[4:5]
	s_cbranch_execz .LBB927_211
.LBB927_266:
	v_sub_u32_e32 v3, v22, v2
	v_lshlrev_b32_e32 v3, 2, v3
	ds_write_b32 v3, v23
	s_or_b64 exec, exec, s[6:7]
	s_and_saveexec_b64 s[4:5], s[2:3]
	s_cbranch_execnz .LBB927_212
	s_branch .LBB927_213
	.section	.rodata,"a",@progbits
	.p2align	6, 0x0
	.amdhsa_kernel _ZN7rocprim17ROCPRIM_400000_NS6detail17trampoline_kernelINS0_14default_configENS1_33run_length_encode_config_selectorIN3c104HalfEjNS0_4plusIjEEEEZZNS1_33reduce_by_key_impl_wrapped_configILNS1_25lookback_scan_determinismE0ES3_S9_PKS6_NS0_17constant_iteratorIjlEEPS6_PlSH_S8_NS0_8equal_toIS6_EEEE10hipError_tPvRmT2_T3_mT4_T5_T6_T7_T8_P12ihipStream_tbENKUlT_T0_E_clISt17integral_constantIbLb0EES11_EEDaSW_SX_EUlSW_E_NS1_11comp_targetILNS1_3genE4ELNS1_11target_archE910ELNS1_3gpuE8ELNS1_3repE0EEENS1_30default_config_static_selectorELNS0_4arch9wavefront6targetE1EEEvT1_
		.amdhsa_group_segment_fixed_size 15360
		.amdhsa_private_segment_fixed_size 0
		.amdhsa_kernarg_size 128
		.amdhsa_user_sgpr_count 6
		.amdhsa_user_sgpr_private_segment_buffer 1
		.amdhsa_user_sgpr_dispatch_ptr 0
		.amdhsa_user_sgpr_queue_ptr 0
		.amdhsa_user_sgpr_kernarg_segment_ptr 1
		.amdhsa_user_sgpr_dispatch_id 0
		.amdhsa_user_sgpr_flat_scratch_init 0
		.amdhsa_user_sgpr_kernarg_preload_length 0
		.amdhsa_user_sgpr_kernarg_preload_offset 0
		.amdhsa_user_sgpr_private_segment_size 0
		.amdhsa_uses_dynamic_stack 0
		.amdhsa_system_sgpr_private_segment_wavefront_offset 0
		.amdhsa_system_sgpr_workgroup_id_x 1
		.amdhsa_system_sgpr_workgroup_id_y 0
		.amdhsa_system_sgpr_workgroup_id_z 0
		.amdhsa_system_sgpr_workgroup_info 0
		.amdhsa_system_vgpr_workitem_id 0
		.amdhsa_next_free_vgpr 109
		.amdhsa_next_free_sgpr 64
		.amdhsa_accum_offset 112
		.amdhsa_reserve_vcc 1
		.amdhsa_reserve_flat_scratch 0
		.amdhsa_float_round_mode_32 0
		.amdhsa_float_round_mode_16_64 0
		.amdhsa_float_denorm_mode_32 3
		.amdhsa_float_denorm_mode_16_64 3
		.amdhsa_dx10_clamp 1
		.amdhsa_ieee_mode 1
		.amdhsa_fp16_overflow 0
		.amdhsa_tg_split 0
		.amdhsa_exception_fp_ieee_invalid_op 0
		.amdhsa_exception_fp_denorm_src 0
		.amdhsa_exception_fp_ieee_div_zero 0
		.amdhsa_exception_fp_ieee_overflow 0
		.amdhsa_exception_fp_ieee_underflow 0
		.amdhsa_exception_fp_ieee_inexact 0
		.amdhsa_exception_int_div_zero 0
	.end_amdhsa_kernel
	.section	.text._ZN7rocprim17ROCPRIM_400000_NS6detail17trampoline_kernelINS0_14default_configENS1_33run_length_encode_config_selectorIN3c104HalfEjNS0_4plusIjEEEEZZNS1_33reduce_by_key_impl_wrapped_configILNS1_25lookback_scan_determinismE0ES3_S9_PKS6_NS0_17constant_iteratorIjlEEPS6_PlSH_S8_NS0_8equal_toIS6_EEEE10hipError_tPvRmT2_T3_mT4_T5_T6_T7_T8_P12ihipStream_tbENKUlT_T0_E_clISt17integral_constantIbLb0EES11_EEDaSW_SX_EUlSW_E_NS1_11comp_targetILNS1_3genE4ELNS1_11target_archE910ELNS1_3gpuE8ELNS1_3repE0EEENS1_30default_config_static_selectorELNS0_4arch9wavefront6targetE1EEEvT1_,"axG",@progbits,_ZN7rocprim17ROCPRIM_400000_NS6detail17trampoline_kernelINS0_14default_configENS1_33run_length_encode_config_selectorIN3c104HalfEjNS0_4plusIjEEEEZZNS1_33reduce_by_key_impl_wrapped_configILNS1_25lookback_scan_determinismE0ES3_S9_PKS6_NS0_17constant_iteratorIjlEEPS6_PlSH_S8_NS0_8equal_toIS6_EEEE10hipError_tPvRmT2_T3_mT4_T5_T6_T7_T8_P12ihipStream_tbENKUlT_T0_E_clISt17integral_constantIbLb0EES11_EEDaSW_SX_EUlSW_E_NS1_11comp_targetILNS1_3genE4ELNS1_11target_archE910ELNS1_3gpuE8ELNS1_3repE0EEENS1_30default_config_static_selectorELNS0_4arch9wavefront6targetE1EEEvT1_,comdat
.Lfunc_end927:
	.size	_ZN7rocprim17ROCPRIM_400000_NS6detail17trampoline_kernelINS0_14default_configENS1_33run_length_encode_config_selectorIN3c104HalfEjNS0_4plusIjEEEEZZNS1_33reduce_by_key_impl_wrapped_configILNS1_25lookback_scan_determinismE0ES3_S9_PKS6_NS0_17constant_iteratorIjlEEPS6_PlSH_S8_NS0_8equal_toIS6_EEEE10hipError_tPvRmT2_T3_mT4_T5_T6_T7_T8_P12ihipStream_tbENKUlT_T0_E_clISt17integral_constantIbLb0EES11_EEDaSW_SX_EUlSW_E_NS1_11comp_targetILNS1_3genE4ELNS1_11target_archE910ELNS1_3gpuE8ELNS1_3repE0EEENS1_30default_config_static_selectorELNS0_4arch9wavefront6targetE1EEEvT1_, .Lfunc_end927-_ZN7rocprim17ROCPRIM_400000_NS6detail17trampoline_kernelINS0_14default_configENS1_33run_length_encode_config_selectorIN3c104HalfEjNS0_4plusIjEEEEZZNS1_33reduce_by_key_impl_wrapped_configILNS1_25lookback_scan_determinismE0ES3_S9_PKS6_NS0_17constant_iteratorIjlEEPS6_PlSH_S8_NS0_8equal_toIS6_EEEE10hipError_tPvRmT2_T3_mT4_T5_T6_T7_T8_P12ihipStream_tbENKUlT_T0_E_clISt17integral_constantIbLb0EES11_EEDaSW_SX_EUlSW_E_NS1_11comp_targetILNS1_3genE4ELNS1_11target_archE910ELNS1_3gpuE8ELNS1_3repE0EEENS1_30default_config_static_selectorELNS0_4arch9wavefront6targetE1EEEvT1_
                                        ; -- End function
	.section	.AMDGPU.csdata,"",@progbits
; Kernel info:
; codeLenInByte = 15572
; NumSgprs: 68
; NumVgprs: 109
; NumAgprs: 0
; TotalNumVgprs: 109
; ScratchSize: 0
; MemoryBound: 0
; FloatMode: 240
; IeeeMode: 1
; LDSByteSize: 15360 bytes/workgroup (compile time only)
; SGPRBlocks: 8
; VGPRBlocks: 13
; NumSGPRsForWavesPerEU: 68
; NumVGPRsForWavesPerEU: 109
; AccumOffset: 112
; Occupancy: 4
; WaveLimiterHint : 1
; COMPUTE_PGM_RSRC2:SCRATCH_EN: 0
; COMPUTE_PGM_RSRC2:USER_SGPR: 6
; COMPUTE_PGM_RSRC2:TRAP_HANDLER: 0
; COMPUTE_PGM_RSRC2:TGID_X_EN: 1
; COMPUTE_PGM_RSRC2:TGID_Y_EN: 0
; COMPUTE_PGM_RSRC2:TGID_Z_EN: 0
; COMPUTE_PGM_RSRC2:TIDIG_COMP_CNT: 0
; COMPUTE_PGM_RSRC3_GFX90A:ACCUM_OFFSET: 27
; COMPUTE_PGM_RSRC3_GFX90A:TG_SPLIT: 0
	.section	.text._ZN7rocprim17ROCPRIM_400000_NS6detail17trampoline_kernelINS0_14default_configENS1_33run_length_encode_config_selectorIN3c104HalfEjNS0_4plusIjEEEEZZNS1_33reduce_by_key_impl_wrapped_configILNS1_25lookback_scan_determinismE0ES3_S9_PKS6_NS0_17constant_iteratorIjlEEPS6_PlSH_S8_NS0_8equal_toIS6_EEEE10hipError_tPvRmT2_T3_mT4_T5_T6_T7_T8_P12ihipStream_tbENKUlT_T0_E_clISt17integral_constantIbLb0EES11_EEDaSW_SX_EUlSW_E_NS1_11comp_targetILNS1_3genE3ELNS1_11target_archE908ELNS1_3gpuE7ELNS1_3repE0EEENS1_30default_config_static_selectorELNS0_4arch9wavefront6targetE1EEEvT1_,"axG",@progbits,_ZN7rocprim17ROCPRIM_400000_NS6detail17trampoline_kernelINS0_14default_configENS1_33run_length_encode_config_selectorIN3c104HalfEjNS0_4plusIjEEEEZZNS1_33reduce_by_key_impl_wrapped_configILNS1_25lookback_scan_determinismE0ES3_S9_PKS6_NS0_17constant_iteratorIjlEEPS6_PlSH_S8_NS0_8equal_toIS6_EEEE10hipError_tPvRmT2_T3_mT4_T5_T6_T7_T8_P12ihipStream_tbENKUlT_T0_E_clISt17integral_constantIbLb0EES11_EEDaSW_SX_EUlSW_E_NS1_11comp_targetILNS1_3genE3ELNS1_11target_archE908ELNS1_3gpuE7ELNS1_3repE0EEENS1_30default_config_static_selectorELNS0_4arch9wavefront6targetE1EEEvT1_,comdat
	.protected	_ZN7rocprim17ROCPRIM_400000_NS6detail17trampoline_kernelINS0_14default_configENS1_33run_length_encode_config_selectorIN3c104HalfEjNS0_4plusIjEEEEZZNS1_33reduce_by_key_impl_wrapped_configILNS1_25lookback_scan_determinismE0ES3_S9_PKS6_NS0_17constant_iteratorIjlEEPS6_PlSH_S8_NS0_8equal_toIS6_EEEE10hipError_tPvRmT2_T3_mT4_T5_T6_T7_T8_P12ihipStream_tbENKUlT_T0_E_clISt17integral_constantIbLb0EES11_EEDaSW_SX_EUlSW_E_NS1_11comp_targetILNS1_3genE3ELNS1_11target_archE908ELNS1_3gpuE7ELNS1_3repE0EEENS1_30default_config_static_selectorELNS0_4arch9wavefront6targetE1EEEvT1_ ; -- Begin function _ZN7rocprim17ROCPRIM_400000_NS6detail17trampoline_kernelINS0_14default_configENS1_33run_length_encode_config_selectorIN3c104HalfEjNS0_4plusIjEEEEZZNS1_33reduce_by_key_impl_wrapped_configILNS1_25lookback_scan_determinismE0ES3_S9_PKS6_NS0_17constant_iteratorIjlEEPS6_PlSH_S8_NS0_8equal_toIS6_EEEE10hipError_tPvRmT2_T3_mT4_T5_T6_T7_T8_P12ihipStream_tbENKUlT_T0_E_clISt17integral_constantIbLb0EES11_EEDaSW_SX_EUlSW_E_NS1_11comp_targetILNS1_3genE3ELNS1_11target_archE908ELNS1_3gpuE7ELNS1_3repE0EEENS1_30default_config_static_selectorELNS0_4arch9wavefront6targetE1EEEvT1_
	.globl	_ZN7rocprim17ROCPRIM_400000_NS6detail17trampoline_kernelINS0_14default_configENS1_33run_length_encode_config_selectorIN3c104HalfEjNS0_4plusIjEEEEZZNS1_33reduce_by_key_impl_wrapped_configILNS1_25lookback_scan_determinismE0ES3_S9_PKS6_NS0_17constant_iteratorIjlEEPS6_PlSH_S8_NS0_8equal_toIS6_EEEE10hipError_tPvRmT2_T3_mT4_T5_T6_T7_T8_P12ihipStream_tbENKUlT_T0_E_clISt17integral_constantIbLb0EES11_EEDaSW_SX_EUlSW_E_NS1_11comp_targetILNS1_3genE3ELNS1_11target_archE908ELNS1_3gpuE7ELNS1_3repE0EEENS1_30default_config_static_selectorELNS0_4arch9wavefront6targetE1EEEvT1_
	.p2align	8
	.type	_ZN7rocprim17ROCPRIM_400000_NS6detail17trampoline_kernelINS0_14default_configENS1_33run_length_encode_config_selectorIN3c104HalfEjNS0_4plusIjEEEEZZNS1_33reduce_by_key_impl_wrapped_configILNS1_25lookback_scan_determinismE0ES3_S9_PKS6_NS0_17constant_iteratorIjlEEPS6_PlSH_S8_NS0_8equal_toIS6_EEEE10hipError_tPvRmT2_T3_mT4_T5_T6_T7_T8_P12ihipStream_tbENKUlT_T0_E_clISt17integral_constantIbLb0EES11_EEDaSW_SX_EUlSW_E_NS1_11comp_targetILNS1_3genE3ELNS1_11target_archE908ELNS1_3gpuE7ELNS1_3repE0EEENS1_30default_config_static_selectorELNS0_4arch9wavefront6targetE1EEEvT1_,@function
_ZN7rocprim17ROCPRIM_400000_NS6detail17trampoline_kernelINS0_14default_configENS1_33run_length_encode_config_selectorIN3c104HalfEjNS0_4plusIjEEEEZZNS1_33reduce_by_key_impl_wrapped_configILNS1_25lookback_scan_determinismE0ES3_S9_PKS6_NS0_17constant_iteratorIjlEEPS6_PlSH_S8_NS0_8equal_toIS6_EEEE10hipError_tPvRmT2_T3_mT4_T5_T6_T7_T8_P12ihipStream_tbENKUlT_T0_E_clISt17integral_constantIbLb0EES11_EEDaSW_SX_EUlSW_E_NS1_11comp_targetILNS1_3genE3ELNS1_11target_archE908ELNS1_3gpuE7ELNS1_3repE0EEENS1_30default_config_static_selectorELNS0_4arch9wavefront6targetE1EEEvT1_: ; @_ZN7rocprim17ROCPRIM_400000_NS6detail17trampoline_kernelINS0_14default_configENS1_33run_length_encode_config_selectorIN3c104HalfEjNS0_4plusIjEEEEZZNS1_33reduce_by_key_impl_wrapped_configILNS1_25lookback_scan_determinismE0ES3_S9_PKS6_NS0_17constant_iteratorIjlEEPS6_PlSH_S8_NS0_8equal_toIS6_EEEE10hipError_tPvRmT2_T3_mT4_T5_T6_T7_T8_P12ihipStream_tbENKUlT_T0_E_clISt17integral_constantIbLb0EES11_EEDaSW_SX_EUlSW_E_NS1_11comp_targetILNS1_3genE3ELNS1_11target_archE908ELNS1_3gpuE7ELNS1_3repE0EEENS1_30default_config_static_selectorELNS0_4arch9wavefront6targetE1EEEvT1_
; %bb.0:
	.section	.rodata,"a",@progbits
	.p2align	6, 0x0
	.amdhsa_kernel _ZN7rocprim17ROCPRIM_400000_NS6detail17trampoline_kernelINS0_14default_configENS1_33run_length_encode_config_selectorIN3c104HalfEjNS0_4plusIjEEEEZZNS1_33reduce_by_key_impl_wrapped_configILNS1_25lookback_scan_determinismE0ES3_S9_PKS6_NS0_17constant_iteratorIjlEEPS6_PlSH_S8_NS0_8equal_toIS6_EEEE10hipError_tPvRmT2_T3_mT4_T5_T6_T7_T8_P12ihipStream_tbENKUlT_T0_E_clISt17integral_constantIbLb0EES11_EEDaSW_SX_EUlSW_E_NS1_11comp_targetILNS1_3genE3ELNS1_11target_archE908ELNS1_3gpuE7ELNS1_3repE0EEENS1_30default_config_static_selectorELNS0_4arch9wavefront6targetE1EEEvT1_
		.amdhsa_group_segment_fixed_size 0
		.amdhsa_private_segment_fixed_size 0
		.amdhsa_kernarg_size 128
		.amdhsa_user_sgpr_count 6
		.amdhsa_user_sgpr_private_segment_buffer 1
		.amdhsa_user_sgpr_dispatch_ptr 0
		.amdhsa_user_sgpr_queue_ptr 0
		.amdhsa_user_sgpr_kernarg_segment_ptr 1
		.amdhsa_user_sgpr_dispatch_id 0
		.amdhsa_user_sgpr_flat_scratch_init 0
		.amdhsa_user_sgpr_kernarg_preload_length 0
		.amdhsa_user_sgpr_kernarg_preload_offset 0
		.amdhsa_user_sgpr_private_segment_size 0
		.amdhsa_uses_dynamic_stack 0
		.amdhsa_system_sgpr_private_segment_wavefront_offset 0
		.amdhsa_system_sgpr_workgroup_id_x 1
		.amdhsa_system_sgpr_workgroup_id_y 0
		.amdhsa_system_sgpr_workgroup_id_z 0
		.amdhsa_system_sgpr_workgroup_info 0
		.amdhsa_system_vgpr_workitem_id 0
		.amdhsa_next_free_vgpr 1
		.amdhsa_next_free_sgpr 0
		.amdhsa_accum_offset 4
		.amdhsa_reserve_vcc 0
		.amdhsa_reserve_flat_scratch 0
		.amdhsa_float_round_mode_32 0
		.amdhsa_float_round_mode_16_64 0
		.amdhsa_float_denorm_mode_32 3
		.amdhsa_float_denorm_mode_16_64 3
		.amdhsa_dx10_clamp 1
		.amdhsa_ieee_mode 1
		.amdhsa_fp16_overflow 0
		.amdhsa_tg_split 0
		.amdhsa_exception_fp_ieee_invalid_op 0
		.amdhsa_exception_fp_denorm_src 0
		.amdhsa_exception_fp_ieee_div_zero 0
		.amdhsa_exception_fp_ieee_overflow 0
		.amdhsa_exception_fp_ieee_underflow 0
		.amdhsa_exception_fp_ieee_inexact 0
		.amdhsa_exception_int_div_zero 0
	.end_amdhsa_kernel
	.section	.text._ZN7rocprim17ROCPRIM_400000_NS6detail17trampoline_kernelINS0_14default_configENS1_33run_length_encode_config_selectorIN3c104HalfEjNS0_4plusIjEEEEZZNS1_33reduce_by_key_impl_wrapped_configILNS1_25lookback_scan_determinismE0ES3_S9_PKS6_NS0_17constant_iteratorIjlEEPS6_PlSH_S8_NS0_8equal_toIS6_EEEE10hipError_tPvRmT2_T3_mT4_T5_T6_T7_T8_P12ihipStream_tbENKUlT_T0_E_clISt17integral_constantIbLb0EES11_EEDaSW_SX_EUlSW_E_NS1_11comp_targetILNS1_3genE3ELNS1_11target_archE908ELNS1_3gpuE7ELNS1_3repE0EEENS1_30default_config_static_selectorELNS0_4arch9wavefront6targetE1EEEvT1_,"axG",@progbits,_ZN7rocprim17ROCPRIM_400000_NS6detail17trampoline_kernelINS0_14default_configENS1_33run_length_encode_config_selectorIN3c104HalfEjNS0_4plusIjEEEEZZNS1_33reduce_by_key_impl_wrapped_configILNS1_25lookback_scan_determinismE0ES3_S9_PKS6_NS0_17constant_iteratorIjlEEPS6_PlSH_S8_NS0_8equal_toIS6_EEEE10hipError_tPvRmT2_T3_mT4_T5_T6_T7_T8_P12ihipStream_tbENKUlT_T0_E_clISt17integral_constantIbLb0EES11_EEDaSW_SX_EUlSW_E_NS1_11comp_targetILNS1_3genE3ELNS1_11target_archE908ELNS1_3gpuE7ELNS1_3repE0EEENS1_30default_config_static_selectorELNS0_4arch9wavefront6targetE1EEEvT1_,comdat
.Lfunc_end928:
	.size	_ZN7rocprim17ROCPRIM_400000_NS6detail17trampoline_kernelINS0_14default_configENS1_33run_length_encode_config_selectorIN3c104HalfEjNS0_4plusIjEEEEZZNS1_33reduce_by_key_impl_wrapped_configILNS1_25lookback_scan_determinismE0ES3_S9_PKS6_NS0_17constant_iteratorIjlEEPS6_PlSH_S8_NS0_8equal_toIS6_EEEE10hipError_tPvRmT2_T3_mT4_T5_T6_T7_T8_P12ihipStream_tbENKUlT_T0_E_clISt17integral_constantIbLb0EES11_EEDaSW_SX_EUlSW_E_NS1_11comp_targetILNS1_3genE3ELNS1_11target_archE908ELNS1_3gpuE7ELNS1_3repE0EEENS1_30default_config_static_selectorELNS0_4arch9wavefront6targetE1EEEvT1_, .Lfunc_end928-_ZN7rocprim17ROCPRIM_400000_NS6detail17trampoline_kernelINS0_14default_configENS1_33run_length_encode_config_selectorIN3c104HalfEjNS0_4plusIjEEEEZZNS1_33reduce_by_key_impl_wrapped_configILNS1_25lookback_scan_determinismE0ES3_S9_PKS6_NS0_17constant_iteratorIjlEEPS6_PlSH_S8_NS0_8equal_toIS6_EEEE10hipError_tPvRmT2_T3_mT4_T5_T6_T7_T8_P12ihipStream_tbENKUlT_T0_E_clISt17integral_constantIbLb0EES11_EEDaSW_SX_EUlSW_E_NS1_11comp_targetILNS1_3genE3ELNS1_11target_archE908ELNS1_3gpuE7ELNS1_3repE0EEENS1_30default_config_static_selectorELNS0_4arch9wavefront6targetE1EEEvT1_
                                        ; -- End function
	.section	.AMDGPU.csdata,"",@progbits
; Kernel info:
; codeLenInByte = 0
; NumSgprs: 4
; NumVgprs: 0
; NumAgprs: 0
; TotalNumVgprs: 0
; ScratchSize: 0
; MemoryBound: 0
; FloatMode: 240
; IeeeMode: 1
; LDSByteSize: 0 bytes/workgroup (compile time only)
; SGPRBlocks: 0
; VGPRBlocks: 0
; NumSGPRsForWavesPerEU: 4
; NumVGPRsForWavesPerEU: 1
; AccumOffset: 4
; Occupancy: 8
; WaveLimiterHint : 0
; COMPUTE_PGM_RSRC2:SCRATCH_EN: 0
; COMPUTE_PGM_RSRC2:USER_SGPR: 6
; COMPUTE_PGM_RSRC2:TRAP_HANDLER: 0
; COMPUTE_PGM_RSRC2:TGID_X_EN: 1
; COMPUTE_PGM_RSRC2:TGID_Y_EN: 0
; COMPUTE_PGM_RSRC2:TGID_Z_EN: 0
; COMPUTE_PGM_RSRC2:TIDIG_COMP_CNT: 0
; COMPUTE_PGM_RSRC3_GFX90A:ACCUM_OFFSET: 0
; COMPUTE_PGM_RSRC3_GFX90A:TG_SPLIT: 0
	.section	.text._ZN7rocprim17ROCPRIM_400000_NS6detail17trampoline_kernelINS0_14default_configENS1_33run_length_encode_config_selectorIN3c104HalfEjNS0_4plusIjEEEEZZNS1_33reduce_by_key_impl_wrapped_configILNS1_25lookback_scan_determinismE0ES3_S9_PKS6_NS0_17constant_iteratorIjlEEPS6_PlSH_S8_NS0_8equal_toIS6_EEEE10hipError_tPvRmT2_T3_mT4_T5_T6_T7_T8_P12ihipStream_tbENKUlT_T0_E_clISt17integral_constantIbLb0EES11_EEDaSW_SX_EUlSW_E_NS1_11comp_targetILNS1_3genE2ELNS1_11target_archE906ELNS1_3gpuE6ELNS1_3repE0EEENS1_30default_config_static_selectorELNS0_4arch9wavefront6targetE1EEEvT1_,"axG",@progbits,_ZN7rocprim17ROCPRIM_400000_NS6detail17trampoline_kernelINS0_14default_configENS1_33run_length_encode_config_selectorIN3c104HalfEjNS0_4plusIjEEEEZZNS1_33reduce_by_key_impl_wrapped_configILNS1_25lookback_scan_determinismE0ES3_S9_PKS6_NS0_17constant_iteratorIjlEEPS6_PlSH_S8_NS0_8equal_toIS6_EEEE10hipError_tPvRmT2_T3_mT4_T5_T6_T7_T8_P12ihipStream_tbENKUlT_T0_E_clISt17integral_constantIbLb0EES11_EEDaSW_SX_EUlSW_E_NS1_11comp_targetILNS1_3genE2ELNS1_11target_archE906ELNS1_3gpuE6ELNS1_3repE0EEENS1_30default_config_static_selectorELNS0_4arch9wavefront6targetE1EEEvT1_,comdat
	.protected	_ZN7rocprim17ROCPRIM_400000_NS6detail17trampoline_kernelINS0_14default_configENS1_33run_length_encode_config_selectorIN3c104HalfEjNS0_4plusIjEEEEZZNS1_33reduce_by_key_impl_wrapped_configILNS1_25lookback_scan_determinismE0ES3_S9_PKS6_NS0_17constant_iteratorIjlEEPS6_PlSH_S8_NS0_8equal_toIS6_EEEE10hipError_tPvRmT2_T3_mT4_T5_T6_T7_T8_P12ihipStream_tbENKUlT_T0_E_clISt17integral_constantIbLb0EES11_EEDaSW_SX_EUlSW_E_NS1_11comp_targetILNS1_3genE2ELNS1_11target_archE906ELNS1_3gpuE6ELNS1_3repE0EEENS1_30default_config_static_selectorELNS0_4arch9wavefront6targetE1EEEvT1_ ; -- Begin function _ZN7rocprim17ROCPRIM_400000_NS6detail17trampoline_kernelINS0_14default_configENS1_33run_length_encode_config_selectorIN3c104HalfEjNS0_4plusIjEEEEZZNS1_33reduce_by_key_impl_wrapped_configILNS1_25lookback_scan_determinismE0ES3_S9_PKS6_NS0_17constant_iteratorIjlEEPS6_PlSH_S8_NS0_8equal_toIS6_EEEE10hipError_tPvRmT2_T3_mT4_T5_T6_T7_T8_P12ihipStream_tbENKUlT_T0_E_clISt17integral_constantIbLb0EES11_EEDaSW_SX_EUlSW_E_NS1_11comp_targetILNS1_3genE2ELNS1_11target_archE906ELNS1_3gpuE6ELNS1_3repE0EEENS1_30default_config_static_selectorELNS0_4arch9wavefront6targetE1EEEvT1_
	.globl	_ZN7rocprim17ROCPRIM_400000_NS6detail17trampoline_kernelINS0_14default_configENS1_33run_length_encode_config_selectorIN3c104HalfEjNS0_4plusIjEEEEZZNS1_33reduce_by_key_impl_wrapped_configILNS1_25lookback_scan_determinismE0ES3_S9_PKS6_NS0_17constant_iteratorIjlEEPS6_PlSH_S8_NS0_8equal_toIS6_EEEE10hipError_tPvRmT2_T3_mT4_T5_T6_T7_T8_P12ihipStream_tbENKUlT_T0_E_clISt17integral_constantIbLb0EES11_EEDaSW_SX_EUlSW_E_NS1_11comp_targetILNS1_3genE2ELNS1_11target_archE906ELNS1_3gpuE6ELNS1_3repE0EEENS1_30default_config_static_selectorELNS0_4arch9wavefront6targetE1EEEvT1_
	.p2align	8
	.type	_ZN7rocprim17ROCPRIM_400000_NS6detail17trampoline_kernelINS0_14default_configENS1_33run_length_encode_config_selectorIN3c104HalfEjNS0_4plusIjEEEEZZNS1_33reduce_by_key_impl_wrapped_configILNS1_25lookback_scan_determinismE0ES3_S9_PKS6_NS0_17constant_iteratorIjlEEPS6_PlSH_S8_NS0_8equal_toIS6_EEEE10hipError_tPvRmT2_T3_mT4_T5_T6_T7_T8_P12ihipStream_tbENKUlT_T0_E_clISt17integral_constantIbLb0EES11_EEDaSW_SX_EUlSW_E_NS1_11comp_targetILNS1_3genE2ELNS1_11target_archE906ELNS1_3gpuE6ELNS1_3repE0EEENS1_30default_config_static_selectorELNS0_4arch9wavefront6targetE1EEEvT1_,@function
_ZN7rocprim17ROCPRIM_400000_NS6detail17trampoline_kernelINS0_14default_configENS1_33run_length_encode_config_selectorIN3c104HalfEjNS0_4plusIjEEEEZZNS1_33reduce_by_key_impl_wrapped_configILNS1_25lookback_scan_determinismE0ES3_S9_PKS6_NS0_17constant_iteratorIjlEEPS6_PlSH_S8_NS0_8equal_toIS6_EEEE10hipError_tPvRmT2_T3_mT4_T5_T6_T7_T8_P12ihipStream_tbENKUlT_T0_E_clISt17integral_constantIbLb0EES11_EEDaSW_SX_EUlSW_E_NS1_11comp_targetILNS1_3genE2ELNS1_11target_archE906ELNS1_3gpuE6ELNS1_3repE0EEENS1_30default_config_static_selectorELNS0_4arch9wavefront6targetE1EEEvT1_: ; @_ZN7rocprim17ROCPRIM_400000_NS6detail17trampoline_kernelINS0_14default_configENS1_33run_length_encode_config_selectorIN3c104HalfEjNS0_4plusIjEEEEZZNS1_33reduce_by_key_impl_wrapped_configILNS1_25lookback_scan_determinismE0ES3_S9_PKS6_NS0_17constant_iteratorIjlEEPS6_PlSH_S8_NS0_8equal_toIS6_EEEE10hipError_tPvRmT2_T3_mT4_T5_T6_T7_T8_P12ihipStream_tbENKUlT_T0_E_clISt17integral_constantIbLb0EES11_EEDaSW_SX_EUlSW_E_NS1_11comp_targetILNS1_3genE2ELNS1_11target_archE906ELNS1_3gpuE6ELNS1_3repE0EEENS1_30default_config_static_selectorELNS0_4arch9wavefront6targetE1EEEvT1_
; %bb.0:
	.section	.rodata,"a",@progbits
	.p2align	6, 0x0
	.amdhsa_kernel _ZN7rocprim17ROCPRIM_400000_NS6detail17trampoline_kernelINS0_14default_configENS1_33run_length_encode_config_selectorIN3c104HalfEjNS0_4plusIjEEEEZZNS1_33reduce_by_key_impl_wrapped_configILNS1_25lookback_scan_determinismE0ES3_S9_PKS6_NS0_17constant_iteratorIjlEEPS6_PlSH_S8_NS0_8equal_toIS6_EEEE10hipError_tPvRmT2_T3_mT4_T5_T6_T7_T8_P12ihipStream_tbENKUlT_T0_E_clISt17integral_constantIbLb0EES11_EEDaSW_SX_EUlSW_E_NS1_11comp_targetILNS1_3genE2ELNS1_11target_archE906ELNS1_3gpuE6ELNS1_3repE0EEENS1_30default_config_static_selectorELNS0_4arch9wavefront6targetE1EEEvT1_
		.amdhsa_group_segment_fixed_size 0
		.amdhsa_private_segment_fixed_size 0
		.amdhsa_kernarg_size 128
		.amdhsa_user_sgpr_count 6
		.amdhsa_user_sgpr_private_segment_buffer 1
		.amdhsa_user_sgpr_dispatch_ptr 0
		.amdhsa_user_sgpr_queue_ptr 0
		.amdhsa_user_sgpr_kernarg_segment_ptr 1
		.amdhsa_user_sgpr_dispatch_id 0
		.amdhsa_user_sgpr_flat_scratch_init 0
		.amdhsa_user_sgpr_kernarg_preload_length 0
		.amdhsa_user_sgpr_kernarg_preload_offset 0
		.amdhsa_user_sgpr_private_segment_size 0
		.amdhsa_uses_dynamic_stack 0
		.amdhsa_system_sgpr_private_segment_wavefront_offset 0
		.amdhsa_system_sgpr_workgroup_id_x 1
		.amdhsa_system_sgpr_workgroup_id_y 0
		.amdhsa_system_sgpr_workgroup_id_z 0
		.amdhsa_system_sgpr_workgroup_info 0
		.amdhsa_system_vgpr_workitem_id 0
		.amdhsa_next_free_vgpr 1
		.amdhsa_next_free_sgpr 0
		.amdhsa_accum_offset 4
		.amdhsa_reserve_vcc 0
		.amdhsa_reserve_flat_scratch 0
		.amdhsa_float_round_mode_32 0
		.amdhsa_float_round_mode_16_64 0
		.amdhsa_float_denorm_mode_32 3
		.amdhsa_float_denorm_mode_16_64 3
		.amdhsa_dx10_clamp 1
		.amdhsa_ieee_mode 1
		.amdhsa_fp16_overflow 0
		.amdhsa_tg_split 0
		.amdhsa_exception_fp_ieee_invalid_op 0
		.amdhsa_exception_fp_denorm_src 0
		.amdhsa_exception_fp_ieee_div_zero 0
		.amdhsa_exception_fp_ieee_overflow 0
		.amdhsa_exception_fp_ieee_underflow 0
		.amdhsa_exception_fp_ieee_inexact 0
		.amdhsa_exception_int_div_zero 0
	.end_amdhsa_kernel
	.section	.text._ZN7rocprim17ROCPRIM_400000_NS6detail17trampoline_kernelINS0_14default_configENS1_33run_length_encode_config_selectorIN3c104HalfEjNS0_4plusIjEEEEZZNS1_33reduce_by_key_impl_wrapped_configILNS1_25lookback_scan_determinismE0ES3_S9_PKS6_NS0_17constant_iteratorIjlEEPS6_PlSH_S8_NS0_8equal_toIS6_EEEE10hipError_tPvRmT2_T3_mT4_T5_T6_T7_T8_P12ihipStream_tbENKUlT_T0_E_clISt17integral_constantIbLb0EES11_EEDaSW_SX_EUlSW_E_NS1_11comp_targetILNS1_3genE2ELNS1_11target_archE906ELNS1_3gpuE6ELNS1_3repE0EEENS1_30default_config_static_selectorELNS0_4arch9wavefront6targetE1EEEvT1_,"axG",@progbits,_ZN7rocprim17ROCPRIM_400000_NS6detail17trampoline_kernelINS0_14default_configENS1_33run_length_encode_config_selectorIN3c104HalfEjNS0_4plusIjEEEEZZNS1_33reduce_by_key_impl_wrapped_configILNS1_25lookback_scan_determinismE0ES3_S9_PKS6_NS0_17constant_iteratorIjlEEPS6_PlSH_S8_NS0_8equal_toIS6_EEEE10hipError_tPvRmT2_T3_mT4_T5_T6_T7_T8_P12ihipStream_tbENKUlT_T0_E_clISt17integral_constantIbLb0EES11_EEDaSW_SX_EUlSW_E_NS1_11comp_targetILNS1_3genE2ELNS1_11target_archE906ELNS1_3gpuE6ELNS1_3repE0EEENS1_30default_config_static_selectorELNS0_4arch9wavefront6targetE1EEEvT1_,comdat
.Lfunc_end929:
	.size	_ZN7rocprim17ROCPRIM_400000_NS6detail17trampoline_kernelINS0_14default_configENS1_33run_length_encode_config_selectorIN3c104HalfEjNS0_4plusIjEEEEZZNS1_33reduce_by_key_impl_wrapped_configILNS1_25lookback_scan_determinismE0ES3_S9_PKS6_NS0_17constant_iteratorIjlEEPS6_PlSH_S8_NS0_8equal_toIS6_EEEE10hipError_tPvRmT2_T3_mT4_T5_T6_T7_T8_P12ihipStream_tbENKUlT_T0_E_clISt17integral_constantIbLb0EES11_EEDaSW_SX_EUlSW_E_NS1_11comp_targetILNS1_3genE2ELNS1_11target_archE906ELNS1_3gpuE6ELNS1_3repE0EEENS1_30default_config_static_selectorELNS0_4arch9wavefront6targetE1EEEvT1_, .Lfunc_end929-_ZN7rocprim17ROCPRIM_400000_NS6detail17trampoline_kernelINS0_14default_configENS1_33run_length_encode_config_selectorIN3c104HalfEjNS0_4plusIjEEEEZZNS1_33reduce_by_key_impl_wrapped_configILNS1_25lookback_scan_determinismE0ES3_S9_PKS6_NS0_17constant_iteratorIjlEEPS6_PlSH_S8_NS0_8equal_toIS6_EEEE10hipError_tPvRmT2_T3_mT4_T5_T6_T7_T8_P12ihipStream_tbENKUlT_T0_E_clISt17integral_constantIbLb0EES11_EEDaSW_SX_EUlSW_E_NS1_11comp_targetILNS1_3genE2ELNS1_11target_archE906ELNS1_3gpuE6ELNS1_3repE0EEENS1_30default_config_static_selectorELNS0_4arch9wavefront6targetE1EEEvT1_
                                        ; -- End function
	.section	.AMDGPU.csdata,"",@progbits
; Kernel info:
; codeLenInByte = 0
; NumSgprs: 4
; NumVgprs: 0
; NumAgprs: 0
; TotalNumVgprs: 0
; ScratchSize: 0
; MemoryBound: 0
; FloatMode: 240
; IeeeMode: 1
; LDSByteSize: 0 bytes/workgroup (compile time only)
; SGPRBlocks: 0
; VGPRBlocks: 0
; NumSGPRsForWavesPerEU: 4
; NumVGPRsForWavesPerEU: 1
; AccumOffset: 4
; Occupancy: 8
; WaveLimiterHint : 0
; COMPUTE_PGM_RSRC2:SCRATCH_EN: 0
; COMPUTE_PGM_RSRC2:USER_SGPR: 6
; COMPUTE_PGM_RSRC2:TRAP_HANDLER: 0
; COMPUTE_PGM_RSRC2:TGID_X_EN: 1
; COMPUTE_PGM_RSRC2:TGID_Y_EN: 0
; COMPUTE_PGM_RSRC2:TGID_Z_EN: 0
; COMPUTE_PGM_RSRC2:TIDIG_COMP_CNT: 0
; COMPUTE_PGM_RSRC3_GFX90A:ACCUM_OFFSET: 0
; COMPUTE_PGM_RSRC3_GFX90A:TG_SPLIT: 0
	.section	.text._ZN7rocprim17ROCPRIM_400000_NS6detail17trampoline_kernelINS0_14default_configENS1_33run_length_encode_config_selectorIN3c104HalfEjNS0_4plusIjEEEEZZNS1_33reduce_by_key_impl_wrapped_configILNS1_25lookback_scan_determinismE0ES3_S9_PKS6_NS0_17constant_iteratorIjlEEPS6_PlSH_S8_NS0_8equal_toIS6_EEEE10hipError_tPvRmT2_T3_mT4_T5_T6_T7_T8_P12ihipStream_tbENKUlT_T0_E_clISt17integral_constantIbLb0EES11_EEDaSW_SX_EUlSW_E_NS1_11comp_targetILNS1_3genE10ELNS1_11target_archE1201ELNS1_3gpuE5ELNS1_3repE0EEENS1_30default_config_static_selectorELNS0_4arch9wavefront6targetE1EEEvT1_,"axG",@progbits,_ZN7rocprim17ROCPRIM_400000_NS6detail17trampoline_kernelINS0_14default_configENS1_33run_length_encode_config_selectorIN3c104HalfEjNS0_4plusIjEEEEZZNS1_33reduce_by_key_impl_wrapped_configILNS1_25lookback_scan_determinismE0ES3_S9_PKS6_NS0_17constant_iteratorIjlEEPS6_PlSH_S8_NS0_8equal_toIS6_EEEE10hipError_tPvRmT2_T3_mT4_T5_T6_T7_T8_P12ihipStream_tbENKUlT_T0_E_clISt17integral_constantIbLb0EES11_EEDaSW_SX_EUlSW_E_NS1_11comp_targetILNS1_3genE10ELNS1_11target_archE1201ELNS1_3gpuE5ELNS1_3repE0EEENS1_30default_config_static_selectorELNS0_4arch9wavefront6targetE1EEEvT1_,comdat
	.protected	_ZN7rocprim17ROCPRIM_400000_NS6detail17trampoline_kernelINS0_14default_configENS1_33run_length_encode_config_selectorIN3c104HalfEjNS0_4plusIjEEEEZZNS1_33reduce_by_key_impl_wrapped_configILNS1_25lookback_scan_determinismE0ES3_S9_PKS6_NS0_17constant_iteratorIjlEEPS6_PlSH_S8_NS0_8equal_toIS6_EEEE10hipError_tPvRmT2_T3_mT4_T5_T6_T7_T8_P12ihipStream_tbENKUlT_T0_E_clISt17integral_constantIbLb0EES11_EEDaSW_SX_EUlSW_E_NS1_11comp_targetILNS1_3genE10ELNS1_11target_archE1201ELNS1_3gpuE5ELNS1_3repE0EEENS1_30default_config_static_selectorELNS0_4arch9wavefront6targetE1EEEvT1_ ; -- Begin function _ZN7rocprim17ROCPRIM_400000_NS6detail17trampoline_kernelINS0_14default_configENS1_33run_length_encode_config_selectorIN3c104HalfEjNS0_4plusIjEEEEZZNS1_33reduce_by_key_impl_wrapped_configILNS1_25lookback_scan_determinismE0ES3_S9_PKS6_NS0_17constant_iteratorIjlEEPS6_PlSH_S8_NS0_8equal_toIS6_EEEE10hipError_tPvRmT2_T3_mT4_T5_T6_T7_T8_P12ihipStream_tbENKUlT_T0_E_clISt17integral_constantIbLb0EES11_EEDaSW_SX_EUlSW_E_NS1_11comp_targetILNS1_3genE10ELNS1_11target_archE1201ELNS1_3gpuE5ELNS1_3repE0EEENS1_30default_config_static_selectorELNS0_4arch9wavefront6targetE1EEEvT1_
	.globl	_ZN7rocprim17ROCPRIM_400000_NS6detail17trampoline_kernelINS0_14default_configENS1_33run_length_encode_config_selectorIN3c104HalfEjNS0_4plusIjEEEEZZNS1_33reduce_by_key_impl_wrapped_configILNS1_25lookback_scan_determinismE0ES3_S9_PKS6_NS0_17constant_iteratorIjlEEPS6_PlSH_S8_NS0_8equal_toIS6_EEEE10hipError_tPvRmT2_T3_mT4_T5_T6_T7_T8_P12ihipStream_tbENKUlT_T0_E_clISt17integral_constantIbLb0EES11_EEDaSW_SX_EUlSW_E_NS1_11comp_targetILNS1_3genE10ELNS1_11target_archE1201ELNS1_3gpuE5ELNS1_3repE0EEENS1_30default_config_static_selectorELNS0_4arch9wavefront6targetE1EEEvT1_
	.p2align	8
	.type	_ZN7rocprim17ROCPRIM_400000_NS6detail17trampoline_kernelINS0_14default_configENS1_33run_length_encode_config_selectorIN3c104HalfEjNS0_4plusIjEEEEZZNS1_33reduce_by_key_impl_wrapped_configILNS1_25lookback_scan_determinismE0ES3_S9_PKS6_NS0_17constant_iteratorIjlEEPS6_PlSH_S8_NS0_8equal_toIS6_EEEE10hipError_tPvRmT2_T3_mT4_T5_T6_T7_T8_P12ihipStream_tbENKUlT_T0_E_clISt17integral_constantIbLb0EES11_EEDaSW_SX_EUlSW_E_NS1_11comp_targetILNS1_3genE10ELNS1_11target_archE1201ELNS1_3gpuE5ELNS1_3repE0EEENS1_30default_config_static_selectorELNS0_4arch9wavefront6targetE1EEEvT1_,@function
_ZN7rocprim17ROCPRIM_400000_NS6detail17trampoline_kernelINS0_14default_configENS1_33run_length_encode_config_selectorIN3c104HalfEjNS0_4plusIjEEEEZZNS1_33reduce_by_key_impl_wrapped_configILNS1_25lookback_scan_determinismE0ES3_S9_PKS6_NS0_17constant_iteratorIjlEEPS6_PlSH_S8_NS0_8equal_toIS6_EEEE10hipError_tPvRmT2_T3_mT4_T5_T6_T7_T8_P12ihipStream_tbENKUlT_T0_E_clISt17integral_constantIbLb0EES11_EEDaSW_SX_EUlSW_E_NS1_11comp_targetILNS1_3genE10ELNS1_11target_archE1201ELNS1_3gpuE5ELNS1_3repE0EEENS1_30default_config_static_selectorELNS0_4arch9wavefront6targetE1EEEvT1_: ; @_ZN7rocprim17ROCPRIM_400000_NS6detail17trampoline_kernelINS0_14default_configENS1_33run_length_encode_config_selectorIN3c104HalfEjNS0_4plusIjEEEEZZNS1_33reduce_by_key_impl_wrapped_configILNS1_25lookback_scan_determinismE0ES3_S9_PKS6_NS0_17constant_iteratorIjlEEPS6_PlSH_S8_NS0_8equal_toIS6_EEEE10hipError_tPvRmT2_T3_mT4_T5_T6_T7_T8_P12ihipStream_tbENKUlT_T0_E_clISt17integral_constantIbLb0EES11_EEDaSW_SX_EUlSW_E_NS1_11comp_targetILNS1_3genE10ELNS1_11target_archE1201ELNS1_3gpuE5ELNS1_3repE0EEENS1_30default_config_static_selectorELNS0_4arch9wavefront6targetE1EEEvT1_
; %bb.0:
	.section	.rodata,"a",@progbits
	.p2align	6, 0x0
	.amdhsa_kernel _ZN7rocprim17ROCPRIM_400000_NS6detail17trampoline_kernelINS0_14default_configENS1_33run_length_encode_config_selectorIN3c104HalfEjNS0_4plusIjEEEEZZNS1_33reduce_by_key_impl_wrapped_configILNS1_25lookback_scan_determinismE0ES3_S9_PKS6_NS0_17constant_iteratorIjlEEPS6_PlSH_S8_NS0_8equal_toIS6_EEEE10hipError_tPvRmT2_T3_mT4_T5_T6_T7_T8_P12ihipStream_tbENKUlT_T0_E_clISt17integral_constantIbLb0EES11_EEDaSW_SX_EUlSW_E_NS1_11comp_targetILNS1_3genE10ELNS1_11target_archE1201ELNS1_3gpuE5ELNS1_3repE0EEENS1_30default_config_static_selectorELNS0_4arch9wavefront6targetE1EEEvT1_
		.amdhsa_group_segment_fixed_size 0
		.amdhsa_private_segment_fixed_size 0
		.amdhsa_kernarg_size 128
		.amdhsa_user_sgpr_count 6
		.amdhsa_user_sgpr_private_segment_buffer 1
		.amdhsa_user_sgpr_dispatch_ptr 0
		.amdhsa_user_sgpr_queue_ptr 0
		.amdhsa_user_sgpr_kernarg_segment_ptr 1
		.amdhsa_user_sgpr_dispatch_id 0
		.amdhsa_user_sgpr_flat_scratch_init 0
		.amdhsa_user_sgpr_kernarg_preload_length 0
		.amdhsa_user_sgpr_kernarg_preload_offset 0
		.amdhsa_user_sgpr_private_segment_size 0
		.amdhsa_uses_dynamic_stack 0
		.amdhsa_system_sgpr_private_segment_wavefront_offset 0
		.amdhsa_system_sgpr_workgroup_id_x 1
		.amdhsa_system_sgpr_workgroup_id_y 0
		.amdhsa_system_sgpr_workgroup_id_z 0
		.amdhsa_system_sgpr_workgroup_info 0
		.amdhsa_system_vgpr_workitem_id 0
		.amdhsa_next_free_vgpr 1
		.amdhsa_next_free_sgpr 0
		.amdhsa_accum_offset 4
		.amdhsa_reserve_vcc 0
		.amdhsa_reserve_flat_scratch 0
		.amdhsa_float_round_mode_32 0
		.amdhsa_float_round_mode_16_64 0
		.amdhsa_float_denorm_mode_32 3
		.amdhsa_float_denorm_mode_16_64 3
		.amdhsa_dx10_clamp 1
		.amdhsa_ieee_mode 1
		.amdhsa_fp16_overflow 0
		.amdhsa_tg_split 0
		.amdhsa_exception_fp_ieee_invalid_op 0
		.amdhsa_exception_fp_denorm_src 0
		.amdhsa_exception_fp_ieee_div_zero 0
		.amdhsa_exception_fp_ieee_overflow 0
		.amdhsa_exception_fp_ieee_underflow 0
		.amdhsa_exception_fp_ieee_inexact 0
		.amdhsa_exception_int_div_zero 0
	.end_amdhsa_kernel
	.section	.text._ZN7rocprim17ROCPRIM_400000_NS6detail17trampoline_kernelINS0_14default_configENS1_33run_length_encode_config_selectorIN3c104HalfEjNS0_4plusIjEEEEZZNS1_33reduce_by_key_impl_wrapped_configILNS1_25lookback_scan_determinismE0ES3_S9_PKS6_NS0_17constant_iteratorIjlEEPS6_PlSH_S8_NS0_8equal_toIS6_EEEE10hipError_tPvRmT2_T3_mT4_T5_T6_T7_T8_P12ihipStream_tbENKUlT_T0_E_clISt17integral_constantIbLb0EES11_EEDaSW_SX_EUlSW_E_NS1_11comp_targetILNS1_3genE10ELNS1_11target_archE1201ELNS1_3gpuE5ELNS1_3repE0EEENS1_30default_config_static_selectorELNS0_4arch9wavefront6targetE1EEEvT1_,"axG",@progbits,_ZN7rocprim17ROCPRIM_400000_NS6detail17trampoline_kernelINS0_14default_configENS1_33run_length_encode_config_selectorIN3c104HalfEjNS0_4plusIjEEEEZZNS1_33reduce_by_key_impl_wrapped_configILNS1_25lookback_scan_determinismE0ES3_S9_PKS6_NS0_17constant_iteratorIjlEEPS6_PlSH_S8_NS0_8equal_toIS6_EEEE10hipError_tPvRmT2_T3_mT4_T5_T6_T7_T8_P12ihipStream_tbENKUlT_T0_E_clISt17integral_constantIbLb0EES11_EEDaSW_SX_EUlSW_E_NS1_11comp_targetILNS1_3genE10ELNS1_11target_archE1201ELNS1_3gpuE5ELNS1_3repE0EEENS1_30default_config_static_selectorELNS0_4arch9wavefront6targetE1EEEvT1_,comdat
.Lfunc_end930:
	.size	_ZN7rocprim17ROCPRIM_400000_NS6detail17trampoline_kernelINS0_14default_configENS1_33run_length_encode_config_selectorIN3c104HalfEjNS0_4plusIjEEEEZZNS1_33reduce_by_key_impl_wrapped_configILNS1_25lookback_scan_determinismE0ES3_S9_PKS6_NS0_17constant_iteratorIjlEEPS6_PlSH_S8_NS0_8equal_toIS6_EEEE10hipError_tPvRmT2_T3_mT4_T5_T6_T7_T8_P12ihipStream_tbENKUlT_T0_E_clISt17integral_constantIbLb0EES11_EEDaSW_SX_EUlSW_E_NS1_11comp_targetILNS1_3genE10ELNS1_11target_archE1201ELNS1_3gpuE5ELNS1_3repE0EEENS1_30default_config_static_selectorELNS0_4arch9wavefront6targetE1EEEvT1_, .Lfunc_end930-_ZN7rocprim17ROCPRIM_400000_NS6detail17trampoline_kernelINS0_14default_configENS1_33run_length_encode_config_selectorIN3c104HalfEjNS0_4plusIjEEEEZZNS1_33reduce_by_key_impl_wrapped_configILNS1_25lookback_scan_determinismE0ES3_S9_PKS6_NS0_17constant_iteratorIjlEEPS6_PlSH_S8_NS0_8equal_toIS6_EEEE10hipError_tPvRmT2_T3_mT4_T5_T6_T7_T8_P12ihipStream_tbENKUlT_T0_E_clISt17integral_constantIbLb0EES11_EEDaSW_SX_EUlSW_E_NS1_11comp_targetILNS1_3genE10ELNS1_11target_archE1201ELNS1_3gpuE5ELNS1_3repE0EEENS1_30default_config_static_selectorELNS0_4arch9wavefront6targetE1EEEvT1_
                                        ; -- End function
	.section	.AMDGPU.csdata,"",@progbits
; Kernel info:
; codeLenInByte = 0
; NumSgprs: 4
; NumVgprs: 0
; NumAgprs: 0
; TotalNumVgprs: 0
; ScratchSize: 0
; MemoryBound: 0
; FloatMode: 240
; IeeeMode: 1
; LDSByteSize: 0 bytes/workgroup (compile time only)
; SGPRBlocks: 0
; VGPRBlocks: 0
; NumSGPRsForWavesPerEU: 4
; NumVGPRsForWavesPerEU: 1
; AccumOffset: 4
; Occupancy: 8
; WaveLimiterHint : 0
; COMPUTE_PGM_RSRC2:SCRATCH_EN: 0
; COMPUTE_PGM_RSRC2:USER_SGPR: 6
; COMPUTE_PGM_RSRC2:TRAP_HANDLER: 0
; COMPUTE_PGM_RSRC2:TGID_X_EN: 1
; COMPUTE_PGM_RSRC2:TGID_Y_EN: 0
; COMPUTE_PGM_RSRC2:TGID_Z_EN: 0
; COMPUTE_PGM_RSRC2:TIDIG_COMP_CNT: 0
; COMPUTE_PGM_RSRC3_GFX90A:ACCUM_OFFSET: 0
; COMPUTE_PGM_RSRC3_GFX90A:TG_SPLIT: 0
	.section	.text._ZN7rocprim17ROCPRIM_400000_NS6detail17trampoline_kernelINS0_14default_configENS1_33run_length_encode_config_selectorIN3c104HalfEjNS0_4plusIjEEEEZZNS1_33reduce_by_key_impl_wrapped_configILNS1_25lookback_scan_determinismE0ES3_S9_PKS6_NS0_17constant_iteratorIjlEEPS6_PlSH_S8_NS0_8equal_toIS6_EEEE10hipError_tPvRmT2_T3_mT4_T5_T6_T7_T8_P12ihipStream_tbENKUlT_T0_E_clISt17integral_constantIbLb0EES11_EEDaSW_SX_EUlSW_E_NS1_11comp_targetILNS1_3genE10ELNS1_11target_archE1200ELNS1_3gpuE4ELNS1_3repE0EEENS1_30default_config_static_selectorELNS0_4arch9wavefront6targetE1EEEvT1_,"axG",@progbits,_ZN7rocprim17ROCPRIM_400000_NS6detail17trampoline_kernelINS0_14default_configENS1_33run_length_encode_config_selectorIN3c104HalfEjNS0_4plusIjEEEEZZNS1_33reduce_by_key_impl_wrapped_configILNS1_25lookback_scan_determinismE0ES3_S9_PKS6_NS0_17constant_iteratorIjlEEPS6_PlSH_S8_NS0_8equal_toIS6_EEEE10hipError_tPvRmT2_T3_mT4_T5_T6_T7_T8_P12ihipStream_tbENKUlT_T0_E_clISt17integral_constantIbLb0EES11_EEDaSW_SX_EUlSW_E_NS1_11comp_targetILNS1_3genE10ELNS1_11target_archE1200ELNS1_3gpuE4ELNS1_3repE0EEENS1_30default_config_static_selectorELNS0_4arch9wavefront6targetE1EEEvT1_,comdat
	.protected	_ZN7rocprim17ROCPRIM_400000_NS6detail17trampoline_kernelINS0_14default_configENS1_33run_length_encode_config_selectorIN3c104HalfEjNS0_4plusIjEEEEZZNS1_33reduce_by_key_impl_wrapped_configILNS1_25lookback_scan_determinismE0ES3_S9_PKS6_NS0_17constant_iteratorIjlEEPS6_PlSH_S8_NS0_8equal_toIS6_EEEE10hipError_tPvRmT2_T3_mT4_T5_T6_T7_T8_P12ihipStream_tbENKUlT_T0_E_clISt17integral_constantIbLb0EES11_EEDaSW_SX_EUlSW_E_NS1_11comp_targetILNS1_3genE10ELNS1_11target_archE1200ELNS1_3gpuE4ELNS1_3repE0EEENS1_30default_config_static_selectorELNS0_4arch9wavefront6targetE1EEEvT1_ ; -- Begin function _ZN7rocprim17ROCPRIM_400000_NS6detail17trampoline_kernelINS0_14default_configENS1_33run_length_encode_config_selectorIN3c104HalfEjNS0_4plusIjEEEEZZNS1_33reduce_by_key_impl_wrapped_configILNS1_25lookback_scan_determinismE0ES3_S9_PKS6_NS0_17constant_iteratorIjlEEPS6_PlSH_S8_NS0_8equal_toIS6_EEEE10hipError_tPvRmT2_T3_mT4_T5_T6_T7_T8_P12ihipStream_tbENKUlT_T0_E_clISt17integral_constantIbLb0EES11_EEDaSW_SX_EUlSW_E_NS1_11comp_targetILNS1_3genE10ELNS1_11target_archE1200ELNS1_3gpuE4ELNS1_3repE0EEENS1_30default_config_static_selectorELNS0_4arch9wavefront6targetE1EEEvT1_
	.globl	_ZN7rocprim17ROCPRIM_400000_NS6detail17trampoline_kernelINS0_14default_configENS1_33run_length_encode_config_selectorIN3c104HalfEjNS0_4plusIjEEEEZZNS1_33reduce_by_key_impl_wrapped_configILNS1_25lookback_scan_determinismE0ES3_S9_PKS6_NS0_17constant_iteratorIjlEEPS6_PlSH_S8_NS0_8equal_toIS6_EEEE10hipError_tPvRmT2_T3_mT4_T5_T6_T7_T8_P12ihipStream_tbENKUlT_T0_E_clISt17integral_constantIbLb0EES11_EEDaSW_SX_EUlSW_E_NS1_11comp_targetILNS1_3genE10ELNS1_11target_archE1200ELNS1_3gpuE4ELNS1_3repE0EEENS1_30default_config_static_selectorELNS0_4arch9wavefront6targetE1EEEvT1_
	.p2align	8
	.type	_ZN7rocprim17ROCPRIM_400000_NS6detail17trampoline_kernelINS0_14default_configENS1_33run_length_encode_config_selectorIN3c104HalfEjNS0_4plusIjEEEEZZNS1_33reduce_by_key_impl_wrapped_configILNS1_25lookback_scan_determinismE0ES3_S9_PKS6_NS0_17constant_iteratorIjlEEPS6_PlSH_S8_NS0_8equal_toIS6_EEEE10hipError_tPvRmT2_T3_mT4_T5_T6_T7_T8_P12ihipStream_tbENKUlT_T0_E_clISt17integral_constantIbLb0EES11_EEDaSW_SX_EUlSW_E_NS1_11comp_targetILNS1_3genE10ELNS1_11target_archE1200ELNS1_3gpuE4ELNS1_3repE0EEENS1_30default_config_static_selectorELNS0_4arch9wavefront6targetE1EEEvT1_,@function
_ZN7rocprim17ROCPRIM_400000_NS6detail17trampoline_kernelINS0_14default_configENS1_33run_length_encode_config_selectorIN3c104HalfEjNS0_4plusIjEEEEZZNS1_33reduce_by_key_impl_wrapped_configILNS1_25lookback_scan_determinismE0ES3_S9_PKS6_NS0_17constant_iteratorIjlEEPS6_PlSH_S8_NS0_8equal_toIS6_EEEE10hipError_tPvRmT2_T3_mT4_T5_T6_T7_T8_P12ihipStream_tbENKUlT_T0_E_clISt17integral_constantIbLb0EES11_EEDaSW_SX_EUlSW_E_NS1_11comp_targetILNS1_3genE10ELNS1_11target_archE1200ELNS1_3gpuE4ELNS1_3repE0EEENS1_30default_config_static_selectorELNS0_4arch9wavefront6targetE1EEEvT1_: ; @_ZN7rocprim17ROCPRIM_400000_NS6detail17trampoline_kernelINS0_14default_configENS1_33run_length_encode_config_selectorIN3c104HalfEjNS0_4plusIjEEEEZZNS1_33reduce_by_key_impl_wrapped_configILNS1_25lookback_scan_determinismE0ES3_S9_PKS6_NS0_17constant_iteratorIjlEEPS6_PlSH_S8_NS0_8equal_toIS6_EEEE10hipError_tPvRmT2_T3_mT4_T5_T6_T7_T8_P12ihipStream_tbENKUlT_T0_E_clISt17integral_constantIbLb0EES11_EEDaSW_SX_EUlSW_E_NS1_11comp_targetILNS1_3genE10ELNS1_11target_archE1200ELNS1_3gpuE4ELNS1_3repE0EEENS1_30default_config_static_selectorELNS0_4arch9wavefront6targetE1EEEvT1_
; %bb.0:
	.section	.rodata,"a",@progbits
	.p2align	6, 0x0
	.amdhsa_kernel _ZN7rocprim17ROCPRIM_400000_NS6detail17trampoline_kernelINS0_14default_configENS1_33run_length_encode_config_selectorIN3c104HalfEjNS0_4plusIjEEEEZZNS1_33reduce_by_key_impl_wrapped_configILNS1_25lookback_scan_determinismE0ES3_S9_PKS6_NS0_17constant_iteratorIjlEEPS6_PlSH_S8_NS0_8equal_toIS6_EEEE10hipError_tPvRmT2_T3_mT4_T5_T6_T7_T8_P12ihipStream_tbENKUlT_T0_E_clISt17integral_constantIbLb0EES11_EEDaSW_SX_EUlSW_E_NS1_11comp_targetILNS1_3genE10ELNS1_11target_archE1200ELNS1_3gpuE4ELNS1_3repE0EEENS1_30default_config_static_selectorELNS0_4arch9wavefront6targetE1EEEvT1_
		.amdhsa_group_segment_fixed_size 0
		.amdhsa_private_segment_fixed_size 0
		.amdhsa_kernarg_size 128
		.amdhsa_user_sgpr_count 6
		.amdhsa_user_sgpr_private_segment_buffer 1
		.amdhsa_user_sgpr_dispatch_ptr 0
		.amdhsa_user_sgpr_queue_ptr 0
		.amdhsa_user_sgpr_kernarg_segment_ptr 1
		.amdhsa_user_sgpr_dispatch_id 0
		.amdhsa_user_sgpr_flat_scratch_init 0
		.amdhsa_user_sgpr_kernarg_preload_length 0
		.amdhsa_user_sgpr_kernarg_preload_offset 0
		.amdhsa_user_sgpr_private_segment_size 0
		.amdhsa_uses_dynamic_stack 0
		.amdhsa_system_sgpr_private_segment_wavefront_offset 0
		.amdhsa_system_sgpr_workgroup_id_x 1
		.amdhsa_system_sgpr_workgroup_id_y 0
		.amdhsa_system_sgpr_workgroup_id_z 0
		.amdhsa_system_sgpr_workgroup_info 0
		.amdhsa_system_vgpr_workitem_id 0
		.amdhsa_next_free_vgpr 1
		.amdhsa_next_free_sgpr 0
		.amdhsa_accum_offset 4
		.amdhsa_reserve_vcc 0
		.amdhsa_reserve_flat_scratch 0
		.amdhsa_float_round_mode_32 0
		.amdhsa_float_round_mode_16_64 0
		.amdhsa_float_denorm_mode_32 3
		.amdhsa_float_denorm_mode_16_64 3
		.amdhsa_dx10_clamp 1
		.amdhsa_ieee_mode 1
		.amdhsa_fp16_overflow 0
		.amdhsa_tg_split 0
		.amdhsa_exception_fp_ieee_invalid_op 0
		.amdhsa_exception_fp_denorm_src 0
		.amdhsa_exception_fp_ieee_div_zero 0
		.amdhsa_exception_fp_ieee_overflow 0
		.amdhsa_exception_fp_ieee_underflow 0
		.amdhsa_exception_fp_ieee_inexact 0
		.amdhsa_exception_int_div_zero 0
	.end_amdhsa_kernel
	.section	.text._ZN7rocprim17ROCPRIM_400000_NS6detail17trampoline_kernelINS0_14default_configENS1_33run_length_encode_config_selectorIN3c104HalfEjNS0_4plusIjEEEEZZNS1_33reduce_by_key_impl_wrapped_configILNS1_25lookback_scan_determinismE0ES3_S9_PKS6_NS0_17constant_iteratorIjlEEPS6_PlSH_S8_NS0_8equal_toIS6_EEEE10hipError_tPvRmT2_T3_mT4_T5_T6_T7_T8_P12ihipStream_tbENKUlT_T0_E_clISt17integral_constantIbLb0EES11_EEDaSW_SX_EUlSW_E_NS1_11comp_targetILNS1_3genE10ELNS1_11target_archE1200ELNS1_3gpuE4ELNS1_3repE0EEENS1_30default_config_static_selectorELNS0_4arch9wavefront6targetE1EEEvT1_,"axG",@progbits,_ZN7rocprim17ROCPRIM_400000_NS6detail17trampoline_kernelINS0_14default_configENS1_33run_length_encode_config_selectorIN3c104HalfEjNS0_4plusIjEEEEZZNS1_33reduce_by_key_impl_wrapped_configILNS1_25lookback_scan_determinismE0ES3_S9_PKS6_NS0_17constant_iteratorIjlEEPS6_PlSH_S8_NS0_8equal_toIS6_EEEE10hipError_tPvRmT2_T3_mT4_T5_T6_T7_T8_P12ihipStream_tbENKUlT_T0_E_clISt17integral_constantIbLb0EES11_EEDaSW_SX_EUlSW_E_NS1_11comp_targetILNS1_3genE10ELNS1_11target_archE1200ELNS1_3gpuE4ELNS1_3repE0EEENS1_30default_config_static_selectorELNS0_4arch9wavefront6targetE1EEEvT1_,comdat
.Lfunc_end931:
	.size	_ZN7rocprim17ROCPRIM_400000_NS6detail17trampoline_kernelINS0_14default_configENS1_33run_length_encode_config_selectorIN3c104HalfEjNS0_4plusIjEEEEZZNS1_33reduce_by_key_impl_wrapped_configILNS1_25lookback_scan_determinismE0ES3_S9_PKS6_NS0_17constant_iteratorIjlEEPS6_PlSH_S8_NS0_8equal_toIS6_EEEE10hipError_tPvRmT2_T3_mT4_T5_T6_T7_T8_P12ihipStream_tbENKUlT_T0_E_clISt17integral_constantIbLb0EES11_EEDaSW_SX_EUlSW_E_NS1_11comp_targetILNS1_3genE10ELNS1_11target_archE1200ELNS1_3gpuE4ELNS1_3repE0EEENS1_30default_config_static_selectorELNS0_4arch9wavefront6targetE1EEEvT1_, .Lfunc_end931-_ZN7rocprim17ROCPRIM_400000_NS6detail17trampoline_kernelINS0_14default_configENS1_33run_length_encode_config_selectorIN3c104HalfEjNS0_4plusIjEEEEZZNS1_33reduce_by_key_impl_wrapped_configILNS1_25lookback_scan_determinismE0ES3_S9_PKS6_NS0_17constant_iteratorIjlEEPS6_PlSH_S8_NS0_8equal_toIS6_EEEE10hipError_tPvRmT2_T3_mT4_T5_T6_T7_T8_P12ihipStream_tbENKUlT_T0_E_clISt17integral_constantIbLb0EES11_EEDaSW_SX_EUlSW_E_NS1_11comp_targetILNS1_3genE10ELNS1_11target_archE1200ELNS1_3gpuE4ELNS1_3repE0EEENS1_30default_config_static_selectorELNS0_4arch9wavefront6targetE1EEEvT1_
                                        ; -- End function
	.section	.AMDGPU.csdata,"",@progbits
; Kernel info:
; codeLenInByte = 0
; NumSgprs: 4
; NumVgprs: 0
; NumAgprs: 0
; TotalNumVgprs: 0
; ScratchSize: 0
; MemoryBound: 0
; FloatMode: 240
; IeeeMode: 1
; LDSByteSize: 0 bytes/workgroup (compile time only)
; SGPRBlocks: 0
; VGPRBlocks: 0
; NumSGPRsForWavesPerEU: 4
; NumVGPRsForWavesPerEU: 1
; AccumOffset: 4
; Occupancy: 8
; WaveLimiterHint : 0
; COMPUTE_PGM_RSRC2:SCRATCH_EN: 0
; COMPUTE_PGM_RSRC2:USER_SGPR: 6
; COMPUTE_PGM_RSRC2:TRAP_HANDLER: 0
; COMPUTE_PGM_RSRC2:TGID_X_EN: 1
; COMPUTE_PGM_RSRC2:TGID_Y_EN: 0
; COMPUTE_PGM_RSRC2:TGID_Z_EN: 0
; COMPUTE_PGM_RSRC2:TIDIG_COMP_CNT: 0
; COMPUTE_PGM_RSRC3_GFX90A:ACCUM_OFFSET: 0
; COMPUTE_PGM_RSRC3_GFX90A:TG_SPLIT: 0
	.section	.text._ZN7rocprim17ROCPRIM_400000_NS6detail17trampoline_kernelINS0_14default_configENS1_33run_length_encode_config_selectorIN3c104HalfEjNS0_4plusIjEEEEZZNS1_33reduce_by_key_impl_wrapped_configILNS1_25lookback_scan_determinismE0ES3_S9_PKS6_NS0_17constant_iteratorIjlEEPS6_PlSH_S8_NS0_8equal_toIS6_EEEE10hipError_tPvRmT2_T3_mT4_T5_T6_T7_T8_P12ihipStream_tbENKUlT_T0_E_clISt17integral_constantIbLb0EES11_EEDaSW_SX_EUlSW_E_NS1_11comp_targetILNS1_3genE9ELNS1_11target_archE1100ELNS1_3gpuE3ELNS1_3repE0EEENS1_30default_config_static_selectorELNS0_4arch9wavefront6targetE1EEEvT1_,"axG",@progbits,_ZN7rocprim17ROCPRIM_400000_NS6detail17trampoline_kernelINS0_14default_configENS1_33run_length_encode_config_selectorIN3c104HalfEjNS0_4plusIjEEEEZZNS1_33reduce_by_key_impl_wrapped_configILNS1_25lookback_scan_determinismE0ES3_S9_PKS6_NS0_17constant_iteratorIjlEEPS6_PlSH_S8_NS0_8equal_toIS6_EEEE10hipError_tPvRmT2_T3_mT4_T5_T6_T7_T8_P12ihipStream_tbENKUlT_T0_E_clISt17integral_constantIbLb0EES11_EEDaSW_SX_EUlSW_E_NS1_11comp_targetILNS1_3genE9ELNS1_11target_archE1100ELNS1_3gpuE3ELNS1_3repE0EEENS1_30default_config_static_selectorELNS0_4arch9wavefront6targetE1EEEvT1_,comdat
	.protected	_ZN7rocprim17ROCPRIM_400000_NS6detail17trampoline_kernelINS0_14default_configENS1_33run_length_encode_config_selectorIN3c104HalfEjNS0_4plusIjEEEEZZNS1_33reduce_by_key_impl_wrapped_configILNS1_25lookback_scan_determinismE0ES3_S9_PKS6_NS0_17constant_iteratorIjlEEPS6_PlSH_S8_NS0_8equal_toIS6_EEEE10hipError_tPvRmT2_T3_mT4_T5_T6_T7_T8_P12ihipStream_tbENKUlT_T0_E_clISt17integral_constantIbLb0EES11_EEDaSW_SX_EUlSW_E_NS1_11comp_targetILNS1_3genE9ELNS1_11target_archE1100ELNS1_3gpuE3ELNS1_3repE0EEENS1_30default_config_static_selectorELNS0_4arch9wavefront6targetE1EEEvT1_ ; -- Begin function _ZN7rocprim17ROCPRIM_400000_NS6detail17trampoline_kernelINS0_14default_configENS1_33run_length_encode_config_selectorIN3c104HalfEjNS0_4plusIjEEEEZZNS1_33reduce_by_key_impl_wrapped_configILNS1_25lookback_scan_determinismE0ES3_S9_PKS6_NS0_17constant_iteratorIjlEEPS6_PlSH_S8_NS0_8equal_toIS6_EEEE10hipError_tPvRmT2_T3_mT4_T5_T6_T7_T8_P12ihipStream_tbENKUlT_T0_E_clISt17integral_constantIbLb0EES11_EEDaSW_SX_EUlSW_E_NS1_11comp_targetILNS1_3genE9ELNS1_11target_archE1100ELNS1_3gpuE3ELNS1_3repE0EEENS1_30default_config_static_selectorELNS0_4arch9wavefront6targetE1EEEvT1_
	.globl	_ZN7rocprim17ROCPRIM_400000_NS6detail17trampoline_kernelINS0_14default_configENS1_33run_length_encode_config_selectorIN3c104HalfEjNS0_4plusIjEEEEZZNS1_33reduce_by_key_impl_wrapped_configILNS1_25lookback_scan_determinismE0ES3_S9_PKS6_NS0_17constant_iteratorIjlEEPS6_PlSH_S8_NS0_8equal_toIS6_EEEE10hipError_tPvRmT2_T3_mT4_T5_T6_T7_T8_P12ihipStream_tbENKUlT_T0_E_clISt17integral_constantIbLb0EES11_EEDaSW_SX_EUlSW_E_NS1_11comp_targetILNS1_3genE9ELNS1_11target_archE1100ELNS1_3gpuE3ELNS1_3repE0EEENS1_30default_config_static_selectorELNS0_4arch9wavefront6targetE1EEEvT1_
	.p2align	8
	.type	_ZN7rocprim17ROCPRIM_400000_NS6detail17trampoline_kernelINS0_14default_configENS1_33run_length_encode_config_selectorIN3c104HalfEjNS0_4plusIjEEEEZZNS1_33reduce_by_key_impl_wrapped_configILNS1_25lookback_scan_determinismE0ES3_S9_PKS6_NS0_17constant_iteratorIjlEEPS6_PlSH_S8_NS0_8equal_toIS6_EEEE10hipError_tPvRmT2_T3_mT4_T5_T6_T7_T8_P12ihipStream_tbENKUlT_T0_E_clISt17integral_constantIbLb0EES11_EEDaSW_SX_EUlSW_E_NS1_11comp_targetILNS1_3genE9ELNS1_11target_archE1100ELNS1_3gpuE3ELNS1_3repE0EEENS1_30default_config_static_selectorELNS0_4arch9wavefront6targetE1EEEvT1_,@function
_ZN7rocprim17ROCPRIM_400000_NS6detail17trampoline_kernelINS0_14default_configENS1_33run_length_encode_config_selectorIN3c104HalfEjNS0_4plusIjEEEEZZNS1_33reduce_by_key_impl_wrapped_configILNS1_25lookback_scan_determinismE0ES3_S9_PKS6_NS0_17constant_iteratorIjlEEPS6_PlSH_S8_NS0_8equal_toIS6_EEEE10hipError_tPvRmT2_T3_mT4_T5_T6_T7_T8_P12ihipStream_tbENKUlT_T0_E_clISt17integral_constantIbLb0EES11_EEDaSW_SX_EUlSW_E_NS1_11comp_targetILNS1_3genE9ELNS1_11target_archE1100ELNS1_3gpuE3ELNS1_3repE0EEENS1_30default_config_static_selectorELNS0_4arch9wavefront6targetE1EEEvT1_: ; @_ZN7rocprim17ROCPRIM_400000_NS6detail17trampoline_kernelINS0_14default_configENS1_33run_length_encode_config_selectorIN3c104HalfEjNS0_4plusIjEEEEZZNS1_33reduce_by_key_impl_wrapped_configILNS1_25lookback_scan_determinismE0ES3_S9_PKS6_NS0_17constant_iteratorIjlEEPS6_PlSH_S8_NS0_8equal_toIS6_EEEE10hipError_tPvRmT2_T3_mT4_T5_T6_T7_T8_P12ihipStream_tbENKUlT_T0_E_clISt17integral_constantIbLb0EES11_EEDaSW_SX_EUlSW_E_NS1_11comp_targetILNS1_3genE9ELNS1_11target_archE1100ELNS1_3gpuE3ELNS1_3repE0EEENS1_30default_config_static_selectorELNS0_4arch9wavefront6targetE1EEEvT1_
; %bb.0:
	.section	.rodata,"a",@progbits
	.p2align	6, 0x0
	.amdhsa_kernel _ZN7rocprim17ROCPRIM_400000_NS6detail17trampoline_kernelINS0_14default_configENS1_33run_length_encode_config_selectorIN3c104HalfEjNS0_4plusIjEEEEZZNS1_33reduce_by_key_impl_wrapped_configILNS1_25lookback_scan_determinismE0ES3_S9_PKS6_NS0_17constant_iteratorIjlEEPS6_PlSH_S8_NS0_8equal_toIS6_EEEE10hipError_tPvRmT2_T3_mT4_T5_T6_T7_T8_P12ihipStream_tbENKUlT_T0_E_clISt17integral_constantIbLb0EES11_EEDaSW_SX_EUlSW_E_NS1_11comp_targetILNS1_3genE9ELNS1_11target_archE1100ELNS1_3gpuE3ELNS1_3repE0EEENS1_30default_config_static_selectorELNS0_4arch9wavefront6targetE1EEEvT1_
		.amdhsa_group_segment_fixed_size 0
		.amdhsa_private_segment_fixed_size 0
		.amdhsa_kernarg_size 128
		.amdhsa_user_sgpr_count 6
		.amdhsa_user_sgpr_private_segment_buffer 1
		.amdhsa_user_sgpr_dispatch_ptr 0
		.amdhsa_user_sgpr_queue_ptr 0
		.amdhsa_user_sgpr_kernarg_segment_ptr 1
		.amdhsa_user_sgpr_dispatch_id 0
		.amdhsa_user_sgpr_flat_scratch_init 0
		.amdhsa_user_sgpr_kernarg_preload_length 0
		.amdhsa_user_sgpr_kernarg_preload_offset 0
		.amdhsa_user_sgpr_private_segment_size 0
		.amdhsa_uses_dynamic_stack 0
		.amdhsa_system_sgpr_private_segment_wavefront_offset 0
		.amdhsa_system_sgpr_workgroup_id_x 1
		.amdhsa_system_sgpr_workgroup_id_y 0
		.amdhsa_system_sgpr_workgroup_id_z 0
		.amdhsa_system_sgpr_workgroup_info 0
		.amdhsa_system_vgpr_workitem_id 0
		.amdhsa_next_free_vgpr 1
		.amdhsa_next_free_sgpr 0
		.amdhsa_accum_offset 4
		.amdhsa_reserve_vcc 0
		.amdhsa_reserve_flat_scratch 0
		.amdhsa_float_round_mode_32 0
		.amdhsa_float_round_mode_16_64 0
		.amdhsa_float_denorm_mode_32 3
		.amdhsa_float_denorm_mode_16_64 3
		.amdhsa_dx10_clamp 1
		.amdhsa_ieee_mode 1
		.amdhsa_fp16_overflow 0
		.amdhsa_tg_split 0
		.amdhsa_exception_fp_ieee_invalid_op 0
		.amdhsa_exception_fp_denorm_src 0
		.amdhsa_exception_fp_ieee_div_zero 0
		.amdhsa_exception_fp_ieee_overflow 0
		.amdhsa_exception_fp_ieee_underflow 0
		.amdhsa_exception_fp_ieee_inexact 0
		.amdhsa_exception_int_div_zero 0
	.end_amdhsa_kernel
	.section	.text._ZN7rocprim17ROCPRIM_400000_NS6detail17trampoline_kernelINS0_14default_configENS1_33run_length_encode_config_selectorIN3c104HalfEjNS0_4plusIjEEEEZZNS1_33reduce_by_key_impl_wrapped_configILNS1_25lookback_scan_determinismE0ES3_S9_PKS6_NS0_17constant_iteratorIjlEEPS6_PlSH_S8_NS0_8equal_toIS6_EEEE10hipError_tPvRmT2_T3_mT4_T5_T6_T7_T8_P12ihipStream_tbENKUlT_T0_E_clISt17integral_constantIbLb0EES11_EEDaSW_SX_EUlSW_E_NS1_11comp_targetILNS1_3genE9ELNS1_11target_archE1100ELNS1_3gpuE3ELNS1_3repE0EEENS1_30default_config_static_selectorELNS0_4arch9wavefront6targetE1EEEvT1_,"axG",@progbits,_ZN7rocprim17ROCPRIM_400000_NS6detail17trampoline_kernelINS0_14default_configENS1_33run_length_encode_config_selectorIN3c104HalfEjNS0_4plusIjEEEEZZNS1_33reduce_by_key_impl_wrapped_configILNS1_25lookback_scan_determinismE0ES3_S9_PKS6_NS0_17constant_iteratorIjlEEPS6_PlSH_S8_NS0_8equal_toIS6_EEEE10hipError_tPvRmT2_T3_mT4_T5_T6_T7_T8_P12ihipStream_tbENKUlT_T0_E_clISt17integral_constantIbLb0EES11_EEDaSW_SX_EUlSW_E_NS1_11comp_targetILNS1_3genE9ELNS1_11target_archE1100ELNS1_3gpuE3ELNS1_3repE0EEENS1_30default_config_static_selectorELNS0_4arch9wavefront6targetE1EEEvT1_,comdat
.Lfunc_end932:
	.size	_ZN7rocprim17ROCPRIM_400000_NS6detail17trampoline_kernelINS0_14default_configENS1_33run_length_encode_config_selectorIN3c104HalfEjNS0_4plusIjEEEEZZNS1_33reduce_by_key_impl_wrapped_configILNS1_25lookback_scan_determinismE0ES3_S9_PKS6_NS0_17constant_iteratorIjlEEPS6_PlSH_S8_NS0_8equal_toIS6_EEEE10hipError_tPvRmT2_T3_mT4_T5_T6_T7_T8_P12ihipStream_tbENKUlT_T0_E_clISt17integral_constantIbLb0EES11_EEDaSW_SX_EUlSW_E_NS1_11comp_targetILNS1_3genE9ELNS1_11target_archE1100ELNS1_3gpuE3ELNS1_3repE0EEENS1_30default_config_static_selectorELNS0_4arch9wavefront6targetE1EEEvT1_, .Lfunc_end932-_ZN7rocprim17ROCPRIM_400000_NS6detail17trampoline_kernelINS0_14default_configENS1_33run_length_encode_config_selectorIN3c104HalfEjNS0_4plusIjEEEEZZNS1_33reduce_by_key_impl_wrapped_configILNS1_25lookback_scan_determinismE0ES3_S9_PKS6_NS0_17constant_iteratorIjlEEPS6_PlSH_S8_NS0_8equal_toIS6_EEEE10hipError_tPvRmT2_T3_mT4_T5_T6_T7_T8_P12ihipStream_tbENKUlT_T0_E_clISt17integral_constantIbLb0EES11_EEDaSW_SX_EUlSW_E_NS1_11comp_targetILNS1_3genE9ELNS1_11target_archE1100ELNS1_3gpuE3ELNS1_3repE0EEENS1_30default_config_static_selectorELNS0_4arch9wavefront6targetE1EEEvT1_
                                        ; -- End function
	.section	.AMDGPU.csdata,"",@progbits
; Kernel info:
; codeLenInByte = 0
; NumSgprs: 4
; NumVgprs: 0
; NumAgprs: 0
; TotalNumVgprs: 0
; ScratchSize: 0
; MemoryBound: 0
; FloatMode: 240
; IeeeMode: 1
; LDSByteSize: 0 bytes/workgroup (compile time only)
; SGPRBlocks: 0
; VGPRBlocks: 0
; NumSGPRsForWavesPerEU: 4
; NumVGPRsForWavesPerEU: 1
; AccumOffset: 4
; Occupancy: 8
; WaveLimiterHint : 0
; COMPUTE_PGM_RSRC2:SCRATCH_EN: 0
; COMPUTE_PGM_RSRC2:USER_SGPR: 6
; COMPUTE_PGM_RSRC2:TRAP_HANDLER: 0
; COMPUTE_PGM_RSRC2:TGID_X_EN: 1
; COMPUTE_PGM_RSRC2:TGID_Y_EN: 0
; COMPUTE_PGM_RSRC2:TGID_Z_EN: 0
; COMPUTE_PGM_RSRC2:TIDIG_COMP_CNT: 0
; COMPUTE_PGM_RSRC3_GFX90A:ACCUM_OFFSET: 0
; COMPUTE_PGM_RSRC3_GFX90A:TG_SPLIT: 0
	.section	.text._ZN7rocprim17ROCPRIM_400000_NS6detail17trampoline_kernelINS0_14default_configENS1_33run_length_encode_config_selectorIN3c104HalfEjNS0_4plusIjEEEEZZNS1_33reduce_by_key_impl_wrapped_configILNS1_25lookback_scan_determinismE0ES3_S9_PKS6_NS0_17constant_iteratorIjlEEPS6_PlSH_S8_NS0_8equal_toIS6_EEEE10hipError_tPvRmT2_T3_mT4_T5_T6_T7_T8_P12ihipStream_tbENKUlT_T0_E_clISt17integral_constantIbLb0EES11_EEDaSW_SX_EUlSW_E_NS1_11comp_targetILNS1_3genE8ELNS1_11target_archE1030ELNS1_3gpuE2ELNS1_3repE0EEENS1_30default_config_static_selectorELNS0_4arch9wavefront6targetE1EEEvT1_,"axG",@progbits,_ZN7rocprim17ROCPRIM_400000_NS6detail17trampoline_kernelINS0_14default_configENS1_33run_length_encode_config_selectorIN3c104HalfEjNS0_4plusIjEEEEZZNS1_33reduce_by_key_impl_wrapped_configILNS1_25lookback_scan_determinismE0ES3_S9_PKS6_NS0_17constant_iteratorIjlEEPS6_PlSH_S8_NS0_8equal_toIS6_EEEE10hipError_tPvRmT2_T3_mT4_T5_T6_T7_T8_P12ihipStream_tbENKUlT_T0_E_clISt17integral_constantIbLb0EES11_EEDaSW_SX_EUlSW_E_NS1_11comp_targetILNS1_3genE8ELNS1_11target_archE1030ELNS1_3gpuE2ELNS1_3repE0EEENS1_30default_config_static_selectorELNS0_4arch9wavefront6targetE1EEEvT1_,comdat
	.protected	_ZN7rocprim17ROCPRIM_400000_NS6detail17trampoline_kernelINS0_14default_configENS1_33run_length_encode_config_selectorIN3c104HalfEjNS0_4plusIjEEEEZZNS1_33reduce_by_key_impl_wrapped_configILNS1_25lookback_scan_determinismE0ES3_S9_PKS6_NS0_17constant_iteratorIjlEEPS6_PlSH_S8_NS0_8equal_toIS6_EEEE10hipError_tPvRmT2_T3_mT4_T5_T6_T7_T8_P12ihipStream_tbENKUlT_T0_E_clISt17integral_constantIbLb0EES11_EEDaSW_SX_EUlSW_E_NS1_11comp_targetILNS1_3genE8ELNS1_11target_archE1030ELNS1_3gpuE2ELNS1_3repE0EEENS1_30default_config_static_selectorELNS0_4arch9wavefront6targetE1EEEvT1_ ; -- Begin function _ZN7rocprim17ROCPRIM_400000_NS6detail17trampoline_kernelINS0_14default_configENS1_33run_length_encode_config_selectorIN3c104HalfEjNS0_4plusIjEEEEZZNS1_33reduce_by_key_impl_wrapped_configILNS1_25lookback_scan_determinismE0ES3_S9_PKS6_NS0_17constant_iteratorIjlEEPS6_PlSH_S8_NS0_8equal_toIS6_EEEE10hipError_tPvRmT2_T3_mT4_T5_T6_T7_T8_P12ihipStream_tbENKUlT_T0_E_clISt17integral_constantIbLb0EES11_EEDaSW_SX_EUlSW_E_NS1_11comp_targetILNS1_3genE8ELNS1_11target_archE1030ELNS1_3gpuE2ELNS1_3repE0EEENS1_30default_config_static_selectorELNS0_4arch9wavefront6targetE1EEEvT1_
	.globl	_ZN7rocprim17ROCPRIM_400000_NS6detail17trampoline_kernelINS0_14default_configENS1_33run_length_encode_config_selectorIN3c104HalfEjNS0_4plusIjEEEEZZNS1_33reduce_by_key_impl_wrapped_configILNS1_25lookback_scan_determinismE0ES3_S9_PKS6_NS0_17constant_iteratorIjlEEPS6_PlSH_S8_NS0_8equal_toIS6_EEEE10hipError_tPvRmT2_T3_mT4_T5_T6_T7_T8_P12ihipStream_tbENKUlT_T0_E_clISt17integral_constantIbLb0EES11_EEDaSW_SX_EUlSW_E_NS1_11comp_targetILNS1_3genE8ELNS1_11target_archE1030ELNS1_3gpuE2ELNS1_3repE0EEENS1_30default_config_static_selectorELNS0_4arch9wavefront6targetE1EEEvT1_
	.p2align	8
	.type	_ZN7rocprim17ROCPRIM_400000_NS6detail17trampoline_kernelINS0_14default_configENS1_33run_length_encode_config_selectorIN3c104HalfEjNS0_4plusIjEEEEZZNS1_33reduce_by_key_impl_wrapped_configILNS1_25lookback_scan_determinismE0ES3_S9_PKS6_NS0_17constant_iteratorIjlEEPS6_PlSH_S8_NS0_8equal_toIS6_EEEE10hipError_tPvRmT2_T3_mT4_T5_T6_T7_T8_P12ihipStream_tbENKUlT_T0_E_clISt17integral_constantIbLb0EES11_EEDaSW_SX_EUlSW_E_NS1_11comp_targetILNS1_3genE8ELNS1_11target_archE1030ELNS1_3gpuE2ELNS1_3repE0EEENS1_30default_config_static_selectorELNS0_4arch9wavefront6targetE1EEEvT1_,@function
_ZN7rocprim17ROCPRIM_400000_NS6detail17trampoline_kernelINS0_14default_configENS1_33run_length_encode_config_selectorIN3c104HalfEjNS0_4plusIjEEEEZZNS1_33reduce_by_key_impl_wrapped_configILNS1_25lookback_scan_determinismE0ES3_S9_PKS6_NS0_17constant_iteratorIjlEEPS6_PlSH_S8_NS0_8equal_toIS6_EEEE10hipError_tPvRmT2_T3_mT4_T5_T6_T7_T8_P12ihipStream_tbENKUlT_T0_E_clISt17integral_constantIbLb0EES11_EEDaSW_SX_EUlSW_E_NS1_11comp_targetILNS1_3genE8ELNS1_11target_archE1030ELNS1_3gpuE2ELNS1_3repE0EEENS1_30default_config_static_selectorELNS0_4arch9wavefront6targetE1EEEvT1_: ; @_ZN7rocprim17ROCPRIM_400000_NS6detail17trampoline_kernelINS0_14default_configENS1_33run_length_encode_config_selectorIN3c104HalfEjNS0_4plusIjEEEEZZNS1_33reduce_by_key_impl_wrapped_configILNS1_25lookback_scan_determinismE0ES3_S9_PKS6_NS0_17constant_iteratorIjlEEPS6_PlSH_S8_NS0_8equal_toIS6_EEEE10hipError_tPvRmT2_T3_mT4_T5_T6_T7_T8_P12ihipStream_tbENKUlT_T0_E_clISt17integral_constantIbLb0EES11_EEDaSW_SX_EUlSW_E_NS1_11comp_targetILNS1_3genE8ELNS1_11target_archE1030ELNS1_3gpuE2ELNS1_3repE0EEENS1_30default_config_static_selectorELNS0_4arch9wavefront6targetE1EEEvT1_
; %bb.0:
	.section	.rodata,"a",@progbits
	.p2align	6, 0x0
	.amdhsa_kernel _ZN7rocprim17ROCPRIM_400000_NS6detail17trampoline_kernelINS0_14default_configENS1_33run_length_encode_config_selectorIN3c104HalfEjNS0_4plusIjEEEEZZNS1_33reduce_by_key_impl_wrapped_configILNS1_25lookback_scan_determinismE0ES3_S9_PKS6_NS0_17constant_iteratorIjlEEPS6_PlSH_S8_NS0_8equal_toIS6_EEEE10hipError_tPvRmT2_T3_mT4_T5_T6_T7_T8_P12ihipStream_tbENKUlT_T0_E_clISt17integral_constantIbLb0EES11_EEDaSW_SX_EUlSW_E_NS1_11comp_targetILNS1_3genE8ELNS1_11target_archE1030ELNS1_3gpuE2ELNS1_3repE0EEENS1_30default_config_static_selectorELNS0_4arch9wavefront6targetE1EEEvT1_
		.amdhsa_group_segment_fixed_size 0
		.amdhsa_private_segment_fixed_size 0
		.amdhsa_kernarg_size 128
		.amdhsa_user_sgpr_count 6
		.amdhsa_user_sgpr_private_segment_buffer 1
		.amdhsa_user_sgpr_dispatch_ptr 0
		.amdhsa_user_sgpr_queue_ptr 0
		.amdhsa_user_sgpr_kernarg_segment_ptr 1
		.amdhsa_user_sgpr_dispatch_id 0
		.amdhsa_user_sgpr_flat_scratch_init 0
		.amdhsa_user_sgpr_kernarg_preload_length 0
		.amdhsa_user_sgpr_kernarg_preload_offset 0
		.amdhsa_user_sgpr_private_segment_size 0
		.amdhsa_uses_dynamic_stack 0
		.amdhsa_system_sgpr_private_segment_wavefront_offset 0
		.amdhsa_system_sgpr_workgroup_id_x 1
		.amdhsa_system_sgpr_workgroup_id_y 0
		.amdhsa_system_sgpr_workgroup_id_z 0
		.amdhsa_system_sgpr_workgroup_info 0
		.amdhsa_system_vgpr_workitem_id 0
		.amdhsa_next_free_vgpr 1
		.amdhsa_next_free_sgpr 0
		.amdhsa_accum_offset 4
		.amdhsa_reserve_vcc 0
		.amdhsa_reserve_flat_scratch 0
		.amdhsa_float_round_mode_32 0
		.amdhsa_float_round_mode_16_64 0
		.amdhsa_float_denorm_mode_32 3
		.amdhsa_float_denorm_mode_16_64 3
		.amdhsa_dx10_clamp 1
		.amdhsa_ieee_mode 1
		.amdhsa_fp16_overflow 0
		.amdhsa_tg_split 0
		.amdhsa_exception_fp_ieee_invalid_op 0
		.amdhsa_exception_fp_denorm_src 0
		.amdhsa_exception_fp_ieee_div_zero 0
		.amdhsa_exception_fp_ieee_overflow 0
		.amdhsa_exception_fp_ieee_underflow 0
		.amdhsa_exception_fp_ieee_inexact 0
		.amdhsa_exception_int_div_zero 0
	.end_amdhsa_kernel
	.section	.text._ZN7rocprim17ROCPRIM_400000_NS6detail17trampoline_kernelINS0_14default_configENS1_33run_length_encode_config_selectorIN3c104HalfEjNS0_4plusIjEEEEZZNS1_33reduce_by_key_impl_wrapped_configILNS1_25lookback_scan_determinismE0ES3_S9_PKS6_NS0_17constant_iteratorIjlEEPS6_PlSH_S8_NS0_8equal_toIS6_EEEE10hipError_tPvRmT2_T3_mT4_T5_T6_T7_T8_P12ihipStream_tbENKUlT_T0_E_clISt17integral_constantIbLb0EES11_EEDaSW_SX_EUlSW_E_NS1_11comp_targetILNS1_3genE8ELNS1_11target_archE1030ELNS1_3gpuE2ELNS1_3repE0EEENS1_30default_config_static_selectorELNS0_4arch9wavefront6targetE1EEEvT1_,"axG",@progbits,_ZN7rocprim17ROCPRIM_400000_NS6detail17trampoline_kernelINS0_14default_configENS1_33run_length_encode_config_selectorIN3c104HalfEjNS0_4plusIjEEEEZZNS1_33reduce_by_key_impl_wrapped_configILNS1_25lookback_scan_determinismE0ES3_S9_PKS6_NS0_17constant_iteratorIjlEEPS6_PlSH_S8_NS0_8equal_toIS6_EEEE10hipError_tPvRmT2_T3_mT4_T5_T6_T7_T8_P12ihipStream_tbENKUlT_T0_E_clISt17integral_constantIbLb0EES11_EEDaSW_SX_EUlSW_E_NS1_11comp_targetILNS1_3genE8ELNS1_11target_archE1030ELNS1_3gpuE2ELNS1_3repE0EEENS1_30default_config_static_selectorELNS0_4arch9wavefront6targetE1EEEvT1_,comdat
.Lfunc_end933:
	.size	_ZN7rocprim17ROCPRIM_400000_NS6detail17trampoline_kernelINS0_14default_configENS1_33run_length_encode_config_selectorIN3c104HalfEjNS0_4plusIjEEEEZZNS1_33reduce_by_key_impl_wrapped_configILNS1_25lookback_scan_determinismE0ES3_S9_PKS6_NS0_17constant_iteratorIjlEEPS6_PlSH_S8_NS0_8equal_toIS6_EEEE10hipError_tPvRmT2_T3_mT4_T5_T6_T7_T8_P12ihipStream_tbENKUlT_T0_E_clISt17integral_constantIbLb0EES11_EEDaSW_SX_EUlSW_E_NS1_11comp_targetILNS1_3genE8ELNS1_11target_archE1030ELNS1_3gpuE2ELNS1_3repE0EEENS1_30default_config_static_selectorELNS0_4arch9wavefront6targetE1EEEvT1_, .Lfunc_end933-_ZN7rocprim17ROCPRIM_400000_NS6detail17trampoline_kernelINS0_14default_configENS1_33run_length_encode_config_selectorIN3c104HalfEjNS0_4plusIjEEEEZZNS1_33reduce_by_key_impl_wrapped_configILNS1_25lookback_scan_determinismE0ES3_S9_PKS6_NS0_17constant_iteratorIjlEEPS6_PlSH_S8_NS0_8equal_toIS6_EEEE10hipError_tPvRmT2_T3_mT4_T5_T6_T7_T8_P12ihipStream_tbENKUlT_T0_E_clISt17integral_constantIbLb0EES11_EEDaSW_SX_EUlSW_E_NS1_11comp_targetILNS1_3genE8ELNS1_11target_archE1030ELNS1_3gpuE2ELNS1_3repE0EEENS1_30default_config_static_selectorELNS0_4arch9wavefront6targetE1EEEvT1_
                                        ; -- End function
	.section	.AMDGPU.csdata,"",@progbits
; Kernel info:
; codeLenInByte = 0
; NumSgprs: 4
; NumVgprs: 0
; NumAgprs: 0
; TotalNumVgprs: 0
; ScratchSize: 0
; MemoryBound: 0
; FloatMode: 240
; IeeeMode: 1
; LDSByteSize: 0 bytes/workgroup (compile time only)
; SGPRBlocks: 0
; VGPRBlocks: 0
; NumSGPRsForWavesPerEU: 4
; NumVGPRsForWavesPerEU: 1
; AccumOffset: 4
; Occupancy: 8
; WaveLimiterHint : 0
; COMPUTE_PGM_RSRC2:SCRATCH_EN: 0
; COMPUTE_PGM_RSRC2:USER_SGPR: 6
; COMPUTE_PGM_RSRC2:TRAP_HANDLER: 0
; COMPUTE_PGM_RSRC2:TGID_X_EN: 1
; COMPUTE_PGM_RSRC2:TGID_Y_EN: 0
; COMPUTE_PGM_RSRC2:TGID_Z_EN: 0
; COMPUTE_PGM_RSRC2:TIDIG_COMP_CNT: 0
; COMPUTE_PGM_RSRC3_GFX90A:ACCUM_OFFSET: 0
; COMPUTE_PGM_RSRC3_GFX90A:TG_SPLIT: 0
	.section	.text._ZN7rocprim17ROCPRIM_400000_NS6detail17trampoline_kernelINS0_14default_configENS1_33run_length_encode_config_selectorIN3c104HalfEjNS0_4plusIjEEEEZZNS1_33reduce_by_key_impl_wrapped_configILNS1_25lookback_scan_determinismE0ES3_S9_PKS6_NS0_17constant_iteratorIjlEEPS6_PlSH_S8_NS0_8equal_toIS6_EEEE10hipError_tPvRmT2_T3_mT4_T5_T6_T7_T8_P12ihipStream_tbENKUlT_T0_E_clISt17integral_constantIbLb1EES11_EEDaSW_SX_EUlSW_E_NS1_11comp_targetILNS1_3genE0ELNS1_11target_archE4294967295ELNS1_3gpuE0ELNS1_3repE0EEENS1_30default_config_static_selectorELNS0_4arch9wavefront6targetE1EEEvT1_,"axG",@progbits,_ZN7rocprim17ROCPRIM_400000_NS6detail17trampoline_kernelINS0_14default_configENS1_33run_length_encode_config_selectorIN3c104HalfEjNS0_4plusIjEEEEZZNS1_33reduce_by_key_impl_wrapped_configILNS1_25lookback_scan_determinismE0ES3_S9_PKS6_NS0_17constant_iteratorIjlEEPS6_PlSH_S8_NS0_8equal_toIS6_EEEE10hipError_tPvRmT2_T3_mT4_T5_T6_T7_T8_P12ihipStream_tbENKUlT_T0_E_clISt17integral_constantIbLb1EES11_EEDaSW_SX_EUlSW_E_NS1_11comp_targetILNS1_3genE0ELNS1_11target_archE4294967295ELNS1_3gpuE0ELNS1_3repE0EEENS1_30default_config_static_selectorELNS0_4arch9wavefront6targetE1EEEvT1_,comdat
	.protected	_ZN7rocprim17ROCPRIM_400000_NS6detail17trampoline_kernelINS0_14default_configENS1_33run_length_encode_config_selectorIN3c104HalfEjNS0_4plusIjEEEEZZNS1_33reduce_by_key_impl_wrapped_configILNS1_25lookback_scan_determinismE0ES3_S9_PKS6_NS0_17constant_iteratorIjlEEPS6_PlSH_S8_NS0_8equal_toIS6_EEEE10hipError_tPvRmT2_T3_mT4_T5_T6_T7_T8_P12ihipStream_tbENKUlT_T0_E_clISt17integral_constantIbLb1EES11_EEDaSW_SX_EUlSW_E_NS1_11comp_targetILNS1_3genE0ELNS1_11target_archE4294967295ELNS1_3gpuE0ELNS1_3repE0EEENS1_30default_config_static_selectorELNS0_4arch9wavefront6targetE1EEEvT1_ ; -- Begin function _ZN7rocprim17ROCPRIM_400000_NS6detail17trampoline_kernelINS0_14default_configENS1_33run_length_encode_config_selectorIN3c104HalfEjNS0_4plusIjEEEEZZNS1_33reduce_by_key_impl_wrapped_configILNS1_25lookback_scan_determinismE0ES3_S9_PKS6_NS0_17constant_iteratorIjlEEPS6_PlSH_S8_NS0_8equal_toIS6_EEEE10hipError_tPvRmT2_T3_mT4_T5_T6_T7_T8_P12ihipStream_tbENKUlT_T0_E_clISt17integral_constantIbLb1EES11_EEDaSW_SX_EUlSW_E_NS1_11comp_targetILNS1_3genE0ELNS1_11target_archE4294967295ELNS1_3gpuE0ELNS1_3repE0EEENS1_30default_config_static_selectorELNS0_4arch9wavefront6targetE1EEEvT1_
	.globl	_ZN7rocprim17ROCPRIM_400000_NS6detail17trampoline_kernelINS0_14default_configENS1_33run_length_encode_config_selectorIN3c104HalfEjNS0_4plusIjEEEEZZNS1_33reduce_by_key_impl_wrapped_configILNS1_25lookback_scan_determinismE0ES3_S9_PKS6_NS0_17constant_iteratorIjlEEPS6_PlSH_S8_NS0_8equal_toIS6_EEEE10hipError_tPvRmT2_T3_mT4_T5_T6_T7_T8_P12ihipStream_tbENKUlT_T0_E_clISt17integral_constantIbLb1EES11_EEDaSW_SX_EUlSW_E_NS1_11comp_targetILNS1_3genE0ELNS1_11target_archE4294967295ELNS1_3gpuE0ELNS1_3repE0EEENS1_30default_config_static_selectorELNS0_4arch9wavefront6targetE1EEEvT1_
	.p2align	8
	.type	_ZN7rocprim17ROCPRIM_400000_NS6detail17trampoline_kernelINS0_14default_configENS1_33run_length_encode_config_selectorIN3c104HalfEjNS0_4plusIjEEEEZZNS1_33reduce_by_key_impl_wrapped_configILNS1_25lookback_scan_determinismE0ES3_S9_PKS6_NS0_17constant_iteratorIjlEEPS6_PlSH_S8_NS0_8equal_toIS6_EEEE10hipError_tPvRmT2_T3_mT4_T5_T6_T7_T8_P12ihipStream_tbENKUlT_T0_E_clISt17integral_constantIbLb1EES11_EEDaSW_SX_EUlSW_E_NS1_11comp_targetILNS1_3genE0ELNS1_11target_archE4294967295ELNS1_3gpuE0ELNS1_3repE0EEENS1_30default_config_static_selectorELNS0_4arch9wavefront6targetE1EEEvT1_,@function
_ZN7rocprim17ROCPRIM_400000_NS6detail17trampoline_kernelINS0_14default_configENS1_33run_length_encode_config_selectorIN3c104HalfEjNS0_4plusIjEEEEZZNS1_33reduce_by_key_impl_wrapped_configILNS1_25lookback_scan_determinismE0ES3_S9_PKS6_NS0_17constant_iteratorIjlEEPS6_PlSH_S8_NS0_8equal_toIS6_EEEE10hipError_tPvRmT2_T3_mT4_T5_T6_T7_T8_P12ihipStream_tbENKUlT_T0_E_clISt17integral_constantIbLb1EES11_EEDaSW_SX_EUlSW_E_NS1_11comp_targetILNS1_3genE0ELNS1_11target_archE4294967295ELNS1_3gpuE0ELNS1_3repE0EEENS1_30default_config_static_selectorELNS0_4arch9wavefront6targetE1EEEvT1_: ; @_ZN7rocprim17ROCPRIM_400000_NS6detail17trampoline_kernelINS0_14default_configENS1_33run_length_encode_config_selectorIN3c104HalfEjNS0_4plusIjEEEEZZNS1_33reduce_by_key_impl_wrapped_configILNS1_25lookback_scan_determinismE0ES3_S9_PKS6_NS0_17constant_iteratorIjlEEPS6_PlSH_S8_NS0_8equal_toIS6_EEEE10hipError_tPvRmT2_T3_mT4_T5_T6_T7_T8_P12ihipStream_tbENKUlT_T0_E_clISt17integral_constantIbLb1EES11_EEDaSW_SX_EUlSW_E_NS1_11comp_targetILNS1_3genE0ELNS1_11target_archE4294967295ELNS1_3gpuE0ELNS1_3repE0EEENS1_30default_config_static_selectorELNS0_4arch9wavefront6targetE1EEEvT1_
; %bb.0:
	.section	.rodata,"a",@progbits
	.p2align	6, 0x0
	.amdhsa_kernel _ZN7rocprim17ROCPRIM_400000_NS6detail17trampoline_kernelINS0_14default_configENS1_33run_length_encode_config_selectorIN3c104HalfEjNS0_4plusIjEEEEZZNS1_33reduce_by_key_impl_wrapped_configILNS1_25lookback_scan_determinismE0ES3_S9_PKS6_NS0_17constant_iteratorIjlEEPS6_PlSH_S8_NS0_8equal_toIS6_EEEE10hipError_tPvRmT2_T3_mT4_T5_T6_T7_T8_P12ihipStream_tbENKUlT_T0_E_clISt17integral_constantIbLb1EES11_EEDaSW_SX_EUlSW_E_NS1_11comp_targetILNS1_3genE0ELNS1_11target_archE4294967295ELNS1_3gpuE0ELNS1_3repE0EEENS1_30default_config_static_selectorELNS0_4arch9wavefront6targetE1EEEvT1_
		.amdhsa_group_segment_fixed_size 0
		.amdhsa_private_segment_fixed_size 0
		.amdhsa_kernarg_size 128
		.amdhsa_user_sgpr_count 6
		.amdhsa_user_sgpr_private_segment_buffer 1
		.amdhsa_user_sgpr_dispatch_ptr 0
		.amdhsa_user_sgpr_queue_ptr 0
		.amdhsa_user_sgpr_kernarg_segment_ptr 1
		.amdhsa_user_sgpr_dispatch_id 0
		.amdhsa_user_sgpr_flat_scratch_init 0
		.amdhsa_user_sgpr_kernarg_preload_length 0
		.amdhsa_user_sgpr_kernarg_preload_offset 0
		.amdhsa_user_sgpr_private_segment_size 0
		.amdhsa_uses_dynamic_stack 0
		.amdhsa_system_sgpr_private_segment_wavefront_offset 0
		.amdhsa_system_sgpr_workgroup_id_x 1
		.amdhsa_system_sgpr_workgroup_id_y 0
		.amdhsa_system_sgpr_workgroup_id_z 0
		.amdhsa_system_sgpr_workgroup_info 0
		.amdhsa_system_vgpr_workitem_id 0
		.amdhsa_next_free_vgpr 1
		.amdhsa_next_free_sgpr 0
		.amdhsa_accum_offset 4
		.amdhsa_reserve_vcc 0
		.amdhsa_reserve_flat_scratch 0
		.amdhsa_float_round_mode_32 0
		.amdhsa_float_round_mode_16_64 0
		.amdhsa_float_denorm_mode_32 3
		.amdhsa_float_denorm_mode_16_64 3
		.amdhsa_dx10_clamp 1
		.amdhsa_ieee_mode 1
		.amdhsa_fp16_overflow 0
		.amdhsa_tg_split 0
		.amdhsa_exception_fp_ieee_invalid_op 0
		.amdhsa_exception_fp_denorm_src 0
		.amdhsa_exception_fp_ieee_div_zero 0
		.amdhsa_exception_fp_ieee_overflow 0
		.amdhsa_exception_fp_ieee_underflow 0
		.amdhsa_exception_fp_ieee_inexact 0
		.amdhsa_exception_int_div_zero 0
	.end_amdhsa_kernel
	.section	.text._ZN7rocprim17ROCPRIM_400000_NS6detail17trampoline_kernelINS0_14default_configENS1_33run_length_encode_config_selectorIN3c104HalfEjNS0_4plusIjEEEEZZNS1_33reduce_by_key_impl_wrapped_configILNS1_25lookback_scan_determinismE0ES3_S9_PKS6_NS0_17constant_iteratorIjlEEPS6_PlSH_S8_NS0_8equal_toIS6_EEEE10hipError_tPvRmT2_T3_mT4_T5_T6_T7_T8_P12ihipStream_tbENKUlT_T0_E_clISt17integral_constantIbLb1EES11_EEDaSW_SX_EUlSW_E_NS1_11comp_targetILNS1_3genE0ELNS1_11target_archE4294967295ELNS1_3gpuE0ELNS1_3repE0EEENS1_30default_config_static_selectorELNS0_4arch9wavefront6targetE1EEEvT1_,"axG",@progbits,_ZN7rocprim17ROCPRIM_400000_NS6detail17trampoline_kernelINS0_14default_configENS1_33run_length_encode_config_selectorIN3c104HalfEjNS0_4plusIjEEEEZZNS1_33reduce_by_key_impl_wrapped_configILNS1_25lookback_scan_determinismE0ES3_S9_PKS6_NS0_17constant_iteratorIjlEEPS6_PlSH_S8_NS0_8equal_toIS6_EEEE10hipError_tPvRmT2_T3_mT4_T5_T6_T7_T8_P12ihipStream_tbENKUlT_T0_E_clISt17integral_constantIbLb1EES11_EEDaSW_SX_EUlSW_E_NS1_11comp_targetILNS1_3genE0ELNS1_11target_archE4294967295ELNS1_3gpuE0ELNS1_3repE0EEENS1_30default_config_static_selectorELNS0_4arch9wavefront6targetE1EEEvT1_,comdat
.Lfunc_end934:
	.size	_ZN7rocprim17ROCPRIM_400000_NS6detail17trampoline_kernelINS0_14default_configENS1_33run_length_encode_config_selectorIN3c104HalfEjNS0_4plusIjEEEEZZNS1_33reduce_by_key_impl_wrapped_configILNS1_25lookback_scan_determinismE0ES3_S9_PKS6_NS0_17constant_iteratorIjlEEPS6_PlSH_S8_NS0_8equal_toIS6_EEEE10hipError_tPvRmT2_T3_mT4_T5_T6_T7_T8_P12ihipStream_tbENKUlT_T0_E_clISt17integral_constantIbLb1EES11_EEDaSW_SX_EUlSW_E_NS1_11comp_targetILNS1_3genE0ELNS1_11target_archE4294967295ELNS1_3gpuE0ELNS1_3repE0EEENS1_30default_config_static_selectorELNS0_4arch9wavefront6targetE1EEEvT1_, .Lfunc_end934-_ZN7rocprim17ROCPRIM_400000_NS6detail17trampoline_kernelINS0_14default_configENS1_33run_length_encode_config_selectorIN3c104HalfEjNS0_4plusIjEEEEZZNS1_33reduce_by_key_impl_wrapped_configILNS1_25lookback_scan_determinismE0ES3_S9_PKS6_NS0_17constant_iteratorIjlEEPS6_PlSH_S8_NS0_8equal_toIS6_EEEE10hipError_tPvRmT2_T3_mT4_T5_T6_T7_T8_P12ihipStream_tbENKUlT_T0_E_clISt17integral_constantIbLb1EES11_EEDaSW_SX_EUlSW_E_NS1_11comp_targetILNS1_3genE0ELNS1_11target_archE4294967295ELNS1_3gpuE0ELNS1_3repE0EEENS1_30default_config_static_selectorELNS0_4arch9wavefront6targetE1EEEvT1_
                                        ; -- End function
	.section	.AMDGPU.csdata,"",@progbits
; Kernel info:
; codeLenInByte = 0
; NumSgprs: 4
; NumVgprs: 0
; NumAgprs: 0
; TotalNumVgprs: 0
; ScratchSize: 0
; MemoryBound: 0
; FloatMode: 240
; IeeeMode: 1
; LDSByteSize: 0 bytes/workgroup (compile time only)
; SGPRBlocks: 0
; VGPRBlocks: 0
; NumSGPRsForWavesPerEU: 4
; NumVGPRsForWavesPerEU: 1
; AccumOffset: 4
; Occupancy: 8
; WaveLimiterHint : 0
; COMPUTE_PGM_RSRC2:SCRATCH_EN: 0
; COMPUTE_PGM_RSRC2:USER_SGPR: 6
; COMPUTE_PGM_RSRC2:TRAP_HANDLER: 0
; COMPUTE_PGM_RSRC2:TGID_X_EN: 1
; COMPUTE_PGM_RSRC2:TGID_Y_EN: 0
; COMPUTE_PGM_RSRC2:TGID_Z_EN: 0
; COMPUTE_PGM_RSRC2:TIDIG_COMP_CNT: 0
; COMPUTE_PGM_RSRC3_GFX90A:ACCUM_OFFSET: 0
; COMPUTE_PGM_RSRC3_GFX90A:TG_SPLIT: 0
	.section	.text._ZN7rocprim17ROCPRIM_400000_NS6detail17trampoline_kernelINS0_14default_configENS1_33run_length_encode_config_selectorIN3c104HalfEjNS0_4plusIjEEEEZZNS1_33reduce_by_key_impl_wrapped_configILNS1_25lookback_scan_determinismE0ES3_S9_PKS6_NS0_17constant_iteratorIjlEEPS6_PlSH_S8_NS0_8equal_toIS6_EEEE10hipError_tPvRmT2_T3_mT4_T5_T6_T7_T8_P12ihipStream_tbENKUlT_T0_E_clISt17integral_constantIbLb1EES11_EEDaSW_SX_EUlSW_E_NS1_11comp_targetILNS1_3genE5ELNS1_11target_archE942ELNS1_3gpuE9ELNS1_3repE0EEENS1_30default_config_static_selectorELNS0_4arch9wavefront6targetE1EEEvT1_,"axG",@progbits,_ZN7rocprim17ROCPRIM_400000_NS6detail17trampoline_kernelINS0_14default_configENS1_33run_length_encode_config_selectorIN3c104HalfEjNS0_4plusIjEEEEZZNS1_33reduce_by_key_impl_wrapped_configILNS1_25lookback_scan_determinismE0ES3_S9_PKS6_NS0_17constant_iteratorIjlEEPS6_PlSH_S8_NS0_8equal_toIS6_EEEE10hipError_tPvRmT2_T3_mT4_T5_T6_T7_T8_P12ihipStream_tbENKUlT_T0_E_clISt17integral_constantIbLb1EES11_EEDaSW_SX_EUlSW_E_NS1_11comp_targetILNS1_3genE5ELNS1_11target_archE942ELNS1_3gpuE9ELNS1_3repE0EEENS1_30default_config_static_selectorELNS0_4arch9wavefront6targetE1EEEvT1_,comdat
	.protected	_ZN7rocprim17ROCPRIM_400000_NS6detail17trampoline_kernelINS0_14default_configENS1_33run_length_encode_config_selectorIN3c104HalfEjNS0_4plusIjEEEEZZNS1_33reduce_by_key_impl_wrapped_configILNS1_25lookback_scan_determinismE0ES3_S9_PKS6_NS0_17constant_iteratorIjlEEPS6_PlSH_S8_NS0_8equal_toIS6_EEEE10hipError_tPvRmT2_T3_mT4_T5_T6_T7_T8_P12ihipStream_tbENKUlT_T0_E_clISt17integral_constantIbLb1EES11_EEDaSW_SX_EUlSW_E_NS1_11comp_targetILNS1_3genE5ELNS1_11target_archE942ELNS1_3gpuE9ELNS1_3repE0EEENS1_30default_config_static_selectorELNS0_4arch9wavefront6targetE1EEEvT1_ ; -- Begin function _ZN7rocprim17ROCPRIM_400000_NS6detail17trampoline_kernelINS0_14default_configENS1_33run_length_encode_config_selectorIN3c104HalfEjNS0_4plusIjEEEEZZNS1_33reduce_by_key_impl_wrapped_configILNS1_25lookback_scan_determinismE0ES3_S9_PKS6_NS0_17constant_iteratorIjlEEPS6_PlSH_S8_NS0_8equal_toIS6_EEEE10hipError_tPvRmT2_T3_mT4_T5_T6_T7_T8_P12ihipStream_tbENKUlT_T0_E_clISt17integral_constantIbLb1EES11_EEDaSW_SX_EUlSW_E_NS1_11comp_targetILNS1_3genE5ELNS1_11target_archE942ELNS1_3gpuE9ELNS1_3repE0EEENS1_30default_config_static_selectorELNS0_4arch9wavefront6targetE1EEEvT1_
	.globl	_ZN7rocprim17ROCPRIM_400000_NS6detail17trampoline_kernelINS0_14default_configENS1_33run_length_encode_config_selectorIN3c104HalfEjNS0_4plusIjEEEEZZNS1_33reduce_by_key_impl_wrapped_configILNS1_25lookback_scan_determinismE0ES3_S9_PKS6_NS0_17constant_iteratorIjlEEPS6_PlSH_S8_NS0_8equal_toIS6_EEEE10hipError_tPvRmT2_T3_mT4_T5_T6_T7_T8_P12ihipStream_tbENKUlT_T0_E_clISt17integral_constantIbLb1EES11_EEDaSW_SX_EUlSW_E_NS1_11comp_targetILNS1_3genE5ELNS1_11target_archE942ELNS1_3gpuE9ELNS1_3repE0EEENS1_30default_config_static_selectorELNS0_4arch9wavefront6targetE1EEEvT1_
	.p2align	8
	.type	_ZN7rocprim17ROCPRIM_400000_NS6detail17trampoline_kernelINS0_14default_configENS1_33run_length_encode_config_selectorIN3c104HalfEjNS0_4plusIjEEEEZZNS1_33reduce_by_key_impl_wrapped_configILNS1_25lookback_scan_determinismE0ES3_S9_PKS6_NS0_17constant_iteratorIjlEEPS6_PlSH_S8_NS0_8equal_toIS6_EEEE10hipError_tPvRmT2_T3_mT4_T5_T6_T7_T8_P12ihipStream_tbENKUlT_T0_E_clISt17integral_constantIbLb1EES11_EEDaSW_SX_EUlSW_E_NS1_11comp_targetILNS1_3genE5ELNS1_11target_archE942ELNS1_3gpuE9ELNS1_3repE0EEENS1_30default_config_static_selectorELNS0_4arch9wavefront6targetE1EEEvT1_,@function
_ZN7rocprim17ROCPRIM_400000_NS6detail17trampoline_kernelINS0_14default_configENS1_33run_length_encode_config_selectorIN3c104HalfEjNS0_4plusIjEEEEZZNS1_33reduce_by_key_impl_wrapped_configILNS1_25lookback_scan_determinismE0ES3_S9_PKS6_NS0_17constant_iteratorIjlEEPS6_PlSH_S8_NS0_8equal_toIS6_EEEE10hipError_tPvRmT2_T3_mT4_T5_T6_T7_T8_P12ihipStream_tbENKUlT_T0_E_clISt17integral_constantIbLb1EES11_EEDaSW_SX_EUlSW_E_NS1_11comp_targetILNS1_3genE5ELNS1_11target_archE942ELNS1_3gpuE9ELNS1_3repE0EEENS1_30default_config_static_selectorELNS0_4arch9wavefront6targetE1EEEvT1_: ; @_ZN7rocprim17ROCPRIM_400000_NS6detail17trampoline_kernelINS0_14default_configENS1_33run_length_encode_config_selectorIN3c104HalfEjNS0_4plusIjEEEEZZNS1_33reduce_by_key_impl_wrapped_configILNS1_25lookback_scan_determinismE0ES3_S9_PKS6_NS0_17constant_iteratorIjlEEPS6_PlSH_S8_NS0_8equal_toIS6_EEEE10hipError_tPvRmT2_T3_mT4_T5_T6_T7_T8_P12ihipStream_tbENKUlT_T0_E_clISt17integral_constantIbLb1EES11_EEDaSW_SX_EUlSW_E_NS1_11comp_targetILNS1_3genE5ELNS1_11target_archE942ELNS1_3gpuE9ELNS1_3repE0EEENS1_30default_config_static_selectorELNS0_4arch9wavefront6targetE1EEEvT1_
; %bb.0:
	.section	.rodata,"a",@progbits
	.p2align	6, 0x0
	.amdhsa_kernel _ZN7rocprim17ROCPRIM_400000_NS6detail17trampoline_kernelINS0_14default_configENS1_33run_length_encode_config_selectorIN3c104HalfEjNS0_4plusIjEEEEZZNS1_33reduce_by_key_impl_wrapped_configILNS1_25lookback_scan_determinismE0ES3_S9_PKS6_NS0_17constant_iteratorIjlEEPS6_PlSH_S8_NS0_8equal_toIS6_EEEE10hipError_tPvRmT2_T3_mT4_T5_T6_T7_T8_P12ihipStream_tbENKUlT_T0_E_clISt17integral_constantIbLb1EES11_EEDaSW_SX_EUlSW_E_NS1_11comp_targetILNS1_3genE5ELNS1_11target_archE942ELNS1_3gpuE9ELNS1_3repE0EEENS1_30default_config_static_selectorELNS0_4arch9wavefront6targetE1EEEvT1_
		.amdhsa_group_segment_fixed_size 0
		.amdhsa_private_segment_fixed_size 0
		.amdhsa_kernarg_size 128
		.amdhsa_user_sgpr_count 6
		.amdhsa_user_sgpr_private_segment_buffer 1
		.amdhsa_user_sgpr_dispatch_ptr 0
		.amdhsa_user_sgpr_queue_ptr 0
		.amdhsa_user_sgpr_kernarg_segment_ptr 1
		.amdhsa_user_sgpr_dispatch_id 0
		.amdhsa_user_sgpr_flat_scratch_init 0
		.amdhsa_user_sgpr_kernarg_preload_length 0
		.amdhsa_user_sgpr_kernarg_preload_offset 0
		.amdhsa_user_sgpr_private_segment_size 0
		.amdhsa_uses_dynamic_stack 0
		.amdhsa_system_sgpr_private_segment_wavefront_offset 0
		.amdhsa_system_sgpr_workgroup_id_x 1
		.amdhsa_system_sgpr_workgroup_id_y 0
		.amdhsa_system_sgpr_workgroup_id_z 0
		.amdhsa_system_sgpr_workgroup_info 0
		.amdhsa_system_vgpr_workitem_id 0
		.amdhsa_next_free_vgpr 1
		.amdhsa_next_free_sgpr 0
		.amdhsa_accum_offset 4
		.amdhsa_reserve_vcc 0
		.amdhsa_reserve_flat_scratch 0
		.amdhsa_float_round_mode_32 0
		.amdhsa_float_round_mode_16_64 0
		.amdhsa_float_denorm_mode_32 3
		.amdhsa_float_denorm_mode_16_64 3
		.amdhsa_dx10_clamp 1
		.amdhsa_ieee_mode 1
		.amdhsa_fp16_overflow 0
		.amdhsa_tg_split 0
		.amdhsa_exception_fp_ieee_invalid_op 0
		.amdhsa_exception_fp_denorm_src 0
		.amdhsa_exception_fp_ieee_div_zero 0
		.amdhsa_exception_fp_ieee_overflow 0
		.amdhsa_exception_fp_ieee_underflow 0
		.amdhsa_exception_fp_ieee_inexact 0
		.amdhsa_exception_int_div_zero 0
	.end_amdhsa_kernel
	.section	.text._ZN7rocprim17ROCPRIM_400000_NS6detail17trampoline_kernelINS0_14default_configENS1_33run_length_encode_config_selectorIN3c104HalfEjNS0_4plusIjEEEEZZNS1_33reduce_by_key_impl_wrapped_configILNS1_25lookback_scan_determinismE0ES3_S9_PKS6_NS0_17constant_iteratorIjlEEPS6_PlSH_S8_NS0_8equal_toIS6_EEEE10hipError_tPvRmT2_T3_mT4_T5_T6_T7_T8_P12ihipStream_tbENKUlT_T0_E_clISt17integral_constantIbLb1EES11_EEDaSW_SX_EUlSW_E_NS1_11comp_targetILNS1_3genE5ELNS1_11target_archE942ELNS1_3gpuE9ELNS1_3repE0EEENS1_30default_config_static_selectorELNS0_4arch9wavefront6targetE1EEEvT1_,"axG",@progbits,_ZN7rocprim17ROCPRIM_400000_NS6detail17trampoline_kernelINS0_14default_configENS1_33run_length_encode_config_selectorIN3c104HalfEjNS0_4plusIjEEEEZZNS1_33reduce_by_key_impl_wrapped_configILNS1_25lookback_scan_determinismE0ES3_S9_PKS6_NS0_17constant_iteratorIjlEEPS6_PlSH_S8_NS0_8equal_toIS6_EEEE10hipError_tPvRmT2_T3_mT4_T5_T6_T7_T8_P12ihipStream_tbENKUlT_T0_E_clISt17integral_constantIbLb1EES11_EEDaSW_SX_EUlSW_E_NS1_11comp_targetILNS1_3genE5ELNS1_11target_archE942ELNS1_3gpuE9ELNS1_3repE0EEENS1_30default_config_static_selectorELNS0_4arch9wavefront6targetE1EEEvT1_,comdat
.Lfunc_end935:
	.size	_ZN7rocprim17ROCPRIM_400000_NS6detail17trampoline_kernelINS0_14default_configENS1_33run_length_encode_config_selectorIN3c104HalfEjNS0_4plusIjEEEEZZNS1_33reduce_by_key_impl_wrapped_configILNS1_25lookback_scan_determinismE0ES3_S9_PKS6_NS0_17constant_iteratorIjlEEPS6_PlSH_S8_NS0_8equal_toIS6_EEEE10hipError_tPvRmT2_T3_mT4_T5_T6_T7_T8_P12ihipStream_tbENKUlT_T0_E_clISt17integral_constantIbLb1EES11_EEDaSW_SX_EUlSW_E_NS1_11comp_targetILNS1_3genE5ELNS1_11target_archE942ELNS1_3gpuE9ELNS1_3repE0EEENS1_30default_config_static_selectorELNS0_4arch9wavefront6targetE1EEEvT1_, .Lfunc_end935-_ZN7rocprim17ROCPRIM_400000_NS6detail17trampoline_kernelINS0_14default_configENS1_33run_length_encode_config_selectorIN3c104HalfEjNS0_4plusIjEEEEZZNS1_33reduce_by_key_impl_wrapped_configILNS1_25lookback_scan_determinismE0ES3_S9_PKS6_NS0_17constant_iteratorIjlEEPS6_PlSH_S8_NS0_8equal_toIS6_EEEE10hipError_tPvRmT2_T3_mT4_T5_T6_T7_T8_P12ihipStream_tbENKUlT_T0_E_clISt17integral_constantIbLb1EES11_EEDaSW_SX_EUlSW_E_NS1_11comp_targetILNS1_3genE5ELNS1_11target_archE942ELNS1_3gpuE9ELNS1_3repE0EEENS1_30default_config_static_selectorELNS0_4arch9wavefront6targetE1EEEvT1_
                                        ; -- End function
	.section	.AMDGPU.csdata,"",@progbits
; Kernel info:
; codeLenInByte = 0
; NumSgprs: 4
; NumVgprs: 0
; NumAgprs: 0
; TotalNumVgprs: 0
; ScratchSize: 0
; MemoryBound: 0
; FloatMode: 240
; IeeeMode: 1
; LDSByteSize: 0 bytes/workgroup (compile time only)
; SGPRBlocks: 0
; VGPRBlocks: 0
; NumSGPRsForWavesPerEU: 4
; NumVGPRsForWavesPerEU: 1
; AccumOffset: 4
; Occupancy: 8
; WaveLimiterHint : 0
; COMPUTE_PGM_RSRC2:SCRATCH_EN: 0
; COMPUTE_PGM_RSRC2:USER_SGPR: 6
; COMPUTE_PGM_RSRC2:TRAP_HANDLER: 0
; COMPUTE_PGM_RSRC2:TGID_X_EN: 1
; COMPUTE_PGM_RSRC2:TGID_Y_EN: 0
; COMPUTE_PGM_RSRC2:TGID_Z_EN: 0
; COMPUTE_PGM_RSRC2:TIDIG_COMP_CNT: 0
; COMPUTE_PGM_RSRC3_GFX90A:ACCUM_OFFSET: 0
; COMPUTE_PGM_RSRC3_GFX90A:TG_SPLIT: 0
	.section	.text._ZN7rocprim17ROCPRIM_400000_NS6detail17trampoline_kernelINS0_14default_configENS1_33run_length_encode_config_selectorIN3c104HalfEjNS0_4plusIjEEEEZZNS1_33reduce_by_key_impl_wrapped_configILNS1_25lookback_scan_determinismE0ES3_S9_PKS6_NS0_17constant_iteratorIjlEEPS6_PlSH_S8_NS0_8equal_toIS6_EEEE10hipError_tPvRmT2_T3_mT4_T5_T6_T7_T8_P12ihipStream_tbENKUlT_T0_E_clISt17integral_constantIbLb1EES11_EEDaSW_SX_EUlSW_E_NS1_11comp_targetILNS1_3genE4ELNS1_11target_archE910ELNS1_3gpuE8ELNS1_3repE0EEENS1_30default_config_static_selectorELNS0_4arch9wavefront6targetE1EEEvT1_,"axG",@progbits,_ZN7rocprim17ROCPRIM_400000_NS6detail17trampoline_kernelINS0_14default_configENS1_33run_length_encode_config_selectorIN3c104HalfEjNS0_4plusIjEEEEZZNS1_33reduce_by_key_impl_wrapped_configILNS1_25lookback_scan_determinismE0ES3_S9_PKS6_NS0_17constant_iteratorIjlEEPS6_PlSH_S8_NS0_8equal_toIS6_EEEE10hipError_tPvRmT2_T3_mT4_T5_T6_T7_T8_P12ihipStream_tbENKUlT_T0_E_clISt17integral_constantIbLb1EES11_EEDaSW_SX_EUlSW_E_NS1_11comp_targetILNS1_3genE4ELNS1_11target_archE910ELNS1_3gpuE8ELNS1_3repE0EEENS1_30default_config_static_selectorELNS0_4arch9wavefront6targetE1EEEvT1_,comdat
	.protected	_ZN7rocprim17ROCPRIM_400000_NS6detail17trampoline_kernelINS0_14default_configENS1_33run_length_encode_config_selectorIN3c104HalfEjNS0_4plusIjEEEEZZNS1_33reduce_by_key_impl_wrapped_configILNS1_25lookback_scan_determinismE0ES3_S9_PKS6_NS0_17constant_iteratorIjlEEPS6_PlSH_S8_NS0_8equal_toIS6_EEEE10hipError_tPvRmT2_T3_mT4_T5_T6_T7_T8_P12ihipStream_tbENKUlT_T0_E_clISt17integral_constantIbLb1EES11_EEDaSW_SX_EUlSW_E_NS1_11comp_targetILNS1_3genE4ELNS1_11target_archE910ELNS1_3gpuE8ELNS1_3repE0EEENS1_30default_config_static_selectorELNS0_4arch9wavefront6targetE1EEEvT1_ ; -- Begin function _ZN7rocprim17ROCPRIM_400000_NS6detail17trampoline_kernelINS0_14default_configENS1_33run_length_encode_config_selectorIN3c104HalfEjNS0_4plusIjEEEEZZNS1_33reduce_by_key_impl_wrapped_configILNS1_25lookback_scan_determinismE0ES3_S9_PKS6_NS0_17constant_iteratorIjlEEPS6_PlSH_S8_NS0_8equal_toIS6_EEEE10hipError_tPvRmT2_T3_mT4_T5_T6_T7_T8_P12ihipStream_tbENKUlT_T0_E_clISt17integral_constantIbLb1EES11_EEDaSW_SX_EUlSW_E_NS1_11comp_targetILNS1_3genE4ELNS1_11target_archE910ELNS1_3gpuE8ELNS1_3repE0EEENS1_30default_config_static_selectorELNS0_4arch9wavefront6targetE1EEEvT1_
	.globl	_ZN7rocprim17ROCPRIM_400000_NS6detail17trampoline_kernelINS0_14default_configENS1_33run_length_encode_config_selectorIN3c104HalfEjNS0_4plusIjEEEEZZNS1_33reduce_by_key_impl_wrapped_configILNS1_25lookback_scan_determinismE0ES3_S9_PKS6_NS0_17constant_iteratorIjlEEPS6_PlSH_S8_NS0_8equal_toIS6_EEEE10hipError_tPvRmT2_T3_mT4_T5_T6_T7_T8_P12ihipStream_tbENKUlT_T0_E_clISt17integral_constantIbLb1EES11_EEDaSW_SX_EUlSW_E_NS1_11comp_targetILNS1_3genE4ELNS1_11target_archE910ELNS1_3gpuE8ELNS1_3repE0EEENS1_30default_config_static_selectorELNS0_4arch9wavefront6targetE1EEEvT1_
	.p2align	8
	.type	_ZN7rocprim17ROCPRIM_400000_NS6detail17trampoline_kernelINS0_14default_configENS1_33run_length_encode_config_selectorIN3c104HalfEjNS0_4plusIjEEEEZZNS1_33reduce_by_key_impl_wrapped_configILNS1_25lookback_scan_determinismE0ES3_S9_PKS6_NS0_17constant_iteratorIjlEEPS6_PlSH_S8_NS0_8equal_toIS6_EEEE10hipError_tPvRmT2_T3_mT4_T5_T6_T7_T8_P12ihipStream_tbENKUlT_T0_E_clISt17integral_constantIbLb1EES11_EEDaSW_SX_EUlSW_E_NS1_11comp_targetILNS1_3genE4ELNS1_11target_archE910ELNS1_3gpuE8ELNS1_3repE0EEENS1_30default_config_static_selectorELNS0_4arch9wavefront6targetE1EEEvT1_,@function
_ZN7rocprim17ROCPRIM_400000_NS6detail17trampoline_kernelINS0_14default_configENS1_33run_length_encode_config_selectorIN3c104HalfEjNS0_4plusIjEEEEZZNS1_33reduce_by_key_impl_wrapped_configILNS1_25lookback_scan_determinismE0ES3_S9_PKS6_NS0_17constant_iteratorIjlEEPS6_PlSH_S8_NS0_8equal_toIS6_EEEE10hipError_tPvRmT2_T3_mT4_T5_T6_T7_T8_P12ihipStream_tbENKUlT_T0_E_clISt17integral_constantIbLb1EES11_EEDaSW_SX_EUlSW_E_NS1_11comp_targetILNS1_3genE4ELNS1_11target_archE910ELNS1_3gpuE8ELNS1_3repE0EEENS1_30default_config_static_selectorELNS0_4arch9wavefront6targetE1EEEvT1_: ; @_ZN7rocprim17ROCPRIM_400000_NS6detail17trampoline_kernelINS0_14default_configENS1_33run_length_encode_config_selectorIN3c104HalfEjNS0_4plusIjEEEEZZNS1_33reduce_by_key_impl_wrapped_configILNS1_25lookback_scan_determinismE0ES3_S9_PKS6_NS0_17constant_iteratorIjlEEPS6_PlSH_S8_NS0_8equal_toIS6_EEEE10hipError_tPvRmT2_T3_mT4_T5_T6_T7_T8_P12ihipStream_tbENKUlT_T0_E_clISt17integral_constantIbLb1EES11_EEDaSW_SX_EUlSW_E_NS1_11comp_targetILNS1_3genE4ELNS1_11target_archE910ELNS1_3gpuE8ELNS1_3repE0EEENS1_30default_config_static_selectorELNS0_4arch9wavefront6targetE1EEEvT1_
; %bb.0:
	s_load_dword s12, s[4:5], 0x10
	s_load_dwordx4 s[44:47], s[4:5], 0x20
	s_load_dwordx2 s[52:53], s[4:5], 0x30
	s_load_dwordx2 s[34:35], s[4:5], 0x70
	s_load_dwordx4 s[48:51], s[4:5], 0x60
	s_load_dwordx8 s[36:43], s[4:5], 0x40
	v_cmp_ne_u32_e64 s[2:3], 0, v0
	v_cmp_eq_u32_e64 s[0:1], 0, v0
	s_and_saveexec_b64 s[6:7], s[0:1]
	s_cbranch_execz .LBB936_4
; %bb.1:
	s_mov_b64 s[10:11], exec
	v_mbcnt_lo_u32_b32 v1, s10, 0
	v_mbcnt_hi_u32_b32 v1, s11, v1
	v_cmp_eq_u32_e32 vcc, 0, v1
                                        ; implicit-def: $vgpr2
	s_and_saveexec_b64 s[8:9], vcc
	s_cbranch_execz .LBB936_3
; %bb.2:
	s_load_dwordx2 s[14:15], s[4:5], 0x78
	s_bcnt1_i32_b64 s10, s[10:11]
	v_mov_b32_e32 v2, 0
	v_mov_b32_e32 v3, s10
	s_waitcnt lgkmcnt(0)
	global_atomic_add v2, v2, v3, s[14:15] glc
.LBB936_3:
	s_or_b64 exec, exec, s[8:9]
	s_waitcnt vmcnt(0)
	v_readfirstlane_b32 s8, v2
	v_add_u32_e32 v1, s8, v1
	v_mov_b32_e32 v2, 0
	ds_write_b32 v2, v1
.LBB936_4:
	s_or_b64 exec, exec, s[6:7]
	s_load_dwordx4 s[4:7], s[4:5], 0x0
	v_mov_b32_e32 v3, 0
	s_waitcnt lgkmcnt(0)
	s_barrier
	ds_read_b32 v1, v3
	s_mul_i32 s8, s40, s39
	s_mul_hi_u32 s9, s40, s38
	s_add_i32 s8, s9, s8
	s_mul_i32 s9, s41, s38
	s_add_i32 s8, s8, s9
	s_lshl_b64 s[6:7], s[6:7], 1
	s_add_u32 s4, s4, s6
	s_mul_i32 s9, s40, s38
	s_addc_u32 s5, s5, s7
	s_waitcnt lgkmcnt(0)
	v_readfirstlane_b32 s58, v1
	s_movk_i32 s6, 0xf00
	v_mul_lo_u32 v2, v1, s6
	s_add_u32 s6, s9, s58
	s_addc_u32 s7, s8, 0
	s_add_u32 s10, s42, -1
	v_lshlrev_b64 v[2:3], 1, v[2:3]
	s_addc_u32 s11, s43, -1
	v_mov_b32_e32 v1, s5
	v_add_co_u32_e32 v6, vcc, s4, v2
	s_cmp_eq_u64 s[6:7], s[10:11]
	v_addc_co_u32_e32 v7, vcc, v1, v3, vcc
	s_cselect_b64 s[40:41], -1, 0
	s_cmp_lg_u64 s[6:7], s[10:11]
	s_mov_b64 s[8:9], -1
	s_cselect_b64 s[4:5], -1, 0
	s_mul_i32 s33, s10, 0xfffff100
	s_and_b64 vcc, exec, s[40:41]
	s_barrier
	s_cbranch_vccnz .LBB936_6
; %bb.5:
	v_lshlrev_b32_e32 v1, 1, v0
	v_add_co_u32_e32 v2, vcc, v6, v1
	v_addc_co_u32_e32 v3, vcc, 0, v7, vcc
	v_add_co_u32_e32 v2, vcc, 0x1000, v2
	v_readfirstlane_b32 s8, v6
	v_readfirstlane_b32 s9, v7
	v_addc_co_u32_e32 v3, vcc, 0, v3, vcc
	s_nop 3
	global_load_ushort v4, v1, s[8:9]
	global_load_ushort v5, v1, s[8:9] offset:512
	global_load_ushort v12, v1, s[8:9] offset:1024
	global_load_ushort v13, v1, s[8:9] offset:1536
	global_load_ushort v14, v1, s[8:9] offset:2048
	global_load_ushort v19, v1, s[8:9] offset:2560
	global_load_ushort v20, v1, s[8:9] offset:3072
	global_load_ushort v21, v1, s[8:9] offset:3584
	global_load_ushort v22, v[2:3], off
	global_load_ushort v23, v[2:3], off offset:512
	global_load_ushort v24, v[2:3], off offset:1024
	global_load_ushort v25, v[2:3], off offset:1536
	global_load_ushort v26, v[2:3], off offset:2048
	global_load_ushort v27, v[2:3], off offset:2560
	global_load_ushort v28, v[2:3], off offset:3072
	v_mad_u32_u24 v30, v0, 28, v1
	s_movk_i32 s8, 0xffe6
	v_mul_u32_u24_e32 v8, 15, v0
	v_mad_u32_u24 v9, v0, 15, 1
	v_mad_u32_u24 v16, v0, 15, 3
	;; [unrolled: 1-line block ×7, first 2 shown]
	v_mov_b32_e32 v29, s12
	v_mad_i32_i24 v31, v0, s8, v30
	s_waitcnt vmcnt(14)
	ds_write_b16 v1, v4
	s_waitcnt vmcnt(13)
	ds_write_b16 v1, v5 offset:512
	s_waitcnt vmcnt(12)
	ds_write_b16 v1, v12 offset:1024
	;; [unrolled: 2-line block ×14, first 2 shown]
	s_waitcnt lgkmcnt(0)
	s_barrier
	ds_read_u16 v1, v30
	ds_read_b128 v[2:5], v30 offset:2
	ds_read_b96 v[12:14], v30 offset:18
	s_waitcnt lgkmcnt(0)
	s_barrier
	ds_write2st64_b32 v31, v29, v29 offset1:4
	ds_write2st64_b32 v31, v29, v29 offset0:8 offset1:12
	ds_write2st64_b32 v31, v29, v29 offset0:16 offset1:20
	;; [unrolled: 1-line block ×6, first 2 shown]
	ds_write_b32 v31, v29 offset:14336
	s_waitcnt lgkmcnt(0)
	s_barrier
	s_add_i32 s33, s33, s48
	s_cbranch_execz .LBB936_7
	s_branch .LBB936_38
.LBB936_6:
                                        ; implicit-def: $vgpr2
                                        ; implicit-def: $vgpr12
                                        ; implicit-def: $vgpr17
                                        ; implicit-def: $vgpr18
                                        ; implicit-def: $vgpr10
                                        ; implicit-def: $vgpr11
                                        ; implicit-def: $vgpr15
                                        ; implicit-def: $vgpr16
                                        ; implicit-def: $vgpr9
                                        ; implicit-def: $vgpr8
                                        ; implicit-def: $vgpr1
	s_andn2_b64 vcc, exec, s[8:9]
	s_add_i32 s33, s33, s48
	s_cbranch_vccnz .LBB936_38
.LBB936_7:
	v_cmp_gt_u32_e32 vcc, s33, v0
                                        ; implicit-def: $vgpr1
	s_and_saveexec_b64 s[8:9], vcc
	s_cbranch_execz .LBB936_9
; %bb.8:
	v_lshlrev_b32_e32 v1, 1, v0
	v_readfirstlane_b32 s10, v6
	v_readfirstlane_b32 s11, v7
	s_nop 4
	global_load_ushort v1, v1, s[10:11]
.LBB936_9:
	s_or_b64 exec, exec, s[8:9]
	v_or_b32_e32 v2, 0x100, v0
	v_cmp_gt_u32_e32 vcc, s33, v2
                                        ; implicit-def: $vgpr2
	s_and_saveexec_b64 s[8:9], vcc
	s_cbranch_execz .LBB936_11
; %bb.10:
	v_lshlrev_b32_e32 v2, 1, v0
	v_readfirstlane_b32 s10, v6
	v_readfirstlane_b32 s11, v7
	s_nop 4
	global_load_ushort v2, v2, s[10:11] offset:512
.LBB936_11:
	s_or_b64 exec, exec, s[8:9]
	v_or_b32_e32 v3, 0x200, v0
	v_cmp_gt_u32_e32 vcc, s33, v3
                                        ; implicit-def: $vgpr3
	s_and_saveexec_b64 s[8:9], vcc
	s_cbranch_execz .LBB936_13
; %bb.12:
	v_lshlrev_b32_e32 v3, 1, v0
	v_readfirstlane_b32 s10, v6
	v_readfirstlane_b32 s11, v7
	s_nop 4
	global_load_ushort v3, v3, s[10:11] offset:1024
.LBB936_13:
	s_or_b64 exec, exec, s[8:9]
	v_or_b32_e32 v4, 0x300, v0
	v_cmp_gt_u32_e32 vcc, s33, v4
                                        ; implicit-def: $vgpr4
	s_and_saveexec_b64 s[8:9], vcc
	s_cbranch_execz .LBB936_15
; %bb.14:
	v_lshlrev_b32_e32 v4, 1, v0
	v_readfirstlane_b32 s10, v6
	v_readfirstlane_b32 s11, v7
	s_nop 4
	global_load_ushort v4, v4, s[10:11] offset:1536
.LBB936_15:
	s_or_b64 exec, exec, s[8:9]
	v_or_b32_e32 v5, 0x400, v0
	v_cmp_gt_u32_e32 vcc, s33, v5
                                        ; implicit-def: $vgpr5
	s_and_saveexec_b64 s[8:9], vcc
	s_cbranch_execz .LBB936_17
; %bb.16:
	v_lshlrev_b32_e32 v5, 1, v0
	v_readfirstlane_b32 s10, v6
	v_readfirstlane_b32 s11, v7
	s_nop 4
	global_load_ushort v5, v5, s[10:11] offset:2048
.LBB936_17:
	s_or_b64 exec, exec, s[8:9]
	v_or_b32_e32 v8, 0x500, v0
	v_cmp_gt_u32_e32 vcc, s33, v8
                                        ; implicit-def: $vgpr8
	s_and_saveexec_b64 s[8:9], vcc
	s_cbranch_execz .LBB936_19
; %bb.18:
	v_lshlrev_b32_e32 v8, 1, v0
	v_readfirstlane_b32 s10, v6
	v_readfirstlane_b32 s11, v7
	s_nop 4
	global_load_ushort v8, v8, s[10:11] offset:2560
.LBB936_19:
	s_or_b64 exec, exec, s[8:9]
	v_or_b32_e32 v9, 0x600, v0
	v_cmp_gt_u32_e32 vcc, s33, v9
                                        ; implicit-def: $vgpr9
	s_and_saveexec_b64 s[8:9], vcc
	s_cbranch_execz .LBB936_21
; %bb.20:
	v_lshlrev_b32_e32 v9, 1, v0
	v_readfirstlane_b32 s10, v6
	v_readfirstlane_b32 s11, v7
	s_nop 4
	global_load_ushort v9, v9, s[10:11] offset:3072
.LBB936_21:
	s_or_b64 exec, exec, s[8:9]
	v_or_b32_e32 v10, 0x700, v0
	v_cmp_gt_u32_e32 vcc, s33, v10
                                        ; implicit-def: $vgpr10
	s_and_saveexec_b64 s[8:9], vcc
	s_cbranch_execz .LBB936_23
; %bb.22:
	v_lshlrev_b32_e32 v10, 1, v0
	v_readfirstlane_b32 s10, v6
	v_readfirstlane_b32 s11, v7
	s_nop 4
	global_load_ushort v10, v10, s[10:11] offset:3584
.LBB936_23:
	s_or_b64 exec, exec, s[8:9]
	v_or_b32_e32 v12, 0x800, v0
	v_cmp_gt_u32_e32 vcc, s33, v12
                                        ; implicit-def: $vgpr11
	s_and_saveexec_b64 s[8:9], vcc
	s_cbranch_execz .LBB936_25
; %bb.24:
	v_lshlrev_b32_e32 v11, 1, v12
	v_readfirstlane_b32 s10, v6
	v_readfirstlane_b32 s11, v7
	s_nop 4
	global_load_ushort v11, v11, s[10:11]
.LBB936_25:
	s_or_b64 exec, exec, s[8:9]
	v_or_b32_e32 v13, 0x900, v0
	v_cmp_gt_u32_e32 vcc, s33, v13
                                        ; implicit-def: $vgpr12
	s_and_saveexec_b64 s[8:9], vcc
	s_cbranch_execz .LBB936_27
; %bb.26:
	v_lshlrev_b32_e32 v12, 1, v13
	v_readfirstlane_b32 s10, v6
	v_readfirstlane_b32 s11, v7
	s_nop 4
	global_load_ushort v12, v12, s[10:11]
.LBB936_27:
	s_or_b64 exec, exec, s[8:9]
	v_or_b32_e32 v14, 0xa00, v0
	v_cmp_gt_u32_e32 vcc, s33, v14
                                        ; implicit-def: $vgpr13
	s_and_saveexec_b64 s[8:9], vcc
	s_cbranch_execz .LBB936_29
; %bb.28:
	v_lshlrev_b32_e32 v13, 1, v14
	v_readfirstlane_b32 s10, v6
	v_readfirstlane_b32 s11, v7
	s_nop 4
	global_load_ushort v13, v13, s[10:11]
.LBB936_29:
	s_or_b64 exec, exec, s[8:9]
	v_or_b32_e32 v15, 0xb00, v0
	v_cmp_gt_u32_e32 vcc, s33, v15
                                        ; implicit-def: $vgpr14
	s_and_saveexec_b64 s[8:9], vcc
	s_cbranch_execz .LBB936_31
; %bb.30:
	v_lshlrev_b32_e32 v14, 1, v15
	v_readfirstlane_b32 s10, v6
	v_readfirstlane_b32 s11, v7
	s_nop 4
	global_load_ushort v14, v14, s[10:11]
.LBB936_31:
	s_or_b64 exec, exec, s[8:9]
	v_or_b32_e32 v16, 0xc00, v0
	v_cmp_gt_u32_e32 vcc, s33, v16
                                        ; implicit-def: $vgpr15
	s_and_saveexec_b64 s[8:9], vcc
	s_cbranch_execz .LBB936_33
; %bb.32:
	v_lshlrev_b32_e32 v15, 1, v16
	v_readfirstlane_b32 s10, v6
	v_readfirstlane_b32 s11, v7
	s_nop 4
	global_load_ushort v15, v15, s[10:11]
.LBB936_33:
	s_or_b64 exec, exec, s[8:9]
	v_or_b32_e32 v17, 0xd00, v0
	v_cmp_gt_u32_e32 vcc, s33, v17
                                        ; implicit-def: $vgpr16
	s_and_saveexec_b64 s[8:9], vcc
	s_cbranch_execz .LBB936_35
; %bb.34:
	v_lshlrev_b32_e32 v16, 1, v17
	v_readfirstlane_b32 s10, v6
	v_readfirstlane_b32 s11, v7
	s_nop 4
	global_load_ushort v16, v16, s[10:11]
.LBB936_35:
	s_or_b64 exec, exec, s[8:9]
	v_or_b32_e32 v18, 0xe00, v0
	v_cmp_gt_u32_e32 vcc, s33, v18
                                        ; implicit-def: $vgpr17
	s_and_saveexec_b64 s[8:9], vcc
	s_cbranch_execz .LBB936_37
; %bb.36:
	v_lshlrev_b32_e32 v17, 1, v18
	v_readfirstlane_b32 s10, v6
	v_readfirstlane_b32 s11, v7
	s_nop 4
	global_load_ushort v17, v17, s[10:11]
.LBB936_37:
	s_or_b64 exec, exec, s[8:9]
	v_lshlrev_b32_e32 v18, 1, v0
	v_mad_u32_u24 v19, v0, 28, v18
	s_waitcnt vmcnt(0)
	ds_write_b16 v18, v1
	ds_write_b16 v18, v2 offset:512
	ds_write_b16 v18, v3 offset:1024
	;; [unrolled: 1-line block ×14, first 2 shown]
	s_waitcnt lgkmcnt(0)
	s_barrier
	ds_read_u16 v1, v19
	ds_read_b128 v[2:5], v19 offset:2
	ds_read_b96 v[12:14], v19 offset:18
	s_movk_i32 s8, 0xffe6
	v_mul_u32_u24_e32 v8, 15, v0
	v_mad_u32_u24 v9, v0, 15, 1
	v_mad_u32_u24 v16, v0, 15, 3
	v_mad_u32_u24 v15, v0, 15, 5
	v_mad_u32_u24 v11, v0, 15, 7
	v_mad_u32_u24 v10, v0, 15, 9
	v_mad_u32_u24 v18, v0, 15, 11
	v_mad_u32_u24 v17, v0, 15, 13
	v_mad_i32_i24 v19, v0, s8, v19
	v_mov_b32_e32 v20, s12
	s_waitcnt lgkmcnt(0)
	s_barrier
	ds_write2st64_b32 v19, v20, v20 offset1:4
	ds_write2st64_b32 v19, v20, v20 offset0:8 offset1:12
	ds_write2st64_b32 v19, v20, v20 offset0:16 offset1:20
	;; [unrolled: 1-line block ×6, first 2 shown]
	ds_write_b32 v19, v20 offset:14336
	s_waitcnt lgkmcnt(0)
	s_barrier
.LBB936_38:
	v_lshlrev_b32_e32 v8, 2, v8
	ds_read2_b32 v[54:55], v8 offset1:2
	ds_read2_b32 v[52:53], v8 offset0:4 offset1:6
	ds_read2_b32 v[50:51], v8 offset0:8 offset1:10
	;; [unrolled: 1-line block ×3, first 2 shown]
	v_lshlrev_b32_e32 v8, 2, v9
	v_lshlrev_b32_e32 v9, 2, v16
	v_lshlrev_b32_e32 v15, 2, v15
	v_lshlrev_b32_e32 v11, 2, v11
	v_lshlrev_b32_e32 v10, 2, v10
	v_lshlrev_b32_e32 v16, 2, v18
	v_lshlrev_b32_e32 v17, 2, v17
	ds_read_b32 v76, v8
	ds_read_b32 v75, v9
	;; [unrolled: 1-line block ×7, first 2 shown]
	s_cmp_eq_u64 s[6:7], 0
	s_cselect_b64 s[42:43], -1, 0
	s_cmp_lg_u64 s[6:7], 0
	s_mov_b64 s[8:9], 0
	s_cselect_b64 s[10:11], -1, 0
	s_and_b64 vcc, exec, s[4:5]
	s_waitcnt lgkmcnt(0)
	s_barrier
	s_cbranch_vccz .LBB936_44
; %bb.39:
	s_and_b64 vcc, exec, s[10:11]
	s_cbranch_vccz .LBB936_45
; %bb.40:
	global_load_ushort v8, v[6:7], off offset:-2
	v_lshrrev_b32_e32 v10, 16, v14
	v_lshlrev_b32_e32 v9, 1, v0
	v_cmp_neq_f16_e32 vcc, v14, v10
	v_cmp_neq_f16_sdwa s[8:9], v13, v14 src0_sel:WORD_1 src1_sel:DWORD
	v_cmp_neq_f16_sdwa s[12:13], v13, v13 src0_sel:DWORD src1_sel:WORD_1
	v_cmp_neq_f16_sdwa s[14:15], v12, v13 src0_sel:WORD_1 src1_sel:DWORD
	v_cmp_neq_f16_sdwa s[16:17], v12, v12 src0_sel:DWORD src1_sel:WORD_1
	;; [unrolled: 2-line block ×6, first 2 shown]
	v_cmp_neq_f16_e64 s[4:5], v1, v2
	ds_write_b16 v9, v10
	s_waitcnt lgkmcnt(0)
	s_barrier
	s_and_saveexec_b64 s[56:57], s[2:3]
	s_cbranch_execz .LBB936_42
; %bb.41:
	s_waitcnt vmcnt(0)
	v_add_u32_e32 v8, -2, v9
	ds_read_u16 v8, v8
.LBB936_42:
	s_or_b64 exec, exec, s[56:57]
	v_cndmask_b32_e64 v15, 0, 1, vcc
	v_cndmask_b32_e64 v56, 0, 1, s[8:9]
	v_cndmask_b32_e64 v57, 0, 1, s[12:13]
	;; [unrolled: 1-line block ×13, first 2 shown]
	s_waitcnt vmcnt(0) lgkmcnt(0)
	v_cmp_neq_f16_e64 s[4:5], v1, v8
	s_mov_b64 s[8:9], -1
.LBB936_43:
                                        ; implicit-def: $sgpr14
	s_branch .LBB936_57
.LBB936_44:
                                        ; implicit-def: $sgpr4_sgpr5
                                        ; implicit-def: $vgpr15
                                        ; implicit-def: $vgpr56
                                        ; implicit-def: $vgpr57
                                        ; implicit-def: $vgpr58
                                        ; implicit-def: $vgpr59
                                        ; implicit-def: $vgpr60
                                        ; implicit-def: $vgpr61
                                        ; implicit-def: $vgpr62
                                        ; implicit-def: $vgpr63
                                        ; implicit-def: $vgpr64
                                        ; implicit-def: $vgpr65
                                        ; implicit-def: $vgpr66
                                        ; implicit-def: $vgpr67
                                        ; implicit-def: $vgpr68
                                        ; implicit-def: $sgpr14
	s_cbranch_execnz .LBB936_49
	s_branch .LBB936_57
.LBB936_45:
                                        ; implicit-def: $sgpr4_sgpr5
                                        ; implicit-def: $vgpr15
                                        ; implicit-def: $vgpr56
                                        ; implicit-def: $vgpr57
                                        ; implicit-def: $vgpr58
                                        ; implicit-def: $vgpr59
                                        ; implicit-def: $vgpr60
                                        ; implicit-def: $vgpr61
                                        ; implicit-def: $vgpr62
                                        ; implicit-def: $vgpr63
                                        ; implicit-def: $vgpr64
                                        ; implicit-def: $vgpr65
                                        ; implicit-def: $vgpr66
                                        ; implicit-def: $vgpr67
                                        ; implicit-def: $vgpr68
	s_cbranch_execz .LBB936_43
; %bb.46:
	v_cmp_neq_f16_sdwa s[4:5], v13, v14 src0_sel:WORD_1 src1_sel:DWORD
	v_cndmask_b32_e64 v56, 0, 1, s[4:5]
	v_cmp_neq_f16_sdwa s[4:5], v13, v13 src0_sel:DWORD src1_sel:WORD_1
	v_cndmask_b32_e64 v57, 0, 1, s[4:5]
	v_cmp_neq_f16_sdwa s[4:5], v12, v13 src0_sel:WORD_1 src1_sel:DWORD
	v_cndmask_b32_e64 v58, 0, 1, s[4:5]
	v_cmp_neq_f16_sdwa s[4:5], v12, v12 src0_sel:DWORD src1_sel:WORD_1
	v_cndmask_b32_e64 v59, 0, 1, s[4:5]
	;; [unrolled: 4-line block ×4, first 2 shown]
	v_cmp_neq_f16_sdwa s[4:5], v3, v4 src0_sel:WORD_1 src1_sel:DWORD
	v_lshrrev_b32_e32 v9, 16, v14
	v_cndmask_b32_e64 v64, 0, 1, s[4:5]
	v_cmp_neq_f16_sdwa s[4:5], v3, v3 src0_sel:DWORD src1_sel:WORD_1
	v_cmp_neq_f16_e32 vcc, v14, v9
	v_cndmask_b32_e64 v65, 0, 1, s[4:5]
	v_cmp_neq_f16_sdwa s[4:5], v2, v3 src0_sel:WORD_1 src1_sel:DWORD
	v_cndmask_b32_e64 v15, 0, 1, vcc
	v_cndmask_b32_e64 v66, 0, 1, s[4:5]
	v_cmp_neq_f16_sdwa s[4:5], v2, v2 src0_sel:DWORD src1_sel:WORD_1
	v_cmp_neq_f16_e32 vcc, v1, v2
	s_mov_b32 s14, 1
	v_lshlrev_b32_e32 v8, 1, v0
	v_cndmask_b32_e64 v67, 0, 1, s[4:5]
	v_cndmask_b32_e64 v68, 0, 1, vcc
	ds_write_b16 v8, v9
	s_waitcnt lgkmcnt(0)
	s_barrier
	s_waitcnt lgkmcnt(0)
                                        ; implicit-def: $sgpr4_sgpr5
	s_and_saveexec_b64 s[12:13], s[2:3]
	s_xor_b64 s[12:13], exec, s[12:13]
	s_cbranch_execz .LBB936_48
; %bb.47:
	v_add_u32_e32 v8, -2, v8
	ds_read_u16 v8, v8
	s_or_b64 s[8:9], s[8:9], exec
	s_waitcnt lgkmcnt(0)
	v_cmp_neq_f16_e32 vcc, v8, v1
	s_and_b64 s[4:5], vcc, exec
.LBB936_48:
	s_or_b64 exec, exec, s[12:13]
	s_branch .LBB936_57
.LBB936_49:
	s_mul_hi_u32 s5, s6, 0xfffff100
	s_mul_i32 s4, s7, 0xfffff100
	s_sub_i32 s5, s5, s6
	s_add_i32 s5, s5, s4
	s_mul_i32 s4, s6, 0xfffff100
	s_add_u32 s6, s4, s48
	s_addc_u32 s7, s5, s49
	s_and_b64 vcc, exec, s[10:11]
	s_cbranch_vccz .LBB936_54
; %bb.50:
	global_load_ushort v10, v[6:7], off offset:-2
	v_lshrrev_b32_e32 v11, 16, v14
	v_mad_u32_u24 v8, v0, 15, 14
	v_mov_b32_e32 v9, 0
	v_cmp_gt_u64_e32 vcc, s[6:7], v[8:9]
	v_cmp_neq_f16_e64 s[4:5], v14, v11
	v_mad_u32_u24 v8, v0, 15, 13
	s_and_b64 s[8:9], vcc, s[4:5]
	v_cmp_gt_u64_e32 vcc, s[6:7], v[8:9]
	v_cmp_neq_f16_sdwa s[4:5], v13, v14 src0_sel:WORD_1 src1_sel:DWORD
	v_mad_u32_u24 v8, v0, 15, 12
	s_and_b64 s[10:11], vcc, s[4:5]
	v_cmp_gt_u64_e32 vcc, s[6:7], v[8:9]
	v_cmp_neq_f16_sdwa s[4:5], v13, v13 src0_sel:DWORD src1_sel:WORD_1
	v_mad_u32_u24 v8, v0, 15, 11
	s_and_b64 s[12:13], vcc, s[4:5]
	v_cmp_gt_u64_e32 vcc, s[6:7], v[8:9]
	v_cmp_neq_f16_sdwa s[4:5], v12, v13 src0_sel:WORD_1 src1_sel:DWORD
	v_mad_u32_u24 v8, v0, 15, 10
	s_and_b64 s[14:15], vcc, s[4:5]
	v_cmp_gt_u64_e32 vcc, s[6:7], v[8:9]
	v_cmp_neq_f16_sdwa s[4:5], v12, v12 src0_sel:DWORD src1_sel:WORD_1
	;; [unrolled: 8-line block ×6, first 2 shown]
	v_mad_u32_u24 v8, v0, 15, 1
	s_and_b64 s[48:49], vcc, s[4:5]
	v_cmp_gt_u64_e32 vcc, s[6:7], v[8:9]
	v_cmp_neq_f16_e64 s[4:5], v1, v2
	v_lshlrev_b32_e32 v7, 1, v0
	v_mul_u32_u24_e32 v6, 15, v0
	s_and_b64 s[4:5], vcc, s[4:5]
	ds_write_b16 v7, v11
	s_waitcnt lgkmcnt(0)
	s_barrier
	s_and_saveexec_b64 s[54:55], s[2:3]
	s_cbranch_execz .LBB936_52
; %bb.51:
	v_add_u32_e32 v7, -2, v7
	s_waitcnt vmcnt(0)
	ds_read_u16 v10, v7
.LBB936_52:
	s_or_b64 exec, exec, s[54:55]
	v_mov_b32_e32 v7, v9
	v_cndmask_b32_e64 v68, 0, 1, s[4:5]
	v_cmp_gt_u64_e32 vcc, s[6:7], v[6:7]
	s_waitcnt vmcnt(0) lgkmcnt(0)
	v_cmp_neq_f16_e64 s[4:5], v1, v10
	v_cndmask_b32_e64 v15, 0, 1, s[8:9]
	v_cndmask_b32_e64 v56, 0, 1, s[10:11]
	;; [unrolled: 1-line block ×13, first 2 shown]
	s_and_b64 s[4:5], vcc, s[4:5]
	s_mov_b64 s[8:9], -1
.LBB936_53:
                                        ; implicit-def: $sgpr14
	v_mov_b32_e32 v69, s14
	s_and_saveexec_b64 s[2:3], s[8:9]
	s_cbranch_execnz .LBB936_58
	s_branch .LBB936_59
.LBB936_54:
                                        ; implicit-def: $sgpr4_sgpr5
                                        ; implicit-def: $vgpr15
                                        ; implicit-def: $vgpr56
                                        ; implicit-def: $vgpr57
                                        ; implicit-def: $vgpr58
                                        ; implicit-def: $vgpr59
                                        ; implicit-def: $vgpr60
                                        ; implicit-def: $vgpr61
                                        ; implicit-def: $vgpr62
                                        ; implicit-def: $vgpr63
                                        ; implicit-def: $vgpr64
                                        ; implicit-def: $vgpr65
                                        ; implicit-def: $vgpr66
                                        ; implicit-def: $vgpr67
                                        ; implicit-def: $vgpr68
	s_cbranch_execz .LBB936_53
; %bb.55:
	v_lshrrev_b32_e32 v9, 16, v14
	v_mad_u32_u24 v6, v0, 15, 14
	v_mov_b32_e32 v7, 0
	v_cmp_gt_u64_e32 vcc, s[6:7], v[6:7]
	v_cmp_neq_f16_e64 s[4:5], v14, v9
	s_and_b64 s[4:5], vcc, s[4:5]
	v_mad_u32_u24 v6, v0, 15, 13
	v_cndmask_b32_e64 v15, 0, 1, s[4:5]
	v_cmp_gt_u64_e32 vcc, s[6:7], v[6:7]
	v_cmp_neq_f16_sdwa s[4:5], v13, v14 src0_sel:WORD_1 src1_sel:DWORD
	s_and_b64 s[4:5], vcc, s[4:5]
	v_mad_u32_u24 v6, v0, 15, 12
	v_cndmask_b32_e64 v56, 0, 1, s[4:5]
	v_cmp_gt_u64_e32 vcc, s[6:7], v[6:7]
	v_cmp_neq_f16_sdwa s[4:5], v13, v13 src0_sel:DWORD src1_sel:WORD_1
	s_and_b64 s[4:5], vcc, s[4:5]
	v_mad_u32_u24 v6, v0, 15, 11
	v_cndmask_b32_e64 v57, 0, 1, s[4:5]
	v_cmp_gt_u64_e32 vcc, s[6:7], v[6:7]
	v_cmp_neq_f16_sdwa s[4:5], v12, v13 src0_sel:WORD_1 src1_sel:DWORD
	s_and_b64 s[4:5], vcc, s[4:5]
	v_mad_u32_u24 v6, v0, 15, 10
	v_cndmask_b32_e64 v58, 0, 1, s[4:5]
	v_cmp_gt_u64_e32 vcc, s[6:7], v[6:7]
	v_cmp_neq_f16_sdwa s[4:5], v12, v12 src0_sel:DWORD src1_sel:WORD_1
	;; [unrolled: 10-line block ×6, first 2 shown]
	s_and_b64 s[4:5], vcc, s[4:5]
	v_mad_u32_u24 v6, v0, 15, 1
	v_cndmask_b32_e64 v67, 0, 1, s[4:5]
	v_cmp_gt_u64_e32 vcc, s[6:7], v[6:7]
	v_cmp_neq_f16_e64 s[4:5], v1, v2
	s_and_b64 s[4:5], vcc, s[4:5]
	s_mov_b32 s14, 1
	v_lshlrev_b32_e32 v8, 1, v0
	v_cndmask_b32_e64 v68, 0, 1, s[4:5]
	ds_write_b16 v8, v9
	s_waitcnt lgkmcnt(0)
	s_barrier
	s_waitcnt lgkmcnt(0)
                                        ; implicit-def: $sgpr4_sgpr5
	s_and_saveexec_b64 s[10:11], s[2:3]
	s_cbranch_execz .LBB936_154
; %bb.56:
	v_add_u32_e32 v6, -2, v8
	ds_read_u16 v8, v6
	v_mul_u32_u24_e32 v6, 15, v0
	v_cmp_gt_u64_e32 vcc, s[6:7], v[6:7]
	s_or_b64 s[8:9], s[8:9], exec
	s_waitcnt lgkmcnt(0)
	v_cmp_neq_f16_e64 s[2:3], v8, v1
	s_and_b64 s[2:3], vcc, s[2:3]
	s_and_b64 s[4:5], s[2:3], exec
	s_or_b64 exec, exec, s[10:11]
.LBB936_57:
	v_mov_b32_e32 v69, s14
	s_and_saveexec_b64 s[2:3], s[8:9]
.LBB936_58:
	v_cndmask_b32_e64 v69, 0, 1, s[4:5]
.LBB936_59:
	s_or_b64 exec, exec, s[2:3]
	s_cmp_eq_u64 s[38:39], 0
	v_add3_u32 v6, v68, v69, v67
	s_cselect_b64 s[38:39], -1, 0
	s_cmp_lg_u32 s58, 0
	v_cmp_eq_u32_e64 s[26:27], 0, v68
	v_cmp_eq_u32_e64 s[24:25], 0, v67
	;; [unrolled: 1-line block ×3, first 2 shown]
	v_add3_u32 v80, v6, v66, v65
	v_cmp_eq_u32_e64 s[20:21], 0, v65
	v_cmp_eq_u32_e64 s[18:19], 0, v64
	;; [unrolled: 1-line block ×10, first 2 shown]
	v_cmp_eq_u32_e32 vcc, 0, v15
	v_mbcnt_lo_u32_b32 v79, -1, 0
	v_lshrrev_b32_e32 v77, 6, v0
	v_or_b32_e32 v78, 63, v0
	s_cbranch_scc0 .LBB936_90
; %bb.60:
	v_cndmask_b32_e64 v6, 0, v54, s[26:27]
	v_add_u32_e32 v6, v6, v76
	v_cndmask_b32_e64 v6, 0, v6, s[24:25]
	v_add_u32_e32 v6, v6, v55
	;; [unrolled: 2-line block ×11, first 2 shown]
	v_cndmask_b32_e64 v6, 0, v6, s[4:5]
	v_add3_u32 v7, v80, v64, v63
	v_add_u32_e32 v6, v6, v48
	v_add3_u32 v7, v7, v62, v61
	v_cndmask_b32_e64 v6, 0, v6, s[2:3]
	v_add3_u32 v7, v7, v60, v59
	v_add_u32_e32 v6, v6, v70
	v_add3_u32 v7, v7, v58, v57
	v_cndmask_b32_e32 v6, 0, v6, vcc
	v_add3_u32 v7, v7, v56, v15
	v_add_u32_e32 v6, v6, v49
	v_mbcnt_hi_u32_b32 v19, -1, v79
	v_and_b32_e32 v8, 15, v19
	v_mov_b32_dpp v10, v6 row_shr:1 row_mask:0xf bank_mask:0xf
	v_cmp_eq_u32_e32 vcc, 0, v7
	v_mov_b32_dpp v9, v7 row_shr:1 row_mask:0xf bank_mask:0xf
	v_cndmask_b32_e32 v10, 0, v10, vcc
	v_cmp_eq_u32_e32 vcc, 0, v8
	v_cndmask_b32_e64 v9, v9, 0, vcc
	v_add_u32_e32 v7, v9, v7
	v_cndmask_b32_e64 v9, v10, 0, vcc
	v_add_u32_e32 v6, v9, v6
	v_cmp_eq_u32_e32 vcc, 0, v7
	v_mov_b32_dpp v9, v7 row_shr:2 row_mask:0xf bank_mask:0xf
	v_cmp_lt_u32_e64 s[28:29], 1, v8
	v_mov_b32_dpp v10, v6 row_shr:2 row_mask:0xf bank_mask:0xf
	v_cndmask_b32_e64 v9, 0, v9, s[28:29]
	s_and_b64 vcc, s[28:29], vcc
	v_cndmask_b32_e32 v10, 0, v10, vcc
	v_add_u32_e32 v7, v7, v9
	v_add_u32_e32 v6, v10, v6
	v_cmp_eq_u32_e32 vcc, 0, v7
	v_mov_b32_dpp v9, v7 row_shr:4 row_mask:0xf bank_mask:0xf
	v_cmp_lt_u32_e64 s[28:29], 3, v8
	v_mov_b32_dpp v10, v6 row_shr:4 row_mask:0xf bank_mask:0xf
	v_cndmask_b32_e64 v9, 0, v9, s[28:29]
	s_and_b64 vcc, s[28:29], vcc
	v_cndmask_b32_e32 v10, 0, v10, vcc
	v_add_u32_e32 v7, v9, v7
	v_add_u32_e32 v6, v6, v10
	v_cmp_eq_u32_e32 vcc, 0, v7
	v_cmp_lt_u32_e64 s[28:29], 7, v8
	v_mov_b32_dpp v9, v7 row_shr:8 row_mask:0xf bank_mask:0xf
	v_mov_b32_dpp v10, v6 row_shr:8 row_mask:0xf bank_mask:0xf
	s_and_b64 vcc, s[28:29], vcc
	v_cndmask_b32_e64 v8, 0, v9, s[28:29]
	v_cndmask_b32_e32 v9, 0, v10, vcc
	v_add_u32_e32 v6, v9, v6
	v_add_u32_e32 v7, v8, v7
	v_bfe_i32 v10, v19, 4, 1
	v_mov_b32_dpp v9, v6 row_bcast:15 row_mask:0xf bank_mask:0xf
	v_mov_b32_dpp v8, v7 row_bcast:15 row_mask:0xf bank_mask:0xf
	v_cmp_eq_u32_e32 vcc, 0, v7
	v_cndmask_b32_e32 v9, 0, v9, vcc
	v_and_b32_e32 v8, v10, v8
	v_add_u32_e32 v7, v8, v7
	v_and_b32_e32 v8, v10, v9
	v_add_u32_e32 v8, v8, v6
	v_mov_b32_dpp v6, v7 row_bcast:31 row_mask:0xf bank_mask:0xf
	v_cmp_eq_u32_e32 vcc, 0, v7
	v_cmp_lt_u32_e64 s[28:29], 31, v19
	v_mov_b32_dpp v9, v8 row_bcast:31 row_mask:0xf bank_mask:0xf
	v_cndmask_b32_e64 v6, 0, v6, s[28:29]
	s_and_b64 vcc, s[28:29], vcc
	v_add_u32_e32 v6, v6, v7
	v_cndmask_b32_e32 v7, 0, v9, vcc
	v_add_u32_e32 v7, v7, v8
	v_cmp_eq_u32_e32 vcc, v78, v0
	v_lshlrev_b32_e32 v8, 3, v77
	s_and_saveexec_b64 s[28:29], vcc
	s_cbranch_execz .LBB936_62
; %bb.61:
	ds_write_b64 v8, v[6:7] offset:1040
.LBB936_62:
	s_or_b64 exec, exec, s[28:29]
	v_cmp_gt_u32_e32 vcc, 4, v0
	s_waitcnt lgkmcnt(0)
	s_barrier
	s_and_saveexec_b64 s[30:31], vcc
	s_cbranch_execz .LBB936_64
; %bb.63:
	v_lshlrev_b32_e32 v9, 3, v0
	ds_read_b64 v[10:11], v9 offset:1040
	v_and_b32_e32 v16, 3, v19
	v_cmp_lt_u32_e64 s[28:29], 1, v16
	s_waitcnt lgkmcnt(0)
	v_mov_b32_dpp v18, v11 row_shr:1 row_mask:0xf bank_mask:0xf
	v_cmp_eq_u32_e32 vcc, 0, v10
	v_mov_b32_dpp v17, v10 row_shr:1 row_mask:0xf bank_mask:0xf
	v_cndmask_b32_e32 v18, 0, v18, vcc
	v_cmp_eq_u32_e32 vcc, 0, v16
	v_cndmask_b32_e64 v17, v17, 0, vcc
	v_add_u32_e32 v10, v17, v10
	v_cndmask_b32_e64 v17, v18, 0, vcc
	v_add_u32_e32 v11, v17, v11
	v_cmp_eq_u32_e32 vcc, 0, v10
	v_mov_b32_dpp v17, v10 row_shr:2 row_mask:0xf bank_mask:0xf
	v_mov_b32_dpp v18, v11 row_shr:2 row_mask:0xf bank_mask:0xf
	v_cndmask_b32_e64 v16, 0, v17, s[28:29]
	s_and_b64 vcc, s[28:29], vcc
	v_add_u32_e32 v10, v16, v10
	v_cndmask_b32_e32 v16, 0, v18, vcc
	v_add_u32_e32 v11, v16, v11
	ds_write_b64 v9, v[10:11] offset:1040
.LBB936_64:
	s_or_b64 exec, exec, s[30:31]
	v_cmp_gt_u32_e32 vcc, 64, v0
	v_cmp_lt_u32_e64 s[28:29], 63, v0
	v_mov_b32_e32 v16, 0
	v_mov_b32_e32 v17, 0
	s_waitcnt lgkmcnt(0)
	s_barrier
	s_and_saveexec_b64 s[30:31], s[28:29]
	s_cbranch_execz .LBB936_66
; %bb.65:
	ds_read_b64 v[16:17], v8 offset:1032
	v_cmp_eq_u32_e64 s[28:29], 0, v6
	s_waitcnt lgkmcnt(0)
	v_add_u32_e32 v8, v16, v6
	v_cndmask_b32_e64 v6, 0, v17, s[28:29]
	v_add_u32_e32 v7, v6, v7
	v_mov_b32_e32 v6, v8
.LBB936_66:
	s_or_b64 exec, exec, s[30:31]
	v_add_u32_e32 v8, -1, v19
	v_and_b32_e32 v9, 64, v19
	v_cmp_lt_i32_e64 s[28:29], v8, v9
	v_cndmask_b32_e64 v8, v8, v19, s[28:29]
	v_lshlrev_b32_e32 v8, 2, v8
	ds_bpermute_b32 v24, v8, v6
	ds_bpermute_b32 v25, v8, v7
	v_cmp_eq_u32_e64 s[28:29], 0, v19
	s_and_saveexec_b64 s[48:49], vcc
	s_cbranch_execz .LBB936_89
; %bb.67:
	v_mov_b32_e32 v11, 0
	ds_read_b64 v[6:7], v11 offset:1064
	s_waitcnt lgkmcnt(0)
	v_readfirstlane_b32 s56, v6
	v_readfirstlane_b32 s57, v7
	s_and_saveexec_b64 s[30:31], s[28:29]
	s_cbranch_execz .LBB936_69
; %bb.68:
	s_add_i32 s54, s58, 64
	s_mov_b32 s55, 0
	s_lshl_b64 s[60:61], s[54:55], 4
	s_add_u32 s60, s36, s60
	s_addc_u32 s61, s37, s61
	s_and_b32 s63, s57, 0xff000000
	s_mov_b32 s62, s55
	s_and_b32 s65, s57, 0xff0000
	s_mov_b32 s64, s55
	s_or_b64 s[62:63], s[64:65], s[62:63]
	s_and_b32 s65, s57, 0xff00
	s_or_b64 s[62:63], s[62:63], s[64:65]
	s_and_b32 s65, s57, 0xff
	s_or_b64 s[54:55], s[62:63], s[64:65]
	v_mov_b32_e32 v8, s56
	v_mov_b32_e32 v9, s55
	;; [unrolled: 1-line block ×3, first 2 shown]
	v_pk_mov_b32 v[6:7], s[60:61], s[60:61] op_sel:[0,1]
	;;#ASMSTART
	global_store_dwordx4 v[6:7], v[8:11] off	
s_waitcnt vmcnt(0)
	;;#ASMEND
.LBB936_69:
	s_or_b64 exec, exec, s[30:31]
	v_xad_u32 v18, v19, -1, s58
	v_add_u32_e32 v10, 64, v18
	v_lshlrev_b64 v[6:7], 4, v[10:11]
	v_mov_b32_e32 v8, s37
	v_add_co_u32_e32 v20, vcc, s36, v6
	v_addc_co_u32_e32 v21, vcc, v8, v7, vcc
	;;#ASMSTART
	global_load_dwordx4 v[6:9], v[20:21] off glc	
s_waitcnt vmcnt(0)
	;;#ASMEND
	v_and_b32_e32 v9, 0xff, v7
	v_and_b32_e32 v10, 0xff00, v7
	v_or3_b32 v9, 0, v9, v10
	v_or3_b32 v6, v6, 0, 0
	v_and_b32_e32 v10, 0xff000000, v7
	v_and_b32_e32 v7, 0xff0000, v7
	v_or3_b32 v7, v9, v7, v10
	v_or3_b32 v6, v6, 0, 0
	v_cmp_eq_u16_sdwa s[54:55], v8, v11 src0_sel:BYTE_0 src1_sel:DWORD
	s_and_saveexec_b64 s[30:31], s[54:55]
	s_cbranch_execz .LBB936_75
; %bb.70:
	s_mov_b32 s59, 1
	s_mov_b64 s[54:55], 0
	v_mov_b32_e32 v10, 0
.LBB936_71:                             ; =>This Loop Header: Depth=1
                                        ;     Child Loop BB936_72 Depth 2
	s_max_u32 s60, s59, 1
.LBB936_72:                             ;   Parent Loop BB936_71 Depth=1
                                        ; =>  This Inner Loop Header: Depth=2
	s_add_i32 s60, s60, -1
	s_cmp_eq_u32 s60, 0
	s_sleep 1
	s_cbranch_scc0 .LBB936_72
; %bb.73:                               ;   in Loop: Header=BB936_71 Depth=1
	s_cmp_lt_u32 s59, 32
	s_cselect_b64 s[60:61], -1, 0
	s_cmp_lg_u64 s[60:61], 0
	s_addc_u32 s59, s59, 0
	;;#ASMSTART
	global_load_dwordx4 v[6:9], v[20:21] off glc	
s_waitcnt vmcnt(0)
	;;#ASMEND
	v_cmp_ne_u16_sdwa s[60:61], v8, v10 src0_sel:BYTE_0 src1_sel:DWORD
	s_or_b64 s[54:55], s[60:61], s[54:55]
	s_andn2_b64 exec, exec, s[54:55]
	s_cbranch_execnz .LBB936_71
; %bb.74:
	s_or_b64 exec, exec, s[54:55]
.LBB936_75:
	s_or_b64 exec, exec, s[30:31]
	v_mov_b32_e32 v26, 2
	v_cmp_eq_u16_sdwa s[30:31], v8, v26 src0_sel:BYTE_0 src1_sel:DWORD
	v_lshlrev_b64 v[20:21], v19, -1
	v_and_b32_e32 v9, s31, v21
	v_and_b32_e32 v27, 63, v19
	v_or_b32_e32 v9, 0x80000000, v9
	v_cmp_ne_u32_e32 vcc, 63, v27
	v_and_b32_e32 v10, s30, v20
	v_ffbl_b32_e32 v9, v9
	v_addc_co_u32_e32 v11, vcc, 0, v19, vcc
	v_add_u32_e32 v9, 32, v9
	v_ffbl_b32_e32 v10, v10
	v_lshlrev_b32_e32 v28, 2, v11
	v_min_u32_e32 v9, v10, v9
	ds_bpermute_b32 v10, v28, v7
	v_cmp_eq_u32_e32 vcc, 0, v6
	v_cmp_lt_u32_e64 s[30:31], v27, v9
	ds_bpermute_b32 v11, v28, v6
	s_and_b64 vcc, s[30:31], vcc
	s_waitcnt lgkmcnt(1)
	v_cndmask_b32_e32 v10, 0, v10, vcc
	v_cmp_gt_u32_e32 vcc, 62, v27
	v_add_u32_e32 v7, v10, v7
	v_cndmask_b32_e64 v10, 0, 1, vcc
	v_lshlrev_b32_e32 v10, 1, v10
	v_add_lshl_u32 v29, v10, v19, 2
	s_waitcnt lgkmcnt(0)
	v_cndmask_b32_e64 v11, 0, v11, s[30:31]
	ds_bpermute_b32 v10, v29, v7
	v_add_u32_e32 v6, v11, v6
	ds_bpermute_b32 v11, v29, v6
	v_add_u32_e32 v30, 2, v27
	v_cmp_eq_u32_e32 vcc, 0, v6
	s_waitcnt lgkmcnt(1)
	v_cndmask_b32_e32 v10, 0, v10, vcc
	v_cmp_gt_u32_e32 vcc, v30, v9
	v_cndmask_b32_e64 v10, v10, 0, vcc
	v_add_u32_e32 v7, v10, v7
	s_waitcnt lgkmcnt(0)
	v_cndmask_b32_e64 v10, v11, 0, vcc
	v_cmp_gt_u32_e32 vcc, 60, v27
	v_cndmask_b32_e64 v11, 0, 1, vcc
	v_lshlrev_b32_e32 v11, 2, v11
	v_add_lshl_u32 v31, v11, v19, 2
	ds_bpermute_b32 v11, v31, v7
	v_add_u32_e32 v6, v6, v10
	ds_bpermute_b32 v10, v31, v6
	v_add_u32_e32 v32, 4, v27
	v_cmp_eq_u32_e32 vcc, 0, v6
	s_waitcnt lgkmcnt(1)
	v_cndmask_b32_e32 v11, 0, v11, vcc
	v_cmp_gt_u32_e32 vcc, v32, v9
	v_cndmask_b32_e64 v11, v11, 0, vcc
	s_waitcnt lgkmcnt(0)
	v_cndmask_b32_e64 v10, v10, 0, vcc
	v_cmp_gt_u32_e32 vcc, 56, v27
	v_add_u32_e32 v7, v7, v11
	v_cndmask_b32_e64 v11, 0, 1, vcc
	v_lshlrev_b32_e32 v11, 3, v11
	v_add_lshl_u32 v33, v11, v19, 2
	ds_bpermute_b32 v11, v33, v7
	v_add_u32_e32 v6, v6, v10
	ds_bpermute_b32 v10, v33, v6
	v_add_u32_e32 v34, 8, v27
	v_cmp_eq_u32_e32 vcc, 0, v6
	s_waitcnt lgkmcnt(1)
	v_cndmask_b32_e32 v11, 0, v11, vcc
	v_cmp_gt_u32_e32 vcc, v34, v9
	v_cndmask_b32_e64 v11, v11, 0, vcc
	s_waitcnt lgkmcnt(0)
	v_cndmask_b32_e64 v10, v10, 0, vcc
	v_cmp_gt_u32_e32 vcc, 48, v27
	v_add_u32_e32 v7, v7, v11
	;; [unrolled: 16-line block ×3, first 2 shown]
	v_cndmask_b32_e64 v11, 0, 1, vcc
	v_lshlrev_b32_e32 v11, 5, v11
	v_add_lshl_u32 v37, v11, v19, 2
	ds_bpermute_b32 v11, v37, v7
	v_add_u32_e32 v6, v6, v10
	ds_bpermute_b32 v10, v37, v6
	v_add_u32_e32 v38, 32, v27
	v_cmp_eq_u32_e32 vcc, 0, v6
	s_waitcnt lgkmcnt(1)
	v_cndmask_b32_e32 v11, 0, v11, vcc
	v_cmp_gt_u32_e32 vcc, v38, v9
	v_cndmask_b32_e64 v9, v11, 0, vcc
	v_add_u32_e32 v7, v9, v7
	s_waitcnt lgkmcnt(0)
	v_cndmask_b32_e64 v9, v10, 0, vcc
	v_add_u32_e32 v6, v9, v6
	v_mov_b32_e32 v19, 0
	s_branch .LBB936_77
.LBB936_76:                             ;   in Loop: Header=BB936_77 Depth=1
	s_or_b64 exec, exec, s[30:31]
	v_cmp_eq_u16_sdwa s[30:31], v8, v26 src0_sel:BYTE_0 src1_sel:DWORD
	v_and_b32_e32 v9, s31, v21
	v_or_b32_e32 v9, 0x80000000, v9
	v_and_b32_e32 v22, s30, v20
	v_ffbl_b32_e32 v9, v9
	v_add_u32_e32 v9, 32, v9
	v_ffbl_b32_e32 v22, v22
	v_min_u32_e32 v9, v22, v9
	ds_bpermute_b32 v22, v28, v7
	v_cmp_eq_u32_e32 vcc, 0, v6
	v_cmp_lt_u32_e64 s[30:31], v27, v9
	ds_bpermute_b32 v23, v28, v6
	s_and_b64 vcc, s[30:31], vcc
	s_waitcnt lgkmcnt(1)
	v_cndmask_b32_e32 v22, 0, v22, vcc
	v_add_u32_e32 v7, v22, v7
	ds_bpermute_b32 v22, v29, v7
	s_waitcnt lgkmcnt(1)
	v_cndmask_b32_e64 v23, 0, v23, s[30:31]
	v_add_u32_e32 v6, v23, v6
	v_cmp_eq_u32_e32 vcc, 0, v6
	ds_bpermute_b32 v23, v29, v6
	s_waitcnt lgkmcnt(1)
	v_cndmask_b32_e32 v22, 0, v22, vcc
	v_cmp_gt_u32_e32 vcc, v30, v9
	v_cndmask_b32_e64 v22, v22, 0, vcc
	v_add_u32_e32 v7, v22, v7
	ds_bpermute_b32 v22, v31, v7
	s_waitcnt lgkmcnt(1)
	v_cndmask_b32_e64 v23, v23, 0, vcc
	v_add_u32_e32 v6, v6, v23
	v_cmp_eq_u32_e32 vcc, 0, v6
	ds_bpermute_b32 v23, v31, v6
	s_waitcnt lgkmcnt(1)
	v_cndmask_b32_e32 v22, 0, v22, vcc
	v_cmp_gt_u32_e32 vcc, v32, v9
	v_cndmask_b32_e64 v22, v22, 0, vcc
	v_add_u32_e32 v7, v7, v22
	ds_bpermute_b32 v22, v33, v7
	s_waitcnt lgkmcnt(1)
	v_cndmask_b32_e64 v23, v23, 0, vcc
	v_add_u32_e32 v6, v6, v23
	ds_bpermute_b32 v23, v33, v6
	v_cmp_eq_u32_e32 vcc, 0, v6
	s_waitcnt lgkmcnt(1)
	v_cndmask_b32_e32 v22, 0, v22, vcc
	v_cmp_gt_u32_e32 vcc, v34, v9
	v_cndmask_b32_e64 v22, v22, 0, vcc
	v_add_u32_e32 v7, v7, v22
	ds_bpermute_b32 v22, v35, v7
	s_waitcnt lgkmcnt(1)
	v_cndmask_b32_e64 v23, v23, 0, vcc
	v_add_u32_e32 v6, v6, v23
	ds_bpermute_b32 v23, v35, v6
	v_cmp_eq_u32_e32 vcc, 0, v6
	s_waitcnt lgkmcnt(1)
	v_cndmask_b32_e32 v22, 0, v22, vcc
	v_cmp_gt_u32_e32 vcc, v36, v9
	v_cndmask_b32_e64 v22, v22, 0, vcc
	v_add_u32_e32 v7, v7, v22
	ds_bpermute_b32 v22, v37, v7
	s_waitcnt lgkmcnt(1)
	v_cndmask_b32_e64 v23, v23, 0, vcc
	v_add_u32_e32 v6, v6, v23
	ds_bpermute_b32 v23, v37, v6
	v_cmp_eq_u32_e32 vcc, 0, v6
	s_waitcnt lgkmcnt(1)
	v_cndmask_b32_e32 v22, 0, v22, vcc
	v_cmp_gt_u32_e32 vcc, v38, v9
	v_cndmask_b32_e64 v9, v22, 0, vcc
	v_add_u32_e32 v7, v9, v7
	s_waitcnt lgkmcnt(0)
	v_cndmask_b32_e64 v9, v23, 0, vcc
	v_cmp_eq_u32_e32 vcc, 0, v10
	v_cndmask_b32_e32 v7, 0, v7, vcc
	v_subrev_u32_e32 v18, 64, v18
	v_add3_u32 v6, v6, v10, v9
	v_add_u32_e32 v7, v7, v11
.LBB936_77:                             ; =>This Loop Header: Depth=1
                                        ;     Child Loop BB936_80 Depth 2
                                        ;       Child Loop BB936_81 Depth 3
	v_cmp_ne_u16_sdwa s[30:31], v8, v26 src0_sel:BYTE_0 src1_sel:DWORD
	v_mov_b32_e32 v11, v7
	v_cndmask_b32_e64 v7, 0, 1, s[30:31]
	;;#ASMSTART
	;;#ASMEND
	v_cmp_ne_u32_e32 vcc, 0, v7
	s_cmp_lg_u64 vcc, exec
	v_mov_b32_e32 v10, v6
	s_cbranch_scc1 .LBB936_84
; %bb.78:                               ;   in Loop: Header=BB936_77 Depth=1
	v_lshlrev_b64 v[6:7], 4, v[18:19]
	v_mov_b32_e32 v8, s37
	v_add_co_u32_e32 v22, vcc, s36, v6
	v_addc_co_u32_e32 v23, vcc, v8, v7, vcc
	;;#ASMSTART
	global_load_dwordx4 v[6:9], v[22:23] off glc	
s_waitcnt vmcnt(0)
	;;#ASMEND
	v_and_b32_e32 v9, 0xff, v7
	v_and_b32_e32 v39, 0xff00, v7
	v_or3_b32 v9, 0, v9, v39
	v_or3_b32 v6, v6, 0, 0
	v_and_b32_e32 v39, 0xff000000, v7
	v_and_b32_e32 v7, 0xff0000, v7
	v_or3_b32 v7, v9, v7, v39
	v_or3_b32 v6, v6, 0, 0
	v_cmp_eq_u16_sdwa s[54:55], v8, v19 src0_sel:BYTE_0 src1_sel:DWORD
	s_and_saveexec_b64 s[30:31], s[54:55]
	s_cbranch_execz .LBB936_76
; %bb.79:                               ;   in Loop: Header=BB936_77 Depth=1
	s_mov_b32 s59, 1
	s_mov_b64 s[54:55], 0
.LBB936_80:                             ;   Parent Loop BB936_77 Depth=1
                                        ; =>  This Loop Header: Depth=2
                                        ;       Child Loop BB936_81 Depth 3
	s_max_u32 s60, s59, 1
.LBB936_81:                             ;   Parent Loop BB936_77 Depth=1
                                        ;     Parent Loop BB936_80 Depth=2
                                        ; =>    This Inner Loop Header: Depth=3
	s_add_i32 s60, s60, -1
	s_cmp_eq_u32 s60, 0
	s_sleep 1
	s_cbranch_scc0 .LBB936_81
; %bb.82:                               ;   in Loop: Header=BB936_80 Depth=2
	s_cmp_lt_u32 s59, 32
	s_cselect_b64 s[60:61], -1, 0
	s_cmp_lg_u64 s[60:61], 0
	s_addc_u32 s59, s59, 0
	;;#ASMSTART
	global_load_dwordx4 v[6:9], v[22:23] off glc	
s_waitcnt vmcnt(0)
	;;#ASMEND
	v_cmp_ne_u16_sdwa s[60:61], v8, v19 src0_sel:BYTE_0 src1_sel:DWORD
	s_or_b64 s[54:55], s[60:61], s[54:55]
	s_andn2_b64 exec, exec, s[54:55]
	s_cbranch_execnz .LBB936_80
; %bb.83:                               ;   in Loop: Header=BB936_77 Depth=1
	s_or_b64 exec, exec, s[54:55]
	s_branch .LBB936_76
.LBB936_84:                             ;   in Loop: Header=BB936_77 Depth=1
                                        ; implicit-def: $vgpr7
                                        ; implicit-def: $vgpr6
                                        ; implicit-def: $vgpr8
	s_cbranch_execz .LBB936_77
; %bb.85:
	s_and_saveexec_b64 s[30:31], s[28:29]
	s_cbranch_execz .LBB936_87
; %bb.86:
	s_cmp_eq_u32 s56, 0
	s_cselect_b64 vcc, -1, 0
	s_mov_b32 s55, 0
	v_cndmask_b32_e32 v6, 0, v11, vcc
	s_add_i32 s54, s58, 64
	v_add_u32_e32 v6, s57, v6
	s_lshl_b64 s[54:55], s[54:55], 4
	s_add_u32 s54, s36, s54
	v_and_b32_e32 v7, 0xff000000, v6
	v_and_b32_e32 v8, 0xff0000, v6
	s_addc_u32 s55, s37, s55
	v_or_b32_e32 v7, v8, v7
	v_and_b32_e32 v8, 0xff00, v6
	v_and_b32_e32 v6, 0xff, v6
	v_add_u32_e32 v18, s56, v10
	v_mov_b32_e32 v21, 0
	v_or3_b32 v19, v7, v8, v6
	v_mov_b32_e32 v20, 2
	v_pk_mov_b32 v[6:7], s[54:55], s[54:55] op_sel:[0,1]
	;;#ASMSTART
	global_store_dwordx4 v[6:7], v[18:21] off	
s_waitcnt vmcnt(0)
	;;#ASMEND
	v_mov_b32_e32 v8, s56
	v_mov_b32_e32 v9, s57
	ds_write_b128 v21, v[8:11] offset:1024
.LBB936_87:
	s_or_b64 exec, exec, s[30:31]
	s_and_b64 exec, exec, s[0:1]
	s_cbranch_execz .LBB936_89
; %bb.88:
	v_mov_b32_e32 v6, 0
	ds_write_b64 v6, v[10:11] offset:1064
.LBB936_89:
	s_or_b64 exec, exec, s[48:49]
	v_mov_b32_e32 v8, 0
	s_waitcnt lgkmcnt(0)
	s_barrier
	ds_read_b64 v[6:7], v8 offset:1064
	v_cndmask_b32_e64 v10, v24, v16, s[28:29]
	v_cmp_eq_u32_e32 vcc, 0, v10
	v_cndmask_b32_e64 v9, v25, v17, s[28:29]
	s_waitcnt lgkmcnt(0)
	v_cndmask_b32_e32 v11, 0, v7, vcc
	v_add_u32_e32 v9, v11, v9
	v_cndmask_b32_e64 v47, v9, v7, s[0:1]
	v_cndmask_b32_e64 v7, v10, 0, s[0:1]
	v_cmp_eq_u32_e32 vcc, 0, v69
	v_add_u32_e32 v46, v6, v7
	v_cndmask_b32_e32 v6, 0, v47, vcc
	v_add_u32_e32 v45, v6, v54
	v_cndmask_b32_e64 v6, 0, v45, s[26:27]
	v_add_u32_e32 v43, v6, v76
	v_cndmask_b32_e64 v6, 0, v43, s[24:25]
	;; [unrolled: 2-line block ×8, first 2 shown]
	v_add_u32_e32 v44, v46, v69
	v_add_u32_e32 v29, v6, v50
	v_add_u32_e32 v42, v44, v68
	v_cndmask_b32_e64 v6, 0, v29, s[10:11]
	v_add_u32_e32 v40, v42, v67
	v_add_u32_e32 v27, v6, v72
	v_add_u32_e32 v38, v40, v66
	v_cndmask_b32_e64 v6, 0, v27, s[8:9]
	;; [unrolled: 4-line block ×3, first 2 shown]
	v_add_u32_e32 v32, v34, v63
	v_add_u32_e32 v23, v6, v71
	s_barrier
	ds_read_b128 v[6:9], v8 offset:1024
	v_add_u32_e32 v30, v32, v62
	v_add_u32_e32 v28, v30, v61
	;; [unrolled: 1-line block ×4, first 2 shown]
	v_cndmask_b32_e64 v10, 0, v23, s[4:5]
	v_add_u32_e32 v22, v24, v58
	v_add_u32_e32 v21, v10, v48
	s_waitcnt lgkmcnt(0)
	v_cmp_eq_u32_e32 vcc, 0, v6
	v_add_u32_e32 v20, v22, v57
	v_cndmask_b32_e64 v10, 0, v21, s[2:3]
	v_cndmask_b32_e32 v9, 0, v9, vcc
	v_add_u32_e32 v18, v20, v56
	v_add_u32_e32 v19, v10, v70
	;; [unrolled: 1-line block ×3, first 2 shown]
	s_branch .LBB936_102
.LBB936_90:
                                        ; implicit-def: $vgpr6
                                        ; implicit-def: $vgpr16
                                        ; implicit-def: $vgpr46_vgpr47
                                        ; implicit-def: $vgpr44_vgpr45
                                        ; implicit-def: $vgpr42_vgpr43
                                        ; implicit-def: $vgpr40_vgpr41
                                        ; implicit-def: $vgpr38_vgpr39
                                        ; implicit-def: $vgpr36_vgpr37
                                        ; implicit-def: $vgpr34_vgpr35
                                        ; implicit-def: $vgpr32_vgpr33
                                        ; implicit-def: $vgpr30_vgpr31
                                        ; implicit-def: $vgpr28_vgpr29
                                        ; implicit-def: $vgpr26_vgpr27
                                        ; implicit-def: $vgpr24_vgpr25
                                        ; implicit-def: $vgpr22_vgpr23
                                        ; implicit-def: $vgpr20_vgpr21
                                        ; implicit-def: $vgpr18_vgpr19
	s_cbranch_execz .LBB936_102
; %bb.91:
	s_and_b64 s[2:3], s[38:39], exec
	s_cselect_b32 s3, 0, s35
	s_cselect_b32 s2, 0, s34
	s_cmp_eq_u64 s[2:3], 0
	v_mov_b32_e32 v10, v54
	s_cbranch_scc1 .LBB936_93
; %bb.92:
	v_mov_b32_e32 v6, 0
	global_load_dword v10, v6, s[2:3]
.LBB936_93:
	v_cmp_eq_u32_e64 s[2:3], 0, v68
	v_cndmask_b32_e64 v6, 0, v54, s[2:3]
	v_add_u32_e32 v6, v6, v76
	v_cmp_eq_u32_e64 s[4:5], 0, v67
	v_cndmask_b32_e64 v6, 0, v6, s[4:5]
	v_add_u32_e32 v6, v6, v55
	;; [unrolled: 3-line block ×11, first 2 shown]
	v_cmp_eq_u32_e64 s[24:25], 0, v57
	v_cndmask_b32_e64 v6, 0, v6, s[24:25]
	v_add3_u32 v7, v80, v64, v63
	v_add_u32_e32 v6, v6, v48
	v_cmp_eq_u32_e32 vcc, 0, v56
	v_add3_u32 v7, v7, v62, v61
	v_cndmask_b32_e32 v6, 0, v6, vcc
	v_add3_u32 v7, v7, v60, v59
	v_add_u32_e32 v6, v6, v70
	v_cmp_eq_u32_e64 s[26:27], 0, v15
	v_add3_u32 v7, v7, v58, v57
	v_cndmask_b32_e64 v6, 0, v6, s[26:27]
	v_add3_u32 v7, v7, v56, v15
	v_add_u32_e32 v6, v6, v49
	v_mbcnt_hi_u32_b32 v11, -1, v79
	v_and_b32_e32 v8, 15, v11
	v_mov_b32_dpp v16, v6 row_shr:1 row_mask:0xf bank_mask:0xf
	v_cmp_eq_u32_e64 s[26:27], 0, v7
	v_mov_b32_dpp v9, v7 row_shr:1 row_mask:0xf bank_mask:0xf
	v_cndmask_b32_e64 v16, 0, v16, s[26:27]
	v_cmp_eq_u32_e64 s[26:27], 0, v8
	v_cndmask_b32_e64 v9, v9, 0, s[26:27]
	v_add_u32_e32 v7, v9, v7
	v_cndmask_b32_e64 v9, v16, 0, s[26:27]
	v_add_u32_e32 v6, v9, v6
	v_cmp_eq_u32_e64 s[26:27], 0, v7
	v_mov_b32_dpp v9, v7 row_shr:2 row_mask:0xf bank_mask:0xf
	v_cmp_lt_u32_e64 s[28:29], 1, v8
	v_mov_b32_dpp v16, v6 row_shr:2 row_mask:0xf bank_mask:0xf
	v_cndmask_b32_e64 v9, 0, v9, s[28:29]
	s_and_b64 s[26:27], s[28:29], s[26:27]
	v_cndmask_b32_e64 v16, 0, v16, s[26:27]
	v_add_u32_e32 v7, v7, v9
	v_add_u32_e32 v6, v16, v6
	v_cmp_eq_u32_e64 s[26:27], 0, v7
	v_mov_b32_dpp v9, v7 row_shr:4 row_mask:0xf bank_mask:0xf
	v_cmp_lt_u32_e64 s[28:29], 3, v8
	v_mov_b32_dpp v16, v6 row_shr:4 row_mask:0xf bank_mask:0xf
	v_cndmask_b32_e64 v9, 0, v9, s[28:29]
	s_and_b64 s[26:27], s[28:29], s[26:27]
	v_cndmask_b32_e64 v16, 0, v16, s[26:27]
	v_add_u32_e32 v7, v9, v7
	v_add_u32_e32 v6, v6, v16
	v_cmp_eq_u32_e64 s[26:27], 0, v7
	v_cmp_lt_u32_e64 s[28:29], 7, v8
	v_mov_b32_dpp v9, v7 row_shr:8 row_mask:0xf bank_mask:0xf
	v_mov_b32_dpp v16, v6 row_shr:8 row_mask:0xf bank_mask:0xf
	s_and_b64 s[26:27], s[28:29], s[26:27]
	v_cndmask_b32_e64 v8, 0, v9, s[28:29]
	v_cndmask_b32_e64 v9, 0, v16, s[26:27]
	v_add_u32_e32 v6, v9, v6
	v_add_u32_e32 v7, v8, v7
	v_bfe_i32 v16, v11, 4, 1
	v_mov_b32_dpp v9, v6 row_bcast:15 row_mask:0xf bank_mask:0xf
	v_mov_b32_dpp v8, v7 row_bcast:15 row_mask:0xf bank_mask:0xf
	v_cmp_eq_u32_e64 s[26:27], 0, v7
	v_cndmask_b32_e64 v9, 0, v9, s[26:27]
	v_and_b32_e32 v8, v16, v8
	v_add_u32_e32 v7, v8, v7
	v_and_b32_e32 v8, v16, v9
	v_add_u32_e32 v8, v8, v6
	v_mov_b32_dpp v6, v7 row_bcast:31 row_mask:0xf bank_mask:0xf
	v_cmp_eq_u32_e64 s[26:27], 0, v7
	v_cmp_lt_u32_e64 s[28:29], 31, v11
	v_mov_b32_dpp v9, v8 row_bcast:31 row_mask:0xf bank_mask:0xf
	v_cndmask_b32_e64 v6, 0, v6, s[28:29]
	s_and_b64 s[26:27], s[28:29], s[26:27]
	v_add_u32_e32 v6, v6, v7
	v_cndmask_b32_e64 v7, 0, v9, s[26:27]
	v_add_u32_e32 v7, v7, v8
	v_cmp_eq_u32_e64 s[26:27], v78, v0
	s_and_saveexec_b64 s[28:29], s[26:27]
	s_cbranch_execz .LBB936_95
; %bb.94:
	v_lshlrev_b32_e32 v8, 3, v77
	ds_write_b64 v8, v[6:7] offset:1040
.LBB936_95:
	s_or_b64 exec, exec, s[28:29]
	v_cmp_gt_u32_e64 s[26:27], 4, v0
	s_waitcnt lgkmcnt(0)
	s_barrier
	s_and_saveexec_b64 s[30:31], s[26:27]
	s_cbranch_execz .LBB936_97
; %bb.96:
	v_lshlrev_b32_e32 v16, 3, v0
	ds_read_b64 v[8:9], v16 offset:1040
	v_and_b32_e32 v17, 3, v11
	v_cmp_lt_u32_e64 s[28:29], 1, v17
	s_waitcnt lgkmcnt(0)
	v_mov_b32_dpp v19, v9 row_shr:1 row_mask:0xf bank_mask:0xf
	v_cmp_eq_u32_e64 s[26:27], 0, v8
	v_mov_b32_dpp v18, v8 row_shr:1 row_mask:0xf bank_mask:0xf
	v_cndmask_b32_e64 v19, 0, v19, s[26:27]
	v_cmp_eq_u32_e64 s[26:27], 0, v17
	v_cndmask_b32_e64 v18, v18, 0, s[26:27]
	v_add_u32_e32 v8, v18, v8
	v_cndmask_b32_e64 v18, v19, 0, s[26:27]
	v_add_u32_e32 v9, v18, v9
	v_cmp_eq_u32_e64 s[26:27], 0, v8
	v_mov_b32_dpp v18, v8 row_shr:2 row_mask:0xf bank_mask:0xf
	v_mov_b32_dpp v19, v9 row_shr:2 row_mask:0xf bank_mask:0xf
	v_cndmask_b32_e64 v17, 0, v18, s[28:29]
	s_and_b64 s[26:27], s[28:29], s[26:27]
	v_add_u32_e32 v8, v17, v8
	v_cndmask_b32_e64 v17, 0, v19, s[26:27]
	v_add_u32_e32 v9, v17, v9
	ds_write_b64 v16, v[8:9] offset:1040
.LBB936_97:
	s_or_b64 exec, exec, s[30:31]
	v_cmp_lt_u32_e64 s[26:27], 63, v0
	v_mov_b32_e32 v16, 0
	v_mov_b32_e32 v8, 0
	s_waitcnt vmcnt(0)
	v_mov_b32_e32 v9, v10
	s_waitcnt lgkmcnt(0)
	s_barrier
	s_and_saveexec_b64 s[28:29], s[26:27]
	s_cbranch_execz .LBB936_99
; %bb.98:
	v_lshlrev_b32_e32 v8, 3, v77
	ds_read_b64 v[8:9], v8 offset:1032
	s_waitcnt lgkmcnt(0)
	v_cmp_eq_u32_e64 s[26:27], 0, v8
	v_cndmask_b32_e64 v17, 0, v10, s[26:27]
	v_add_u32_e32 v9, v17, v9
.LBB936_99:
	s_or_b64 exec, exec, s[28:29]
	v_cmp_eq_u32_e64 s[26:27], 0, v6
	v_add_u32_e32 v17, v8, v6
	v_cndmask_b32_e64 v6, 0, v9, s[26:27]
	v_add_u32_e32 v6, v6, v7
	v_add_u32_e32 v7, -1, v11
	v_and_b32_e32 v18, 64, v11
	v_cmp_lt_i32_e64 s[26:27], v7, v18
	v_cndmask_b32_e64 v7, v7, v11, s[26:27]
	v_lshlrev_b32_e32 v7, 2, v7
	ds_bpermute_b32 v6, v7, v6
	ds_bpermute_b32 v17, v7, v17
	v_cmp_eq_u32_e64 s[26:27], 0, v11
	s_waitcnt lgkmcnt(1)
	v_cndmask_b32_e64 v6, v6, v9, s[26:27]
	s_waitcnt lgkmcnt(0)
	v_cndmask_b32_e64 v7, v17, v8, s[26:27]
	v_cndmask_b32_e64 v47, v6, v10, s[0:1]
	v_cmp_eq_u32_e64 s[26:27], 0, v69
	v_cndmask_b32_e64 v6, 0, v47, s[26:27]
	v_add_u32_e32 v45, v6, v54
	v_cndmask_b32_e64 v6, 0, v45, s[2:3]
	v_add_u32_e32 v43, v6, v76
	;; [unrolled: 2-line block ×8, first 2 shown]
	v_cndmask_b32_e64 v46, v7, 0, s[0:1]
	v_cndmask_b32_e64 v6, 0, v31, s[16:17]
	v_add_u32_e32 v44, v46, v69
	v_add_u32_e32 v29, v6, v50
	v_add_u32_e32 v42, v44, v68
	v_cndmask_b32_e64 v6, 0, v29, s[18:19]
	v_add_u32_e32 v40, v42, v67
	v_add_u32_e32 v27, v6, v72
	v_add_u32_e32 v38, v40, v66
	;; [unrolled: 4-line block ×3, first 2 shown]
	v_cndmask_b32_e64 v6, 0, v25, s[22:23]
	v_add_u32_e32 v32, v34, v63
	v_add_u32_e32 v23, v6, v71
	ds_read_b64 v[6:7], v16 offset:1064
	v_add_u32_e32 v30, v32, v62
	v_add_u32_e32 v28, v30, v61
	;; [unrolled: 1-line block ×3, first 2 shown]
	v_cndmask_b32_e64 v8, 0, v23, s[24:25]
	v_add_u32_e32 v24, v26, v59
	v_add_u32_e32 v21, v8, v48
	;; [unrolled: 1-line block ×3, first 2 shown]
	v_cndmask_b32_e32 v8, 0, v21, vcc
	s_waitcnt lgkmcnt(0)
	v_cmp_eq_u32_e32 vcc, 0, v6
	v_add_u32_e32 v20, v22, v57
	v_add_u32_e32 v19, v8, v70
	v_cndmask_b32_e32 v8, 0, v10, vcc
	v_add_u32_e32 v18, v20, v56
	v_add_u32_e32 v16, v8, v7
	s_and_saveexec_b64 s[2:3], s[0:1]
	s_cbranch_execz .LBB936_101
; %bb.100:
	s_add_u32 s4, s36, 0x400
	v_and_b32_e32 v7, 0xff000000, v16
	v_and_b32_e32 v8, 0xff0000, v16
	s_addc_u32 s5, s37, 0
	v_or_b32_e32 v7, v8, v7
	v_and_b32_e32 v8, 0xff00, v16
	v_and_b32_e32 v10, 0xff, v16
	v_mov_b32_e32 v9, 0
	v_or3_b32 v7, v7, v8, v10
	v_mov_b32_e32 v8, 2
	v_pk_mov_b32 v[10:11], s[4:5], s[4:5] op_sel:[0,1]
	;;#ASMSTART
	global_store_dwordx4 v[10:11], v[6:9] off	
s_waitcnt vmcnt(0)
	;;#ASMEND
.LBB936_101:
	s_or_b64 exec, exec, s[2:3]
	v_mov_b32_e32 v8, 0
.LBB936_102:
	s_and_b64 s[2:3], s[38:39], exec
	s_cselect_b32 s3, 0, s51
	s_cselect_b32 s2, 0, s50
	s_cmp_eq_u64 s[2:3], 0
	v_pk_mov_b32 v[48:49], 0, 0
	s_barrier
	s_cbranch_scc1 .LBB936_104
; %bb.103:
	v_mov_b32_e32 v7, 0
	global_load_dwordx2 v[48:49], v7, s[2:3]
.LBB936_104:
	s_waitcnt vmcnt(0)
	v_lshlrev_b64 v[10:11], 1, v[48:49]
	v_mov_b32_e32 v7, s45
	v_add_co_u32_e32 v17, vcc, s44, v10
	v_mov_b32_e32 v9, 0
	v_addc_co_u32_e32 v50, vcc, v7, v11, vcc
	v_lshlrev_b64 v[10:11], 1, v[8:9]
	v_add_co_u32_e32 v7, vcc, v17, v10
	v_addc_co_u32_e32 v17, vcc, v50, v11, vcc
	v_cmp_eq_u32_e32 vcc, 0, v69
	v_cndmask_b32_e64 v10, 1, 2, vcc
	v_cmp_eq_u32_e32 vcc, 0, v68
	v_cndmask_b32_e64 v11, 1, 2, vcc
	v_cmp_eq_u32_e32 vcc, 0, v67
	v_and_b32_e32 v10, v11, v10
	v_cndmask_b32_e64 v11, 1, 2, vcc
	v_cmp_eq_u32_e32 vcc, 0, v66
	v_and_b32_e32 v10, v10, v11
	;; [unrolled: 3-line block ×13, first 2 shown]
	v_cndmask_b32_e64 v11, 1, 2, vcc
	s_movk_i32 s34, 0x100
	v_and_b32_e32 v10, v10, v11
	v_cmp_gt_u32_e32 vcc, s34, v6
	v_cmp_ne_u32_e64 s[30:31], 0, v69
	v_cmp_ne_u32_e64 s[28:29], 0, v68
	;; [unrolled: 1-line block ×15, first 2 shown]
	s_mov_b64 s[36:37], -1
	v_cmp_gt_i16_e64 s[34:35], 2, v10
	s_cbranch_vccz .LBB936_111
; %bb.105:
	s_and_saveexec_b64 s[36:37], s[34:35]
	s_cbranch_execz .LBB936_110
; %bb.106:
	v_cmp_ne_u16_e32 vcc, 1, v10
	s_mov_b64 s[38:39], 0
	s_and_saveexec_b64 s[34:35], vcc
	s_xor_b64 s[34:35], exec, s[34:35]
	s_cbranch_execnz .LBB936_155
; %bb.107:
	s_andn2_saveexec_b64 s[34:35], s[34:35]
	s_cbranch_execnz .LBB936_171
.LBB936_108:
	s_or_b64 exec, exec, s[34:35]
	s_and_b64 exec, exec, s[38:39]
	s_cbranch_execz .LBB936_110
.LBB936_109:
	v_sub_u32_e32 v50, v18, v8
	v_mov_b32_e32 v51, 0
	v_lshlrev_b64 v[50:51], 1, v[50:51]
	v_add_co_u32_e32 v50, vcc, v7, v50
	v_addc_co_u32_e32 v51, vcc, v17, v51, vcc
	global_store_short_d16_hi v[50:51], v14, off
.LBB936_110:
	s_or_b64 exec, exec, s[36:37]
	s_mov_b64 s[36:37], 0
.LBB936_111:
	s_and_b64 vcc, exec, s[36:37]
	s_cbranch_vccz .LBB936_133
; %bb.112:
	v_cmp_gt_i16_e32 vcc, 2, v10
	s_and_saveexec_b64 s[34:35], vcc
	s_cbranch_execz .LBB936_117
; %bb.113:
	v_cmp_ne_u16_e32 vcc, 1, v10
	s_mov_b64 s[38:39], 0
	s_and_saveexec_b64 s[36:37], vcc
	s_xor_b64 s[36:37], exec, s[36:37]
	s_cbranch_execnz .LBB936_172
; %bb.114:
	s_andn2_saveexec_b64 s[2:3], s[36:37]
	s_cbranch_execnz .LBB936_188
.LBB936_115:
	s_or_b64 exec, exec, s[2:3]
	s_and_b64 exec, exec, s[38:39]
	s_cbranch_execz .LBB936_117
.LBB936_116:
	v_sub_u32_e32 v1, v18, v8
	v_lshlrev_b32_e32 v1, 1, v1
	ds_write_b16_d16_hi v1, v14
.LBB936_117:
	s_or_b64 exec, exec, s[34:35]
	v_cmp_lt_u32_e32 vcc, v0, v6
	s_waitcnt lgkmcnt(0)
	s_barrier
	s_and_saveexec_b64 s[4:5], vcc
	s_cbranch_execz .LBB936_132
; %bb.118:
	v_xad_u32 v1, v0, -1, v6
	s_movk_i32 s2, 0x1700
	v_cmp_gt_u32_e64 s[6:7], s2, v1
	s_movk_i32 s2, 0x16ff
	v_cmp_lt_u32_e32 vcc, s2, v1
	v_mov_b32_e32 v2, v0
	s_and_saveexec_b64 s[8:9], vcc
	s_cbranch_execz .LBB936_129
; %bb.119:
	v_sub_u32_e32 v2, v0, v6
	v_or_b32_e32 v2, 0xff, v2
	v_cmp_ge_u32_e32 vcc, v2, v0
	s_mov_b64 s[2:3], -1
	v_mov_b32_e32 v2, v0
	s_and_saveexec_b64 s[10:11], vcc
	s_cbranch_execz .LBB936_128
; %bb.120:
	v_lshrrev_b32_e32 v14, 8, v1
	v_or_b32_e32 v3, 0x300, v0
	v_or_b32_e32 v2, 0x200, v0
	v_add_u32_e32 v4, -3, v14
	v_or_b32_e32 v1, 0x100, v0
	v_lshrrev_b32_e32 v5, 2, v4
	v_pk_mov_b32 v[12:13], v[2:3], v[2:3] op_sel:[0,1]
	v_add_u32_e32 v51, 1, v5
	v_cmp_lt_u32_e32 vcc, 11, v4
	v_mov_b32_e32 v54, 0
	v_lshlrev_b32_e32 v50, 1, v0
	v_pk_mov_b32 v[10:11], v[0:1], v[0:1] op_sel:[0,1]
	s_and_saveexec_b64 s[12:13], vcc
	s_cbranch_execz .LBB936_124
; %bb.121:
	v_pk_mov_b32 v[12:13], v[2:3], v[2:3] op_sel:[0,1]
	v_and_b32_e32 v52, 0x7ffffffc, v51
	s_mov_b32 s16, 0
	s_mov_b64 s[14:15], 0
	v_mov_b32_e32 v5, 0
	v_mov_b32_e32 v53, v50
	v_pk_mov_b32 v[10:11], v[0:1], v[0:1] op_sel:[0,1]
.LBB936_122:                            ; =>This Inner Loop Header: Depth=1
	v_mov_b32_e32 v4, v10
	v_lshlrev_b64 v[84:85], 1, v[4:5]
	v_add_u32_e32 v70, 0x400, v11
	v_mov_b32_e32 v71, v5
	v_add_co_u32_e64 v84, s[2:3], v7, v84
	v_lshlrev_b64 v[70:71], 1, v[70:71]
	v_addc_co_u32_e64 v85, s[2:3], v17, v85, s[2:3]
	v_add_u32_e32 v54, 0x400, v12
	v_mov_b32_e32 v55, v5
	v_add_co_u32_e64 v70, s[2:3], v7, v70
	v_lshlrev_b64 v[86:87], 1, v[54:55]
	v_addc_co_u32_e64 v71, s[2:3], v17, v71, s[2:3]
	v_add_u32_e32 v2, 0x400, v13
	v_mov_b32_e32 v3, v5
	v_add_co_u32_e64 v86, s[2:3], v7, v86
	v_add_u32_e32 v52, -4, v52
	v_mov_b32_e32 v4, v11
	v_lshlrev_b64 v[2:3], 1, v[2:3]
	v_addc_co_u32_e64 v87, s[2:3], v17, v87, s[2:3]
	v_add_u32_e32 v76, 0x800, v11
	v_mov_b32_e32 v77, v5
	s_add_i32 s16, s16, 16
	v_cmp_eq_u32_e32 vcc, 0, v52
	v_lshlrev_b64 v[88:89], 1, v[4:5]
	v_add_co_u32_e64 v2, s[2:3], v7, v2
	v_lshlrev_b64 v[76:77], 1, v[76:77]
	v_mov_b32_e32 v4, v12
	v_addc_co_u32_e64 v3, s[2:3], v17, v3, s[2:3]
	s_or_b64 s[14:15], vcc, s[14:15]
	v_add_co_u32_e32 v88, vcc, v7, v88
	v_add_u32_e32 v74, 0x800, v12
	v_mov_b32_e32 v75, v5
	v_add_co_u32_e64 v76, s[2:3], v7, v76
	v_addc_co_u32_e32 v89, vcc, v17, v89, vcc
	v_lshlrev_b64 v[90:91], 1, v[4:5]
	v_lshlrev_b64 v[74:75], 1, v[74:75]
	v_addc_co_u32_e64 v77, s[2:3], v17, v77, s[2:3]
	v_mov_b32_e32 v4, v13
	v_add_co_u32_e32 v90, vcc, v7, v90
	ds_read_u16 v1, v53
	ds_read_u16 v94, v53 offset:512
	ds_read_u16 v95, v53 offset:1024
	;; [unrolled: 1-line block ×7, first 2 shown]
	v_add_u32_e32 v72, 0x800, v13
	v_mov_b32_e32 v73, v5
	v_add_co_u32_e64 v74, s[2:3], v7, v74
	v_addc_co_u32_e32 v91, vcc, v17, v91, vcc
	v_lshlrev_b64 v[92:93], 1, v[4:5]
	v_lshlrev_b64 v[72:73], 1, v[72:73]
	v_addc_co_u32_e64 v75, s[2:3], v17, v75, s[2:3]
	v_add_u32_e32 v4, 0x400, v10
	v_add_co_u32_e32 v92, vcc, v7, v92
	v_add_u32_e32 v82, 0xc00, v11
	v_mov_b32_e32 v83, v5
	ds_read_u16 v101, v53 offset:4096
	ds_read_u16 v102, v53 offset:4608
	ds_read_u16 v103, v53 offset:5120
	ds_read_u16 v104, v53 offset:5632
	ds_read_u16 v105, v53 offset:6144
	ds_read_u16 v106, v53 offset:6656
	ds_read_u16 v107, v53 offset:7168
	ds_read_u16 v108, v53 offset:7680
	v_add_co_u32_e64 v72, s[2:3], v7, v72
	v_addc_co_u32_e32 v93, vcc, v17, v93, vcc
	s_waitcnt lgkmcnt(14)
	global_store_short v[84:85], v1, off
	global_store_short v[88:89], v94, off
	s_waitcnt lgkmcnt(13)
	global_store_short v[90:91], v95, off
	v_lshlrev_b64 v[84:85], 1, v[4:5]
	v_lshlrev_b64 v[82:83], 1, v[82:83]
	v_addc_co_u32_e64 v73, s[2:3], v17, v73, s[2:3]
	v_add_u32_e32 v4, 0x800, v10
	v_add_co_u32_e32 v84, vcc, v7, v84
	v_add_u32_e32 v80, 0xc00, v12
	v_mov_b32_e32 v81, v5
	v_add_co_u32_e64 v82, s[2:3], v7, v82
	v_addc_co_u32_e32 v85, vcc, v17, v85, vcc
	v_lshlrev_b64 v[88:89], 1, v[4:5]
	v_lshlrev_b64 v[80:81], 1, v[80:81]
	v_addc_co_u32_e64 v83, s[2:3], v17, v83, s[2:3]
	s_waitcnt lgkmcnt(12)
	global_store_short v[92:93], v96, off
	v_add_u32_e32 v4, 0xc00, v10
	s_waitcnt lgkmcnt(11)
	global_store_short v[84:85], v97, off
	s_waitcnt lgkmcnt(10)
	global_store_short v[70:71], v98, off
	;; [unrolled: 2-line block ×4, first 2 shown]
	v_add_co_u32_e32 v2, vcc, v7, v88
	v_add_u32_e32 v78, 0xc00, v13
	v_mov_b32_e32 v79, v5
	v_add_co_u32_e64 v80, s[2:3], v7, v80
	v_addc_co_u32_e32 v3, vcc, v17, v89, vcc
	v_lshlrev_b64 v[70:71], 1, v[4:5]
	v_lshlrev_b64 v[78:79], 1, v[78:79]
	v_addc_co_u32_e64 v81, s[2:3], v17, v81, s[2:3]
	s_waitcnt lgkmcnt(7)
	global_store_short v[2:3], v101, off
	s_waitcnt lgkmcnt(6)
	global_store_short v[76:77], v102, off
	;; [unrolled: 2-line block ×4, first 2 shown]
	v_add_co_u32_e32 v2, vcc, v7, v70
	v_add_u32_e32 v53, 0x2000, v53
	v_add_u32_e32 v11, 0x1000, v11
	v_mov_b32_e32 v54, s16
	v_add_co_u32_e64 v78, s[2:3], v7, v78
	v_add_u32_e32 v12, 0x1000, v12
	v_add_u32_e32 v13, 0x1000, v13
	;; [unrolled: 1-line block ×3, first 2 shown]
	v_addc_co_u32_e32 v3, vcc, v17, v71, vcc
	v_addc_co_u32_e64 v79, s[2:3], v17, v79, s[2:3]
	s_waitcnt lgkmcnt(3)
	global_store_short v[2:3], v105, off
	s_waitcnt lgkmcnt(2)
	global_store_short v[82:83], v106, off
	s_waitcnt lgkmcnt(1)
	global_store_short v[80:81], v107, off
	s_waitcnt lgkmcnt(0)
	global_store_short v[78:79], v108, off
	s_andn2_b64 exec, exec, s[14:15]
	s_cbranch_execnz .LBB936_122
; %bb.123:
	s_or_b64 exec, exec, s[14:15]
.LBB936_124:
	s_or_b64 exec, exec, s[12:13]
	v_and_b32_e32 v1, 3, v51
	v_cmp_ne_u32_e32 vcc, 0, v1
	s_and_saveexec_b64 s[12:13], vcc
	s_cbranch_execz .LBB936_127
; %bb.125:
	v_lshl_or_b32 v4, v54, 9, v50
	s_mov_b64 s[14:15], 0
	v_mov_b32_e32 v3, 0
.LBB936_126:                            ; =>This Inner Loop Header: Depth=1
	v_mov_b32_e32 v2, v10
	v_add_u32_e32 v1, -1, v1
	v_lshlrev_b64 v[50:51], 1, v[2:3]
	v_mov_b32_e32 v2, v11
	v_cmp_eq_u32_e32 vcc, 0, v1
	v_lshlrev_b64 v[52:53], 1, v[2:3]
	ds_read_u16 v5, v4
	ds_read_u16 v72, v4 offset:512
	ds_read_u16 v73, v4 offset:1024
	;; [unrolled: 1-line block ×3, first 2 shown]
	v_mov_b32_e32 v2, v12
	s_or_b64 s[14:15], vcc, s[14:15]
	v_add_co_u32_e32 v52, vcc, v7, v52
	v_addc_co_u32_e32 v53, vcc, v17, v53, vcc
	v_lshlrev_b64 v[54:55], 1, v[2:3]
	v_mov_b32_e32 v2, v13
	v_add_co_u32_e32 v54, vcc, v7, v54
	v_add_co_u32_e64 v50, s[2:3], v7, v50
	v_addc_co_u32_e32 v55, vcc, v17, v55, vcc
	v_lshlrev_b64 v[70:71], 1, v[2:3]
	v_add_u32_e32 v10, 0x400, v10
	v_add_u32_e32 v4, 0x800, v4
	;; [unrolled: 1-line block ×3, first 2 shown]
	v_addc_co_u32_e64 v51, s[2:3], v17, v51, s[2:3]
	v_add_u32_e32 v12, 0x400, v12
	v_add_u32_e32 v13, 0x400, v13
	v_add_co_u32_e32 v70, vcc, v7, v70
	v_addc_co_u32_e32 v71, vcc, v17, v71, vcc
	s_waitcnt lgkmcnt(3)
	global_store_short v[50:51], v5, off
	s_waitcnt lgkmcnt(2)
	global_store_short v[52:53], v72, off
	;; [unrolled: 2-line block ×4, first 2 shown]
	s_andn2_b64 exec, exec, s[14:15]
	s_cbranch_execnz .LBB936_126
.LBB936_127:
	s_or_b64 exec, exec, s[12:13]
	v_add_u32_e32 v1, 1, v14
	v_and_b32_e32 v3, 0x1fffffc, v1
	v_cmp_ne_u32_e32 vcc, v1, v3
	v_lshl_or_b32 v2, v3, 8, v0
	s_orn2_b64 s[2:3], vcc, exec
.LBB936_128:
	s_or_b64 exec, exec, s[10:11]
	s_andn2_b64 s[6:7], s[6:7], exec
	s_and_b64 s[2:3], s[2:3], exec
	s_or_b64 s[6:7], s[6:7], s[2:3]
.LBB936_129:
	s_or_b64 exec, exec, s[8:9]
	s_and_b64 exec, exec, s[6:7]
	s_cbranch_execz .LBB936_132
; %bb.130:
	v_lshlrev_b32_e32 v1, 1, v2
	s_mov_b64 s[2:3], 0
	v_mov_b32_e32 v3, 0
.LBB936_131:                            ; =>This Inner Loop Header: Depth=1
	v_lshlrev_b64 v[4:5], 1, v[2:3]
	ds_read_u16 v10, v1
	v_add_co_u32_e32 v4, vcc, v7, v4
	v_add_u32_e32 v2, 0x100, v2
	v_addc_co_u32_e32 v5, vcc, v17, v5, vcc
	v_cmp_ge_u32_e32 vcc, v2, v6
	v_add_u32_e32 v1, 0x200, v1
	s_or_b64 s[2:3], vcc, s[2:3]
	s_waitcnt lgkmcnt(0)
	global_store_short v[4:5], v10, off
	s_andn2_b64 exec, exec, s[2:3]
	s_cbranch_execnz .LBB936_131
.LBB936_132:
	s_or_b64 exec, exec, s[4:5]
.LBB936_133:
	s_cmpk_lg_i32 s33, 0xf00
	s_cselect_b64 s[2:3], -1, 0
	v_cndmask_b32_e64 v10, 0, 1, s[42:43]
	s_and_b64 s[2:3], s[2:3], s[40:41]
	v_sub_u32_e32 v1, v6, v10
	v_cndmask_b32_e64 v2, 0, 1, s[2:3]
	s_and_b64 s[0:1], s[0:1], s[42:43]
	v_add_u32_e32 v1, v1, v2
	v_cndmask_b32_e64 v2, v69, 0, s[0:1]
	s_mul_hi_u32 s0, s33, 0x88888889
	s_lshr_b32 s0, s0, 3
	v_mad_i32_i24 v3, v0, -15, s33
	v_cmp_eq_u32_e32 vcc, s0, v0
	v_cmp_ne_u32_e64 s[0:1], 0, v3
	v_cndmask_b32_e64 v4, 1, v2, s[0:1]
	v_cmp_ne_u32_e64 s[0:1], 1, v3
	v_cndmask_b32_e64 v5, 1, v68, s[0:1]
	;; [unrolled: 2-line block ×15, first 2 shown]
	s_and_b64 vcc, vcc, s[40:41]
	v_cndmask_b32_e32 v15, v15, v3, vcc
	v_cndmask_b32_e32 v53, v58, v53, vcc
	;; [unrolled: 1-line block ×3, first 2 shown]
	v_lshlrev_b64 v[2:3], 3, v[48:49]
	v_cndmask_b32_e32 v55, v56, v55, vcc
	v_cndmask_b32_e32 v54, v57, v54, vcc
	v_cndmask_b32_e32 v52, v59, v52, vcc
	v_cndmask_b32_e32 v51, v60, v51, vcc
	v_cndmask_b32_e32 v50, v61, v50, vcc
	v_cndmask_b32_e32 v17, v62, v17, vcc
	v_cndmask_b32_e32 v14, v63, v14, vcc
	v_cndmask_b32_e32 v13, v64, v13, vcc
	v_cndmask_b32_e32 v12, v65, v12, vcc
	v_cndmask_b32_e32 v11, v66, v11, vcc
	v_cndmask_b32_e32 v56, v67, v7, vcc
	v_cndmask_b32_e32 v57, v68, v5, vcc
	v_mov_b32_e32 v4, s47
	v_add_co_u32_e32 v5, vcc, s46, v2
	v_addc_co_u32_e32 v7, vcc, v4, v3, vcc
	v_lshlrev_b64 v[2:3], 3, v[8:9]
	v_add_co_u32_e32 v4, vcc, v5, v2
	v_addc_co_u32_e32 v5, vcc, v7, v3, vcc
	v_lshlrev_b32_e32 v2, 3, v10
	v_add_co_u32_e32 v2, vcc, v2, v4
	v_addc_co_u32_e32 v3, vcc, 0, v5, vcc
	v_add_co_u32_e32 v7, vcc, -8, v2
	v_addc_co_u32_e32 v9, vcc, -1, v3, vcc
	v_cmp_eq_u32_e32 vcc, 0, v58
	v_cndmask_b32_e64 v3, 1, 2, vcc
	v_cmp_eq_u32_e32 vcc, 0, v57
	v_add_u32_e32 v2, v8, v10
	v_cndmask_b32_e64 v10, 1, 2, vcc
	v_cmp_eq_u32_e32 vcc, 0, v56
	v_and_b32_e32 v3, v10, v3
	v_cndmask_b32_e64 v10, 1, 2, vcc
	v_cmp_eq_u32_e32 vcc, 0, v11
	v_and_b32_e32 v3, v3, v10
	;; [unrolled: 3-line block ×13, first 2 shown]
	v_cndmask_b32_e64 v10, 1, 2, vcc
	s_movk_i32 s30, 0x100
	v_and_b32_e32 v3, v3, v10
	v_cmp_gt_u32_e32 vcc, s30, v1
	v_cmp_ne_u32_e64 s[28:29], 0, v58
	v_cmp_ne_u32_e64 s[26:27], 0, v57
	;; [unrolled: 1-line block ×15, first 2 shown]
	s_mov_b64 s[34:35], -1
	v_cmp_gt_i16_e64 s[30:31], 2, v3
	s_barrier
	s_cbranch_vccz .LBB936_140
; %bb.134:
	s_and_saveexec_b64 s[34:35], s[30:31]
	s_cbranch_execz .LBB936_139
; %bb.135:
	v_cmp_ne_u16_e32 vcc, 1, v3
	s_mov_b64 s[36:37], 0
	s_and_saveexec_b64 s[30:31], vcc
	s_xor_b64 s[30:31], exec, s[30:31]
	s_cbranch_execnz .LBB936_189
; %bb.136:
	s_andn2_saveexec_b64 s[30:31], s[30:31]
	s_cbranch_execnz .LBB936_205
.LBB936_137:
	s_or_b64 exec, exec, s[30:31]
	s_and_b64 exec, exec, s[36:37]
	s_cbranch_execz .LBB936_139
.LBB936_138:
	v_mov_b32_e32 v11, 0
	v_sub_u32_e32 v12, v18, v2
	v_mov_b32_e32 v13, v11
	v_lshlrev_b64 v[12:13], 3, v[12:13]
	v_add_co_u32_e32 v12, vcc, v7, v12
	v_mov_b32_e32 v10, v19
	v_addc_co_u32_e32 v13, vcc, v9, v13, vcc
	global_store_dwordx2 v[12:13], v[10:11], off
.LBB936_139:
	s_or_b64 exec, exec, s[34:35]
	s_mov_b64 s[34:35], 0
.LBB936_140:
	s_and_b64 vcc, exec, s[34:35]
	s_cbranch_vccz .LBB936_150
; %bb.141:
	v_cmp_gt_i16_e32 vcc, 2, v3
	s_and_saveexec_b64 s[30:31], vcc
	s_cbranch_execz .LBB936_146
; %bb.142:
	v_cmp_ne_u16_e32 vcc, 1, v3
	s_mov_b64 s[36:37], 0
	s_and_saveexec_b64 s[34:35], vcc
	s_xor_b64 s[34:35], exec, s[34:35]
	s_cbranch_execnz .LBB936_206
; %bb.143:
	s_andn2_saveexec_b64 s[0:1], s[34:35]
	s_cbranch_execnz .LBB936_222
.LBB936_144:
	s_or_b64 exec, exec, s[0:1]
	s_and_b64 exec, exec, s[36:37]
	s_cbranch_execz .LBB936_146
.LBB936_145:
	v_sub_u32_e32 v2, v18, v2
	v_lshlrev_b32_e32 v2, 2, v2
	ds_write_b32 v2, v19
.LBB936_146:
	s_or_b64 exec, exec, s[30:31]
	v_cmp_lt_u32_e32 vcc, v0, v1
	s_waitcnt lgkmcnt(0)
	s_barrier
	s_and_saveexec_b64 s[0:1], vcc
	s_cbranch_execz .LBB936_149
; %bb.147:
	v_lshlrev_b32_e32 v10, 2, v0
	s_mov_b64 s[2:3], 0
	v_mov_b32_e32 v3, 0
	v_mov_b32_e32 v2, v0
.LBB936_148:                            ; =>This Inner Loop Header: Depth=1
	ds_read_b32 v12, v10
	v_lshlrev_b64 v[14:15], 3, v[2:3]
	v_add_co_u32_e32 v14, vcc, v7, v14
	v_add_u32_e32 v2, 0x100, v2
	v_addc_co_u32_e32 v15, vcc, v9, v15, vcc
	v_cmp_ge_u32_e32 vcc, v2, v1
	v_mov_b32_e32 v13, v3
	v_add_u32_e32 v10, 0x400, v10
	s_or_b64 s[2:3], vcc, s[2:3]
	s_waitcnt lgkmcnt(0)
	global_store_dwordx2 v[14:15], v[12:13], off
	s_andn2_b64 exec, exec, s[2:3]
	s_cbranch_execnz .LBB936_148
.LBB936_149:
	s_or_b64 exec, exec, s[0:1]
.LBB936_150:
	s_movk_i32 s0, 0xff
	v_cmp_eq_u32_e32 vcc, s0, v0
	s_and_b64 s[0:1], vcc, s[40:41]
	s_and_saveexec_b64 s[2:3], s[0:1]
	s_cbranch_execz .LBB936_153
; %bb.151:
	v_add_co_u32_e32 v0, vcc, v6, v8
	v_addc_co_u32_e64 v1, s[0:1], 0, 0, vcc
	v_add_co_u32_e32 v0, vcc, v0, v48
	v_mov_b32_e32 v7, 0
	v_addc_co_u32_e32 v1, vcc, v1, v49, vcc
	s_cmpk_lg_i32 s33, 0xf00
	global_store_dwordx2 v7, v[0:1], s[52:53]
	s_cbranch_scc1 .LBB936_153
; %bb.152:
	v_lshlrev_b64 v[0:1], 3, v[6:7]
	v_add_co_u32_e32 v0, vcc, v4, v0
	v_mov_b32_e32 v17, v7
	v_addc_co_u32_e32 v1, vcc, v5, v1, vcc
	global_store_dwordx2 v[0:1], v[16:17], off offset:-8
.LBB936_153:
	s_endpgm
.LBB936_154:
	s_or_b64 exec, exec, s[10:11]
	v_mov_b32_e32 v69, s14
	s_and_saveexec_b64 s[2:3], s[8:9]
	s_cbranch_execnz .LBB936_58
	s_branch .LBB936_59
.LBB936_155:
	s_and_saveexec_b64 s[38:39], s[30:31]
	s_cbranch_execnz .LBB936_223
; %bb.156:
	s_or_b64 exec, exec, s[38:39]
	s_and_saveexec_b64 s[38:39], s[28:29]
	s_cbranch_execnz .LBB936_224
.LBB936_157:
	s_or_b64 exec, exec, s[38:39]
	s_and_saveexec_b64 s[38:39], s[26:27]
	s_cbranch_execnz .LBB936_225
.LBB936_158:
	s_or_b64 exec, exec, s[38:39]
	s_and_saveexec_b64 s[38:39], s[24:25]
	s_cbranch_execnz .LBB936_226
.LBB936_159:
	s_or_b64 exec, exec, s[38:39]
	s_and_saveexec_b64 s[38:39], s[22:23]
	s_cbranch_execnz .LBB936_227
.LBB936_160:
	s_or_b64 exec, exec, s[38:39]
	s_and_saveexec_b64 s[38:39], s[20:21]
	s_cbranch_execnz .LBB936_228
.LBB936_161:
	s_or_b64 exec, exec, s[38:39]
	s_and_saveexec_b64 s[38:39], s[18:19]
	s_cbranch_execnz .LBB936_229
.LBB936_162:
	s_or_b64 exec, exec, s[38:39]
	s_and_saveexec_b64 s[38:39], s[16:17]
	s_cbranch_execnz .LBB936_230
.LBB936_163:
	s_or_b64 exec, exec, s[38:39]
	s_and_saveexec_b64 s[38:39], s[14:15]
	s_cbranch_execnz .LBB936_231
.LBB936_164:
	s_or_b64 exec, exec, s[38:39]
	s_and_saveexec_b64 s[38:39], s[12:13]
	s_cbranch_execnz .LBB936_232
.LBB936_165:
	s_or_b64 exec, exec, s[38:39]
	s_and_saveexec_b64 s[38:39], s[10:11]
	s_cbranch_execnz .LBB936_233
.LBB936_166:
	s_or_b64 exec, exec, s[38:39]
	s_and_saveexec_b64 s[38:39], s[8:9]
	s_cbranch_execnz .LBB936_234
.LBB936_167:
	s_or_b64 exec, exec, s[38:39]
	s_and_saveexec_b64 s[38:39], s[6:7]
	s_cbranch_execnz .LBB936_235
.LBB936_168:
	s_or_b64 exec, exec, s[38:39]
	s_and_saveexec_b64 s[38:39], s[4:5]
	s_cbranch_execz .LBB936_170
.LBB936_169:
	v_sub_u32_e32 v50, v20, v8
	v_mov_b32_e32 v51, 0
	v_lshlrev_b64 v[50:51], 1, v[50:51]
	v_add_co_u32_e32 v50, vcc, v7, v50
	v_addc_co_u32_e32 v51, vcc, v17, v51, vcc
	global_store_short v[50:51], v14, off
.LBB936_170:
	s_or_b64 exec, exec, s[38:39]
	s_and_b64 s[38:39], s[2:3], exec
	s_andn2_saveexec_b64 s[34:35], s[34:35]
	s_cbranch_execz .LBB936_108
.LBB936_171:
	v_sub_u32_e32 v50, v46, v8
	v_mov_b32_e32 v51, 0
	v_lshlrev_b64 v[52:53], 1, v[50:51]
	v_add_co_u32_e32 v52, vcc, v7, v52
	v_addc_co_u32_e32 v53, vcc, v17, v53, vcc
	v_sub_u32_e32 v50, v44, v8
	global_store_short v[52:53], v1, off
	v_lshlrev_b64 v[52:53], 1, v[50:51]
	v_add_co_u32_e32 v52, vcc, v7, v52
	v_addc_co_u32_e32 v53, vcc, v17, v53, vcc
	v_sub_u32_e32 v50, v42, v8
	global_store_short v[52:53], v2, off
	v_lshlrev_b64 v[52:53], 1, v[50:51]
	v_add_co_u32_e32 v52, vcc, v7, v52
	v_addc_co_u32_e32 v53, vcc, v17, v53, vcc
	v_sub_u32_e32 v50, v40, v8
	global_store_short_d16_hi v[52:53], v2, off
	v_lshlrev_b64 v[52:53], 1, v[50:51]
	v_add_co_u32_e32 v52, vcc, v7, v52
	v_addc_co_u32_e32 v53, vcc, v17, v53, vcc
	v_sub_u32_e32 v50, v38, v8
	global_store_short v[52:53], v3, off
	v_lshlrev_b64 v[52:53], 1, v[50:51]
	v_add_co_u32_e32 v52, vcc, v7, v52
	v_addc_co_u32_e32 v53, vcc, v17, v53, vcc
	v_sub_u32_e32 v50, v36, v8
	global_store_short_d16_hi v[52:53], v3, off
	;; [unrolled: 10-line block ×5, first 2 shown]
	v_lshlrev_b64 v[52:53], 1, v[50:51]
	v_add_co_u32_e32 v52, vcc, v7, v52
	v_addc_co_u32_e32 v53, vcc, v17, v53, vcc
	v_sub_u32_e32 v50, v22, v8
	global_store_short v[52:53], v13, off
	v_lshlrev_b64 v[52:53], 1, v[50:51]
	v_add_co_u32_e32 v52, vcc, v7, v52
	v_sub_u32_e32 v50, v20, v8
	v_addc_co_u32_e32 v53, vcc, v17, v53, vcc
	v_lshlrev_b64 v[50:51], 1, v[50:51]
	v_add_co_u32_e32 v50, vcc, v7, v50
	v_addc_co_u32_e32 v51, vcc, v17, v51, vcc
	s_or_b64 s[38:39], s[38:39], exec
	global_store_short_d16_hi v[52:53], v13, off
	global_store_short v[50:51], v14, off
	s_or_b64 exec, exec, s[34:35]
	s_and_b64 exec, exec, s[38:39]
	s_cbranch_execnz .LBB936_109
	s_branch .LBB936_110
.LBB936_172:
	s_and_saveexec_b64 s[38:39], s[30:31]
	s_cbranch_execnz .LBB936_236
; %bb.173:
	s_or_b64 exec, exec, s[38:39]
	s_and_saveexec_b64 s[30:31], s[28:29]
	s_cbranch_execnz .LBB936_237
.LBB936_174:
	s_or_b64 exec, exec, s[30:31]
	s_and_saveexec_b64 s[28:29], s[26:27]
	s_cbranch_execnz .LBB936_238
.LBB936_175:
	s_or_b64 exec, exec, s[28:29]
	s_and_saveexec_b64 s[26:27], s[24:25]
	s_cbranch_execnz .LBB936_239
.LBB936_176:
	s_or_b64 exec, exec, s[26:27]
	s_and_saveexec_b64 s[24:25], s[22:23]
	s_cbranch_execnz .LBB936_240
.LBB936_177:
	s_or_b64 exec, exec, s[24:25]
	s_and_saveexec_b64 s[22:23], s[20:21]
	s_cbranch_execnz .LBB936_241
.LBB936_178:
	s_or_b64 exec, exec, s[22:23]
	s_and_saveexec_b64 s[20:21], s[18:19]
	s_cbranch_execnz .LBB936_242
.LBB936_179:
	s_or_b64 exec, exec, s[20:21]
	s_and_saveexec_b64 s[18:19], s[16:17]
	s_cbranch_execnz .LBB936_243
.LBB936_180:
	s_or_b64 exec, exec, s[18:19]
	s_and_saveexec_b64 s[16:17], s[14:15]
	s_cbranch_execnz .LBB936_244
.LBB936_181:
	s_or_b64 exec, exec, s[16:17]
	s_and_saveexec_b64 s[14:15], s[12:13]
	s_cbranch_execnz .LBB936_245
.LBB936_182:
	s_or_b64 exec, exec, s[14:15]
	s_and_saveexec_b64 s[12:13], s[10:11]
	s_cbranch_execnz .LBB936_246
.LBB936_183:
	s_or_b64 exec, exec, s[12:13]
	s_and_saveexec_b64 s[10:11], s[8:9]
	s_cbranch_execnz .LBB936_247
.LBB936_184:
	s_or_b64 exec, exec, s[10:11]
	s_and_saveexec_b64 s[8:9], s[6:7]
	s_cbranch_execnz .LBB936_248
.LBB936_185:
	s_or_b64 exec, exec, s[8:9]
	s_and_saveexec_b64 s[6:7], s[4:5]
	s_cbranch_execz .LBB936_187
.LBB936_186:
	v_sub_u32_e32 v1, v20, v8
	v_lshlrev_b32_e32 v1, 1, v1
	ds_write_b16 v1, v14
.LBB936_187:
	s_or_b64 exec, exec, s[6:7]
	s_and_b64 s[38:39], s[2:3], exec
                                        ; implicit-def: $vgpr1
                                        ; implicit-def: $vgpr2
	s_andn2_saveexec_b64 s[2:3], s[36:37]
	s_cbranch_execz .LBB936_115
.LBB936_188:
	v_sub_u32_e32 v10, v46, v8
	v_lshlrev_b32_e32 v10, 1, v10
	ds_write_b16 v10, v1
	v_sub_u32_e32 v1, v44, v8
	v_lshlrev_b32_e32 v1, 1, v1
	ds_write_b16 v1, v2
	v_sub_u32_e32 v1, v42, v8
	v_lshlrev_b32_e32 v1, 1, v1
	ds_write_b16_d16_hi v1, v2
	v_sub_u32_e32 v1, v40, v8
	v_lshlrev_b32_e32 v1, 1, v1
	ds_write_b16 v1, v3
	v_sub_u32_e32 v1, v38, v8
	v_lshlrev_b32_e32 v1, 1, v1
	ds_write_b16_d16_hi v1, v3
	;; [unrolled: 6-line block ×6, first 2 shown]
	v_sub_u32_e32 v1, v20, v8
	v_lshlrev_b32_e32 v1, 1, v1
	s_or_b64 s[38:39], s[38:39], exec
	ds_write_b16 v1, v14
	s_or_b64 exec, exec, s[2:3]
	s_and_b64 exec, exec, s[38:39]
	s_cbranch_execnz .LBB936_116
	s_branch .LBB936_117
.LBB936_189:
	s_and_saveexec_b64 s[36:37], s[28:29]
	s_cbranch_execnz .LBB936_249
; %bb.190:
	s_or_b64 exec, exec, s[36:37]
	s_and_saveexec_b64 s[36:37], s[26:27]
	s_cbranch_execnz .LBB936_250
.LBB936_191:
	s_or_b64 exec, exec, s[36:37]
	s_and_saveexec_b64 s[36:37], s[24:25]
	s_cbranch_execnz .LBB936_251
.LBB936_192:
	s_or_b64 exec, exec, s[36:37]
	s_and_saveexec_b64 s[36:37], s[22:23]
	s_cbranch_execnz .LBB936_252
.LBB936_193:
	s_or_b64 exec, exec, s[36:37]
	s_and_saveexec_b64 s[36:37], s[20:21]
	s_cbranch_execnz .LBB936_253
.LBB936_194:
	s_or_b64 exec, exec, s[36:37]
	s_and_saveexec_b64 s[36:37], s[18:19]
	s_cbranch_execnz .LBB936_254
.LBB936_195:
	s_or_b64 exec, exec, s[36:37]
	s_and_saveexec_b64 s[36:37], s[16:17]
	s_cbranch_execnz .LBB936_255
.LBB936_196:
	s_or_b64 exec, exec, s[36:37]
	s_and_saveexec_b64 s[36:37], s[14:15]
	s_cbranch_execnz .LBB936_256
.LBB936_197:
	s_or_b64 exec, exec, s[36:37]
	s_and_saveexec_b64 s[36:37], s[12:13]
	s_cbranch_execnz .LBB936_257
.LBB936_198:
	s_or_b64 exec, exec, s[36:37]
	s_and_saveexec_b64 s[36:37], s[10:11]
	s_cbranch_execnz .LBB936_258
.LBB936_199:
	s_or_b64 exec, exec, s[36:37]
	s_and_saveexec_b64 s[36:37], s[8:9]
	s_cbranch_execnz .LBB936_259
.LBB936_200:
	s_or_b64 exec, exec, s[36:37]
	s_and_saveexec_b64 s[36:37], s[6:7]
	s_cbranch_execnz .LBB936_260
.LBB936_201:
	s_or_b64 exec, exec, s[36:37]
	s_and_saveexec_b64 s[36:37], s[4:5]
	s_cbranch_execnz .LBB936_261
.LBB936_202:
	s_or_b64 exec, exec, s[36:37]
	s_and_saveexec_b64 s[36:37], s[2:3]
	s_cbranch_execz .LBB936_204
.LBB936_203:
	v_sub_u32_e32 v10, v20, v2
	v_mov_b32_e32 v11, 0
	v_lshlrev_b64 v[12:13], 3, v[10:11]
	v_add_co_u32_e32 v12, vcc, v7, v12
	v_addc_co_u32_e32 v13, vcc, v9, v13, vcc
	v_mov_b32_e32 v10, v21
	global_store_dwordx2 v[12:13], v[10:11], off
.LBB936_204:
	s_or_b64 exec, exec, s[36:37]
	s_and_b64 s[36:37], s[0:1], exec
	s_andn2_saveexec_b64 s[30:31], s[30:31]
	s_cbranch_execz .LBB936_137
.LBB936_205:
	v_mov_b32_e32 v11, 0
	v_sub_u32_e32 v12, v46, v2
	v_mov_b32_e32 v13, v11
	v_lshlrev_b64 v[12:13], 3, v[12:13]
	v_add_co_u32_e32 v12, vcc, v7, v12
	v_mov_b32_e32 v10, v47
	v_addc_co_u32_e32 v13, vcc, v9, v13, vcc
	global_store_dwordx2 v[12:13], v[10:11], off
	v_sub_u32_e32 v12, v44, v2
	v_mov_b32_e32 v13, v11
	v_lshlrev_b64 v[12:13], 3, v[12:13]
	v_add_co_u32_e32 v12, vcc, v7, v12
	v_mov_b32_e32 v10, v45
	v_addc_co_u32_e32 v13, vcc, v9, v13, vcc
	global_store_dwordx2 v[12:13], v[10:11], off
	;; [unrolled: 7-line block ×13, first 2 shown]
	v_sub_u32_e32 v12, v20, v2
	v_mov_b32_e32 v13, v11
	v_lshlrev_b64 v[12:13], 3, v[12:13]
	v_add_co_u32_e32 v12, vcc, v7, v12
	v_mov_b32_e32 v10, v21
	v_addc_co_u32_e32 v13, vcc, v9, v13, vcc
	s_or_b64 s[36:37], s[36:37], exec
	global_store_dwordx2 v[12:13], v[10:11], off
	s_or_b64 exec, exec, s[30:31]
	s_and_b64 exec, exec, s[36:37]
	s_cbranch_execnz .LBB936_138
	s_branch .LBB936_139
.LBB936_206:
	s_and_saveexec_b64 s[36:37], s[28:29]
	s_cbranch_execnz .LBB936_262
; %bb.207:
	s_or_b64 exec, exec, s[36:37]
	s_and_saveexec_b64 s[28:29], s[26:27]
	s_cbranch_execnz .LBB936_263
.LBB936_208:
	s_or_b64 exec, exec, s[28:29]
	s_and_saveexec_b64 s[26:27], s[24:25]
	s_cbranch_execnz .LBB936_264
.LBB936_209:
	s_or_b64 exec, exec, s[26:27]
	s_and_saveexec_b64 s[24:25], s[22:23]
	s_cbranch_execnz .LBB936_265
.LBB936_210:
	s_or_b64 exec, exec, s[24:25]
	s_and_saveexec_b64 s[22:23], s[20:21]
	s_cbranch_execnz .LBB936_266
.LBB936_211:
	s_or_b64 exec, exec, s[22:23]
	s_and_saveexec_b64 s[20:21], s[18:19]
	s_cbranch_execnz .LBB936_267
.LBB936_212:
	s_or_b64 exec, exec, s[20:21]
	s_and_saveexec_b64 s[18:19], s[16:17]
	s_cbranch_execnz .LBB936_268
.LBB936_213:
	s_or_b64 exec, exec, s[18:19]
	s_and_saveexec_b64 s[16:17], s[14:15]
	s_cbranch_execnz .LBB936_269
.LBB936_214:
	s_or_b64 exec, exec, s[16:17]
	s_and_saveexec_b64 s[14:15], s[12:13]
	s_cbranch_execnz .LBB936_270
.LBB936_215:
	s_or_b64 exec, exec, s[14:15]
	s_and_saveexec_b64 s[12:13], s[10:11]
	s_cbranch_execnz .LBB936_271
.LBB936_216:
	s_or_b64 exec, exec, s[12:13]
	s_and_saveexec_b64 s[10:11], s[8:9]
	s_cbranch_execnz .LBB936_272
.LBB936_217:
	s_or_b64 exec, exec, s[10:11]
	s_and_saveexec_b64 s[8:9], s[6:7]
	s_cbranch_execnz .LBB936_273
.LBB936_218:
	s_or_b64 exec, exec, s[8:9]
	s_and_saveexec_b64 s[6:7], s[4:5]
	s_cbranch_execnz .LBB936_274
.LBB936_219:
	s_or_b64 exec, exec, s[6:7]
	s_and_saveexec_b64 s[4:5], s[2:3]
	s_cbranch_execz .LBB936_221
.LBB936_220:
	v_sub_u32_e32 v3, v20, v2
	v_lshlrev_b32_e32 v3, 2, v3
	ds_write_b32 v3, v21
.LBB936_221:
	s_or_b64 exec, exec, s[4:5]
	s_and_b64 s[36:37], s[0:1], exec
                                        ; implicit-def: $vgpr46_vgpr47
                                        ; implicit-def: $vgpr44_vgpr45
                                        ; implicit-def: $vgpr42_vgpr43
                                        ; implicit-def: $vgpr40_vgpr41
                                        ; implicit-def: $vgpr38_vgpr39
                                        ; implicit-def: $vgpr36_vgpr37
                                        ; implicit-def: $vgpr34_vgpr35
                                        ; implicit-def: $vgpr32_vgpr33
                                        ; implicit-def: $vgpr30_vgpr31
                                        ; implicit-def: $vgpr28_vgpr29
                                        ; implicit-def: $vgpr26_vgpr27
                                        ; implicit-def: $vgpr24_vgpr25
                                        ; implicit-def: $vgpr22_vgpr23
                                        ; implicit-def: $vgpr20_vgpr21
	s_andn2_saveexec_b64 s[0:1], s[34:35]
	s_cbranch_execz .LBB936_144
.LBB936_222:
	v_sub_u32_e32 v3, v46, v2
	v_lshlrev_b32_e32 v3, 2, v3
	ds_write_b32 v3, v47
	v_sub_u32_e32 v3, v44, v2
	v_lshlrev_b32_e32 v3, 2, v3
	ds_write_b32 v3, v45
	;; [unrolled: 3-line block ×13, first 2 shown]
	v_sub_u32_e32 v3, v20, v2
	v_lshlrev_b32_e32 v3, 2, v3
	s_or_b64 s[36:37], s[36:37], exec
	ds_write_b32 v3, v21
	s_or_b64 exec, exec, s[0:1]
	s_and_b64 exec, exec, s[36:37]
	s_cbranch_execnz .LBB936_145
	s_branch .LBB936_146
.LBB936_223:
	v_sub_u32_e32 v50, v46, v8
	v_mov_b32_e32 v51, 0
	v_lshlrev_b64 v[50:51], 1, v[50:51]
	v_add_co_u32_e32 v50, vcc, v7, v50
	v_addc_co_u32_e32 v51, vcc, v17, v51, vcc
	global_store_short v[50:51], v1, off
	s_or_b64 exec, exec, s[38:39]
	s_and_saveexec_b64 s[38:39], s[28:29]
	s_cbranch_execz .LBB936_157
.LBB936_224:
	v_sub_u32_e32 v50, v44, v8
	v_mov_b32_e32 v51, 0
	v_lshlrev_b64 v[50:51], 1, v[50:51]
	v_add_co_u32_e32 v50, vcc, v7, v50
	v_addc_co_u32_e32 v51, vcc, v17, v51, vcc
	global_store_short v[50:51], v2, off
	s_or_b64 exec, exec, s[38:39]
	s_and_saveexec_b64 s[38:39], s[26:27]
	s_cbranch_execz .LBB936_158
.LBB936_225:
	v_sub_u32_e32 v50, v42, v8
	v_mov_b32_e32 v51, 0
	v_lshlrev_b64 v[50:51], 1, v[50:51]
	v_add_co_u32_e32 v50, vcc, v7, v50
	v_addc_co_u32_e32 v51, vcc, v17, v51, vcc
	global_store_short_d16_hi v[50:51], v2, off
	s_or_b64 exec, exec, s[38:39]
	s_and_saveexec_b64 s[38:39], s[24:25]
	s_cbranch_execz .LBB936_159
.LBB936_226:
	v_sub_u32_e32 v50, v40, v8
	v_mov_b32_e32 v51, 0
	v_lshlrev_b64 v[50:51], 1, v[50:51]
	v_add_co_u32_e32 v50, vcc, v7, v50
	v_addc_co_u32_e32 v51, vcc, v17, v51, vcc
	global_store_short v[50:51], v3, off
	s_or_b64 exec, exec, s[38:39]
	s_and_saveexec_b64 s[38:39], s[22:23]
	s_cbranch_execz .LBB936_160
.LBB936_227:
	v_sub_u32_e32 v50, v38, v8
	v_mov_b32_e32 v51, 0
	v_lshlrev_b64 v[50:51], 1, v[50:51]
	v_add_co_u32_e32 v50, vcc, v7, v50
	v_addc_co_u32_e32 v51, vcc, v17, v51, vcc
	global_store_short_d16_hi v[50:51], v3, off
	s_or_b64 exec, exec, s[38:39]
	s_and_saveexec_b64 s[38:39], s[20:21]
	s_cbranch_execz .LBB936_161
.LBB936_228:
	v_sub_u32_e32 v50, v36, v8
	v_mov_b32_e32 v51, 0
	v_lshlrev_b64 v[50:51], 1, v[50:51]
	v_add_co_u32_e32 v50, vcc, v7, v50
	v_addc_co_u32_e32 v51, vcc, v17, v51, vcc
	global_store_short v[50:51], v4, off
	s_or_b64 exec, exec, s[38:39]
	s_and_saveexec_b64 s[38:39], s[18:19]
	s_cbranch_execz .LBB936_162
.LBB936_229:
	v_sub_u32_e32 v50, v34, v8
	v_mov_b32_e32 v51, 0
	v_lshlrev_b64 v[50:51], 1, v[50:51]
	v_add_co_u32_e32 v50, vcc, v7, v50
	v_addc_co_u32_e32 v51, vcc, v17, v51, vcc
	global_store_short_d16_hi v[50:51], v4, off
	s_or_b64 exec, exec, s[38:39]
	s_and_saveexec_b64 s[38:39], s[16:17]
	s_cbranch_execz .LBB936_163
.LBB936_230:
	v_sub_u32_e32 v50, v32, v8
	v_mov_b32_e32 v51, 0
	v_lshlrev_b64 v[50:51], 1, v[50:51]
	v_add_co_u32_e32 v50, vcc, v7, v50
	v_addc_co_u32_e32 v51, vcc, v17, v51, vcc
	global_store_short v[50:51], v5, off
	s_or_b64 exec, exec, s[38:39]
	s_and_saveexec_b64 s[38:39], s[14:15]
	s_cbranch_execz .LBB936_164
.LBB936_231:
	v_sub_u32_e32 v50, v30, v8
	v_mov_b32_e32 v51, 0
	v_lshlrev_b64 v[50:51], 1, v[50:51]
	v_add_co_u32_e32 v50, vcc, v7, v50
	v_addc_co_u32_e32 v51, vcc, v17, v51, vcc
	global_store_short_d16_hi v[50:51], v5, off
	s_or_b64 exec, exec, s[38:39]
	s_and_saveexec_b64 s[38:39], s[12:13]
	s_cbranch_execz .LBB936_165
.LBB936_232:
	v_sub_u32_e32 v50, v28, v8
	v_mov_b32_e32 v51, 0
	v_lshlrev_b64 v[50:51], 1, v[50:51]
	v_add_co_u32_e32 v50, vcc, v7, v50
	v_addc_co_u32_e32 v51, vcc, v17, v51, vcc
	global_store_short v[50:51], v12, off
	s_or_b64 exec, exec, s[38:39]
	s_and_saveexec_b64 s[38:39], s[10:11]
	s_cbranch_execz .LBB936_166
.LBB936_233:
	v_sub_u32_e32 v50, v26, v8
	v_mov_b32_e32 v51, 0
	v_lshlrev_b64 v[50:51], 1, v[50:51]
	v_add_co_u32_e32 v50, vcc, v7, v50
	v_addc_co_u32_e32 v51, vcc, v17, v51, vcc
	global_store_short_d16_hi v[50:51], v12, off
	s_or_b64 exec, exec, s[38:39]
	s_and_saveexec_b64 s[38:39], s[8:9]
	s_cbranch_execz .LBB936_167
.LBB936_234:
	v_sub_u32_e32 v50, v24, v8
	v_mov_b32_e32 v51, 0
	v_lshlrev_b64 v[50:51], 1, v[50:51]
	v_add_co_u32_e32 v50, vcc, v7, v50
	v_addc_co_u32_e32 v51, vcc, v17, v51, vcc
	global_store_short v[50:51], v13, off
	s_or_b64 exec, exec, s[38:39]
	s_and_saveexec_b64 s[38:39], s[6:7]
	s_cbranch_execz .LBB936_168
.LBB936_235:
	v_sub_u32_e32 v50, v22, v8
	v_mov_b32_e32 v51, 0
	v_lshlrev_b64 v[50:51], 1, v[50:51]
	v_add_co_u32_e32 v50, vcc, v7, v50
	v_addc_co_u32_e32 v51, vcc, v17, v51, vcc
	global_store_short_d16_hi v[50:51], v13, off
	s_or_b64 exec, exec, s[38:39]
	s_and_saveexec_b64 s[38:39], s[4:5]
	s_cbranch_execnz .LBB936_169
	s_branch .LBB936_170
.LBB936_236:
	v_sub_u32_e32 v10, v46, v8
	v_lshlrev_b32_e32 v10, 1, v10
	ds_write_b16 v10, v1
	s_or_b64 exec, exec, s[38:39]
	s_and_saveexec_b64 s[30:31], s[28:29]
	s_cbranch_execz .LBB936_174
.LBB936_237:
	v_sub_u32_e32 v1, v44, v8
	v_lshlrev_b32_e32 v1, 1, v1
	ds_write_b16 v1, v2
	s_or_b64 exec, exec, s[30:31]
	s_and_saveexec_b64 s[28:29], s[26:27]
	s_cbranch_execz .LBB936_175
.LBB936_238:
	v_sub_u32_e32 v1, v42, v8
	v_lshlrev_b32_e32 v1, 1, v1
	ds_write_b16_d16_hi v1, v2
	s_or_b64 exec, exec, s[28:29]
	s_and_saveexec_b64 s[26:27], s[24:25]
	s_cbranch_execz .LBB936_176
.LBB936_239:
	v_sub_u32_e32 v1, v40, v8
	v_lshlrev_b32_e32 v1, 1, v1
	ds_write_b16 v1, v3
	s_or_b64 exec, exec, s[26:27]
	s_and_saveexec_b64 s[24:25], s[22:23]
	s_cbranch_execz .LBB936_177
.LBB936_240:
	v_sub_u32_e32 v1, v38, v8
	v_lshlrev_b32_e32 v1, 1, v1
	ds_write_b16_d16_hi v1, v3
	s_or_b64 exec, exec, s[24:25]
	s_and_saveexec_b64 s[22:23], s[20:21]
	s_cbranch_execz .LBB936_178
.LBB936_241:
	v_sub_u32_e32 v1, v36, v8
	v_lshlrev_b32_e32 v1, 1, v1
	ds_write_b16 v1, v4
	s_or_b64 exec, exec, s[22:23]
	s_and_saveexec_b64 s[20:21], s[18:19]
	s_cbranch_execz .LBB936_179
.LBB936_242:
	v_sub_u32_e32 v1, v34, v8
	v_lshlrev_b32_e32 v1, 1, v1
	ds_write_b16_d16_hi v1, v4
	s_or_b64 exec, exec, s[20:21]
	s_and_saveexec_b64 s[18:19], s[16:17]
	s_cbranch_execz .LBB936_180
.LBB936_243:
	v_sub_u32_e32 v1, v32, v8
	v_lshlrev_b32_e32 v1, 1, v1
	ds_write_b16 v1, v5
	s_or_b64 exec, exec, s[18:19]
	s_and_saveexec_b64 s[16:17], s[14:15]
	s_cbranch_execz .LBB936_181
.LBB936_244:
	v_sub_u32_e32 v1, v30, v8
	v_lshlrev_b32_e32 v1, 1, v1
	ds_write_b16_d16_hi v1, v5
	s_or_b64 exec, exec, s[16:17]
	s_and_saveexec_b64 s[14:15], s[12:13]
	s_cbranch_execz .LBB936_182
.LBB936_245:
	v_sub_u32_e32 v1, v28, v8
	v_lshlrev_b32_e32 v1, 1, v1
	ds_write_b16 v1, v12
	s_or_b64 exec, exec, s[14:15]
	s_and_saveexec_b64 s[12:13], s[10:11]
	s_cbranch_execz .LBB936_183
.LBB936_246:
	v_sub_u32_e32 v1, v26, v8
	v_lshlrev_b32_e32 v1, 1, v1
	ds_write_b16_d16_hi v1, v12
	s_or_b64 exec, exec, s[12:13]
	s_and_saveexec_b64 s[10:11], s[8:9]
	s_cbranch_execz .LBB936_184
.LBB936_247:
	v_sub_u32_e32 v1, v24, v8
	v_lshlrev_b32_e32 v1, 1, v1
	ds_write_b16 v1, v13
	s_or_b64 exec, exec, s[10:11]
	s_and_saveexec_b64 s[8:9], s[6:7]
	s_cbranch_execz .LBB936_185
.LBB936_248:
	v_sub_u32_e32 v1, v22, v8
	v_lshlrev_b32_e32 v1, 1, v1
	ds_write_b16_d16_hi v1, v13
	s_or_b64 exec, exec, s[8:9]
	s_and_saveexec_b64 s[6:7], s[4:5]
	s_cbranch_execnz .LBB936_186
	s_branch .LBB936_187
.LBB936_249:
	v_sub_u32_e32 v10, v46, v2
	v_mov_b32_e32 v11, 0
	v_lshlrev_b64 v[12:13], 3, v[10:11]
	v_add_co_u32_e32 v12, vcc, v7, v12
	v_addc_co_u32_e32 v13, vcc, v9, v13, vcc
	v_mov_b32_e32 v10, v47
	global_store_dwordx2 v[12:13], v[10:11], off
	s_or_b64 exec, exec, s[36:37]
	s_and_saveexec_b64 s[36:37], s[26:27]
	s_cbranch_execz .LBB936_191
.LBB936_250:
	v_sub_u32_e32 v10, v44, v2
	v_mov_b32_e32 v11, 0
	v_lshlrev_b64 v[12:13], 3, v[10:11]
	v_add_co_u32_e32 v12, vcc, v7, v12
	v_addc_co_u32_e32 v13, vcc, v9, v13, vcc
	v_mov_b32_e32 v10, v45
	global_store_dwordx2 v[12:13], v[10:11], off
	s_or_b64 exec, exec, s[36:37]
	s_and_saveexec_b64 s[36:37], s[24:25]
	s_cbranch_execz .LBB936_192
.LBB936_251:
	v_sub_u32_e32 v10, v42, v2
	v_mov_b32_e32 v11, 0
	v_lshlrev_b64 v[12:13], 3, v[10:11]
	v_add_co_u32_e32 v12, vcc, v7, v12
	v_addc_co_u32_e32 v13, vcc, v9, v13, vcc
	v_mov_b32_e32 v10, v43
	global_store_dwordx2 v[12:13], v[10:11], off
	s_or_b64 exec, exec, s[36:37]
	s_and_saveexec_b64 s[36:37], s[22:23]
	s_cbranch_execz .LBB936_193
.LBB936_252:
	v_sub_u32_e32 v10, v40, v2
	v_mov_b32_e32 v11, 0
	v_lshlrev_b64 v[12:13], 3, v[10:11]
	v_add_co_u32_e32 v12, vcc, v7, v12
	v_addc_co_u32_e32 v13, vcc, v9, v13, vcc
	v_mov_b32_e32 v10, v41
	global_store_dwordx2 v[12:13], v[10:11], off
	s_or_b64 exec, exec, s[36:37]
	s_and_saveexec_b64 s[36:37], s[20:21]
	s_cbranch_execz .LBB936_194
.LBB936_253:
	v_sub_u32_e32 v10, v38, v2
	v_mov_b32_e32 v11, 0
	v_lshlrev_b64 v[12:13], 3, v[10:11]
	v_add_co_u32_e32 v12, vcc, v7, v12
	v_addc_co_u32_e32 v13, vcc, v9, v13, vcc
	v_mov_b32_e32 v10, v39
	global_store_dwordx2 v[12:13], v[10:11], off
	s_or_b64 exec, exec, s[36:37]
	s_and_saveexec_b64 s[36:37], s[18:19]
	s_cbranch_execz .LBB936_195
.LBB936_254:
	v_sub_u32_e32 v10, v36, v2
	v_mov_b32_e32 v11, 0
	v_lshlrev_b64 v[12:13], 3, v[10:11]
	v_add_co_u32_e32 v12, vcc, v7, v12
	v_addc_co_u32_e32 v13, vcc, v9, v13, vcc
	v_mov_b32_e32 v10, v37
	global_store_dwordx2 v[12:13], v[10:11], off
	s_or_b64 exec, exec, s[36:37]
	s_and_saveexec_b64 s[36:37], s[16:17]
	s_cbranch_execz .LBB936_196
.LBB936_255:
	v_sub_u32_e32 v10, v34, v2
	v_mov_b32_e32 v11, 0
	v_lshlrev_b64 v[12:13], 3, v[10:11]
	v_add_co_u32_e32 v12, vcc, v7, v12
	v_addc_co_u32_e32 v13, vcc, v9, v13, vcc
	v_mov_b32_e32 v10, v35
	global_store_dwordx2 v[12:13], v[10:11], off
	s_or_b64 exec, exec, s[36:37]
	s_and_saveexec_b64 s[36:37], s[14:15]
	s_cbranch_execz .LBB936_197
.LBB936_256:
	v_sub_u32_e32 v10, v32, v2
	v_mov_b32_e32 v11, 0
	v_lshlrev_b64 v[12:13], 3, v[10:11]
	v_add_co_u32_e32 v12, vcc, v7, v12
	v_addc_co_u32_e32 v13, vcc, v9, v13, vcc
	v_mov_b32_e32 v10, v33
	global_store_dwordx2 v[12:13], v[10:11], off
	s_or_b64 exec, exec, s[36:37]
	s_and_saveexec_b64 s[36:37], s[12:13]
	s_cbranch_execz .LBB936_198
.LBB936_257:
	v_sub_u32_e32 v10, v30, v2
	v_mov_b32_e32 v11, 0
	v_lshlrev_b64 v[12:13], 3, v[10:11]
	v_add_co_u32_e32 v12, vcc, v7, v12
	v_addc_co_u32_e32 v13, vcc, v9, v13, vcc
	v_mov_b32_e32 v10, v31
	global_store_dwordx2 v[12:13], v[10:11], off
	s_or_b64 exec, exec, s[36:37]
	s_and_saveexec_b64 s[36:37], s[10:11]
	s_cbranch_execz .LBB936_199
.LBB936_258:
	v_sub_u32_e32 v10, v28, v2
	v_mov_b32_e32 v11, 0
	v_lshlrev_b64 v[12:13], 3, v[10:11]
	v_add_co_u32_e32 v12, vcc, v7, v12
	v_addc_co_u32_e32 v13, vcc, v9, v13, vcc
	v_mov_b32_e32 v10, v29
	global_store_dwordx2 v[12:13], v[10:11], off
	s_or_b64 exec, exec, s[36:37]
	s_and_saveexec_b64 s[36:37], s[8:9]
	s_cbranch_execz .LBB936_200
.LBB936_259:
	v_sub_u32_e32 v10, v26, v2
	v_mov_b32_e32 v11, 0
	v_lshlrev_b64 v[12:13], 3, v[10:11]
	v_add_co_u32_e32 v12, vcc, v7, v12
	v_addc_co_u32_e32 v13, vcc, v9, v13, vcc
	v_mov_b32_e32 v10, v27
	global_store_dwordx2 v[12:13], v[10:11], off
	s_or_b64 exec, exec, s[36:37]
	s_and_saveexec_b64 s[36:37], s[6:7]
	s_cbranch_execz .LBB936_201
.LBB936_260:
	v_sub_u32_e32 v10, v24, v2
	v_mov_b32_e32 v11, 0
	v_lshlrev_b64 v[12:13], 3, v[10:11]
	v_add_co_u32_e32 v12, vcc, v7, v12
	v_addc_co_u32_e32 v13, vcc, v9, v13, vcc
	v_mov_b32_e32 v10, v25
	global_store_dwordx2 v[12:13], v[10:11], off
	s_or_b64 exec, exec, s[36:37]
	s_and_saveexec_b64 s[36:37], s[4:5]
	s_cbranch_execz .LBB936_202
.LBB936_261:
	v_sub_u32_e32 v10, v22, v2
	v_mov_b32_e32 v11, 0
	v_lshlrev_b64 v[12:13], 3, v[10:11]
	v_add_co_u32_e32 v12, vcc, v7, v12
	v_addc_co_u32_e32 v13, vcc, v9, v13, vcc
	v_mov_b32_e32 v10, v23
	global_store_dwordx2 v[12:13], v[10:11], off
	s_or_b64 exec, exec, s[36:37]
	s_and_saveexec_b64 s[36:37], s[2:3]
	s_cbranch_execnz .LBB936_203
	s_branch .LBB936_204
.LBB936_262:
	v_sub_u32_e32 v3, v46, v2
	v_lshlrev_b32_e32 v3, 2, v3
	ds_write_b32 v3, v47
	s_or_b64 exec, exec, s[36:37]
	s_and_saveexec_b64 s[28:29], s[26:27]
	s_cbranch_execz .LBB936_208
.LBB936_263:
	v_sub_u32_e32 v3, v44, v2
	v_lshlrev_b32_e32 v3, 2, v3
	ds_write_b32 v3, v45
	s_or_b64 exec, exec, s[28:29]
	s_and_saveexec_b64 s[26:27], s[24:25]
	s_cbranch_execz .LBB936_209
.LBB936_264:
	v_sub_u32_e32 v3, v42, v2
	v_lshlrev_b32_e32 v3, 2, v3
	ds_write_b32 v3, v43
	s_or_b64 exec, exec, s[26:27]
	s_and_saveexec_b64 s[24:25], s[22:23]
	s_cbranch_execz .LBB936_210
.LBB936_265:
	v_sub_u32_e32 v3, v40, v2
	v_lshlrev_b32_e32 v3, 2, v3
	ds_write_b32 v3, v41
	s_or_b64 exec, exec, s[24:25]
	s_and_saveexec_b64 s[22:23], s[20:21]
	s_cbranch_execz .LBB936_211
.LBB936_266:
	v_sub_u32_e32 v3, v38, v2
	v_lshlrev_b32_e32 v3, 2, v3
	ds_write_b32 v3, v39
	s_or_b64 exec, exec, s[22:23]
	s_and_saveexec_b64 s[20:21], s[18:19]
	s_cbranch_execz .LBB936_212
.LBB936_267:
	v_sub_u32_e32 v3, v36, v2
	v_lshlrev_b32_e32 v3, 2, v3
	ds_write_b32 v3, v37
	s_or_b64 exec, exec, s[20:21]
	s_and_saveexec_b64 s[18:19], s[16:17]
	s_cbranch_execz .LBB936_213
.LBB936_268:
	v_sub_u32_e32 v3, v34, v2
	v_lshlrev_b32_e32 v3, 2, v3
	ds_write_b32 v3, v35
	s_or_b64 exec, exec, s[18:19]
	s_and_saveexec_b64 s[16:17], s[14:15]
	s_cbranch_execz .LBB936_214
.LBB936_269:
	v_sub_u32_e32 v3, v32, v2
	v_lshlrev_b32_e32 v3, 2, v3
	ds_write_b32 v3, v33
	s_or_b64 exec, exec, s[16:17]
	s_and_saveexec_b64 s[14:15], s[12:13]
	s_cbranch_execz .LBB936_215
.LBB936_270:
	v_sub_u32_e32 v3, v30, v2
	v_lshlrev_b32_e32 v3, 2, v3
	ds_write_b32 v3, v31
	s_or_b64 exec, exec, s[14:15]
	s_and_saveexec_b64 s[12:13], s[10:11]
	s_cbranch_execz .LBB936_216
.LBB936_271:
	v_sub_u32_e32 v3, v28, v2
	v_lshlrev_b32_e32 v3, 2, v3
	ds_write_b32 v3, v29
	s_or_b64 exec, exec, s[12:13]
	s_and_saveexec_b64 s[10:11], s[8:9]
	s_cbranch_execz .LBB936_217
.LBB936_272:
	v_sub_u32_e32 v3, v26, v2
	v_lshlrev_b32_e32 v3, 2, v3
	ds_write_b32 v3, v27
	s_or_b64 exec, exec, s[10:11]
	s_and_saveexec_b64 s[8:9], s[6:7]
	s_cbranch_execz .LBB936_218
.LBB936_273:
	v_sub_u32_e32 v3, v24, v2
	v_lshlrev_b32_e32 v3, 2, v3
	ds_write_b32 v3, v25
	s_or_b64 exec, exec, s[8:9]
	s_and_saveexec_b64 s[6:7], s[4:5]
	s_cbranch_execz .LBB936_219
.LBB936_274:
	v_sub_u32_e32 v3, v22, v2
	v_lshlrev_b32_e32 v3, 2, v3
	ds_write_b32 v3, v23
	s_or_b64 exec, exec, s[6:7]
	s_and_saveexec_b64 s[4:5], s[2:3]
	s_cbranch_execnz .LBB936_220
	s_branch .LBB936_221
	.section	.rodata,"a",@progbits
	.p2align	6, 0x0
	.amdhsa_kernel _ZN7rocprim17ROCPRIM_400000_NS6detail17trampoline_kernelINS0_14default_configENS1_33run_length_encode_config_selectorIN3c104HalfEjNS0_4plusIjEEEEZZNS1_33reduce_by_key_impl_wrapped_configILNS1_25lookback_scan_determinismE0ES3_S9_PKS6_NS0_17constant_iteratorIjlEEPS6_PlSH_S8_NS0_8equal_toIS6_EEEE10hipError_tPvRmT2_T3_mT4_T5_T6_T7_T8_P12ihipStream_tbENKUlT_T0_E_clISt17integral_constantIbLb1EES11_EEDaSW_SX_EUlSW_E_NS1_11comp_targetILNS1_3genE4ELNS1_11target_archE910ELNS1_3gpuE8ELNS1_3repE0EEENS1_30default_config_static_selectorELNS0_4arch9wavefront6targetE1EEEvT1_
		.amdhsa_group_segment_fixed_size 15360
		.amdhsa_private_segment_fixed_size 0
		.amdhsa_kernarg_size 128
		.amdhsa_user_sgpr_count 6
		.amdhsa_user_sgpr_private_segment_buffer 1
		.amdhsa_user_sgpr_dispatch_ptr 0
		.amdhsa_user_sgpr_queue_ptr 0
		.amdhsa_user_sgpr_kernarg_segment_ptr 1
		.amdhsa_user_sgpr_dispatch_id 0
		.amdhsa_user_sgpr_flat_scratch_init 0
		.amdhsa_user_sgpr_kernarg_preload_length 0
		.amdhsa_user_sgpr_kernarg_preload_offset 0
		.amdhsa_user_sgpr_private_segment_size 0
		.amdhsa_uses_dynamic_stack 0
		.amdhsa_system_sgpr_private_segment_wavefront_offset 0
		.amdhsa_system_sgpr_workgroup_id_x 1
		.amdhsa_system_sgpr_workgroup_id_y 0
		.amdhsa_system_sgpr_workgroup_id_z 0
		.amdhsa_system_sgpr_workgroup_info 0
		.amdhsa_system_vgpr_workitem_id 0
		.amdhsa_next_free_vgpr 109
		.amdhsa_next_free_sgpr 66
		.amdhsa_accum_offset 112
		.amdhsa_reserve_vcc 1
		.amdhsa_reserve_flat_scratch 0
		.amdhsa_float_round_mode_32 0
		.amdhsa_float_round_mode_16_64 0
		.amdhsa_float_denorm_mode_32 3
		.amdhsa_float_denorm_mode_16_64 3
		.amdhsa_dx10_clamp 1
		.amdhsa_ieee_mode 1
		.amdhsa_fp16_overflow 0
		.amdhsa_tg_split 0
		.amdhsa_exception_fp_ieee_invalid_op 0
		.amdhsa_exception_fp_denorm_src 0
		.amdhsa_exception_fp_ieee_div_zero 0
		.amdhsa_exception_fp_ieee_overflow 0
		.amdhsa_exception_fp_ieee_underflow 0
		.amdhsa_exception_fp_ieee_inexact 0
		.amdhsa_exception_int_div_zero 0
	.end_amdhsa_kernel
	.section	.text._ZN7rocprim17ROCPRIM_400000_NS6detail17trampoline_kernelINS0_14default_configENS1_33run_length_encode_config_selectorIN3c104HalfEjNS0_4plusIjEEEEZZNS1_33reduce_by_key_impl_wrapped_configILNS1_25lookback_scan_determinismE0ES3_S9_PKS6_NS0_17constant_iteratorIjlEEPS6_PlSH_S8_NS0_8equal_toIS6_EEEE10hipError_tPvRmT2_T3_mT4_T5_T6_T7_T8_P12ihipStream_tbENKUlT_T0_E_clISt17integral_constantIbLb1EES11_EEDaSW_SX_EUlSW_E_NS1_11comp_targetILNS1_3genE4ELNS1_11target_archE910ELNS1_3gpuE8ELNS1_3repE0EEENS1_30default_config_static_selectorELNS0_4arch9wavefront6targetE1EEEvT1_,"axG",@progbits,_ZN7rocprim17ROCPRIM_400000_NS6detail17trampoline_kernelINS0_14default_configENS1_33run_length_encode_config_selectorIN3c104HalfEjNS0_4plusIjEEEEZZNS1_33reduce_by_key_impl_wrapped_configILNS1_25lookback_scan_determinismE0ES3_S9_PKS6_NS0_17constant_iteratorIjlEEPS6_PlSH_S8_NS0_8equal_toIS6_EEEE10hipError_tPvRmT2_T3_mT4_T5_T6_T7_T8_P12ihipStream_tbENKUlT_T0_E_clISt17integral_constantIbLb1EES11_EEDaSW_SX_EUlSW_E_NS1_11comp_targetILNS1_3genE4ELNS1_11target_archE910ELNS1_3gpuE8ELNS1_3repE0EEENS1_30default_config_static_selectorELNS0_4arch9wavefront6targetE1EEEvT1_,comdat
.Lfunc_end936:
	.size	_ZN7rocprim17ROCPRIM_400000_NS6detail17trampoline_kernelINS0_14default_configENS1_33run_length_encode_config_selectorIN3c104HalfEjNS0_4plusIjEEEEZZNS1_33reduce_by_key_impl_wrapped_configILNS1_25lookback_scan_determinismE0ES3_S9_PKS6_NS0_17constant_iteratorIjlEEPS6_PlSH_S8_NS0_8equal_toIS6_EEEE10hipError_tPvRmT2_T3_mT4_T5_T6_T7_T8_P12ihipStream_tbENKUlT_T0_E_clISt17integral_constantIbLb1EES11_EEDaSW_SX_EUlSW_E_NS1_11comp_targetILNS1_3genE4ELNS1_11target_archE910ELNS1_3gpuE8ELNS1_3repE0EEENS1_30default_config_static_selectorELNS0_4arch9wavefront6targetE1EEEvT1_, .Lfunc_end936-_ZN7rocprim17ROCPRIM_400000_NS6detail17trampoline_kernelINS0_14default_configENS1_33run_length_encode_config_selectorIN3c104HalfEjNS0_4plusIjEEEEZZNS1_33reduce_by_key_impl_wrapped_configILNS1_25lookback_scan_determinismE0ES3_S9_PKS6_NS0_17constant_iteratorIjlEEPS6_PlSH_S8_NS0_8equal_toIS6_EEEE10hipError_tPvRmT2_T3_mT4_T5_T6_T7_T8_P12ihipStream_tbENKUlT_T0_E_clISt17integral_constantIbLb1EES11_EEDaSW_SX_EUlSW_E_NS1_11comp_targetILNS1_3genE4ELNS1_11target_archE910ELNS1_3gpuE8ELNS1_3repE0EEENS1_30default_config_static_selectorELNS0_4arch9wavefront6targetE1EEEvT1_
                                        ; -- End function
	.section	.AMDGPU.csdata,"",@progbits
; Kernel info:
; codeLenInByte = 15996
; NumSgprs: 70
; NumVgprs: 109
; NumAgprs: 0
; TotalNumVgprs: 109
; ScratchSize: 0
; MemoryBound: 0
; FloatMode: 240
; IeeeMode: 1
; LDSByteSize: 15360 bytes/workgroup (compile time only)
; SGPRBlocks: 8
; VGPRBlocks: 13
; NumSGPRsForWavesPerEU: 70
; NumVGPRsForWavesPerEU: 109
; AccumOffset: 112
; Occupancy: 4
; WaveLimiterHint : 1
; COMPUTE_PGM_RSRC2:SCRATCH_EN: 0
; COMPUTE_PGM_RSRC2:USER_SGPR: 6
; COMPUTE_PGM_RSRC2:TRAP_HANDLER: 0
; COMPUTE_PGM_RSRC2:TGID_X_EN: 1
; COMPUTE_PGM_RSRC2:TGID_Y_EN: 0
; COMPUTE_PGM_RSRC2:TGID_Z_EN: 0
; COMPUTE_PGM_RSRC2:TIDIG_COMP_CNT: 0
; COMPUTE_PGM_RSRC3_GFX90A:ACCUM_OFFSET: 27
; COMPUTE_PGM_RSRC3_GFX90A:TG_SPLIT: 0
	.section	.text._ZN7rocprim17ROCPRIM_400000_NS6detail17trampoline_kernelINS0_14default_configENS1_33run_length_encode_config_selectorIN3c104HalfEjNS0_4plusIjEEEEZZNS1_33reduce_by_key_impl_wrapped_configILNS1_25lookback_scan_determinismE0ES3_S9_PKS6_NS0_17constant_iteratorIjlEEPS6_PlSH_S8_NS0_8equal_toIS6_EEEE10hipError_tPvRmT2_T3_mT4_T5_T6_T7_T8_P12ihipStream_tbENKUlT_T0_E_clISt17integral_constantIbLb1EES11_EEDaSW_SX_EUlSW_E_NS1_11comp_targetILNS1_3genE3ELNS1_11target_archE908ELNS1_3gpuE7ELNS1_3repE0EEENS1_30default_config_static_selectorELNS0_4arch9wavefront6targetE1EEEvT1_,"axG",@progbits,_ZN7rocprim17ROCPRIM_400000_NS6detail17trampoline_kernelINS0_14default_configENS1_33run_length_encode_config_selectorIN3c104HalfEjNS0_4plusIjEEEEZZNS1_33reduce_by_key_impl_wrapped_configILNS1_25lookback_scan_determinismE0ES3_S9_PKS6_NS0_17constant_iteratorIjlEEPS6_PlSH_S8_NS0_8equal_toIS6_EEEE10hipError_tPvRmT2_T3_mT4_T5_T6_T7_T8_P12ihipStream_tbENKUlT_T0_E_clISt17integral_constantIbLb1EES11_EEDaSW_SX_EUlSW_E_NS1_11comp_targetILNS1_3genE3ELNS1_11target_archE908ELNS1_3gpuE7ELNS1_3repE0EEENS1_30default_config_static_selectorELNS0_4arch9wavefront6targetE1EEEvT1_,comdat
	.protected	_ZN7rocprim17ROCPRIM_400000_NS6detail17trampoline_kernelINS0_14default_configENS1_33run_length_encode_config_selectorIN3c104HalfEjNS0_4plusIjEEEEZZNS1_33reduce_by_key_impl_wrapped_configILNS1_25lookback_scan_determinismE0ES3_S9_PKS6_NS0_17constant_iteratorIjlEEPS6_PlSH_S8_NS0_8equal_toIS6_EEEE10hipError_tPvRmT2_T3_mT4_T5_T6_T7_T8_P12ihipStream_tbENKUlT_T0_E_clISt17integral_constantIbLb1EES11_EEDaSW_SX_EUlSW_E_NS1_11comp_targetILNS1_3genE3ELNS1_11target_archE908ELNS1_3gpuE7ELNS1_3repE0EEENS1_30default_config_static_selectorELNS0_4arch9wavefront6targetE1EEEvT1_ ; -- Begin function _ZN7rocprim17ROCPRIM_400000_NS6detail17trampoline_kernelINS0_14default_configENS1_33run_length_encode_config_selectorIN3c104HalfEjNS0_4plusIjEEEEZZNS1_33reduce_by_key_impl_wrapped_configILNS1_25lookback_scan_determinismE0ES3_S9_PKS6_NS0_17constant_iteratorIjlEEPS6_PlSH_S8_NS0_8equal_toIS6_EEEE10hipError_tPvRmT2_T3_mT4_T5_T6_T7_T8_P12ihipStream_tbENKUlT_T0_E_clISt17integral_constantIbLb1EES11_EEDaSW_SX_EUlSW_E_NS1_11comp_targetILNS1_3genE3ELNS1_11target_archE908ELNS1_3gpuE7ELNS1_3repE0EEENS1_30default_config_static_selectorELNS0_4arch9wavefront6targetE1EEEvT1_
	.globl	_ZN7rocprim17ROCPRIM_400000_NS6detail17trampoline_kernelINS0_14default_configENS1_33run_length_encode_config_selectorIN3c104HalfEjNS0_4plusIjEEEEZZNS1_33reduce_by_key_impl_wrapped_configILNS1_25lookback_scan_determinismE0ES3_S9_PKS6_NS0_17constant_iteratorIjlEEPS6_PlSH_S8_NS0_8equal_toIS6_EEEE10hipError_tPvRmT2_T3_mT4_T5_T6_T7_T8_P12ihipStream_tbENKUlT_T0_E_clISt17integral_constantIbLb1EES11_EEDaSW_SX_EUlSW_E_NS1_11comp_targetILNS1_3genE3ELNS1_11target_archE908ELNS1_3gpuE7ELNS1_3repE0EEENS1_30default_config_static_selectorELNS0_4arch9wavefront6targetE1EEEvT1_
	.p2align	8
	.type	_ZN7rocprim17ROCPRIM_400000_NS6detail17trampoline_kernelINS0_14default_configENS1_33run_length_encode_config_selectorIN3c104HalfEjNS0_4plusIjEEEEZZNS1_33reduce_by_key_impl_wrapped_configILNS1_25lookback_scan_determinismE0ES3_S9_PKS6_NS0_17constant_iteratorIjlEEPS6_PlSH_S8_NS0_8equal_toIS6_EEEE10hipError_tPvRmT2_T3_mT4_T5_T6_T7_T8_P12ihipStream_tbENKUlT_T0_E_clISt17integral_constantIbLb1EES11_EEDaSW_SX_EUlSW_E_NS1_11comp_targetILNS1_3genE3ELNS1_11target_archE908ELNS1_3gpuE7ELNS1_3repE0EEENS1_30default_config_static_selectorELNS0_4arch9wavefront6targetE1EEEvT1_,@function
_ZN7rocprim17ROCPRIM_400000_NS6detail17trampoline_kernelINS0_14default_configENS1_33run_length_encode_config_selectorIN3c104HalfEjNS0_4plusIjEEEEZZNS1_33reduce_by_key_impl_wrapped_configILNS1_25lookback_scan_determinismE0ES3_S9_PKS6_NS0_17constant_iteratorIjlEEPS6_PlSH_S8_NS0_8equal_toIS6_EEEE10hipError_tPvRmT2_T3_mT4_T5_T6_T7_T8_P12ihipStream_tbENKUlT_T0_E_clISt17integral_constantIbLb1EES11_EEDaSW_SX_EUlSW_E_NS1_11comp_targetILNS1_3genE3ELNS1_11target_archE908ELNS1_3gpuE7ELNS1_3repE0EEENS1_30default_config_static_selectorELNS0_4arch9wavefront6targetE1EEEvT1_: ; @_ZN7rocprim17ROCPRIM_400000_NS6detail17trampoline_kernelINS0_14default_configENS1_33run_length_encode_config_selectorIN3c104HalfEjNS0_4plusIjEEEEZZNS1_33reduce_by_key_impl_wrapped_configILNS1_25lookback_scan_determinismE0ES3_S9_PKS6_NS0_17constant_iteratorIjlEEPS6_PlSH_S8_NS0_8equal_toIS6_EEEE10hipError_tPvRmT2_T3_mT4_T5_T6_T7_T8_P12ihipStream_tbENKUlT_T0_E_clISt17integral_constantIbLb1EES11_EEDaSW_SX_EUlSW_E_NS1_11comp_targetILNS1_3genE3ELNS1_11target_archE908ELNS1_3gpuE7ELNS1_3repE0EEENS1_30default_config_static_selectorELNS0_4arch9wavefront6targetE1EEEvT1_
; %bb.0:
	.section	.rodata,"a",@progbits
	.p2align	6, 0x0
	.amdhsa_kernel _ZN7rocprim17ROCPRIM_400000_NS6detail17trampoline_kernelINS0_14default_configENS1_33run_length_encode_config_selectorIN3c104HalfEjNS0_4plusIjEEEEZZNS1_33reduce_by_key_impl_wrapped_configILNS1_25lookback_scan_determinismE0ES3_S9_PKS6_NS0_17constant_iteratorIjlEEPS6_PlSH_S8_NS0_8equal_toIS6_EEEE10hipError_tPvRmT2_T3_mT4_T5_T6_T7_T8_P12ihipStream_tbENKUlT_T0_E_clISt17integral_constantIbLb1EES11_EEDaSW_SX_EUlSW_E_NS1_11comp_targetILNS1_3genE3ELNS1_11target_archE908ELNS1_3gpuE7ELNS1_3repE0EEENS1_30default_config_static_selectorELNS0_4arch9wavefront6targetE1EEEvT1_
		.amdhsa_group_segment_fixed_size 0
		.amdhsa_private_segment_fixed_size 0
		.amdhsa_kernarg_size 128
		.amdhsa_user_sgpr_count 6
		.amdhsa_user_sgpr_private_segment_buffer 1
		.amdhsa_user_sgpr_dispatch_ptr 0
		.amdhsa_user_sgpr_queue_ptr 0
		.amdhsa_user_sgpr_kernarg_segment_ptr 1
		.amdhsa_user_sgpr_dispatch_id 0
		.amdhsa_user_sgpr_flat_scratch_init 0
		.amdhsa_user_sgpr_kernarg_preload_length 0
		.amdhsa_user_sgpr_kernarg_preload_offset 0
		.amdhsa_user_sgpr_private_segment_size 0
		.amdhsa_uses_dynamic_stack 0
		.amdhsa_system_sgpr_private_segment_wavefront_offset 0
		.amdhsa_system_sgpr_workgroup_id_x 1
		.amdhsa_system_sgpr_workgroup_id_y 0
		.amdhsa_system_sgpr_workgroup_id_z 0
		.amdhsa_system_sgpr_workgroup_info 0
		.amdhsa_system_vgpr_workitem_id 0
		.amdhsa_next_free_vgpr 1
		.amdhsa_next_free_sgpr 0
		.amdhsa_accum_offset 4
		.amdhsa_reserve_vcc 0
		.amdhsa_reserve_flat_scratch 0
		.amdhsa_float_round_mode_32 0
		.amdhsa_float_round_mode_16_64 0
		.amdhsa_float_denorm_mode_32 3
		.amdhsa_float_denorm_mode_16_64 3
		.amdhsa_dx10_clamp 1
		.amdhsa_ieee_mode 1
		.amdhsa_fp16_overflow 0
		.amdhsa_tg_split 0
		.amdhsa_exception_fp_ieee_invalid_op 0
		.amdhsa_exception_fp_denorm_src 0
		.amdhsa_exception_fp_ieee_div_zero 0
		.amdhsa_exception_fp_ieee_overflow 0
		.amdhsa_exception_fp_ieee_underflow 0
		.amdhsa_exception_fp_ieee_inexact 0
		.amdhsa_exception_int_div_zero 0
	.end_amdhsa_kernel
	.section	.text._ZN7rocprim17ROCPRIM_400000_NS6detail17trampoline_kernelINS0_14default_configENS1_33run_length_encode_config_selectorIN3c104HalfEjNS0_4plusIjEEEEZZNS1_33reduce_by_key_impl_wrapped_configILNS1_25lookback_scan_determinismE0ES3_S9_PKS6_NS0_17constant_iteratorIjlEEPS6_PlSH_S8_NS0_8equal_toIS6_EEEE10hipError_tPvRmT2_T3_mT4_T5_T6_T7_T8_P12ihipStream_tbENKUlT_T0_E_clISt17integral_constantIbLb1EES11_EEDaSW_SX_EUlSW_E_NS1_11comp_targetILNS1_3genE3ELNS1_11target_archE908ELNS1_3gpuE7ELNS1_3repE0EEENS1_30default_config_static_selectorELNS0_4arch9wavefront6targetE1EEEvT1_,"axG",@progbits,_ZN7rocprim17ROCPRIM_400000_NS6detail17trampoline_kernelINS0_14default_configENS1_33run_length_encode_config_selectorIN3c104HalfEjNS0_4plusIjEEEEZZNS1_33reduce_by_key_impl_wrapped_configILNS1_25lookback_scan_determinismE0ES3_S9_PKS6_NS0_17constant_iteratorIjlEEPS6_PlSH_S8_NS0_8equal_toIS6_EEEE10hipError_tPvRmT2_T3_mT4_T5_T6_T7_T8_P12ihipStream_tbENKUlT_T0_E_clISt17integral_constantIbLb1EES11_EEDaSW_SX_EUlSW_E_NS1_11comp_targetILNS1_3genE3ELNS1_11target_archE908ELNS1_3gpuE7ELNS1_3repE0EEENS1_30default_config_static_selectorELNS0_4arch9wavefront6targetE1EEEvT1_,comdat
.Lfunc_end937:
	.size	_ZN7rocprim17ROCPRIM_400000_NS6detail17trampoline_kernelINS0_14default_configENS1_33run_length_encode_config_selectorIN3c104HalfEjNS0_4plusIjEEEEZZNS1_33reduce_by_key_impl_wrapped_configILNS1_25lookback_scan_determinismE0ES3_S9_PKS6_NS0_17constant_iteratorIjlEEPS6_PlSH_S8_NS0_8equal_toIS6_EEEE10hipError_tPvRmT2_T3_mT4_T5_T6_T7_T8_P12ihipStream_tbENKUlT_T0_E_clISt17integral_constantIbLb1EES11_EEDaSW_SX_EUlSW_E_NS1_11comp_targetILNS1_3genE3ELNS1_11target_archE908ELNS1_3gpuE7ELNS1_3repE0EEENS1_30default_config_static_selectorELNS0_4arch9wavefront6targetE1EEEvT1_, .Lfunc_end937-_ZN7rocprim17ROCPRIM_400000_NS6detail17trampoline_kernelINS0_14default_configENS1_33run_length_encode_config_selectorIN3c104HalfEjNS0_4plusIjEEEEZZNS1_33reduce_by_key_impl_wrapped_configILNS1_25lookback_scan_determinismE0ES3_S9_PKS6_NS0_17constant_iteratorIjlEEPS6_PlSH_S8_NS0_8equal_toIS6_EEEE10hipError_tPvRmT2_T3_mT4_T5_T6_T7_T8_P12ihipStream_tbENKUlT_T0_E_clISt17integral_constantIbLb1EES11_EEDaSW_SX_EUlSW_E_NS1_11comp_targetILNS1_3genE3ELNS1_11target_archE908ELNS1_3gpuE7ELNS1_3repE0EEENS1_30default_config_static_selectorELNS0_4arch9wavefront6targetE1EEEvT1_
                                        ; -- End function
	.section	.AMDGPU.csdata,"",@progbits
; Kernel info:
; codeLenInByte = 0
; NumSgprs: 4
; NumVgprs: 0
; NumAgprs: 0
; TotalNumVgprs: 0
; ScratchSize: 0
; MemoryBound: 0
; FloatMode: 240
; IeeeMode: 1
; LDSByteSize: 0 bytes/workgroup (compile time only)
; SGPRBlocks: 0
; VGPRBlocks: 0
; NumSGPRsForWavesPerEU: 4
; NumVGPRsForWavesPerEU: 1
; AccumOffset: 4
; Occupancy: 8
; WaveLimiterHint : 0
; COMPUTE_PGM_RSRC2:SCRATCH_EN: 0
; COMPUTE_PGM_RSRC2:USER_SGPR: 6
; COMPUTE_PGM_RSRC2:TRAP_HANDLER: 0
; COMPUTE_PGM_RSRC2:TGID_X_EN: 1
; COMPUTE_PGM_RSRC2:TGID_Y_EN: 0
; COMPUTE_PGM_RSRC2:TGID_Z_EN: 0
; COMPUTE_PGM_RSRC2:TIDIG_COMP_CNT: 0
; COMPUTE_PGM_RSRC3_GFX90A:ACCUM_OFFSET: 0
; COMPUTE_PGM_RSRC3_GFX90A:TG_SPLIT: 0
	.section	.text._ZN7rocprim17ROCPRIM_400000_NS6detail17trampoline_kernelINS0_14default_configENS1_33run_length_encode_config_selectorIN3c104HalfEjNS0_4plusIjEEEEZZNS1_33reduce_by_key_impl_wrapped_configILNS1_25lookback_scan_determinismE0ES3_S9_PKS6_NS0_17constant_iteratorIjlEEPS6_PlSH_S8_NS0_8equal_toIS6_EEEE10hipError_tPvRmT2_T3_mT4_T5_T6_T7_T8_P12ihipStream_tbENKUlT_T0_E_clISt17integral_constantIbLb1EES11_EEDaSW_SX_EUlSW_E_NS1_11comp_targetILNS1_3genE2ELNS1_11target_archE906ELNS1_3gpuE6ELNS1_3repE0EEENS1_30default_config_static_selectorELNS0_4arch9wavefront6targetE1EEEvT1_,"axG",@progbits,_ZN7rocprim17ROCPRIM_400000_NS6detail17trampoline_kernelINS0_14default_configENS1_33run_length_encode_config_selectorIN3c104HalfEjNS0_4plusIjEEEEZZNS1_33reduce_by_key_impl_wrapped_configILNS1_25lookback_scan_determinismE0ES3_S9_PKS6_NS0_17constant_iteratorIjlEEPS6_PlSH_S8_NS0_8equal_toIS6_EEEE10hipError_tPvRmT2_T3_mT4_T5_T6_T7_T8_P12ihipStream_tbENKUlT_T0_E_clISt17integral_constantIbLb1EES11_EEDaSW_SX_EUlSW_E_NS1_11comp_targetILNS1_3genE2ELNS1_11target_archE906ELNS1_3gpuE6ELNS1_3repE0EEENS1_30default_config_static_selectorELNS0_4arch9wavefront6targetE1EEEvT1_,comdat
	.protected	_ZN7rocprim17ROCPRIM_400000_NS6detail17trampoline_kernelINS0_14default_configENS1_33run_length_encode_config_selectorIN3c104HalfEjNS0_4plusIjEEEEZZNS1_33reduce_by_key_impl_wrapped_configILNS1_25lookback_scan_determinismE0ES3_S9_PKS6_NS0_17constant_iteratorIjlEEPS6_PlSH_S8_NS0_8equal_toIS6_EEEE10hipError_tPvRmT2_T3_mT4_T5_T6_T7_T8_P12ihipStream_tbENKUlT_T0_E_clISt17integral_constantIbLb1EES11_EEDaSW_SX_EUlSW_E_NS1_11comp_targetILNS1_3genE2ELNS1_11target_archE906ELNS1_3gpuE6ELNS1_3repE0EEENS1_30default_config_static_selectorELNS0_4arch9wavefront6targetE1EEEvT1_ ; -- Begin function _ZN7rocprim17ROCPRIM_400000_NS6detail17trampoline_kernelINS0_14default_configENS1_33run_length_encode_config_selectorIN3c104HalfEjNS0_4plusIjEEEEZZNS1_33reduce_by_key_impl_wrapped_configILNS1_25lookback_scan_determinismE0ES3_S9_PKS6_NS0_17constant_iteratorIjlEEPS6_PlSH_S8_NS0_8equal_toIS6_EEEE10hipError_tPvRmT2_T3_mT4_T5_T6_T7_T8_P12ihipStream_tbENKUlT_T0_E_clISt17integral_constantIbLb1EES11_EEDaSW_SX_EUlSW_E_NS1_11comp_targetILNS1_3genE2ELNS1_11target_archE906ELNS1_3gpuE6ELNS1_3repE0EEENS1_30default_config_static_selectorELNS0_4arch9wavefront6targetE1EEEvT1_
	.globl	_ZN7rocprim17ROCPRIM_400000_NS6detail17trampoline_kernelINS0_14default_configENS1_33run_length_encode_config_selectorIN3c104HalfEjNS0_4plusIjEEEEZZNS1_33reduce_by_key_impl_wrapped_configILNS1_25lookback_scan_determinismE0ES3_S9_PKS6_NS0_17constant_iteratorIjlEEPS6_PlSH_S8_NS0_8equal_toIS6_EEEE10hipError_tPvRmT2_T3_mT4_T5_T6_T7_T8_P12ihipStream_tbENKUlT_T0_E_clISt17integral_constantIbLb1EES11_EEDaSW_SX_EUlSW_E_NS1_11comp_targetILNS1_3genE2ELNS1_11target_archE906ELNS1_3gpuE6ELNS1_3repE0EEENS1_30default_config_static_selectorELNS0_4arch9wavefront6targetE1EEEvT1_
	.p2align	8
	.type	_ZN7rocprim17ROCPRIM_400000_NS6detail17trampoline_kernelINS0_14default_configENS1_33run_length_encode_config_selectorIN3c104HalfEjNS0_4plusIjEEEEZZNS1_33reduce_by_key_impl_wrapped_configILNS1_25lookback_scan_determinismE0ES3_S9_PKS6_NS0_17constant_iteratorIjlEEPS6_PlSH_S8_NS0_8equal_toIS6_EEEE10hipError_tPvRmT2_T3_mT4_T5_T6_T7_T8_P12ihipStream_tbENKUlT_T0_E_clISt17integral_constantIbLb1EES11_EEDaSW_SX_EUlSW_E_NS1_11comp_targetILNS1_3genE2ELNS1_11target_archE906ELNS1_3gpuE6ELNS1_3repE0EEENS1_30default_config_static_selectorELNS0_4arch9wavefront6targetE1EEEvT1_,@function
_ZN7rocprim17ROCPRIM_400000_NS6detail17trampoline_kernelINS0_14default_configENS1_33run_length_encode_config_selectorIN3c104HalfEjNS0_4plusIjEEEEZZNS1_33reduce_by_key_impl_wrapped_configILNS1_25lookback_scan_determinismE0ES3_S9_PKS6_NS0_17constant_iteratorIjlEEPS6_PlSH_S8_NS0_8equal_toIS6_EEEE10hipError_tPvRmT2_T3_mT4_T5_T6_T7_T8_P12ihipStream_tbENKUlT_T0_E_clISt17integral_constantIbLb1EES11_EEDaSW_SX_EUlSW_E_NS1_11comp_targetILNS1_3genE2ELNS1_11target_archE906ELNS1_3gpuE6ELNS1_3repE0EEENS1_30default_config_static_selectorELNS0_4arch9wavefront6targetE1EEEvT1_: ; @_ZN7rocprim17ROCPRIM_400000_NS6detail17trampoline_kernelINS0_14default_configENS1_33run_length_encode_config_selectorIN3c104HalfEjNS0_4plusIjEEEEZZNS1_33reduce_by_key_impl_wrapped_configILNS1_25lookback_scan_determinismE0ES3_S9_PKS6_NS0_17constant_iteratorIjlEEPS6_PlSH_S8_NS0_8equal_toIS6_EEEE10hipError_tPvRmT2_T3_mT4_T5_T6_T7_T8_P12ihipStream_tbENKUlT_T0_E_clISt17integral_constantIbLb1EES11_EEDaSW_SX_EUlSW_E_NS1_11comp_targetILNS1_3genE2ELNS1_11target_archE906ELNS1_3gpuE6ELNS1_3repE0EEENS1_30default_config_static_selectorELNS0_4arch9wavefront6targetE1EEEvT1_
; %bb.0:
	.section	.rodata,"a",@progbits
	.p2align	6, 0x0
	.amdhsa_kernel _ZN7rocprim17ROCPRIM_400000_NS6detail17trampoline_kernelINS0_14default_configENS1_33run_length_encode_config_selectorIN3c104HalfEjNS0_4plusIjEEEEZZNS1_33reduce_by_key_impl_wrapped_configILNS1_25lookback_scan_determinismE0ES3_S9_PKS6_NS0_17constant_iteratorIjlEEPS6_PlSH_S8_NS0_8equal_toIS6_EEEE10hipError_tPvRmT2_T3_mT4_T5_T6_T7_T8_P12ihipStream_tbENKUlT_T0_E_clISt17integral_constantIbLb1EES11_EEDaSW_SX_EUlSW_E_NS1_11comp_targetILNS1_3genE2ELNS1_11target_archE906ELNS1_3gpuE6ELNS1_3repE0EEENS1_30default_config_static_selectorELNS0_4arch9wavefront6targetE1EEEvT1_
		.amdhsa_group_segment_fixed_size 0
		.amdhsa_private_segment_fixed_size 0
		.amdhsa_kernarg_size 128
		.amdhsa_user_sgpr_count 6
		.amdhsa_user_sgpr_private_segment_buffer 1
		.amdhsa_user_sgpr_dispatch_ptr 0
		.amdhsa_user_sgpr_queue_ptr 0
		.amdhsa_user_sgpr_kernarg_segment_ptr 1
		.amdhsa_user_sgpr_dispatch_id 0
		.amdhsa_user_sgpr_flat_scratch_init 0
		.amdhsa_user_sgpr_kernarg_preload_length 0
		.amdhsa_user_sgpr_kernarg_preload_offset 0
		.amdhsa_user_sgpr_private_segment_size 0
		.amdhsa_uses_dynamic_stack 0
		.amdhsa_system_sgpr_private_segment_wavefront_offset 0
		.amdhsa_system_sgpr_workgroup_id_x 1
		.amdhsa_system_sgpr_workgroup_id_y 0
		.amdhsa_system_sgpr_workgroup_id_z 0
		.amdhsa_system_sgpr_workgroup_info 0
		.amdhsa_system_vgpr_workitem_id 0
		.amdhsa_next_free_vgpr 1
		.amdhsa_next_free_sgpr 0
		.amdhsa_accum_offset 4
		.amdhsa_reserve_vcc 0
		.amdhsa_reserve_flat_scratch 0
		.amdhsa_float_round_mode_32 0
		.amdhsa_float_round_mode_16_64 0
		.amdhsa_float_denorm_mode_32 3
		.amdhsa_float_denorm_mode_16_64 3
		.amdhsa_dx10_clamp 1
		.amdhsa_ieee_mode 1
		.amdhsa_fp16_overflow 0
		.amdhsa_tg_split 0
		.amdhsa_exception_fp_ieee_invalid_op 0
		.amdhsa_exception_fp_denorm_src 0
		.amdhsa_exception_fp_ieee_div_zero 0
		.amdhsa_exception_fp_ieee_overflow 0
		.amdhsa_exception_fp_ieee_underflow 0
		.amdhsa_exception_fp_ieee_inexact 0
		.amdhsa_exception_int_div_zero 0
	.end_amdhsa_kernel
	.section	.text._ZN7rocprim17ROCPRIM_400000_NS6detail17trampoline_kernelINS0_14default_configENS1_33run_length_encode_config_selectorIN3c104HalfEjNS0_4plusIjEEEEZZNS1_33reduce_by_key_impl_wrapped_configILNS1_25lookback_scan_determinismE0ES3_S9_PKS6_NS0_17constant_iteratorIjlEEPS6_PlSH_S8_NS0_8equal_toIS6_EEEE10hipError_tPvRmT2_T3_mT4_T5_T6_T7_T8_P12ihipStream_tbENKUlT_T0_E_clISt17integral_constantIbLb1EES11_EEDaSW_SX_EUlSW_E_NS1_11comp_targetILNS1_3genE2ELNS1_11target_archE906ELNS1_3gpuE6ELNS1_3repE0EEENS1_30default_config_static_selectorELNS0_4arch9wavefront6targetE1EEEvT1_,"axG",@progbits,_ZN7rocprim17ROCPRIM_400000_NS6detail17trampoline_kernelINS0_14default_configENS1_33run_length_encode_config_selectorIN3c104HalfEjNS0_4plusIjEEEEZZNS1_33reduce_by_key_impl_wrapped_configILNS1_25lookback_scan_determinismE0ES3_S9_PKS6_NS0_17constant_iteratorIjlEEPS6_PlSH_S8_NS0_8equal_toIS6_EEEE10hipError_tPvRmT2_T3_mT4_T5_T6_T7_T8_P12ihipStream_tbENKUlT_T0_E_clISt17integral_constantIbLb1EES11_EEDaSW_SX_EUlSW_E_NS1_11comp_targetILNS1_3genE2ELNS1_11target_archE906ELNS1_3gpuE6ELNS1_3repE0EEENS1_30default_config_static_selectorELNS0_4arch9wavefront6targetE1EEEvT1_,comdat
.Lfunc_end938:
	.size	_ZN7rocprim17ROCPRIM_400000_NS6detail17trampoline_kernelINS0_14default_configENS1_33run_length_encode_config_selectorIN3c104HalfEjNS0_4plusIjEEEEZZNS1_33reduce_by_key_impl_wrapped_configILNS1_25lookback_scan_determinismE0ES3_S9_PKS6_NS0_17constant_iteratorIjlEEPS6_PlSH_S8_NS0_8equal_toIS6_EEEE10hipError_tPvRmT2_T3_mT4_T5_T6_T7_T8_P12ihipStream_tbENKUlT_T0_E_clISt17integral_constantIbLb1EES11_EEDaSW_SX_EUlSW_E_NS1_11comp_targetILNS1_3genE2ELNS1_11target_archE906ELNS1_3gpuE6ELNS1_3repE0EEENS1_30default_config_static_selectorELNS0_4arch9wavefront6targetE1EEEvT1_, .Lfunc_end938-_ZN7rocprim17ROCPRIM_400000_NS6detail17trampoline_kernelINS0_14default_configENS1_33run_length_encode_config_selectorIN3c104HalfEjNS0_4plusIjEEEEZZNS1_33reduce_by_key_impl_wrapped_configILNS1_25lookback_scan_determinismE0ES3_S9_PKS6_NS0_17constant_iteratorIjlEEPS6_PlSH_S8_NS0_8equal_toIS6_EEEE10hipError_tPvRmT2_T3_mT4_T5_T6_T7_T8_P12ihipStream_tbENKUlT_T0_E_clISt17integral_constantIbLb1EES11_EEDaSW_SX_EUlSW_E_NS1_11comp_targetILNS1_3genE2ELNS1_11target_archE906ELNS1_3gpuE6ELNS1_3repE0EEENS1_30default_config_static_selectorELNS0_4arch9wavefront6targetE1EEEvT1_
                                        ; -- End function
	.section	.AMDGPU.csdata,"",@progbits
; Kernel info:
; codeLenInByte = 0
; NumSgprs: 4
; NumVgprs: 0
; NumAgprs: 0
; TotalNumVgprs: 0
; ScratchSize: 0
; MemoryBound: 0
; FloatMode: 240
; IeeeMode: 1
; LDSByteSize: 0 bytes/workgroup (compile time only)
; SGPRBlocks: 0
; VGPRBlocks: 0
; NumSGPRsForWavesPerEU: 4
; NumVGPRsForWavesPerEU: 1
; AccumOffset: 4
; Occupancy: 8
; WaveLimiterHint : 0
; COMPUTE_PGM_RSRC2:SCRATCH_EN: 0
; COMPUTE_PGM_RSRC2:USER_SGPR: 6
; COMPUTE_PGM_RSRC2:TRAP_HANDLER: 0
; COMPUTE_PGM_RSRC2:TGID_X_EN: 1
; COMPUTE_PGM_RSRC2:TGID_Y_EN: 0
; COMPUTE_PGM_RSRC2:TGID_Z_EN: 0
; COMPUTE_PGM_RSRC2:TIDIG_COMP_CNT: 0
; COMPUTE_PGM_RSRC3_GFX90A:ACCUM_OFFSET: 0
; COMPUTE_PGM_RSRC3_GFX90A:TG_SPLIT: 0
	.section	.text._ZN7rocprim17ROCPRIM_400000_NS6detail17trampoline_kernelINS0_14default_configENS1_33run_length_encode_config_selectorIN3c104HalfEjNS0_4plusIjEEEEZZNS1_33reduce_by_key_impl_wrapped_configILNS1_25lookback_scan_determinismE0ES3_S9_PKS6_NS0_17constant_iteratorIjlEEPS6_PlSH_S8_NS0_8equal_toIS6_EEEE10hipError_tPvRmT2_T3_mT4_T5_T6_T7_T8_P12ihipStream_tbENKUlT_T0_E_clISt17integral_constantIbLb1EES11_EEDaSW_SX_EUlSW_E_NS1_11comp_targetILNS1_3genE10ELNS1_11target_archE1201ELNS1_3gpuE5ELNS1_3repE0EEENS1_30default_config_static_selectorELNS0_4arch9wavefront6targetE1EEEvT1_,"axG",@progbits,_ZN7rocprim17ROCPRIM_400000_NS6detail17trampoline_kernelINS0_14default_configENS1_33run_length_encode_config_selectorIN3c104HalfEjNS0_4plusIjEEEEZZNS1_33reduce_by_key_impl_wrapped_configILNS1_25lookback_scan_determinismE0ES3_S9_PKS6_NS0_17constant_iteratorIjlEEPS6_PlSH_S8_NS0_8equal_toIS6_EEEE10hipError_tPvRmT2_T3_mT4_T5_T6_T7_T8_P12ihipStream_tbENKUlT_T0_E_clISt17integral_constantIbLb1EES11_EEDaSW_SX_EUlSW_E_NS1_11comp_targetILNS1_3genE10ELNS1_11target_archE1201ELNS1_3gpuE5ELNS1_3repE0EEENS1_30default_config_static_selectorELNS0_4arch9wavefront6targetE1EEEvT1_,comdat
	.protected	_ZN7rocprim17ROCPRIM_400000_NS6detail17trampoline_kernelINS0_14default_configENS1_33run_length_encode_config_selectorIN3c104HalfEjNS0_4plusIjEEEEZZNS1_33reduce_by_key_impl_wrapped_configILNS1_25lookback_scan_determinismE0ES3_S9_PKS6_NS0_17constant_iteratorIjlEEPS6_PlSH_S8_NS0_8equal_toIS6_EEEE10hipError_tPvRmT2_T3_mT4_T5_T6_T7_T8_P12ihipStream_tbENKUlT_T0_E_clISt17integral_constantIbLb1EES11_EEDaSW_SX_EUlSW_E_NS1_11comp_targetILNS1_3genE10ELNS1_11target_archE1201ELNS1_3gpuE5ELNS1_3repE0EEENS1_30default_config_static_selectorELNS0_4arch9wavefront6targetE1EEEvT1_ ; -- Begin function _ZN7rocprim17ROCPRIM_400000_NS6detail17trampoline_kernelINS0_14default_configENS1_33run_length_encode_config_selectorIN3c104HalfEjNS0_4plusIjEEEEZZNS1_33reduce_by_key_impl_wrapped_configILNS1_25lookback_scan_determinismE0ES3_S9_PKS6_NS0_17constant_iteratorIjlEEPS6_PlSH_S8_NS0_8equal_toIS6_EEEE10hipError_tPvRmT2_T3_mT4_T5_T6_T7_T8_P12ihipStream_tbENKUlT_T0_E_clISt17integral_constantIbLb1EES11_EEDaSW_SX_EUlSW_E_NS1_11comp_targetILNS1_3genE10ELNS1_11target_archE1201ELNS1_3gpuE5ELNS1_3repE0EEENS1_30default_config_static_selectorELNS0_4arch9wavefront6targetE1EEEvT1_
	.globl	_ZN7rocprim17ROCPRIM_400000_NS6detail17trampoline_kernelINS0_14default_configENS1_33run_length_encode_config_selectorIN3c104HalfEjNS0_4plusIjEEEEZZNS1_33reduce_by_key_impl_wrapped_configILNS1_25lookback_scan_determinismE0ES3_S9_PKS6_NS0_17constant_iteratorIjlEEPS6_PlSH_S8_NS0_8equal_toIS6_EEEE10hipError_tPvRmT2_T3_mT4_T5_T6_T7_T8_P12ihipStream_tbENKUlT_T0_E_clISt17integral_constantIbLb1EES11_EEDaSW_SX_EUlSW_E_NS1_11comp_targetILNS1_3genE10ELNS1_11target_archE1201ELNS1_3gpuE5ELNS1_3repE0EEENS1_30default_config_static_selectorELNS0_4arch9wavefront6targetE1EEEvT1_
	.p2align	8
	.type	_ZN7rocprim17ROCPRIM_400000_NS6detail17trampoline_kernelINS0_14default_configENS1_33run_length_encode_config_selectorIN3c104HalfEjNS0_4plusIjEEEEZZNS1_33reduce_by_key_impl_wrapped_configILNS1_25lookback_scan_determinismE0ES3_S9_PKS6_NS0_17constant_iteratorIjlEEPS6_PlSH_S8_NS0_8equal_toIS6_EEEE10hipError_tPvRmT2_T3_mT4_T5_T6_T7_T8_P12ihipStream_tbENKUlT_T0_E_clISt17integral_constantIbLb1EES11_EEDaSW_SX_EUlSW_E_NS1_11comp_targetILNS1_3genE10ELNS1_11target_archE1201ELNS1_3gpuE5ELNS1_3repE0EEENS1_30default_config_static_selectorELNS0_4arch9wavefront6targetE1EEEvT1_,@function
_ZN7rocprim17ROCPRIM_400000_NS6detail17trampoline_kernelINS0_14default_configENS1_33run_length_encode_config_selectorIN3c104HalfEjNS0_4plusIjEEEEZZNS1_33reduce_by_key_impl_wrapped_configILNS1_25lookback_scan_determinismE0ES3_S9_PKS6_NS0_17constant_iteratorIjlEEPS6_PlSH_S8_NS0_8equal_toIS6_EEEE10hipError_tPvRmT2_T3_mT4_T5_T6_T7_T8_P12ihipStream_tbENKUlT_T0_E_clISt17integral_constantIbLb1EES11_EEDaSW_SX_EUlSW_E_NS1_11comp_targetILNS1_3genE10ELNS1_11target_archE1201ELNS1_3gpuE5ELNS1_3repE0EEENS1_30default_config_static_selectorELNS0_4arch9wavefront6targetE1EEEvT1_: ; @_ZN7rocprim17ROCPRIM_400000_NS6detail17trampoline_kernelINS0_14default_configENS1_33run_length_encode_config_selectorIN3c104HalfEjNS0_4plusIjEEEEZZNS1_33reduce_by_key_impl_wrapped_configILNS1_25lookback_scan_determinismE0ES3_S9_PKS6_NS0_17constant_iteratorIjlEEPS6_PlSH_S8_NS0_8equal_toIS6_EEEE10hipError_tPvRmT2_T3_mT4_T5_T6_T7_T8_P12ihipStream_tbENKUlT_T0_E_clISt17integral_constantIbLb1EES11_EEDaSW_SX_EUlSW_E_NS1_11comp_targetILNS1_3genE10ELNS1_11target_archE1201ELNS1_3gpuE5ELNS1_3repE0EEENS1_30default_config_static_selectorELNS0_4arch9wavefront6targetE1EEEvT1_
; %bb.0:
	.section	.rodata,"a",@progbits
	.p2align	6, 0x0
	.amdhsa_kernel _ZN7rocprim17ROCPRIM_400000_NS6detail17trampoline_kernelINS0_14default_configENS1_33run_length_encode_config_selectorIN3c104HalfEjNS0_4plusIjEEEEZZNS1_33reduce_by_key_impl_wrapped_configILNS1_25lookback_scan_determinismE0ES3_S9_PKS6_NS0_17constant_iteratorIjlEEPS6_PlSH_S8_NS0_8equal_toIS6_EEEE10hipError_tPvRmT2_T3_mT4_T5_T6_T7_T8_P12ihipStream_tbENKUlT_T0_E_clISt17integral_constantIbLb1EES11_EEDaSW_SX_EUlSW_E_NS1_11comp_targetILNS1_3genE10ELNS1_11target_archE1201ELNS1_3gpuE5ELNS1_3repE0EEENS1_30default_config_static_selectorELNS0_4arch9wavefront6targetE1EEEvT1_
		.amdhsa_group_segment_fixed_size 0
		.amdhsa_private_segment_fixed_size 0
		.amdhsa_kernarg_size 128
		.amdhsa_user_sgpr_count 6
		.amdhsa_user_sgpr_private_segment_buffer 1
		.amdhsa_user_sgpr_dispatch_ptr 0
		.amdhsa_user_sgpr_queue_ptr 0
		.amdhsa_user_sgpr_kernarg_segment_ptr 1
		.amdhsa_user_sgpr_dispatch_id 0
		.amdhsa_user_sgpr_flat_scratch_init 0
		.amdhsa_user_sgpr_kernarg_preload_length 0
		.amdhsa_user_sgpr_kernarg_preload_offset 0
		.amdhsa_user_sgpr_private_segment_size 0
		.amdhsa_uses_dynamic_stack 0
		.amdhsa_system_sgpr_private_segment_wavefront_offset 0
		.amdhsa_system_sgpr_workgroup_id_x 1
		.amdhsa_system_sgpr_workgroup_id_y 0
		.amdhsa_system_sgpr_workgroup_id_z 0
		.amdhsa_system_sgpr_workgroup_info 0
		.amdhsa_system_vgpr_workitem_id 0
		.amdhsa_next_free_vgpr 1
		.amdhsa_next_free_sgpr 0
		.amdhsa_accum_offset 4
		.amdhsa_reserve_vcc 0
		.amdhsa_reserve_flat_scratch 0
		.amdhsa_float_round_mode_32 0
		.amdhsa_float_round_mode_16_64 0
		.amdhsa_float_denorm_mode_32 3
		.amdhsa_float_denorm_mode_16_64 3
		.amdhsa_dx10_clamp 1
		.amdhsa_ieee_mode 1
		.amdhsa_fp16_overflow 0
		.amdhsa_tg_split 0
		.amdhsa_exception_fp_ieee_invalid_op 0
		.amdhsa_exception_fp_denorm_src 0
		.amdhsa_exception_fp_ieee_div_zero 0
		.amdhsa_exception_fp_ieee_overflow 0
		.amdhsa_exception_fp_ieee_underflow 0
		.amdhsa_exception_fp_ieee_inexact 0
		.amdhsa_exception_int_div_zero 0
	.end_amdhsa_kernel
	.section	.text._ZN7rocprim17ROCPRIM_400000_NS6detail17trampoline_kernelINS0_14default_configENS1_33run_length_encode_config_selectorIN3c104HalfEjNS0_4plusIjEEEEZZNS1_33reduce_by_key_impl_wrapped_configILNS1_25lookback_scan_determinismE0ES3_S9_PKS6_NS0_17constant_iteratorIjlEEPS6_PlSH_S8_NS0_8equal_toIS6_EEEE10hipError_tPvRmT2_T3_mT4_T5_T6_T7_T8_P12ihipStream_tbENKUlT_T0_E_clISt17integral_constantIbLb1EES11_EEDaSW_SX_EUlSW_E_NS1_11comp_targetILNS1_3genE10ELNS1_11target_archE1201ELNS1_3gpuE5ELNS1_3repE0EEENS1_30default_config_static_selectorELNS0_4arch9wavefront6targetE1EEEvT1_,"axG",@progbits,_ZN7rocprim17ROCPRIM_400000_NS6detail17trampoline_kernelINS0_14default_configENS1_33run_length_encode_config_selectorIN3c104HalfEjNS0_4plusIjEEEEZZNS1_33reduce_by_key_impl_wrapped_configILNS1_25lookback_scan_determinismE0ES3_S9_PKS6_NS0_17constant_iteratorIjlEEPS6_PlSH_S8_NS0_8equal_toIS6_EEEE10hipError_tPvRmT2_T3_mT4_T5_T6_T7_T8_P12ihipStream_tbENKUlT_T0_E_clISt17integral_constantIbLb1EES11_EEDaSW_SX_EUlSW_E_NS1_11comp_targetILNS1_3genE10ELNS1_11target_archE1201ELNS1_3gpuE5ELNS1_3repE0EEENS1_30default_config_static_selectorELNS0_4arch9wavefront6targetE1EEEvT1_,comdat
.Lfunc_end939:
	.size	_ZN7rocprim17ROCPRIM_400000_NS6detail17trampoline_kernelINS0_14default_configENS1_33run_length_encode_config_selectorIN3c104HalfEjNS0_4plusIjEEEEZZNS1_33reduce_by_key_impl_wrapped_configILNS1_25lookback_scan_determinismE0ES3_S9_PKS6_NS0_17constant_iteratorIjlEEPS6_PlSH_S8_NS0_8equal_toIS6_EEEE10hipError_tPvRmT2_T3_mT4_T5_T6_T7_T8_P12ihipStream_tbENKUlT_T0_E_clISt17integral_constantIbLb1EES11_EEDaSW_SX_EUlSW_E_NS1_11comp_targetILNS1_3genE10ELNS1_11target_archE1201ELNS1_3gpuE5ELNS1_3repE0EEENS1_30default_config_static_selectorELNS0_4arch9wavefront6targetE1EEEvT1_, .Lfunc_end939-_ZN7rocprim17ROCPRIM_400000_NS6detail17trampoline_kernelINS0_14default_configENS1_33run_length_encode_config_selectorIN3c104HalfEjNS0_4plusIjEEEEZZNS1_33reduce_by_key_impl_wrapped_configILNS1_25lookback_scan_determinismE0ES3_S9_PKS6_NS0_17constant_iteratorIjlEEPS6_PlSH_S8_NS0_8equal_toIS6_EEEE10hipError_tPvRmT2_T3_mT4_T5_T6_T7_T8_P12ihipStream_tbENKUlT_T0_E_clISt17integral_constantIbLb1EES11_EEDaSW_SX_EUlSW_E_NS1_11comp_targetILNS1_3genE10ELNS1_11target_archE1201ELNS1_3gpuE5ELNS1_3repE0EEENS1_30default_config_static_selectorELNS0_4arch9wavefront6targetE1EEEvT1_
                                        ; -- End function
	.section	.AMDGPU.csdata,"",@progbits
; Kernel info:
; codeLenInByte = 0
; NumSgprs: 4
; NumVgprs: 0
; NumAgprs: 0
; TotalNumVgprs: 0
; ScratchSize: 0
; MemoryBound: 0
; FloatMode: 240
; IeeeMode: 1
; LDSByteSize: 0 bytes/workgroup (compile time only)
; SGPRBlocks: 0
; VGPRBlocks: 0
; NumSGPRsForWavesPerEU: 4
; NumVGPRsForWavesPerEU: 1
; AccumOffset: 4
; Occupancy: 8
; WaveLimiterHint : 0
; COMPUTE_PGM_RSRC2:SCRATCH_EN: 0
; COMPUTE_PGM_RSRC2:USER_SGPR: 6
; COMPUTE_PGM_RSRC2:TRAP_HANDLER: 0
; COMPUTE_PGM_RSRC2:TGID_X_EN: 1
; COMPUTE_PGM_RSRC2:TGID_Y_EN: 0
; COMPUTE_PGM_RSRC2:TGID_Z_EN: 0
; COMPUTE_PGM_RSRC2:TIDIG_COMP_CNT: 0
; COMPUTE_PGM_RSRC3_GFX90A:ACCUM_OFFSET: 0
; COMPUTE_PGM_RSRC3_GFX90A:TG_SPLIT: 0
	.section	.text._ZN7rocprim17ROCPRIM_400000_NS6detail17trampoline_kernelINS0_14default_configENS1_33run_length_encode_config_selectorIN3c104HalfEjNS0_4plusIjEEEEZZNS1_33reduce_by_key_impl_wrapped_configILNS1_25lookback_scan_determinismE0ES3_S9_PKS6_NS0_17constant_iteratorIjlEEPS6_PlSH_S8_NS0_8equal_toIS6_EEEE10hipError_tPvRmT2_T3_mT4_T5_T6_T7_T8_P12ihipStream_tbENKUlT_T0_E_clISt17integral_constantIbLb1EES11_EEDaSW_SX_EUlSW_E_NS1_11comp_targetILNS1_3genE10ELNS1_11target_archE1200ELNS1_3gpuE4ELNS1_3repE0EEENS1_30default_config_static_selectorELNS0_4arch9wavefront6targetE1EEEvT1_,"axG",@progbits,_ZN7rocprim17ROCPRIM_400000_NS6detail17trampoline_kernelINS0_14default_configENS1_33run_length_encode_config_selectorIN3c104HalfEjNS0_4plusIjEEEEZZNS1_33reduce_by_key_impl_wrapped_configILNS1_25lookback_scan_determinismE0ES3_S9_PKS6_NS0_17constant_iteratorIjlEEPS6_PlSH_S8_NS0_8equal_toIS6_EEEE10hipError_tPvRmT2_T3_mT4_T5_T6_T7_T8_P12ihipStream_tbENKUlT_T0_E_clISt17integral_constantIbLb1EES11_EEDaSW_SX_EUlSW_E_NS1_11comp_targetILNS1_3genE10ELNS1_11target_archE1200ELNS1_3gpuE4ELNS1_3repE0EEENS1_30default_config_static_selectorELNS0_4arch9wavefront6targetE1EEEvT1_,comdat
	.protected	_ZN7rocprim17ROCPRIM_400000_NS6detail17trampoline_kernelINS0_14default_configENS1_33run_length_encode_config_selectorIN3c104HalfEjNS0_4plusIjEEEEZZNS1_33reduce_by_key_impl_wrapped_configILNS1_25lookback_scan_determinismE0ES3_S9_PKS6_NS0_17constant_iteratorIjlEEPS6_PlSH_S8_NS0_8equal_toIS6_EEEE10hipError_tPvRmT2_T3_mT4_T5_T6_T7_T8_P12ihipStream_tbENKUlT_T0_E_clISt17integral_constantIbLb1EES11_EEDaSW_SX_EUlSW_E_NS1_11comp_targetILNS1_3genE10ELNS1_11target_archE1200ELNS1_3gpuE4ELNS1_3repE0EEENS1_30default_config_static_selectorELNS0_4arch9wavefront6targetE1EEEvT1_ ; -- Begin function _ZN7rocprim17ROCPRIM_400000_NS6detail17trampoline_kernelINS0_14default_configENS1_33run_length_encode_config_selectorIN3c104HalfEjNS0_4plusIjEEEEZZNS1_33reduce_by_key_impl_wrapped_configILNS1_25lookback_scan_determinismE0ES3_S9_PKS6_NS0_17constant_iteratorIjlEEPS6_PlSH_S8_NS0_8equal_toIS6_EEEE10hipError_tPvRmT2_T3_mT4_T5_T6_T7_T8_P12ihipStream_tbENKUlT_T0_E_clISt17integral_constantIbLb1EES11_EEDaSW_SX_EUlSW_E_NS1_11comp_targetILNS1_3genE10ELNS1_11target_archE1200ELNS1_3gpuE4ELNS1_3repE0EEENS1_30default_config_static_selectorELNS0_4arch9wavefront6targetE1EEEvT1_
	.globl	_ZN7rocprim17ROCPRIM_400000_NS6detail17trampoline_kernelINS0_14default_configENS1_33run_length_encode_config_selectorIN3c104HalfEjNS0_4plusIjEEEEZZNS1_33reduce_by_key_impl_wrapped_configILNS1_25lookback_scan_determinismE0ES3_S9_PKS6_NS0_17constant_iteratorIjlEEPS6_PlSH_S8_NS0_8equal_toIS6_EEEE10hipError_tPvRmT2_T3_mT4_T5_T6_T7_T8_P12ihipStream_tbENKUlT_T0_E_clISt17integral_constantIbLb1EES11_EEDaSW_SX_EUlSW_E_NS1_11comp_targetILNS1_3genE10ELNS1_11target_archE1200ELNS1_3gpuE4ELNS1_3repE0EEENS1_30default_config_static_selectorELNS0_4arch9wavefront6targetE1EEEvT1_
	.p2align	8
	.type	_ZN7rocprim17ROCPRIM_400000_NS6detail17trampoline_kernelINS0_14default_configENS1_33run_length_encode_config_selectorIN3c104HalfEjNS0_4plusIjEEEEZZNS1_33reduce_by_key_impl_wrapped_configILNS1_25lookback_scan_determinismE0ES3_S9_PKS6_NS0_17constant_iteratorIjlEEPS6_PlSH_S8_NS0_8equal_toIS6_EEEE10hipError_tPvRmT2_T3_mT4_T5_T6_T7_T8_P12ihipStream_tbENKUlT_T0_E_clISt17integral_constantIbLb1EES11_EEDaSW_SX_EUlSW_E_NS1_11comp_targetILNS1_3genE10ELNS1_11target_archE1200ELNS1_3gpuE4ELNS1_3repE0EEENS1_30default_config_static_selectorELNS0_4arch9wavefront6targetE1EEEvT1_,@function
_ZN7rocprim17ROCPRIM_400000_NS6detail17trampoline_kernelINS0_14default_configENS1_33run_length_encode_config_selectorIN3c104HalfEjNS0_4plusIjEEEEZZNS1_33reduce_by_key_impl_wrapped_configILNS1_25lookback_scan_determinismE0ES3_S9_PKS6_NS0_17constant_iteratorIjlEEPS6_PlSH_S8_NS0_8equal_toIS6_EEEE10hipError_tPvRmT2_T3_mT4_T5_T6_T7_T8_P12ihipStream_tbENKUlT_T0_E_clISt17integral_constantIbLb1EES11_EEDaSW_SX_EUlSW_E_NS1_11comp_targetILNS1_3genE10ELNS1_11target_archE1200ELNS1_3gpuE4ELNS1_3repE0EEENS1_30default_config_static_selectorELNS0_4arch9wavefront6targetE1EEEvT1_: ; @_ZN7rocprim17ROCPRIM_400000_NS6detail17trampoline_kernelINS0_14default_configENS1_33run_length_encode_config_selectorIN3c104HalfEjNS0_4plusIjEEEEZZNS1_33reduce_by_key_impl_wrapped_configILNS1_25lookback_scan_determinismE0ES3_S9_PKS6_NS0_17constant_iteratorIjlEEPS6_PlSH_S8_NS0_8equal_toIS6_EEEE10hipError_tPvRmT2_T3_mT4_T5_T6_T7_T8_P12ihipStream_tbENKUlT_T0_E_clISt17integral_constantIbLb1EES11_EEDaSW_SX_EUlSW_E_NS1_11comp_targetILNS1_3genE10ELNS1_11target_archE1200ELNS1_3gpuE4ELNS1_3repE0EEENS1_30default_config_static_selectorELNS0_4arch9wavefront6targetE1EEEvT1_
; %bb.0:
	.section	.rodata,"a",@progbits
	.p2align	6, 0x0
	.amdhsa_kernel _ZN7rocprim17ROCPRIM_400000_NS6detail17trampoline_kernelINS0_14default_configENS1_33run_length_encode_config_selectorIN3c104HalfEjNS0_4plusIjEEEEZZNS1_33reduce_by_key_impl_wrapped_configILNS1_25lookback_scan_determinismE0ES3_S9_PKS6_NS0_17constant_iteratorIjlEEPS6_PlSH_S8_NS0_8equal_toIS6_EEEE10hipError_tPvRmT2_T3_mT4_T5_T6_T7_T8_P12ihipStream_tbENKUlT_T0_E_clISt17integral_constantIbLb1EES11_EEDaSW_SX_EUlSW_E_NS1_11comp_targetILNS1_3genE10ELNS1_11target_archE1200ELNS1_3gpuE4ELNS1_3repE0EEENS1_30default_config_static_selectorELNS0_4arch9wavefront6targetE1EEEvT1_
		.amdhsa_group_segment_fixed_size 0
		.amdhsa_private_segment_fixed_size 0
		.amdhsa_kernarg_size 128
		.amdhsa_user_sgpr_count 6
		.amdhsa_user_sgpr_private_segment_buffer 1
		.amdhsa_user_sgpr_dispatch_ptr 0
		.amdhsa_user_sgpr_queue_ptr 0
		.amdhsa_user_sgpr_kernarg_segment_ptr 1
		.amdhsa_user_sgpr_dispatch_id 0
		.amdhsa_user_sgpr_flat_scratch_init 0
		.amdhsa_user_sgpr_kernarg_preload_length 0
		.amdhsa_user_sgpr_kernarg_preload_offset 0
		.amdhsa_user_sgpr_private_segment_size 0
		.amdhsa_uses_dynamic_stack 0
		.amdhsa_system_sgpr_private_segment_wavefront_offset 0
		.amdhsa_system_sgpr_workgroup_id_x 1
		.amdhsa_system_sgpr_workgroup_id_y 0
		.amdhsa_system_sgpr_workgroup_id_z 0
		.amdhsa_system_sgpr_workgroup_info 0
		.amdhsa_system_vgpr_workitem_id 0
		.amdhsa_next_free_vgpr 1
		.amdhsa_next_free_sgpr 0
		.amdhsa_accum_offset 4
		.amdhsa_reserve_vcc 0
		.amdhsa_reserve_flat_scratch 0
		.amdhsa_float_round_mode_32 0
		.amdhsa_float_round_mode_16_64 0
		.amdhsa_float_denorm_mode_32 3
		.amdhsa_float_denorm_mode_16_64 3
		.amdhsa_dx10_clamp 1
		.amdhsa_ieee_mode 1
		.amdhsa_fp16_overflow 0
		.amdhsa_tg_split 0
		.amdhsa_exception_fp_ieee_invalid_op 0
		.amdhsa_exception_fp_denorm_src 0
		.amdhsa_exception_fp_ieee_div_zero 0
		.amdhsa_exception_fp_ieee_overflow 0
		.amdhsa_exception_fp_ieee_underflow 0
		.amdhsa_exception_fp_ieee_inexact 0
		.amdhsa_exception_int_div_zero 0
	.end_amdhsa_kernel
	.section	.text._ZN7rocprim17ROCPRIM_400000_NS6detail17trampoline_kernelINS0_14default_configENS1_33run_length_encode_config_selectorIN3c104HalfEjNS0_4plusIjEEEEZZNS1_33reduce_by_key_impl_wrapped_configILNS1_25lookback_scan_determinismE0ES3_S9_PKS6_NS0_17constant_iteratorIjlEEPS6_PlSH_S8_NS0_8equal_toIS6_EEEE10hipError_tPvRmT2_T3_mT4_T5_T6_T7_T8_P12ihipStream_tbENKUlT_T0_E_clISt17integral_constantIbLb1EES11_EEDaSW_SX_EUlSW_E_NS1_11comp_targetILNS1_3genE10ELNS1_11target_archE1200ELNS1_3gpuE4ELNS1_3repE0EEENS1_30default_config_static_selectorELNS0_4arch9wavefront6targetE1EEEvT1_,"axG",@progbits,_ZN7rocprim17ROCPRIM_400000_NS6detail17trampoline_kernelINS0_14default_configENS1_33run_length_encode_config_selectorIN3c104HalfEjNS0_4plusIjEEEEZZNS1_33reduce_by_key_impl_wrapped_configILNS1_25lookback_scan_determinismE0ES3_S9_PKS6_NS0_17constant_iteratorIjlEEPS6_PlSH_S8_NS0_8equal_toIS6_EEEE10hipError_tPvRmT2_T3_mT4_T5_T6_T7_T8_P12ihipStream_tbENKUlT_T0_E_clISt17integral_constantIbLb1EES11_EEDaSW_SX_EUlSW_E_NS1_11comp_targetILNS1_3genE10ELNS1_11target_archE1200ELNS1_3gpuE4ELNS1_3repE0EEENS1_30default_config_static_selectorELNS0_4arch9wavefront6targetE1EEEvT1_,comdat
.Lfunc_end940:
	.size	_ZN7rocprim17ROCPRIM_400000_NS6detail17trampoline_kernelINS0_14default_configENS1_33run_length_encode_config_selectorIN3c104HalfEjNS0_4plusIjEEEEZZNS1_33reduce_by_key_impl_wrapped_configILNS1_25lookback_scan_determinismE0ES3_S9_PKS6_NS0_17constant_iteratorIjlEEPS6_PlSH_S8_NS0_8equal_toIS6_EEEE10hipError_tPvRmT2_T3_mT4_T5_T6_T7_T8_P12ihipStream_tbENKUlT_T0_E_clISt17integral_constantIbLb1EES11_EEDaSW_SX_EUlSW_E_NS1_11comp_targetILNS1_3genE10ELNS1_11target_archE1200ELNS1_3gpuE4ELNS1_3repE0EEENS1_30default_config_static_selectorELNS0_4arch9wavefront6targetE1EEEvT1_, .Lfunc_end940-_ZN7rocprim17ROCPRIM_400000_NS6detail17trampoline_kernelINS0_14default_configENS1_33run_length_encode_config_selectorIN3c104HalfEjNS0_4plusIjEEEEZZNS1_33reduce_by_key_impl_wrapped_configILNS1_25lookback_scan_determinismE0ES3_S9_PKS6_NS0_17constant_iteratorIjlEEPS6_PlSH_S8_NS0_8equal_toIS6_EEEE10hipError_tPvRmT2_T3_mT4_T5_T6_T7_T8_P12ihipStream_tbENKUlT_T0_E_clISt17integral_constantIbLb1EES11_EEDaSW_SX_EUlSW_E_NS1_11comp_targetILNS1_3genE10ELNS1_11target_archE1200ELNS1_3gpuE4ELNS1_3repE0EEENS1_30default_config_static_selectorELNS0_4arch9wavefront6targetE1EEEvT1_
                                        ; -- End function
	.section	.AMDGPU.csdata,"",@progbits
; Kernel info:
; codeLenInByte = 0
; NumSgprs: 4
; NumVgprs: 0
; NumAgprs: 0
; TotalNumVgprs: 0
; ScratchSize: 0
; MemoryBound: 0
; FloatMode: 240
; IeeeMode: 1
; LDSByteSize: 0 bytes/workgroup (compile time only)
; SGPRBlocks: 0
; VGPRBlocks: 0
; NumSGPRsForWavesPerEU: 4
; NumVGPRsForWavesPerEU: 1
; AccumOffset: 4
; Occupancy: 8
; WaveLimiterHint : 0
; COMPUTE_PGM_RSRC2:SCRATCH_EN: 0
; COMPUTE_PGM_RSRC2:USER_SGPR: 6
; COMPUTE_PGM_RSRC2:TRAP_HANDLER: 0
; COMPUTE_PGM_RSRC2:TGID_X_EN: 1
; COMPUTE_PGM_RSRC2:TGID_Y_EN: 0
; COMPUTE_PGM_RSRC2:TGID_Z_EN: 0
; COMPUTE_PGM_RSRC2:TIDIG_COMP_CNT: 0
; COMPUTE_PGM_RSRC3_GFX90A:ACCUM_OFFSET: 0
; COMPUTE_PGM_RSRC3_GFX90A:TG_SPLIT: 0
	.section	.text._ZN7rocprim17ROCPRIM_400000_NS6detail17trampoline_kernelINS0_14default_configENS1_33run_length_encode_config_selectorIN3c104HalfEjNS0_4plusIjEEEEZZNS1_33reduce_by_key_impl_wrapped_configILNS1_25lookback_scan_determinismE0ES3_S9_PKS6_NS0_17constant_iteratorIjlEEPS6_PlSH_S8_NS0_8equal_toIS6_EEEE10hipError_tPvRmT2_T3_mT4_T5_T6_T7_T8_P12ihipStream_tbENKUlT_T0_E_clISt17integral_constantIbLb1EES11_EEDaSW_SX_EUlSW_E_NS1_11comp_targetILNS1_3genE9ELNS1_11target_archE1100ELNS1_3gpuE3ELNS1_3repE0EEENS1_30default_config_static_selectorELNS0_4arch9wavefront6targetE1EEEvT1_,"axG",@progbits,_ZN7rocprim17ROCPRIM_400000_NS6detail17trampoline_kernelINS0_14default_configENS1_33run_length_encode_config_selectorIN3c104HalfEjNS0_4plusIjEEEEZZNS1_33reduce_by_key_impl_wrapped_configILNS1_25lookback_scan_determinismE0ES3_S9_PKS6_NS0_17constant_iteratorIjlEEPS6_PlSH_S8_NS0_8equal_toIS6_EEEE10hipError_tPvRmT2_T3_mT4_T5_T6_T7_T8_P12ihipStream_tbENKUlT_T0_E_clISt17integral_constantIbLb1EES11_EEDaSW_SX_EUlSW_E_NS1_11comp_targetILNS1_3genE9ELNS1_11target_archE1100ELNS1_3gpuE3ELNS1_3repE0EEENS1_30default_config_static_selectorELNS0_4arch9wavefront6targetE1EEEvT1_,comdat
	.protected	_ZN7rocprim17ROCPRIM_400000_NS6detail17trampoline_kernelINS0_14default_configENS1_33run_length_encode_config_selectorIN3c104HalfEjNS0_4plusIjEEEEZZNS1_33reduce_by_key_impl_wrapped_configILNS1_25lookback_scan_determinismE0ES3_S9_PKS6_NS0_17constant_iteratorIjlEEPS6_PlSH_S8_NS0_8equal_toIS6_EEEE10hipError_tPvRmT2_T3_mT4_T5_T6_T7_T8_P12ihipStream_tbENKUlT_T0_E_clISt17integral_constantIbLb1EES11_EEDaSW_SX_EUlSW_E_NS1_11comp_targetILNS1_3genE9ELNS1_11target_archE1100ELNS1_3gpuE3ELNS1_3repE0EEENS1_30default_config_static_selectorELNS0_4arch9wavefront6targetE1EEEvT1_ ; -- Begin function _ZN7rocprim17ROCPRIM_400000_NS6detail17trampoline_kernelINS0_14default_configENS1_33run_length_encode_config_selectorIN3c104HalfEjNS0_4plusIjEEEEZZNS1_33reduce_by_key_impl_wrapped_configILNS1_25lookback_scan_determinismE0ES3_S9_PKS6_NS0_17constant_iteratorIjlEEPS6_PlSH_S8_NS0_8equal_toIS6_EEEE10hipError_tPvRmT2_T3_mT4_T5_T6_T7_T8_P12ihipStream_tbENKUlT_T0_E_clISt17integral_constantIbLb1EES11_EEDaSW_SX_EUlSW_E_NS1_11comp_targetILNS1_3genE9ELNS1_11target_archE1100ELNS1_3gpuE3ELNS1_3repE0EEENS1_30default_config_static_selectorELNS0_4arch9wavefront6targetE1EEEvT1_
	.globl	_ZN7rocprim17ROCPRIM_400000_NS6detail17trampoline_kernelINS0_14default_configENS1_33run_length_encode_config_selectorIN3c104HalfEjNS0_4plusIjEEEEZZNS1_33reduce_by_key_impl_wrapped_configILNS1_25lookback_scan_determinismE0ES3_S9_PKS6_NS0_17constant_iteratorIjlEEPS6_PlSH_S8_NS0_8equal_toIS6_EEEE10hipError_tPvRmT2_T3_mT4_T5_T6_T7_T8_P12ihipStream_tbENKUlT_T0_E_clISt17integral_constantIbLb1EES11_EEDaSW_SX_EUlSW_E_NS1_11comp_targetILNS1_3genE9ELNS1_11target_archE1100ELNS1_3gpuE3ELNS1_3repE0EEENS1_30default_config_static_selectorELNS0_4arch9wavefront6targetE1EEEvT1_
	.p2align	8
	.type	_ZN7rocprim17ROCPRIM_400000_NS6detail17trampoline_kernelINS0_14default_configENS1_33run_length_encode_config_selectorIN3c104HalfEjNS0_4plusIjEEEEZZNS1_33reduce_by_key_impl_wrapped_configILNS1_25lookback_scan_determinismE0ES3_S9_PKS6_NS0_17constant_iteratorIjlEEPS6_PlSH_S8_NS0_8equal_toIS6_EEEE10hipError_tPvRmT2_T3_mT4_T5_T6_T7_T8_P12ihipStream_tbENKUlT_T0_E_clISt17integral_constantIbLb1EES11_EEDaSW_SX_EUlSW_E_NS1_11comp_targetILNS1_3genE9ELNS1_11target_archE1100ELNS1_3gpuE3ELNS1_3repE0EEENS1_30default_config_static_selectorELNS0_4arch9wavefront6targetE1EEEvT1_,@function
_ZN7rocprim17ROCPRIM_400000_NS6detail17trampoline_kernelINS0_14default_configENS1_33run_length_encode_config_selectorIN3c104HalfEjNS0_4plusIjEEEEZZNS1_33reduce_by_key_impl_wrapped_configILNS1_25lookback_scan_determinismE0ES3_S9_PKS6_NS0_17constant_iteratorIjlEEPS6_PlSH_S8_NS0_8equal_toIS6_EEEE10hipError_tPvRmT2_T3_mT4_T5_T6_T7_T8_P12ihipStream_tbENKUlT_T0_E_clISt17integral_constantIbLb1EES11_EEDaSW_SX_EUlSW_E_NS1_11comp_targetILNS1_3genE9ELNS1_11target_archE1100ELNS1_3gpuE3ELNS1_3repE0EEENS1_30default_config_static_selectorELNS0_4arch9wavefront6targetE1EEEvT1_: ; @_ZN7rocprim17ROCPRIM_400000_NS6detail17trampoline_kernelINS0_14default_configENS1_33run_length_encode_config_selectorIN3c104HalfEjNS0_4plusIjEEEEZZNS1_33reduce_by_key_impl_wrapped_configILNS1_25lookback_scan_determinismE0ES3_S9_PKS6_NS0_17constant_iteratorIjlEEPS6_PlSH_S8_NS0_8equal_toIS6_EEEE10hipError_tPvRmT2_T3_mT4_T5_T6_T7_T8_P12ihipStream_tbENKUlT_T0_E_clISt17integral_constantIbLb1EES11_EEDaSW_SX_EUlSW_E_NS1_11comp_targetILNS1_3genE9ELNS1_11target_archE1100ELNS1_3gpuE3ELNS1_3repE0EEENS1_30default_config_static_selectorELNS0_4arch9wavefront6targetE1EEEvT1_
; %bb.0:
	.section	.rodata,"a",@progbits
	.p2align	6, 0x0
	.amdhsa_kernel _ZN7rocprim17ROCPRIM_400000_NS6detail17trampoline_kernelINS0_14default_configENS1_33run_length_encode_config_selectorIN3c104HalfEjNS0_4plusIjEEEEZZNS1_33reduce_by_key_impl_wrapped_configILNS1_25lookback_scan_determinismE0ES3_S9_PKS6_NS0_17constant_iteratorIjlEEPS6_PlSH_S8_NS0_8equal_toIS6_EEEE10hipError_tPvRmT2_T3_mT4_T5_T6_T7_T8_P12ihipStream_tbENKUlT_T0_E_clISt17integral_constantIbLb1EES11_EEDaSW_SX_EUlSW_E_NS1_11comp_targetILNS1_3genE9ELNS1_11target_archE1100ELNS1_3gpuE3ELNS1_3repE0EEENS1_30default_config_static_selectorELNS0_4arch9wavefront6targetE1EEEvT1_
		.amdhsa_group_segment_fixed_size 0
		.amdhsa_private_segment_fixed_size 0
		.amdhsa_kernarg_size 128
		.amdhsa_user_sgpr_count 6
		.amdhsa_user_sgpr_private_segment_buffer 1
		.amdhsa_user_sgpr_dispatch_ptr 0
		.amdhsa_user_sgpr_queue_ptr 0
		.amdhsa_user_sgpr_kernarg_segment_ptr 1
		.amdhsa_user_sgpr_dispatch_id 0
		.amdhsa_user_sgpr_flat_scratch_init 0
		.amdhsa_user_sgpr_kernarg_preload_length 0
		.amdhsa_user_sgpr_kernarg_preload_offset 0
		.amdhsa_user_sgpr_private_segment_size 0
		.amdhsa_uses_dynamic_stack 0
		.amdhsa_system_sgpr_private_segment_wavefront_offset 0
		.amdhsa_system_sgpr_workgroup_id_x 1
		.amdhsa_system_sgpr_workgroup_id_y 0
		.amdhsa_system_sgpr_workgroup_id_z 0
		.amdhsa_system_sgpr_workgroup_info 0
		.amdhsa_system_vgpr_workitem_id 0
		.amdhsa_next_free_vgpr 1
		.amdhsa_next_free_sgpr 0
		.amdhsa_accum_offset 4
		.amdhsa_reserve_vcc 0
		.amdhsa_reserve_flat_scratch 0
		.amdhsa_float_round_mode_32 0
		.amdhsa_float_round_mode_16_64 0
		.amdhsa_float_denorm_mode_32 3
		.amdhsa_float_denorm_mode_16_64 3
		.amdhsa_dx10_clamp 1
		.amdhsa_ieee_mode 1
		.amdhsa_fp16_overflow 0
		.amdhsa_tg_split 0
		.amdhsa_exception_fp_ieee_invalid_op 0
		.amdhsa_exception_fp_denorm_src 0
		.amdhsa_exception_fp_ieee_div_zero 0
		.amdhsa_exception_fp_ieee_overflow 0
		.amdhsa_exception_fp_ieee_underflow 0
		.amdhsa_exception_fp_ieee_inexact 0
		.amdhsa_exception_int_div_zero 0
	.end_amdhsa_kernel
	.section	.text._ZN7rocprim17ROCPRIM_400000_NS6detail17trampoline_kernelINS0_14default_configENS1_33run_length_encode_config_selectorIN3c104HalfEjNS0_4plusIjEEEEZZNS1_33reduce_by_key_impl_wrapped_configILNS1_25lookback_scan_determinismE0ES3_S9_PKS6_NS0_17constant_iteratorIjlEEPS6_PlSH_S8_NS0_8equal_toIS6_EEEE10hipError_tPvRmT2_T3_mT4_T5_T6_T7_T8_P12ihipStream_tbENKUlT_T0_E_clISt17integral_constantIbLb1EES11_EEDaSW_SX_EUlSW_E_NS1_11comp_targetILNS1_3genE9ELNS1_11target_archE1100ELNS1_3gpuE3ELNS1_3repE0EEENS1_30default_config_static_selectorELNS0_4arch9wavefront6targetE1EEEvT1_,"axG",@progbits,_ZN7rocprim17ROCPRIM_400000_NS6detail17trampoline_kernelINS0_14default_configENS1_33run_length_encode_config_selectorIN3c104HalfEjNS0_4plusIjEEEEZZNS1_33reduce_by_key_impl_wrapped_configILNS1_25lookback_scan_determinismE0ES3_S9_PKS6_NS0_17constant_iteratorIjlEEPS6_PlSH_S8_NS0_8equal_toIS6_EEEE10hipError_tPvRmT2_T3_mT4_T5_T6_T7_T8_P12ihipStream_tbENKUlT_T0_E_clISt17integral_constantIbLb1EES11_EEDaSW_SX_EUlSW_E_NS1_11comp_targetILNS1_3genE9ELNS1_11target_archE1100ELNS1_3gpuE3ELNS1_3repE0EEENS1_30default_config_static_selectorELNS0_4arch9wavefront6targetE1EEEvT1_,comdat
.Lfunc_end941:
	.size	_ZN7rocprim17ROCPRIM_400000_NS6detail17trampoline_kernelINS0_14default_configENS1_33run_length_encode_config_selectorIN3c104HalfEjNS0_4plusIjEEEEZZNS1_33reduce_by_key_impl_wrapped_configILNS1_25lookback_scan_determinismE0ES3_S9_PKS6_NS0_17constant_iteratorIjlEEPS6_PlSH_S8_NS0_8equal_toIS6_EEEE10hipError_tPvRmT2_T3_mT4_T5_T6_T7_T8_P12ihipStream_tbENKUlT_T0_E_clISt17integral_constantIbLb1EES11_EEDaSW_SX_EUlSW_E_NS1_11comp_targetILNS1_3genE9ELNS1_11target_archE1100ELNS1_3gpuE3ELNS1_3repE0EEENS1_30default_config_static_selectorELNS0_4arch9wavefront6targetE1EEEvT1_, .Lfunc_end941-_ZN7rocprim17ROCPRIM_400000_NS6detail17trampoline_kernelINS0_14default_configENS1_33run_length_encode_config_selectorIN3c104HalfEjNS0_4plusIjEEEEZZNS1_33reduce_by_key_impl_wrapped_configILNS1_25lookback_scan_determinismE0ES3_S9_PKS6_NS0_17constant_iteratorIjlEEPS6_PlSH_S8_NS0_8equal_toIS6_EEEE10hipError_tPvRmT2_T3_mT4_T5_T6_T7_T8_P12ihipStream_tbENKUlT_T0_E_clISt17integral_constantIbLb1EES11_EEDaSW_SX_EUlSW_E_NS1_11comp_targetILNS1_3genE9ELNS1_11target_archE1100ELNS1_3gpuE3ELNS1_3repE0EEENS1_30default_config_static_selectorELNS0_4arch9wavefront6targetE1EEEvT1_
                                        ; -- End function
	.section	.AMDGPU.csdata,"",@progbits
; Kernel info:
; codeLenInByte = 0
; NumSgprs: 4
; NumVgprs: 0
; NumAgprs: 0
; TotalNumVgprs: 0
; ScratchSize: 0
; MemoryBound: 0
; FloatMode: 240
; IeeeMode: 1
; LDSByteSize: 0 bytes/workgroup (compile time only)
; SGPRBlocks: 0
; VGPRBlocks: 0
; NumSGPRsForWavesPerEU: 4
; NumVGPRsForWavesPerEU: 1
; AccumOffset: 4
; Occupancy: 8
; WaveLimiterHint : 0
; COMPUTE_PGM_RSRC2:SCRATCH_EN: 0
; COMPUTE_PGM_RSRC2:USER_SGPR: 6
; COMPUTE_PGM_RSRC2:TRAP_HANDLER: 0
; COMPUTE_PGM_RSRC2:TGID_X_EN: 1
; COMPUTE_PGM_RSRC2:TGID_Y_EN: 0
; COMPUTE_PGM_RSRC2:TGID_Z_EN: 0
; COMPUTE_PGM_RSRC2:TIDIG_COMP_CNT: 0
; COMPUTE_PGM_RSRC3_GFX90A:ACCUM_OFFSET: 0
; COMPUTE_PGM_RSRC3_GFX90A:TG_SPLIT: 0
	.section	.text._ZN7rocprim17ROCPRIM_400000_NS6detail17trampoline_kernelINS0_14default_configENS1_33run_length_encode_config_selectorIN3c104HalfEjNS0_4plusIjEEEEZZNS1_33reduce_by_key_impl_wrapped_configILNS1_25lookback_scan_determinismE0ES3_S9_PKS6_NS0_17constant_iteratorIjlEEPS6_PlSH_S8_NS0_8equal_toIS6_EEEE10hipError_tPvRmT2_T3_mT4_T5_T6_T7_T8_P12ihipStream_tbENKUlT_T0_E_clISt17integral_constantIbLb1EES11_EEDaSW_SX_EUlSW_E_NS1_11comp_targetILNS1_3genE8ELNS1_11target_archE1030ELNS1_3gpuE2ELNS1_3repE0EEENS1_30default_config_static_selectorELNS0_4arch9wavefront6targetE1EEEvT1_,"axG",@progbits,_ZN7rocprim17ROCPRIM_400000_NS6detail17trampoline_kernelINS0_14default_configENS1_33run_length_encode_config_selectorIN3c104HalfEjNS0_4plusIjEEEEZZNS1_33reduce_by_key_impl_wrapped_configILNS1_25lookback_scan_determinismE0ES3_S9_PKS6_NS0_17constant_iteratorIjlEEPS6_PlSH_S8_NS0_8equal_toIS6_EEEE10hipError_tPvRmT2_T3_mT4_T5_T6_T7_T8_P12ihipStream_tbENKUlT_T0_E_clISt17integral_constantIbLb1EES11_EEDaSW_SX_EUlSW_E_NS1_11comp_targetILNS1_3genE8ELNS1_11target_archE1030ELNS1_3gpuE2ELNS1_3repE0EEENS1_30default_config_static_selectorELNS0_4arch9wavefront6targetE1EEEvT1_,comdat
	.protected	_ZN7rocprim17ROCPRIM_400000_NS6detail17trampoline_kernelINS0_14default_configENS1_33run_length_encode_config_selectorIN3c104HalfEjNS0_4plusIjEEEEZZNS1_33reduce_by_key_impl_wrapped_configILNS1_25lookback_scan_determinismE0ES3_S9_PKS6_NS0_17constant_iteratorIjlEEPS6_PlSH_S8_NS0_8equal_toIS6_EEEE10hipError_tPvRmT2_T3_mT4_T5_T6_T7_T8_P12ihipStream_tbENKUlT_T0_E_clISt17integral_constantIbLb1EES11_EEDaSW_SX_EUlSW_E_NS1_11comp_targetILNS1_3genE8ELNS1_11target_archE1030ELNS1_3gpuE2ELNS1_3repE0EEENS1_30default_config_static_selectorELNS0_4arch9wavefront6targetE1EEEvT1_ ; -- Begin function _ZN7rocprim17ROCPRIM_400000_NS6detail17trampoline_kernelINS0_14default_configENS1_33run_length_encode_config_selectorIN3c104HalfEjNS0_4plusIjEEEEZZNS1_33reduce_by_key_impl_wrapped_configILNS1_25lookback_scan_determinismE0ES3_S9_PKS6_NS0_17constant_iteratorIjlEEPS6_PlSH_S8_NS0_8equal_toIS6_EEEE10hipError_tPvRmT2_T3_mT4_T5_T6_T7_T8_P12ihipStream_tbENKUlT_T0_E_clISt17integral_constantIbLb1EES11_EEDaSW_SX_EUlSW_E_NS1_11comp_targetILNS1_3genE8ELNS1_11target_archE1030ELNS1_3gpuE2ELNS1_3repE0EEENS1_30default_config_static_selectorELNS0_4arch9wavefront6targetE1EEEvT1_
	.globl	_ZN7rocprim17ROCPRIM_400000_NS6detail17trampoline_kernelINS0_14default_configENS1_33run_length_encode_config_selectorIN3c104HalfEjNS0_4plusIjEEEEZZNS1_33reduce_by_key_impl_wrapped_configILNS1_25lookback_scan_determinismE0ES3_S9_PKS6_NS0_17constant_iteratorIjlEEPS6_PlSH_S8_NS0_8equal_toIS6_EEEE10hipError_tPvRmT2_T3_mT4_T5_T6_T7_T8_P12ihipStream_tbENKUlT_T0_E_clISt17integral_constantIbLb1EES11_EEDaSW_SX_EUlSW_E_NS1_11comp_targetILNS1_3genE8ELNS1_11target_archE1030ELNS1_3gpuE2ELNS1_3repE0EEENS1_30default_config_static_selectorELNS0_4arch9wavefront6targetE1EEEvT1_
	.p2align	8
	.type	_ZN7rocprim17ROCPRIM_400000_NS6detail17trampoline_kernelINS0_14default_configENS1_33run_length_encode_config_selectorIN3c104HalfEjNS0_4plusIjEEEEZZNS1_33reduce_by_key_impl_wrapped_configILNS1_25lookback_scan_determinismE0ES3_S9_PKS6_NS0_17constant_iteratorIjlEEPS6_PlSH_S8_NS0_8equal_toIS6_EEEE10hipError_tPvRmT2_T3_mT4_T5_T6_T7_T8_P12ihipStream_tbENKUlT_T0_E_clISt17integral_constantIbLb1EES11_EEDaSW_SX_EUlSW_E_NS1_11comp_targetILNS1_3genE8ELNS1_11target_archE1030ELNS1_3gpuE2ELNS1_3repE0EEENS1_30default_config_static_selectorELNS0_4arch9wavefront6targetE1EEEvT1_,@function
_ZN7rocprim17ROCPRIM_400000_NS6detail17trampoline_kernelINS0_14default_configENS1_33run_length_encode_config_selectorIN3c104HalfEjNS0_4plusIjEEEEZZNS1_33reduce_by_key_impl_wrapped_configILNS1_25lookback_scan_determinismE0ES3_S9_PKS6_NS0_17constant_iteratorIjlEEPS6_PlSH_S8_NS0_8equal_toIS6_EEEE10hipError_tPvRmT2_T3_mT4_T5_T6_T7_T8_P12ihipStream_tbENKUlT_T0_E_clISt17integral_constantIbLb1EES11_EEDaSW_SX_EUlSW_E_NS1_11comp_targetILNS1_3genE8ELNS1_11target_archE1030ELNS1_3gpuE2ELNS1_3repE0EEENS1_30default_config_static_selectorELNS0_4arch9wavefront6targetE1EEEvT1_: ; @_ZN7rocprim17ROCPRIM_400000_NS6detail17trampoline_kernelINS0_14default_configENS1_33run_length_encode_config_selectorIN3c104HalfEjNS0_4plusIjEEEEZZNS1_33reduce_by_key_impl_wrapped_configILNS1_25lookback_scan_determinismE0ES3_S9_PKS6_NS0_17constant_iteratorIjlEEPS6_PlSH_S8_NS0_8equal_toIS6_EEEE10hipError_tPvRmT2_T3_mT4_T5_T6_T7_T8_P12ihipStream_tbENKUlT_T0_E_clISt17integral_constantIbLb1EES11_EEDaSW_SX_EUlSW_E_NS1_11comp_targetILNS1_3genE8ELNS1_11target_archE1030ELNS1_3gpuE2ELNS1_3repE0EEENS1_30default_config_static_selectorELNS0_4arch9wavefront6targetE1EEEvT1_
; %bb.0:
	.section	.rodata,"a",@progbits
	.p2align	6, 0x0
	.amdhsa_kernel _ZN7rocprim17ROCPRIM_400000_NS6detail17trampoline_kernelINS0_14default_configENS1_33run_length_encode_config_selectorIN3c104HalfEjNS0_4plusIjEEEEZZNS1_33reduce_by_key_impl_wrapped_configILNS1_25lookback_scan_determinismE0ES3_S9_PKS6_NS0_17constant_iteratorIjlEEPS6_PlSH_S8_NS0_8equal_toIS6_EEEE10hipError_tPvRmT2_T3_mT4_T5_T6_T7_T8_P12ihipStream_tbENKUlT_T0_E_clISt17integral_constantIbLb1EES11_EEDaSW_SX_EUlSW_E_NS1_11comp_targetILNS1_3genE8ELNS1_11target_archE1030ELNS1_3gpuE2ELNS1_3repE0EEENS1_30default_config_static_selectorELNS0_4arch9wavefront6targetE1EEEvT1_
		.amdhsa_group_segment_fixed_size 0
		.amdhsa_private_segment_fixed_size 0
		.amdhsa_kernarg_size 128
		.amdhsa_user_sgpr_count 6
		.amdhsa_user_sgpr_private_segment_buffer 1
		.amdhsa_user_sgpr_dispatch_ptr 0
		.amdhsa_user_sgpr_queue_ptr 0
		.amdhsa_user_sgpr_kernarg_segment_ptr 1
		.amdhsa_user_sgpr_dispatch_id 0
		.amdhsa_user_sgpr_flat_scratch_init 0
		.amdhsa_user_sgpr_kernarg_preload_length 0
		.amdhsa_user_sgpr_kernarg_preload_offset 0
		.amdhsa_user_sgpr_private_segment_size 0
		.amdhsa_uses_dynamic_stack 0
		.amdhsa_system_sgpr_private_segment_wavefront_offset 0
		.amdhsa_system_sgpr_workgroup_id_x 1
		.amdhsa_system_sgpr_workgroup_id_y 0
		.amdhsa_system_sgpr_workgroup_id_z 0
		.amdhsa_system_sgpr_workgroup_info 0
		.amdhsa_system_vgpr_workitem_id 0
		.amdhsa_next_free_vgpr 1
		.amdhsa_next_free_sgpr 0
		.amdhsa_accum_offset 4
		.amdhsa_reserve_vcc 0
		.amdhsa_reserve_flat_scratch 0
		.amdhsa_float_round_mode_32 0
		.amdhsa_float_round_mode_16_64 0
		.amdhsa_float_denorm_mode_32 3
		.amdhsa_float_denorm_mode_16_64 3
		.amdhsa_dx10_clamp 1
		.amdhsa_ieee_mode 1
		.amdhsa_fp16_overflow 0
		.amdhsa_tg_split 0
		.amdhsa_exception_fp_ieee_invalid_op 0
		.amdhsa_exception_fp_denorm_src 0
		.amdhsa_exception_fp_ieee_div_zero 0
		.amdhsa_exception_fp_ieee_overflow 0
		.amdhsa_exception_fp_ieee_underflow 0
		.amdhsa_exception_fp_ieee_inexact 0
		.amdhsa_exception_int_div_zero 0
	.end_amdhsa_kernel
	.section	.text._ZN7rocprim17ROCPRIM_400000_NS6detail17trampoline_kernelINS0_14default_configENS1_33run_length_encode_config_selectorIN3c104HalfEjNS0_4plusIjEEEEZZNS1_33reduce_by_key_impl_wrapped_configILNS1_25lookback_scan_determinismE0ES3_S9_PKS6_NS0_17constant_iteratorIjlEEPS6_PlSH_S8_NS0_8equal_toIS6_EEEE10hipError_tPvRmT2_T3_mT4_T5_T6_T7_T8_P12ihipStream_tbENKUlT_T0_E_clISt17integral_constantIbLb1EES11_EEDaSW_SX_EUlSW_E_NS1_11comp_targetILNS1_3genE8ELNS1_11target_archE1030ELNS1_3gpuE2ELNS1_3repE0EEENS1_30default_config_static_selectorELNS0_4arch9wavefront6targetE1EEEvT1_,"axG",@progbits,_ZN7rocprim17ROCPRIM_400000_NS6detail17trampoline_kernelINS0_14default_configENS1_33run_length_encode_config_selectorIN3c104HalfEjNS0_4plusIjEEEEZZNS1_33reduce_by_key_impl_wrapped_configILNS1_25lookback_scan_determinismE0ES3_S9_PKS6_NS0_17constant_iteratorIjlEEPS6_PlSH_S8_NS0_8equal_toIS6_EEEE10hipError_tPvRmT2_T3_mT4_T5_T6_T7_T8_P12ihipStream_tbENKUlT_T0_E_clISt17integral_constantIbLb1EES11_EEDaSW_SX_EUlSW_E_NS1_11comp_targetILNS1_3genE8ELNS1_11target_archE1030ELNS1_3gpuE2ELNS1_3repE0EEENS1_30default_config_static_selectorELNS0_4arch9wavefront6targetE1EEEvT1_,comdat
.Lfunc_end942:
	.size	_ZN7rocprim17ROCPRIM_400000_NS6detail17trampoline_kernelINS0_14default_configENS1_33run_length_encode_config_selectorIN3c104HalfEjNS0_4plusIjEEEEZZNS1_33reduce_by_key_impl_wrapped_configILNS1_25lookback_scan_determinismE0ES3_S9_PKS6_NS0_17constant_iteratorIjlEEPS6_PlSH_S8_NS0_8equal_toIS6_EEEE10hipError_tPvRmT2_T3_mT4_T5_T6_T7_T8_P12ihipStream_tbENKUlT_T0_E_clISt17integral_constantIbLb1EES11_EEDaSW_SX_EUlSW_E_NS1_11comp_targetILNS1_3genE8ELNS1_11target_archE1030ELNS1_3gpuE2ELNS1_3repE0EEENS1_30default_config_static_selectorELNS0_4arch9wavefront6targetE1EEEvT1_, .Lfunc_end942-_ZN7rocprim17ROCPRIM_400000_NS6detail17trampoline_kernelINS0_14default_configENS1_33run_length_encode_config_selectorIN3c104HalfEjNS0_4plusIjEEEEZZNS1_33reduce_by_key_impl_wrapped_configILNS1_25lookback_scan_determinismE0ES3_S9_PKS6_NS0_17constant_iteratorIjlEEPS6_PlSH_S8_NS0_8equal_toIS6_EEEE10hipError_tPvRmT2_T3_mT4_T5_T6_T7_T8_P12ihipStream_tbENKUlT_T0_E_clISt17integral_constantIbLb1EES11_EEDaSW_SX_EUlSW_E_NS1_11comp_targetILNS1_3genE8ELNS1_11target_archE1030ELNS1_3gpuE2ELNS1_3repE0EEENS1_30default_config_static_selectorELNS0_4arch9wavefront6targetE1EEEvT1_
                                        ; -- End function
	.section	.AMDGPU.csdata,"",@progbits
; Kernel info:
; codeLenInByte = 0
; NumSgprs: 4
; NumVgprs: 0
; NumAgprs: 0
; TotalNumVgprs: 0
; ScratchSize: 0
; MemoryBound: 0
; FloatMode: 240
; IeeeMode: 1
; LDSByteSize: 0 bytes/workgroup (compile time only)
; SGPRBlocks: 0
; VGPRBlocks: 0
; NumSGPRsForWavesPerEU: 4
; NumVGPRsForWavesPerEU: 1
; AccumOffset: 4
; Occupancy: 8
; WaveLimiterHint : 0
; COMPUTE_PGM_RSRC2:SCRATCH_EN: 0
; COMPUTE_PGM_RSRC2:USER_SGPR: 6
; COMPUTE_PGM_RSRC2:TRAP_HANDLER: 0
; COMPUTE_PGM_RSRC2:TGID_X_EN: 1
; COMPUTE_PGM_RSRC2:TGID_Y_EN: 0
; COMPUTE_PGM_RSRC2:TGID_Z_EN: 0
; COMPUTE_PGM_RSRC2:TIDIG_COMP_CNT: 0
; COMPUTE_PGM_RSRC3_GFX90A:ACCUM_OFFSET: 0
; COMPUTE_PGM_RSRC3_GFX90A:TG_SPLIT: 0
	.section	.text._ZN7rocprim17ROCPRIM_400000_NS6detail17trampoline_kernelINS0_14default_configENS1_33run_length_encode_config_selectorIN3c104HalfEjNS0_4plusIjEEEEZZNS1_33reduce_by_key_impl_wrapped_configILNS1_25lookback_scan_determinismE0ES3_S9_PKS6_NS0_17constant_iteratorIjlEEPS6_PlSH_S8_NS0_8equal_toIS6_EEEE10hipError_tPvRmT2_T3_mT4_T5_T6_T7_T8_P12ihipStream_tbENKUlT_T0_E_clISt17integral_constantIbLb1EES10_IbLb0EEEEDaSW_SX_EUlSW_E_NS1_11comp_targetILNS1_3genE0ELNS1_11target_archE4294967295ELNS1_3gpuE0ELNS1_3repE0EEENS1_30default_config_static_selectorELNS0_4arch9wavefront6targetE1EEEvT1_,"axG",@progbits,_ZN7rocprim17ROCPRIM_400000_NS6detail17trampoline_kernelINS0_14default_configENS1_33run_length_encode_config_selectorIN3c104HalfEjNS0_4plusIjEEEEZZNS1_33reduce_by_key_impl_wrapped_configILNS1_25lookback_scan_determinismE0ES3_S9_PKS6_NS0_17constant_iteratorIjlEEPS6_PlSH_S8_NS0_8equal_toIS6_EEEE10hipError_tPvRmT2_T3_mT4_T5_T6_T7_T8_P12ihipStream_tbENKUlT_T0_E_clISt17integral_constantIbLb1EES10_IbLb0EEEEDaSW_SX_EUlSW_E_NS1_11comp_targetILNS1_3genE0ELNS1_11target_archE4294967295ELNS1_3gpuE0ELNS1_3repE0EEENS1_30default_config_static_selectorELNS0_4arch9wavefront6targetE1EEEvT1_,comdat
	.protected	_ZN7rocprim17ROCPRIM_400000_NS6detail17trampoline_kernelINS0_14default_configENS1_33run_length_encode_config_selectorIN3c104HalfEjNS0_4plusIjEEEEZZNS1_33reduce_by_key_impl_wrapped_configILNS1_25lookback_scan_determinismE0ES3_S9_PKS6_NS0_17constant_iteratorIjlEEPS6_PlSH_S8_NS0_8equal_toIS6_EEEE10hipError_tPvRmT2_T3_mT4_T5_T6_T7_T8_P12ihipStream_tbENKUlT_T0_E_clISt17integral_constantIbLb1EES10_IbLb0EEEEDaSW_SX_EUlSW_E_NS1_11comp_targetILNS1_3genE0ELNS1_11target_archE4294967295ELNS1_3gpuE0ELNS1_3repE0EEENS1_30default_config_static_selectorELNS0_4arch9wavefront6targetE1EEEvT1_ ; -- Begin function _ZN7rocprim17ROCPRIM_400000_NS6detail17trampoline_kernelINS0_14default_configENS1_33run_length_encode_config_selectorIN3c104HalfEjNS0_4plusIjEEEEZZNS1_33reduce_by_key_impl_wrapped_configILNS1_25lookback_scan_determinismE0ES3_S9_PKS6_NS0_17constant_iteratorIjlEEPS6_PlSH_S8_NS0_8equal_toIS6_EEEE10hipError_tPvRmT2_T3_mT4_T5_T6_T7_T8_P12ihipStream_tbENKUlT_T0_E_clISt17integral_constantIbLb1EES10_IbLb0EEEEDaSW_SX_EUlSW_E_NS1_11comp_targetILNS1_3genE0ELNS1_11target_archE4294967295ELNS1_3gpuE0ELNS1_3repE0EEENS1_30default_config_static_selectorELNS0_4arch9wavefront6targetE1EEEvT1_
	.globl	_ZN7rocprim17ROCPRIM_400000_NS6detail17trampoline_kernelINS0_14default_configENS1_33run_length_encode_config_selectorIN3c104HalfEjNS0_4plusIjEEEEZZNS1_33reduce_by_key_impl_wrapped_configILNS1_25lookback_scan_determinismE0ES3_S9_PKS6_NS0_17constant_iteratorIjlEEPS6_PlSH_S8_NS0_8equal_toIS6_EEEE10hipError_tPvRmT2_T3_mT4_T5_T6_T7_T8_P12ihipStream_tbENKUlT_T0_E_clISt17integral_constantIbLb1EES10_IbLb0EEEEDaSW_SX_EUlSW_E_NS1_11comp_targetILNS1_3genE0ELNS1_11target_archE4294967295ELNS1_3gpuE0ELNS1_3repE0EEENS1_30default_config_static_selectorELNS0_4arch9wavefront6targetE1EEEvT1_
	.p2align	8
	.type	_ZN7rocprim17ROCPRIM_400000_NS6detail17trampoline_kernelINS0_14default_configENS1_33run_length_encode_config_selectorIN3c104HalfEjNS0_4plusIjEEEEZZNS1_33reduce_by_key_impl_wrapped_configILNS1_25lookback_scan_determinismE0ES3_S9_PKS6_NS0_17constant_iteratorIjlEEPS6_PlSH_S8_NS0_8equal_toIS6_EEEE10hipError_tPvRmT2_T3_mT4_T5_T6_T7_T8_P12ihipStream_tbENKUlT_T0_E_clISt17integral_constantIbLb1EES10_IbLb0EEEEDaSW_SX_EUlSW_E_NS1_11comp_targetILNS1_3genE0ELNS1_11target_archE4294967295ELNS1_3gpuE0ELNS1_3repE0EEENS1_30default_config_static_selectorELNS0_4arch9wavefront6targetE1EEEvT1_,@function
_ZN7rocprim17ROCPRIM_400000_NS6detail17trampoline_kernelINS0_14default_configENS1_33run_length_encode_config_selectorIN3c104HalfEjNS0_4plusIjEEEEZZNS1_33reduce_by_key_impl_wrapped_configILNS1_25lookback_scan_determinismE0ES3_S9_PKS6_NS0_17constant_iteratorIjlEEPS6_PlSH_S8_NS0_8equal_toIS6_EEEE10hipError_tPvRmT2_T3_mT4_T5_T6_T7_T8_P12ihipStream_tbENKUlT_T0_E_clISt17integral_constantIbLb1EES10_IbLb0EEEEDaSW_SX_EUlSW_E_NS1_11comp_targetILNS1_3genE0ELNS1_11target_archE4294967295ELNS1_3gpuE0ELNS1_3repE0EEENS1_30default_config_static_selectorELNS0_4arch9wavefront6targetE1EEEvT1_: ; @_ZN7rocprim17ROCPRIM_400000_NS6detail17trampoline_kernelINS0_14default_configENS1_33run_length_encode_config_selectorIN3c104HalfEjNS0_4plusIjEEEEZZNS1_33reduce_by_key_impl_wrapped_configILNS1_25lookback_scan_determinismE0ES3_S9_PKS6_NS0_17constant_iteratorIjlEEPS6_PlSH_S8_NS0_8equal_toIS6_EEEE10hipError_tPvRmT2_T3_mT4_T5_T6_T7_T8_P12ihipStream_tbENKUlT_T0_E_clISt17integral_constantIbLb1EES10_IbLb0EEEEDaSW_SX_EUlSW_E_NS1_11comp_targetILNS1_3genE0ELNS1_11target_archE4294967295ELNS1_3gpuE0ELNS1_3repE0EEENS1_30default_config_static_selectorELNS0_4arch9wavefront6targetE1EEEvT1_
; %bb.0:
	.section	.rodata,"a",@progbits
	.p2align	6, 0x0
	.amdhsa_kernel _ZN7rocprim17ROCPRIM_400000_NS6detail17trampoline_kernelINS0_14default_configENS1_33run_length_encode_config_selectorIN3c104HalfEjNS0_4plusIjEEEEZZNS1_33reduce_by_key_impl_wrapped_configILNS1_25lookback_scan_determinismE0ES3_S9_PKS6_NS0_17constant_iteratorIjlEEPS6_PlSH_S8_NS0_8equal_toIS6_EEEE10hipError_tPvRmT2_T3_mT4_T5_T6_T7_T8_P12ihipStream_tbENKUlT_T0_E_clISt17integral_constantIbLb1EES10_IbLb0EEEEDaSW_SX_EUlSW_E_NS1_11comp_targetILNS1_3genE0ELNS1_11target_archE4294967295ELNS1_3gpuE0ELNS1_3repE0EEENS1_30default_config_static_selectorELNS0_4arch9wavefront6targetE1EEEvT1_
		.amdhsa_group_segment_fixed_size 0
		.amdhsa_private_segment_fixed_size 0
		.amdhsa_kernarg_size 128
		.amdhsa_user_sgpr_count 6
		.amdhsa_user_sgpr_private_segment_buffer 1
		.amdhsa_user_sgpr_dispatch_ptr 0
		.amdhsa_user_sgpr_queue_ptr 0
		.amdhsa_user_sgpr_kernarg_segment_ptr 1
		.amdhsa_user_sgpr_dispatch_id 0
		.amdhsa_user_sgpr_flat_scratch_init 0
		.amdhsa_user_sgpr_kernarg_preload_length 0
		.amdhsa_user_sgpr_kernarg_preload_offset 0
		.amdhsa_user_sgpr_private_segment_size 0
		.amdhsa_uses_dynamic_stack 0
		.amdhsa_system_sgpr_private_segment_wavefront_offset 0
		.amdhsa_system_sgpr_workgroup_id_x 1
		.amdhsa_system_sgpr_workgroup_id_y 0
		.amdhsa_system_sgpr_workgroup_id_z 0
		.amdhsa_system_sgpr_workgroup_info 0
		.amdhsa_system_vgpr_workitem_id 0
		.amdhsa_next_free_vgpr 1
		.amdhsa_next_free_sgpr 0
		.amdhsa_accum_offset 4
		.amdhsa_reserve_vcc 0
		.amdhsa_reserve_flat_scratch 0
		.amdhsa_float_round_mode_32 0
		.amdhsa_float_round_mode_16_64 0
		.amdhsa_float_denorm_mode_32 3
		.amdhsa_float_denorm_mode_16_64 3
		.amdhsa_dx10_clamp 1
		.amdhsa_ieee_mode 1
		.amdhsa_fp16_overflow 0
		.amdhsa_tg_split 0
		.amdhsa_exception_fp_ieee_invalid_op 0
		.amdhsa_exception_fp_denorm_src 0
		.amdhsa_exception_fp_ieee_div_zero 0
		.amdhsa_exception_fp_ieee_overflow 0
		.amdhsa_exception_fp_ieee_underflow 0
		.amdhsa_exception_fp_ieee_inexact 0
		.amdhsa_exception_int_div_zero 0
	.end_amdhsa_kernel
	.section	.text._ZN7rocprim17ROCPRIM_400000_NS6detail17trampoline_kernelINS0_14default_configENS1_33run_length_encode_config_selectorIN3c104HalfEjNS0_4plusIjEEEEZZNS1_33reduce_by_key_impl_wrapped_configILNS1_25lookback_scan_determinismE0ES3_S9_PKS6_NS0_17constant_iteratorIjlEEPS6_PlSH_S8_NS0_8equal_toIS6_EEEE10hipError_tPvRmT2_T3_mT4_T5_T6_T7_T8_P12ihipStream_tbENKUlT_T0_E_clISt17integral_constantIbLb1EES10_IbLb0EEEEDaSW_SX_EUlSW_E_NS1_11comp_targetILNS1_3genE0ELNS1_11target_archE4294967295ELNS1_3gpuE0ELNS1_3repE0EEENS1_30default_config_static_selectorELNS0_4arch9wavefront6targetE1EEEvT1_,"axG",@progbits,_ZN7rocprim17ROCPRIM_400000_NS6detail17trampoline_kernelINS0_14default_configENS1_33run_length_encode_config_selectorIN3c104HalfEjNS0_4plusIjEEEEZZNS1_33reduce_by_key_impl_wrapped_configILNS1_25lookback_scan_determinismE0ES3_S9_PKS6_NS0_17constant_iteratorIjlEEPS6_PlSH_S8_NS0_8equal_toIS6_EEEE10hipError_tPvRmT2_T3_mT4_T5_T6_T7_T8_P12ihipStream_tbENKUlT_T0_E_clISt17integral_constantIbLb1EES10_IbLb0EEEEDaSW_SX_EUlSW_E_NS1_11comp_targetILNS1_3genE0ELNS1_11target_archE4294967295ELNS1_3gpuE0ELNS1_3repE0EEENS1_30default_config_static_selectorELNS0_4arch9wavefront6targetE1EEEvT1_,comdat
.Lfunc_end943:
	.size	_ZN7rocprim17ROCPRIM_400000_NS6detail17trampoline_kernelINS0_14default_configENS1_33run_length_encode_config_selectorIN3c104HalfEjNS0_4plusIjEEEEZZNS1_33reduce_by_key_impl_wrapped_configILNS1_25lookback_scan_determinismE0ES3_S9_PKS6_NS0_17constant_iteratorIjlEEPS6_PlSH_S8_NS0_8equal_toIS6_EEEE10hipError_tPvRmT2_T3_mT4_T5_T6_T7_T8_P12ihipStream_tbENKUlT_T0_E_clISt17integral_constantIbLb1EES10_IbLb0EEEEDaSW_SX_EUlSW_E_NS1_11comp_targetILNS1_3genE0ELNS1_11target_archE4294967295ELNS1_3gpuE0ELNS1_3repE0EEENS1_30default_config_static_selectorELNS0_4arch9wavefront6targetE1EEEvT1_, .Lfunc_end943-_ZN7rocprim17ROCPRIM_400000_NS6detail17trampoline_kernelINS0_14default_configENS1_33run_length_encode_config_selectorIN3c104HalfEjNS0_4plusIjEEEEZZNS1_33reduce_by_key_impl_wrapped_configILNS1_25lookback_scan_determinismE0ES3_S9_PKS6_NS0_17constant_iteratorIjlEEPS6_PlSH_S8_NS0_8equal_toIS6_EEEE10hipError_tPvRmT2_T3_mT4_T5_T6_T7_T8_P12ihipStream_tbENKUlT_T0_E_clISt17integral_constantIbLb1EES10_IbLb0EEEEDaSW_SX_EUlSW_E_NS1_11comp_targetILNS1_3genE0ELNS1_11target_archE4294967295ELNS1_3gpuE0ELNS1_3repE0EEENS1_30default_config_static_selectorELNS0_4arch9wavefront6targetE1EEEvT1_
                                        ; -- End function
	.section	.AMDGPU.csdata,"",@progbits
; Kernel info:
; codeLenInByte = 0
; NumSgprs: 4
; NumVgprs: 0
; NumAgprs: 0
; TotalNumVgprs: 0
; ScratchSize: 0
; MemoryBound: 0
; FloatMode: 240
; IeeeMode: 1
; LDSByteSize: 0 bytes/workgroup (compile time only)
; SGPRBlocks: 0
; VGPRBlocks: 0
; NumSGPRsForWavesPerEU: 4
; NumVGPRsForWavesPerEU: 1
; AccumOffset: 4
; Occupancy: 8
; WaveLimiterHint : 0
; COMPUTE_PGM_RSRC2:SCRATCH_EN: 0
; COMPUTE_PGM_RSRC2:USER_SGPR: 6
; COMPUTE_PGM_RSRC2:TRAP_HANDLER: 0
; COMPUTE_PGM_RSRC2:TGID_X_EN: 1
; COMPUTE_PGM_RSRC2:TGID_Y_EN: 0
; COMPUTE_PGM_RSRC2:TGID_Z_EN: 0
; COMPUTE_PGM_RSRC2:TIDIG_COMP_CNT: 0
; COMPUTE_PGM_RSRC3_GFX90A:ACCUM_OFFSET: 0
; COMPUTE_PGM_RSRC3_GFX90A:TG_SPLIT: 0
	.section	.text._ZN7rocprim17ROCPRIM_400000_NS6detail17trampoline_kernelINS0_14default_configENS1_33run_length_encode_config_selectorIN3c104HalfEjNS0_4plusIjEEEEZZNS1_33reduce_by_key_impl_wrapped_configILNS1_25lookback_scan_determinismE0ES3_S9_PKS6_NS0_17constant_iteratorIjlEEPS6_PlSH_S8_NS0_8equal_toIS6_EEEE10hipError_tPvRmT2_T3_mT4_T5_T6_T7_T8_P12ihipStream_tbENKUlT_T0_E_clISt17integral_constantIbLb1EES10_IbLb0EEEEDaSW_SX_EUlSW_E_NS1_11comp_targetILNS1_3genE5ELNS1_11target_archE942ELNS1_3gpuE9ELNS1_3repE0EEENS1_30default_config_static_selectorELNS0_4arch9wavefront6targetE1EEEvT1_,"axG",@progbits,_ZN7rocprim17ROCPRIM_400000_NS6detail17trampoline_kernelINS0_14default_configENS1_33run_length_encode_config_selectorIN3c104HalfEjNS0_4plusIjEEEEZZNS1_33reduce_by_key_impl_wrapped_configILNS1_25lookback_scan_determinismE0ES3_S9_PKS6_NS0_17constant_iteratorIjlEEPS6_PlSH_S8_NS0_8equal_toIS6_EEEE10hipError_tPvRmT2_T3_mT4_T5_T6_T7_T8_P12ihipStream_tbENKUlT_T0_E_clISt17integral_constantIbLb1EES10_IbLb0EEEEDaSW_SX_EUlSW_E_NS1_11comp_targetILNS1_3genE5ELNS1_11target_archE942ELNS1_3gpuE9ELNS1_3repE0EEENS1_30default_config_static_selectorELNS0_4arch9wavefront6targetE1EEEvT1_,comdat
	.protected	_ZN7rocprim17ROCPRIM_400000_NS6detail17trampoline_kernelINS0_14default_configENS1_33run_length_encode_config_selectorIN3c104HalfEjNS0_4plusIjEEEEZZNS1_33reduce_by_key_impl_wrapped_configILNS1_25lookback_scan_determinismE0ES3_S9_PKS6_NS0_17constant_iteratorIjlEEPS6_PlSH_S8_NS0_8equal_toIS6_EEEE10hipError_tPvRmT2_T3_mT4_T5_T6_T7_T8_P12ihipStream_tbENKUlT_T0_E_clISt17integral_constantIbLb1EES10_IbLb0EEEEDaSW_SX_EUlSW_E_NS1_11comp_targetILNS1_3genE5ELNS1_11target_archE942ELNS1_3gpuE9ELNS1_3repE0EEENS1_30default_config_static_selectorELNS0_4arch9wavefront6targetE1EEEvT1_ ; -- Begin function _ZN7rocprim17ROCPRIM_400000_NS6detail17trampoline_kernelINS0_14default_configENS1_33run_length_encode_config_selectorIN3c104HalfEjNS0_4plusIjEEEEZZNS1_33reduce_by_key_impl_wrapped_configILNS1_25lookback_scan_determinismE0ES3_S9_PKS6_NS0_17constant_iteratorIjlEEPS6_PlSH_S8_NS0_8equal_toIS6_EEEE10hipError_tPvRmT2_T3_mT4_T5_T6_T7_T8_P12ihipStream_tbENKUlT_T0_E_clISt17integral_constantIbLb1EES10_IbLb0EEEEDaSW_SX_EUlSW_E_NS1_11comp_targetILNS1_3genE5ELNS1_11target_archE942ELNS1_3gpuE9ELNS1_3repE0EEENS1_30default_config_static_selectorELNS0_4arch9wavefront6targetE1EEEvT1_
	.globl	_ZN7rocprim17ROCPRIM_400000_NS6detail17trampoline_kernelINS0_14default_configENS1_33run_length_encode_config_selectorIN3c104HalfEjNS0_4plusIjEEEEZZNS1_33reduce_by_key_impl_wrapped_configILNS1_25lookback_scan_determinismE0ES3_S9_PKS6_NS0_17constant_iteratorIjlEEPS6_PlSH_S8_NS0_8equal_toIS6_EEEE10hipError_tPvRmT2_T3_mT4_T5_T6_T7_T8_P12ihipStream_tbENKUlT_T0_E_clISt17integral_constantIbLb1EES10_IbLb0EEEEDaSW_SX_EUlSW_E_NS1_11comp_targetILNS1_3genE5ELNS1_11target_archE942ELNS1_3gpuE9ELNS1_3repE0EEENS1_30default_config_static_selectorELNS0_4arch9wavefront6targetE1EEEvT1_
	.p2align	8
	.type	_ZN7rocprim17ROCPRIM_400000_NS6detail17trampoline_kernelINS0_14default_configENS1_33run_length_encode_config_selectorIN3c104HalfEjNS0_4plusIjEEEEZZNS1_33reduce_by_key_impl_wrapped_configILNS1_25lookback_scan_determinismE0ES3_S9_PKS6_NS0_17constant_iteratorIjlEEPS6_PlSH_S8_NS0_8equal_toIS6_EEEE10hipError_tPvRmT2_T3_mT4_T5_T6_T7_T8_P12ihipStream_tbENKUlT_T0_E_clISt17integral_constantIbLb1EES10_IbLb0EEEEDaSW_SX_EUlSW_E_NS1_11comp_targetILNS1_3genE5ELNS1_11target_archE942ELNS1_3gpuE9ELNS1_3repE0EEENS1_30default_config_static_selectorELNS0_4arch9wavefront6targetE1EEEvT1_,@function
_ZN7rocprim17ROCPRIM_400000_NS6detail17trampoline_kernelINS0_14default_configENS1_33run_length_encode_config_selectorIN3c104HalfEjNS0_4plusIjEEEEZZNS1_33reduce_by_key_impl_wrapped_configILNS1_25lookback_scan_determinismE0ES3_S9_PKS6_NS0_17constant_iteratorIjlEEPS6_PlSH_S8_NS0_8equal_toIS6_EEEE10hipError_tPvRmT2_T3_mT4_T5_T6_T7_T8_P12ihipStream_tbENKUlT_T0_E_clISt17integral_constantIbLb1EES10_IbLb0EEEEDaSW_SX_EUlSW_E_NS1_11comp_targetILNS1_3genE5ELNS1_11target_archE942ELNS1_3gpuE9ELNS1_3repE0EEENS1_30default_config_static_selectorELNS0_4arch9wavefront6targetE1EEEvT1_: ; @_ZN7rocprim17ROCPRIM_400000_NS6detail17trampoline_kernelINS0_14default_configENS1_33run_length_encode_config_selectorIN3c104HalfEjNS0_4plusIjEEEEZZNS1_33reduce_by_key_impl_wrapped_configILNS1_25lookback_scan_determinismE0ES3_S9_PKS6_NS0_17constant_iteratorIjlEEPS6_PlSH_S8_NS0_8equal_toIS6_EEEE10hipError_tPvRmT2_T3_mT4_T5_T6_T7_T8_P12ihipStream_tbENKUlT_T0_E_clISt17integral_constantIbLb1EES10_IbLb0EEEEDaSW_SX_EUlSW_E_NS1_11comp_targetILNS1_3genE5ELNS1_11target_archE942ELNS1_3gpuE9ELNS1_3repE0EEENS1_30default_config_static_selectorELNS0_4arch9wavefront6targetE1EEEvT1_
; %bb.0:
	.section	.rodata,"a",@progbits
	.p2align	6, 0x0
	.amdhsa_kernel _ZN7rocprim17ROCPRIM_400000_NS6detail17trampoline_kernelINS0_14default_configENS1_33run_length_encode_config_selectorIN3c104HalfEjNS0_4plusIjEEEEZZNS1_33reduce_by_key_impl_wrapped_configILNS1_25lookback_scan_determinismE0ES3_S9_PKS6_NS0_17constant_iteratorIjlEEPS6_PlSH_S8_NS0_8equal_toIS6_EEEE10hipError_tPvRmT2_T3_mT4_T5_T6_T7_T8_P12ihipStream_tbENKUlT_T0_E_clISt17integral_constantIbLb1EES10_IbLb0EEEEDaSW_SX_EUlSW_E_NS1_11comp_targetILNS1_3genE5ELNS1_11target_archE942ELNS1_3gpuE9ELNS1_3repE0EEENS1_30default_config_static_selectorELNS0_4arch9wavefront6targetE1EEEvT1_
		.amdhsa_group_segment_fixed_size 0
		.amdhsa_private_segment_fixed_size 0
		.amdhsa_kernarg_size 128
		.amdhsa_user_sgpr_count 6
		.amdhsa_user_sgpr_private_segment_buffer 1
		.amdhsa_user_sgpr_dispatch_ptr 0
		.amdhsa_user_sgpr_queue_ptr 0
		.amdhsa_user_sgpr_kernarg_segment_ptr 1
		.amdhsa_user_sgpr_dispatch_id 0
		.amdhsa_user_sgpr_flat_scratch_init 0
		.amdhsa_user_sgpr_kernarg_preload_length 0
		.amdhsa_user_sgpr_kernarg_preload_offset 0
		.amdhsa_user_sgpr_private_segment_size 0
		.amdhsa_uses_dynamic_stack 0
		.amdhsa_system_sgpr_private_segment_wavefront_offset 0
		.amdhsa_system_sgpr_workgroup_id_x 1
		.amdhsa_system_sgpr_workgroup_id_y 0
		.amdhsa_system_sgpr_workgroup_id_z 0
		.amdhsa_system_sgpr_workgroup_info 0
		.amdhsa_system_vgpr_workitem_id 0
		.amdhsa_next_free_vgpr 1
		.amdhsa_next_free_sgpr 0
		.amdhsa_accum_offset 4
		.amdhsa_reserve_vcc 0
		.amdhsa_reserve_flat_scratch 0
		.amdhsa_float_round_mode_32 0
		.amdhsa_float_round_mode_16_64 0
		.amdhsa_float_denorm_mode_32 3
		.amdhsa_float_denorm_mode_16_64 3
		.amdhsa_dx10_clamp 1
		.amdhsa_ieee_mode 1
		.amdhsa_fp16_overflow 0
		.amdhsa_tg_split 0
		.amdhsa_exception_fp_ieee_invalid_op 0
		.amdhsa_exception_fp_denorm_src 0
		.amdhsa_exception_fp_ieee_div_zero 0
		.amdhsa_exception_fp_ieee_overflow 0
		.amdhsa_exception_fp_ieee_underflow 0
		.amdhsa_exception_fp_ieee_inexact 0
		.amdhsa_exception_int_div_zero 0
	.end_amdhsa_kernel
	.section	.text._ZN7rocprim17ROCPRIM_400000_NS6detail17trampoline_kernelINS0_14default_configENS1_33run_length_encode_config_selectorIN3c104HalfEjNS0_4plusIjEEEEZZNS1_33reduce_by_key_impl_wrapped_configILNS1_25lookback_scan_determinismE0ES3_S9_PKS6_NS0_17constant_iteratorIjlEEPS6_PlSH_S8_NS0_8equal_toIS6_EEEE10hipError_tPvRmT2_T3_mT4_T5_T6_T7_T8_P12ihipStream_tbENKUlT_T0_E_clISt17integral_constantIbLb1EES10_IbLb0EEEEDaSW_SX_EUlSW_E_NS1_11comp_targetILNS1_3genE5ELNS1_11target_archE942ELNS1_3gpuE9ELNS1_3repE0EEENS1_30default_config_static_selectorELNS0_4arch9wavefront6targetE1EEEvT1_,"axG",@progbits,_ZN7rocprim17ROCPRIM_400000_NS6detail17trampoline_kernelINS0_14default_configENS1_33run_length_encode_config_selectorIN3c104HalfEjNS0_4plusIjEEEEZZNS1_33reduce_by_key_impl_wrapped_configILNS1_25lookback_scan_determinismE0ES3_S9_PKS6_NS0_17constant_iteratorIjlEEPS6_PlSH_S8_NS0_8equal_toIS6_EEEE10hipError_tPvRmT2_T3_mT4_T5_T6_T7_T8_P12ihipStream_tbENKUlT_T0_E_clISt17integral_constantIbLb1EES10_IbLb0EEEEDaSW_SX_EUlSW_E_NS1_11comp_targetILNS1_3genE5ELNS1_11target_archE942ELNS1_3gpuE9ELNS1_3repE0EEENS1_30default_config_static_selectorELNS0_4arch9wavefront6targetE1EEEvT1_,comdat
.Lfunc_end944:
	.size	_ZN7rocprim17ROCPRIM_400000_NS6detail17trampoline_kernelINS0_14default_configENS1_33run_length_encode_config_selectorIN3c104HalfEjNS0_4plusIjEEEEZZNS1_33reduce_by_key_impl_wrapped_configILNS1_25lookback_scan_determinismE0ES3_S9_PKS6_NS0_17constant_iteratorIjlEEPS6_PlSH_S8_NS0_8equal_toIS6_EEEE10hipError_tPvRmT2_T3_mT4_T5_T6_T7_T8_P12ihipStream_tbENKUlT_T0_E_clISt17integral_constantIbLb1EES10_IbLb0EEEEDaSW_SX_EUlSW_E_NS1_11comp_targetILNS1_3genE5ELNS1_11target_archE942ELNS1_3gpuE9ELNS1_3repE0EEENS1_30default_config_static_selectorELNS0_4arch9wavefront6targetE1EEEvT1_, .Lfunc_end944-_ZN7rocprim17ROCPRIM_400000_NS6detail17trampoline_kernelINS0_14default_configENS1_33run_length_encode_config_selectorIN3c104HalfEjNS0_4plusIjEEEEZZNS1_33reduce_by_key_impl_wrapped_configILNS1_25lookback_scan_determinismE0ES3_S9_PKS6_NS0_17constant_iteratorIjlEEPS6_PlSH_S8_NS0_8equal_toIS6_EEEE10hipError_tPvRmT2_T3_mT4_T5_T6_T7_T8_P12ihipStream_tbENKUlT_T0_E_clISt17integral_constantIbLb1EES10_IbLb0EEEEDaSW_SX_EUlSW_E_NS1_11comp_targetILNS1_3genE5ELNS1_11target_archE942ELNS1_3gpuE9ELNS1_3repE0EEENS1_30default_config_static_selectorELNS0_4arch9wavefront6targetE1EEEvT1_
                                        ; -- End function
	.section	.AMDGPU.csdata,"",@progbits
; Kernel info:
; codeLenInByte = 0
; NumSgprs: 4
; NumVgprs: 0
; NumAgprs: 0
; TotalNumVgprs: 0
; ScratchSize: 0
; MemoryBound: 0
; FloatMode: 240
; IeeeMode: 1
; LDSByteSize: 0 bytes/workgroup (compile time only)
; SGPRBlocks: 0
; VGPRBlocks: 0
; NumSGPRsForWavesPerEU: 4
; NumVGPRsForWavesPerEU: 1
; AccumOffset: 4
; Occupancy: 8
; WaveLimiterHint : 0
; COMPUTE_PGM_RSRC2:SCRATCH_EN: 0
; COMPUTE_PGM_RSRC2:USER_SGPR: 6
; COMPUTE_PGM_RSRC2:TRAP_HANDLER: 0
; COMPUTE_PGM_RSRC2:TGID_X_EN: 1
; COMPUTE_PGM_RSRC2:TGID_Y_EN: 0
; COMPUTE_PGM_RSRC2:TGID_Z_EN: 0
; COMPUTE_PGM_RSRC2:TIDIG_COMP_CNT: 0
; COMPUTE_PGM_RSRC3_GFX90A:ACCUM_OFFSET: 0
; COMPUTE_PGM_RSRC3_GFX90A:TG_SPLIT: 0
	.section	.text._ZN7rocprim17ROCPRIM_400000_NS6detail17trampoline_kernelINS0_14default_configENS1_33run_length_encode_config_selectorIN3c104HalfEjNS0_4plusIjEEEEZZNS1_33reduce_by_key_impl_wrapped_configILNS1_25lookback_scan_determinismE0ES3_S9_PKS6_NS0_17constant_iteratorIjlEEPS6_PlSH_S8_NS0_8equal_toIS6_EEEE10hipError_tPvRmT2_T3_mT4_T5_T6_T7_T8_P12ihipStream_tbENKUlT_T0_E_clISt17integral_constantIbLb1EES10_IbLb0EEEEDaSW_SX_EUlSW_E_NS1_11comp_targetILNS1_3genE4ELNS1_11target_archE910ELNS1_3gpuE8ELNS1_3repE0EEENS1_30default_config_static_selectorELNS0_4arch9wavefront6targetE1EEEvT1_,"axG",@progbits,_ZN7rocprim17ROCPRIM_400000_NS6detail17trampoline_kernelINS0_14default_configENS1_33run_length_encode_config_selectorIN3c104HalfEjNS0_4plusIjEEEEZZNS1_33reduce_by_key_impl_wrapped_configILNS1_25lookback_scan_determinismE0ES3_S9_PKS6_NS0_17constant_iteratorIjlEEPS6_PlSH_S8_NS0_8equal_toIS6_EEEE10hipError_tPvRmT2_T3_mT4_T5_T6_T7_T8_P12ihipStream_tbENKUlT_T0_E_clISt17integral_constantIbLb1EES10_IbLb0EEEEDaSW_SX_EUlSW_E_NS1_11comp_targetILNS1_3genE4ELNS1_11target_archE910ELNS1_3gpuE8ELNS1_3repE0EEENS1_30default_config_static_selectorELNS0_4arch9wavefront6targetE1EEEvT1_,comdat
	.protected	_ZN7rocprim17ROCPRIM_400000_NS6detail17trampoline_kernelINS0_14default_configENS1_33run_length_encode_config_selectorIN3c104HalfEjNS0_4plusIjEEEEZZNS1_33reduce_by_key_impl_wrapped_configILNS1_25lookback_scan_determinismE0ES3_S9_PKS6_NS0_17constant_iteratorIjlEEPS6_PlSH_S8_NS0_8equal_toIS6_EEEE10hipError_tPvRmT2_T3_mT4_T5_T6_T7_T8_P12ihipStream_tbENKUlT_T0_E_clISt17integral_constantIbLb1EES10_IbLb0EEEEDaSW_SX_EUlSW_E_NS1_11comp_targetILNS1_3genE4ELNS1_11target_archE910ELNS1_3gpuE8ELNS1_3repE0EEENS1_30default_config_static_selectorELNS0_4arch9wavefront6targetE1EEEvT1_ ; -- Begin function _ZN7rocprim17ROCPRIM_400000_NS6detail17trampoline_kernelINS0_14default_configENS1_33run_length_encode_config_selectorIN3c104HalfEjNS0_4plusIjEEEEZZNS1_33reduce_by_key_impl_wrapped_configILNS1_25lookback_scan_determinismE0ES3_S9_PKS6_NS0_17constant_iteratorIjlEEPS6_PlSH_S8_NS0_8equal_toIS6_EEEE10hipError_tPvRmT2_T3_mT4_T5_T6_T7_T8_P12ihipStream_tbENKUlT_T0_E_clISt17integral_constantIbLb1EES10_IbLb0EEEEDaSW_SX_EUlSW_E_NS1_11comp_targetILNS1_3genE4ELNS1_11target_archE910ELNS1_3gpuE8ELNS1_3repE0EEENS1_30default_config_static_selectorELNS0_4arch9wavefront6targetE1EEEvT1_
	.globl	_ZN7rocprim17ROCPRIM_400000_NS6detail17trampoline_kernelINS0_14default_configENS1_33run_length_encode_config_selectorIN3c104HalfEjNS0_4plusIjEEEEZZNS1_33reduce_by_key_impl_wrapped_configILNS1_25lookback_scan_determinismE0ES3_S9_PKS6_NS0_17constant_iteratorIjlEEPS6_PlSH_S8_NS0_8equal_toIS6_EEEE10hipError_tPvRmT2_T3_mT4_T5_T6_T7_T8_P12ihipStream_tbENKUlT_T0_E_clISt17integral_constantIbLb1EES10_IbLb0EEEEDaSW_SX_EUlSW_E_NS1_11comp_targetILNS1_3genE4ELNS1_11target_archE910ELNS1_3gpuE8ELNS1_3repE0EEENS1_30default_config_static_selectorELNS0_4arch9wavefront6targetE1EEEvT1_
	.p2align	8
	.type	_ZN7rocprim17ROCPRIM_400000_NS6detail17trampoline_kernelINS0_14default_configENS1_33run_length_encode_config_selectorIN3c104HalfEjNS0_4plusIjEEEEZZNS1_33reduce_by_key_impl_wrapped_configILNS1_25lookback_scan_determinismE0ES3_S9_PKS6_NS0_17constant_iteratorIjlEEPS6_PlSH_S8_NS0_8equal_toIS6_EEEE10hipError_tPvRmT2_T3_mT4_T5_T6_T7_T8_P12ihipStream_tbENKUlT_T0_E_clISt17integral_constantIbLb1EES10_IbLb0EEEEDaSW_SX_EUlSW_E_NS1_11comp_targetILNS1_3genE4ELNS1_11target_archE910ELNS1_3gpuE8ELNS1_3repE0EEENS1_30default_config_static_selectorELNS0_4arch9wavefront6targetE1EEEvT1_,@function
_ZN7rocprim17ROCPRIM_400000_NS6detail17trampoline_kernelINS0_14default_configENS1_33run_length_encode_config_selectorIN3c104HalfEjNS0_4plusIjEEEEZZNS1_33reduce_by_key_impl_wrapped_configILNS1_25lookback_scan_determinismE0ES3_S9_PKS6_NS0_17constant_iteratorIjlEEPS6_PlSH_S8_NS0_8equal_toIS6_EEEE10hipError_tPvRmT2_T3_mT4_T5_T6_T7_T8_P12ihipStream_tbENKUlT_T0_E_clISt17integral_constantIbLb1EES10_IbLb0EEEEDaSW_SX_EUlSW_E_NS1_11comp_targetILNS1_3genE4ELNS1_11target_archE910ELNS1_3gpuE8ELNS1_3repE0EEENS1_30default_config_static_selectorELNS0_4arch9wavefront6targetE1EEEvT1_: ; @_ZN7rocprim17ROCPRIM_400000_NS6detail17trampoline_kernelINS0_14default_configENS1_33run_length_encode_config_selectorIN3c104HalfEjNS0_4plusIjEEEEZZNS1_33reduce_by_key_impl_wrapped_configILNS1_25lookback_scan_determinismE0ES3_S9_PKS6_NS0_17constant_iteratorIjlEEPS6_PlSH_S8_NS0_8equal_toIS6_EEEE10hipError_tPvRmT2_T3_mT4_T5_T6_T7_T8_P12ihipStream_tbENKUlT_T0_E_clISt17integral_constantIbLb1EES10_IbLb0EEEEDaSW_SX_EUlSW_E_NS1_11comp_targetILNS1_3genE4ELNS1_11target_archE910ELNS1_3gpuE8ELNS1_3repE0EEENS1_30default_config_static_selectorELNS0_4arch9wavefront6targetE1EEEvT1_
; %bb.0:
	s_load_dwordx4 s[0:3], s[4:5], 0x0
	s_load_dword s7, s[4:5], 0x10
	s_load_dwordx8 s[36:43], s[4:5], 0x40
	s_load_dwordx4 s[44:47], s[4:5], 0x20
	s_load_dwordx2 s[34:35], s[4:5], 0x30
	s_load_dwordx2 s[52:53], s[4:5], 0x70
	s_load_dwordx4 s[48:51], s[4:5], 0x60
	s_waitcnt lgkmcnt(0)
	s_mul_i32 s4, s40, s39
	s_mul_hi_u32 s5, s40, s38
	s_add_i32 s4, s5, s4
	s_mul_i32 s5, s41, s38
	s_add_i32 s9, s4, s5
	s_lshl_b64 s[2:3], s[2:3], 1
	s_add_u32 s2, s0, s2
	s_addc_u32 s3, s1, s3
	s_mul_i32 s0, s6, 0xf00
	s_mov_b32 s1, 0
	s_lshl_b64 s[0:1], s[0:1], 1
	s_add_u32 s4, s2, s0
	s_mul_i32 s8, s40, s38
	s_addc_u32 s5, s3, s1
	s_add_u32 s8, s8, s6
	s_addc_u32 s9, s9, 0
	s_add_u32 s10, s42, -1
	s_addc_u32 s11, s43, -1
	s_cmp_eq_u64 s[8:9], s[10:11]
	s_cselect_b64 s[40:41], -1, 0
	s_cmp_lg_u64 s[8:9], s[10:11]
	s_mov_b64 s[2:3], -1
	s_cselect_b64 s[0:1], -1, 0
	s_mul_i32 s33, s10, 0xfffff100
	s_and_b64 vcc, exec, s[40:41]
	s_cbranch_vccnz .LBB945_2
; %bb.1:
	v_lshlrev_b32_e32 v1, 1, v0
	v_mov_b32_e32 v2, s5
	v_add_co_u32_e32 v3, vcc, s4, v1
	v_addc_co_u32_e32 v4, vcc, 0, v2, vcc
	v_add_co_u32_e32 v2, vcc, 0x1000, v3
	v_addc_co_u32_e32 v3, vcc, 0, v4, vcc
	global_load_ushort v5, v1, s[4:5]
	global_load_ushort v12, v1, s[4:5] offset:512
	global_load_ushort v13, v1, s[4:5] offset:1024
	;; [unrolled: 1-line block ×7, first 2 shown]
	global_load_ushort v4, v[2:3], off
	global_load_ushort v21, v[2:3], off offset:512
	global_load_ushort v22, v[2:3], off offset:1024
	;; [unrolled: 1-line block ×6, first 2 shown]
	v_mad_u32_u24 v28, v0, 28, v1
	s_movk_i32 s2, 0xffe6
	v_mul_u32_u24_e32 v6, 15, v0
	v_mad_u32_u24 v7, v0, 15, 1
	v_mad_u32_u24 v11, v0, 15, 3
	;; [unrolled: 1-line block ×7, first 2 shown]
	v_mov_b32_e32 v27, s7
	v_mad_i32_i24 v29, v0, s2, v28
	s_waitcnt vmcnt(14)
	ds_write_b16 v1, v5
	s_waitcnt vmcnt(13)
	ds_write_b16 v1, v12 offset:512
	s_waitcnt vmcnt(12)
	ds_write_b16 v1, v13 offset:1024
	;; [unrolled: 2-line block ×14, first 2 shown]
	s_waitcnt lgkmcnt(0)
	s_barrier
	ds_read_u16 v1, v28
	ds_read_b128 v[2:5], v28 offset:2
	ds_read_b96 v[12:14], v28 offset:18
	s_waitcnt lgkmcnt(0)
	s_barrier
	ds_write2st64_b32 v29, v27, v27 offset1:4
	ds_write2st64_b32 v29, v27, v27 offset0:8 offset1:12
	ds_write2st64_b32 v29, v27, v27 offset0:16 offset1:20
	;; [unrolled: 1-line block ×6, first 2 shown]
	ds_write_b32 v29, v27 offset:14336
	s_waitcnt lgkmcnt(0)
	s_barrier
	s_add_i32 s33, s33, s48
	s_cbranch_execz .LBB945_3
	s_branch .LBB945_34
.LBB945_2:
                                        ; implicit-def: $vgpr2
                                        ; implicit-def: $vgpr12
                                        ; implicit-def: $vgpr15
                                        ; implicit-def: $vgpr16
                                        ; implicit-def: $vgpr8
                                        ; implicit-def: $vgpr9
                                        ; implicit-def: $vgpr10
                                        ; implicit-def: $vgpr11
                                        ; implicit-def: $vgpr7
                                        ; implicit-def: $vgpr6
                                        ; implicit-def: $vgpr1
	s_andn2_b64 vcc, exec, s[2:3]
	s_add_i32 s33, s33, s48
	s_cbranch_vccnz .LBB945_34
.LBB945_3:
	v_cmp_gt_u32_e32 vcc, s33, v0
                                        ; implicit-def: $vgpr1
	s_and_saveexec_b64 s[2:3], vcc
	s_cbranch_execz .LBB945_5
; %bb.4:
	v_lshlrev_b32_e32 v1, 1, v0
	global_load_ushort v1, v1, s[4:5]
.LBB945_5:
	s_or_b64 exec, exec, s[2:3]
	v_or_b32_e32 v2, 0x100, v0
	v_cmp_gt_u32_e32 vcc, s33, v2
                                        ; implicit-def: $vgpr2
	s_and_saveexec_b64 s[2:3], vcc
	s_cbranch_execz .LBB945_7
; %bb.6:
	v_lshlrev_b32_e32 v2, 1, v0
	global_load_ushort v2, v2, s[4:5] offset:512
.LBB945_7:
	s_or_b64 exec, exec, s[2:3]
	v_or_b32_e32 v3, 0x200, v0
	v_cmp_gt_u32_e32 vcc, s33, v3
                                        ; implicit-def: $vgpr3
	s_and_saveexec_b64 s[2:3], vcc
	s_cbranch_execz .LBB945_9
; %bb.8:
	v_lshlrev_b32_e32 v3, 1, v0
	global_load_ushort v3, v3, s[4:5] offset:1024
.LBB945_9:
	s_or_b64 exec, exec, s[2:3]
	v_or_b32_e32 v4, 0x300, v0
	v_cmp_gt_u32_e32 vcc, s33, v4
                                        ; implicit-def: $vgpr4
	s_and_saveexec_b64 s[2:3], vcc
	s_cbranch_execz .LBB945_11
; %bb.10:
	v_lshlrev_b32_e32 v4, 1, v0
	global_load_ushort v4, v4, s[4:5] offset:1536
.LBB945_11:
	s_or_b64 exec, exec, s[2:3]
	v_or_b32_e32 v5, 0x400, v0
	v_cmp_gt_u32_e32 vcc, s33, v5
                                        ; implicit-def: $vgpr5
	s_and_saveexec_b64 s[2:3], vcc
	s_cbranch_execz .LBB945_13
; %bb.12:
	v_lshlrev_b32_e32 v5, 1, v0
	global_load_ushort v5, v5, s[4:5] offset:2048
.LBB945_13:
	s_or_b64 exec, exec, s[2:3]
	v_or_b32_e32 v6, 0x500, v0
	v_cmp_gt_u32_e32 vcc, s33, v6
                                        ; implicit-def: $vgpr6
	s_and_saveexec_b64 s[2:3], vcc
	s_cbranch_execz .LBB945_15
; %bb.14:
	v_lshlrev_b32_e32 v6, 1, v0
	global_load_ushort v6, v6, s[4:5] offset:2560
.LBB945_15:
	s_or_b64 exec, exec, s[2:3]
	v_or_b32_e32 v7, 0x600, v0
	v_cmp_gt_u32_e32 vcc, s33, v7
                                        ; implicit-def: $vgpr7
	s_and_saveexec_b64 s[2:3], vcc
	s_cbranch_execz .LBB945_17
; %bb.16:
	v_lshlrev_b32_e32 v7, 1, v0
	global_load_ushort v7, v7, s[4:5] offset:3072
.LBB945_17:
	s_or_b64 exec, exec, s[2:3]
	v_or_b32_e32 v8, 0x700, v0
	v_cmp_gt_u32_e32 vcc, s33, v8
                                        ; implicit-def: $vgpr8
	s_and_saveexec_b64 s[2:3], vcc
	s_cbranch_execz .LBB945_19
; %bb.18:
	v_lshlrev_b32_e32 v8, 1, v0
	global_load_ushort v8, v8, s[4:5] offset:3584
.LBB945_19:
	s_or_b64 exec, exec, s[2:3]
	v_or_b32_e32 v10, 0x800, v0
	v_cmp_gt_u32_e32 vcc, s33, v10
                                        ; implicit-def: $vgpr9
	s_and_saveexec_b64 s[2:3], vcc
	s_cbranch_execz .LBB945_21
; %bb.20:
	v_lshlrev_b32_e32 v9, 1, v10
	global_load_ushort v9, v9, s[4:5]
.LBB945_21:
	s_or_b64 exec, exec, s[2:3]
	v_or_b32_e32 v11, 0x900, v0
	v_cmp_gt_u32_e32 vcc, s33, v11
                                        ; implicit-def: $vgpr10
	s_and_saveexec_b64 s[2:3], vcc
	s_cbranch_execz .LBB945_23
; %bb.22:
	v_lshlrev_b32_e32 v10, 1, v11
	global_load_ushort v10, v10, s[4:5]
.LBB945_23:
	s_or_b64 exec, exec, s[2:3]
	v_or_b32_e32 v12, 0xa00, v0
	v_cmp_gt_u32_e32 vcc, s33, v12
                                        ; implicit-def: $vgpr11
	s_and_saveexec_b64 s[2:3], vcc
	s_cbranch_execz .LBB945_25
; %bb.24:
	v_lshlrev_b32_e32 v11, 1, v12
	global_load_ushort v11, v11, s[4:5]
.LBB945_25:
	s_or_b64 exec, exec, s[2:3]
	v_or_b32_e32 v13, 0xb00, v0
	v_cmp_gt_u32_e32 vcc, s33, v13
                                        ; implicit-def: $vgpr12
	s_and_saveexec_b64 s[2:3], vcc
	s_cbranch_execz .LBB945_27
; %bb.26:
	v_lshlrev_b32_e32 v12, 1, v13
	global_load_ushort v12, v12, s[4:5]
.LBB945_27:
	s_or_b64 exec, exec, s[2:3]
	v_or_b32_e32 v14, 0xc00, v0
	v_cmp_gt_u32_e32 vcc, s33, v14
                                        ; implicit-def: $vgpr13
	s_and_saveexec_b64 s[2:3], vcc
	s_cbranch_execz .LBB945_29
; %bb.28:
	v_lshlrev_b32_e32 v13, 1, v14
	global_load_ushort v13, v13, s[4:5]
.LBB945_29:
	s_or_b64 exec, exec, s[2:3]
	v_or_b32_e32 v15, 0xd00, v0
	v_cmp_gt_u32_e32 vcc, s33, v15
                                        ; implicit-def: $vgpr14
	s_and_saveexec_b64 s[2:3], vcc
	s_cbranch_execz .LBB945_31
; %bb.30:
	v_lshlrev_b32_e32 v14, 1, v15
	global_load_ushort v14, v14, s[4:5]
.LBB945_31:
	s_or_b64 exec, exec, s[2:3]
	v_or_b32_e32 v16, 0xe00, v0
	v_cmp_gt_u32_e32 vcc, s33, v16
                                        ; implicit-def: $vgpr15
	s_and_saveexec_b64 s[2:3], vcc
	s_cbranch_execz .LBB945_33
; %bb.32:
	v_lshlrev_b32_e32 v15, 1, v16
	global_load_ushort v15, v15, s[4:5]
.LBB945_33:
	s_or_b64 exec, exec, s[2:3]
	v_lshlrev_b32_e32 v16, 1, v0
	v_mad_u32_u24 v17, v0, 28, v16
	s_waitcnt vmcnt(0)
	ds_write_b16 v16, v1
	ds_write_b16 v16, v2 offset:512
	ds_write_b16 v16, v3 offset:1024
	;; [unrolled: 1-line block ×14, first 2 shown]
	s_waitcnt lgkmcnt(0)
	s_barrier
	ds_read_u16 v1, v17
	ds_read_b128 v[2:5], v17 offset:2
	ds_read_b96 v[12:14], v17 offset:18
	s_movk_i32 s2, 0xffe6
	v_mul_u32_u24_e32 v6, 15, v0
	v_mad_u32_u24 v7, v0, 15, 1
	v_mad_u32_u24 v11, v0, 15, 3
	;; [unrolled: 1-line block ×7, first 2 shown]
	v_mad_i32_i24 v17, v0, s2, v17
	v_mov_b32_e32 v18, s7
	s_waitcnt lgkmcnt(0)
	s_barrier
	ds_write2st64_b32 v17, v18, v18 offset1:4
	ds_write2st64_b32 v17, v18, v18 offset0:8 offset1:12
	ds_write2st64_b32 v17, v18, v18 offset0:16 offset1:20
	;; [unrolled: 1-line block ×6, first 2 shown]
	ds_write_b32 v17, v18 offset:14336
	s_waitcnt lgkmcnt(0)
	s_barrier
.LBB945_34:
	v_lshlrev_b32_e32 v6, 2, v6
	ds_read2_b32 v[54:55], v6 offset1:2
	ds_read2_b32 v[52:53], v6 offset0:4 offset1:6
	ds_read2_b32 v[50:51], v6 offset0:8 offset1:10
	;; [unrolled: 1-line block ×3, first 2 shown]
	v_lshlrev_b32_e32 v6, 2, v7
	v_lshlrev_b32_e32 v7, 2, v11
	;; [unrolled: 1-line block ×7, first 2 shown]
	ds_read_b32 v76, v6
	ds_read_b32 v75, v7
	ds_read_b32 v74, v10
	ds_read_b32 v73, v9
	ds_read_b32 v72, v8
	ds_read_b32 v71, v11
	ds_read_b32 v70, v15
	s_cmp_eq_u64 s[8:9], 0
	s_cselect_b64 s[42:43], -1, 0
	s_cmp_lg_u64 s[8:9], 0
	s_mov_b64 s[2:3], 0
	s_cselect_b64 s[10:11], -1, 0
	s_and_b64 vcc, exec, s[0:1]
	s_waitcnt lgkmcnt(0)
	s_barrier
	s_cbranch_vccz .LBB945_40
; %bb.35:
	s_and_b64 vcc, exec, s[10:11]
	s_cbranch_vccz .LBB945_41
; %bb.36:
	v_mov_b32_e32 v6, 0
	global_load_ushort v6, v6, s[4:5] offset:-2
	v_lshrrev_b32_e32 v8, 16, v14
	v_lshlrev_b32_e32 v7, 1, v0
	v_cmp_neq_f16_e32 vcc, v14, v8
	v_cmp_neq_f16_sdwa s[12:13], v13, v14 src0_sel:WORD_1 src1_sel:DWORD
	v_cmp_neq_f16_sdwa s[14:15], v13, v13 src0_sel:DWORD src1_sel:WORD_1
	v_cmp_neq_f16_sdwa s[16:17], v12, v13 src0_sel:WORD_1 src1_sel:DWORD
	v_cmp_neq_f16_sdwa s[18:19], v12, v12 src0_sel:DWORD src1_sel:WORD_1
	;; [unrolled: 2-line block ×6, first 2 shown]
	v_cmp_neq_f16_e64 s[0:1], v1, v2
	v_cmp_ne_u32_e64 s[2:3], 0, v0
	ds_write_b16 v7, v8
	s_waitcnt lgkmcnt(0)
	s_barrier
	s_and_saveexec_b64 s[58:59], s[2:3]
	s_cbranch_execz .LBB945_38
; %bb.37:
	s_waitcnt vmcnt(0)
	v_add_u32_e32 v6, -2, v7
	ds_read_u16 v6, v6
.LBB945_38:
	s_or_b64 exec, exec, s[58:59]
	v_cndmask_b32_e64 v15, 0, 1, vcc
	v_cndmask_b32_e64 v56, 0, 1, s[12:13]
	v_cndmask_b32_e64 v57, 0, 1, s[14:15]
	;; [unrolled: 1-line block ×13, first 2 shown]
	s_waitcnt vmcnt(0) lgkmcnt(0)
	v_cmp_neq_f16_e64 s[0:1], v1, v6
	s_mov_b64 s[2:3], -1
.LBB945_39:
                                        ; implicit-def: $sgpr7
	s_branch .LBB945_53
.LBB945_40:
                                        ; implicit-def: $sgpr0_sgpr1
                                        ; implicit-def: $vgpr15
                                        ; implicit-def: $vgpr56
                                        ; implicit-def: $vgpr57
                                        ; implicit-def: $vgpr58
                                        ; implicit-def: $vgpr59
                                        ; implicit-def: $vgpr60
                                        ; implicit-def: $vgpr61
                                        ; implicit-def: $vgpr62
                                        ; implicit-def: $vgpr63
                                        ; implicit-def: $vgpr64
                                        ; implicit-def: $vgpr65
                                        ; implicit-def: $vgpr66
                                        ; implicit-def: $vgpr67
                                        ; implicit-def: $vgpr68
                                        ; implicit-def: $sgpr7
	s_cbranch_execnz .LBB945_45
	s_branch .LBB945_53
.LBB945_41:
                                        ; implicit-def: $sgpr0_sgpr1
                                        ; implicit-def: $vgpr15
                                        ; implicit-def: $vgpr56
                                        ; implicit-def: $vgpr57
                                        ; implicit-def: $vgpr58
                                        ; implicit-def: $vgpr59
                                        ; implicit-def: $vgpr60
                                        ; implicit-def: $vgpr61
                                        ; implicit-def: $vgpr62
                                        ; implicit-def: $vgpr63
                                        ; implicit-def: $vgpr64
                                        ; implicit-def: $vgpr65
                                        ; implicit-def: $vgpr66
                                        ; implicit-def: $vgpr67
                                        ; implicit-def: $vgpr68
	s_cbranch_execz .LBB945_39
; %bb.42:
	v_cmp_neq_f16_sdwa s[0:1], v13, v14 src0_sel:WORD_1 src1_sel:DWORD
	v_cndmask_b32_e64 v56, 0, 1, s[0:1]
	v_cmp_neq_f16_sdwa s[0:1], v13, v13 src0_sel:DWORD src1_sel:WORD_1
	v_cndmask_b32_e64 v57, 0, 1, s[0:1]
	v_cmp_neq_f16_sdwa s[0:1], v12, v13 src0_sel:WORD_1 src1_sel:DWORD
	v_cndmask_b32_e64 v58, 0, 1, s[0:1]
	v_cmp_neq_f16_sdwa s[0:1], v12, v12 src0_sel:DWORD src1_sel:WORD_1
	v_cndmask_b32_e64 v59, 0, 1, s[0:1]
	;; [unrolled: 4-line block ×4, first 2 shown]
	v_cmp_neq_f16_sdwa s[0:1], v3, v4 src0_sel:WORD_1 src1_sel:DWORD
	v_lshrrev_b32_e32 v7, 16, v14
	v_cndmask_b32_e64 v64, 0, 1, s[0:1]
	v_cmp_neq_f16_sdwa s[0:1], v3, v3 src0_sel:DWORD src1_sel:WORD_1
	v_cmp_neq_f16_e32 vcc, v14, v7
	v_cndmask_b32_e64 v65, 0, 1, s[0:1]
	v_cmp_neq_f16_sdwa s[0:1], v2, v3 src0_sel:WORD_1 src1_sel:DWORD
	v_cndmask_b32_e64 v15, 0, 1, vcc
	v_cndmask_b32_e64 v66, 0, 1, s[0:1]
	v_cmp_neq_f16_sdwa s[0:1], v2, v2 src0_sel:DWORD src1_sel:WORD_1
	v_cmp_neq_f16_e32 vcc, v1, v2
	s_mov_b32 s7, 1
	v_lshlrev_b32_e32 v6, 1, v0
	v_cndmask_b32_e64 v67, 0, 1, s[0:1]
	v_cndmask_b32_e64 v68, 0, 1, vcc
	v_cmp_ne_u32_e32 vcc, 0, v0
	ds_write_b16 v6, v7
	s_waitcnt lgkmcnt(0)
	s_barrier
	s_waitcnt lgkmcnt(0)
                                        ; implicit-def: $sgpr0_sgpr1
	s_and_saveexec_b64 s[12:13], vcc
	s_xor_b64 s[12:13], exec, s[12:13]
	s_cbranch_execz .LBB945_44
; %bb.43:
	v_add_u32_e32 v6, -2, v6
	ds_read_u16 v6, v6
	s_or_b64 s[2:3], s[2:3], exec
	s_waitcnt lgkmcnt(0)
	v_cmp_neq_f16_e32 vcc, v6, v1
	s_and_b64 s[0:1], vcc, exec
.LBB945_44:
	s_or_b64 exec, exec, s[12:13]
	s_branch .LBB945_53
.LBB945_45:
	s_mul_hi_u32 s1, s8, 0xfffff100
	s_mul_i32 s0, s9, 0xfffff100
	s_sub_i32 s1, s1, s8
	s_add_i32 s1, s1, s0
	s_mul_i32 s0, s8, 0xfffff100
	s_add_u32 s8, s0, s48
	s_addc_u32 s9, s1, s49
	s_and_b64 vcc, exec, s[10:11]
	s_cbranch_vccz .LBB945_50
; %bb.46:
	v_mov_b32_e32 v7, 0
	global_load_ushort v10, v7, s[4:5] offset:-2
	v_lshrrev_b32_e32 v11, 16, v14
	v_mad_u32_u24 v6, v0, 15, 14
	v_cmp_gt_u64_e32 vcc, s[8:9], v[6:7]
	v_cmp_neq_f16_e64 s[0:1], v14, v11
	v_mad_u32_u24 v6, v0, 15, 13
	s_and_b64 s[2:3], vcc, s[0:1]
	v_cmp_gt_u64_e32 vcc, s[8:9], v[6:7]
	v_cmp_neq_f16_sdwa s[0:1], v13, v14 src0_sel:WORD_1 src1_sel:DWORD
	v_mad_u32_u24 v6, v0, 15, 12
	s_and_b64 s[4:5], vcc, s[0:1]
	v_cmp_gt_u64_e32 vcc, s[8:9], v[6:7]
	v_cmp_neq_f16_sdwa s[0:1], v13, v13 src0_sel:DWORD src1_sel:WORD_1
	v_mad_u32_u24 v6, v0, 15, 11
	s_and_b64 s[10:11], vcc, s[0:1]
	v_cmp_gt_u64_e32 vcc, s[8:9], v[6:7]
	v_cmp_neq_f16_sdwa s[0:1], v12, v13 src0_sel:WORD_1 src1_sel:DWORD
	v_mad_u32_u24 v6, v0, 15, 10
	s_and_b64 s[12:13], vcc, s[0:1]
	v_cmp_gt_u64_e32 vcc, s[8:9], v[6:7]
	v_cmp_neq_f16_sdwa s[0:1], v12, v12 src0_sel:DWORD src1_sel:WORD_1
	;; [unrolled: 8-line block ×6, first 2 shown]
	v_mad_u32_u24 v6, v0, 15, 1
	s_and_b64 s[30:31], vcc, s[0:1]
	v_cmp_gt_u64_e32 vcc, s[8:9], v[6:7]
	v_cmp_neq_f16_e64 s[0:1], v1, v2
	v_lshlrev_b32_e32 v9, 1, v0
	v_mul_u32_u24_e32 v8, 15, v0
	s_and_b64 s[0:1], vcc, s[0:1]
	v_cmp_ne_u32_e32 vcc, 0, v0
	ds_write_b16 v9, v11
	s_waitcnt lgkmcnt(0)
	s_barrier
	s_and_saveexec_b64 s[48:49], vcc
	s_cbranch_execz .LBB945_48
; %bb.47:
	v_add_u32_e32 v6, -2, v9
	s_waitcnt vmcnt(0)
	ds_read_u16 v10, v6
.LBB945_48:
	s_or_b64 exec, exec, s[48:49]
	v_mov_b32_e32 v9, v7
	v_cndmask_b32_e64 v68, 0, 1, s[0:1]
	v_cmp_gt_u64_e32 vcc, s[8:9], v[8:9]
	s_waitcnt vmcnt(0) lgkmcnt(0)
	v_cmp_neq_f16_e64 s[0:1], v1, v10
	v_cndmask_b32_e64 v15, 0, 1, s[2:3]
	v_cndmask_b32_e64 v56, 0, 1, s[4:5]
	;; [unrolled: 1-line block ×13, first 2 shown]
	s_and_b64 s[0:1], vcc, s[0:1]
	s_mov_b64 s[2:3], -1
.LBB945_49:
                                        ; implicit-def: $sgpr7
	v_mov_b32_e32 v69, s7
	s_and_saveexec_b64 s[4:5], s[2:3]
	s_cbranch_execnz .LBB945_54
	s_branch .LBB945_55
.LBB945_50:
                                        ; implicit-def: $sgpr0_sgpr1
                                        ; implicit-def: $vgpr15
                                        ; implicit-def: $vgpr56
                                        ; implicit-def: $vgpr57
                                        ; implicit-def: $vgpr58
                                        ; implicit-def: $vgpr59
                                        ; implicit-def: $vgpr60
                                        ; implicit-def: $vgpr61
                                        ; implicit-def: $vgpr62
                                        ; implicit-def: $vgpr63
                                        ; implicit-def: $vgpr64
                                        ; implicit-def: $vgpr65
                                        ; implicit-def: $vgpr66
                                        ; implicit-def: $vgpr67
                                        ; implicit-def: $vgpr68
	s_cbranch_execz .LBB945_49
; %bb.51:
	v_lshrrev_b32_e32 v9, 16, v14
	v_mad_u32_u24 v6, v0, 15, 14
	v_mov_b32_e32 v7, 0
	v_cmp_gt_u64_e32 vcc, s[8:9], v[6:7]
	v_cmp_neq_f16_e64 s[0:1], v14, v9
	s_and_b64 s[0:1], vcc, s[0:1]
	v_mad_u32_u24 v6, v0, 15, 13
	v_cndmask_b32_e64 v15, 0, 1, s[0:1]
	v_cmp_gt_u64_e32 vcc, s[8:9], v[6:7]
	v_cmp_neq_f16_sdwa s[0:1], v13, v14 src0_sel:WORD_1 src1_sel:DWORD
	s_and_b64 s[0:1], vcc, s[0:1]
	v_mad_u32_u24 v6, v0, 15, 12
	v_cndmask_b32_e64 v56, 0, 1, s[0:1]
	v_cmp_gt_u64_e32 vcc, s[8:9], v[6:7]
	v_cmp_neq_f16_sdwa s[0:1], v13, v13 src0_sel:DWORD src1_sel:WORD_1
	s_and_b64 s[0:1], vcc, s[0:1]
	v_mad_u32_u24 v6, v0, 15, 11
	v_cndmask_b32_e64 v57, 0, 1, s[0:1]
	v_cmp_gt_u64_e32 vcc, s[8:9], v[6:7]
	v_cmp_neq_f16_sdwa s[0:1], v12, v13 src0_sel:WORD_1 src1_sel:DWORD
	s_and_b64 s[0:1], vcc, s[0:1]
	v_mad_u32_u24 v6, v0, 15, 10
	v_cndmask_b32_e64 v58, 0, 1, s[0:1]
	v_cmp_gt_u64_e32 vcc, s[8:9], v[6:7]
	v_cmp_neq_f16_sdwa s[0:1], v12, v12 src0_sel:DWORD src1_sel:WORD_1
	;; [unrolled: 10-line block ×6, first 2 shown]
	s_and_b64 s[0:1], vcc, s[0:1]
	v_mad_u32_u24 v6, v0, 15, 1
	v_cndmask_b32_e64 v67, 0, 1, s[0:1]
	v_cmp_gt_u64_e32 vcc, s[8:9], v[6:7]
	v_cmp_neq_f16_e64 s[0:1], v1, v2
	s_and_b64 s[0:1], vcc, s[0:1]
	s_mov_b32 s7, 1
	v_lshlrev_b32_e32 v8, 1, v0
	v_cndmask_b32_e64 v68, 0, 1, s[0:1]
	v_cmp_ne_u32_e32 vcc, 0, v0
	ds_write_b16 v8, v9
	s_waitcnt lgkmcnt(0)
	s_barrier
	s_waitcnt lgkmcnt(0)
                                        ; implicit-def: $sgpr0_sgpr1
	s_and_saveexec_b64 s[4:5], vcc
	s_cbranch_execz .LBB945_150
; %bb.52:
	v_add_u32_e32 v6, -2, v8
	ds_read_u16 v8, v6
	v_mul_u32_u24_e32 v6, 15, v0
	v_cmp_gt_u64_e32 vcc, s[8:9], v[6:7]
	s_or_b64 s[2:3], s[2:3], exec
	s_waitcnt lgkmcnt(0)
	v_cmp_neq_f16_e64 s[0:1], v8, v1
	s_and_b64 s[0:1], vcc, s[0:1]
	s_and_b64 s[0:1], s[0:1], exec
	s_or_b64 exec, exec, s[4:5]
.LBB945_53:
	v_mov_b32_e32 v69, s7
	s_and_saveexec_b64 s[4:5], s[2:3]
.LBB945_54:
	v_cndmask_b32_e64 v69, 0, 1, s[0:1]
.LBB945_55:
	s_or_b64 exec, exec, s[4:5]
	s_cmp_eq_u64 s[38:39], 0
	v_add3_u32 v6, v68, v69, v67
	s_cselect_b64 s[38:39], -1, 0
	s_cmp_lg_u32 s6, 0
	v_cmp_eq_u32_e64 s[24:25], 0, v68
	v_cmp_eq_u32_e64 s[22:23], 0, v67
	;; [unrolled: 1-line block ×3, first 2 shown]
	v_add3_u32 v80, v6, v66, v65
	v_cmp_eq_u32_e64 s[18:19], 0, v65
	v_cmp_eq_u32_e64 s[16:17], 0, v64
	;; [unrolled: 1-line block ×10, first 2 shown]
	v_cmp_eq_u32_e32 vcc, 0, v15
	v_mbcnt_lo_u32_b32 v79, -1, 0
	v_lshrrev_b32_e32 v77, 6, v0
	v_or_b32_e32 v78, 63, v0
	s_cbranch_scc0 .LBB945_86
; %bb.56:
	v_cndmask_b32_e64 v6, 0, v54, s[24:25]
	v_add_u32_e32 v6, v6, v76
	v_cndmask_b32_e64 v6, 0, v6, s[22:23]
	v_add_u32_e32 v6, v6, v55
	;; [unrolled: 2-line block ×11, first 2 shown]
	v_cndmask_b32_e64 v6, 0, v6, s[2:3]
	v_add3_u32 v7, v80, v64, v63
	v_add_u32_e32 v6, v6, v46
	v_add3_u32 v7, v7, v62, v61
	v_cndmask_b32_e64 v6, 0, v6, s[0:1]
	v_add3_u32 v7, v7, v60, v59
	v_add_u32_e32 v6, v6, v70
	v_add3_u32 v7, v7, v58, v57
	v_cndmask_b32_e32 v6, 0, v6, vcc
	v_add3_u32 v7, v7, v56, v15
	v_add_u32_e32 v6, v6, v47
	v_mbcnt_hi_u32_b32 v19, -1, v79
	v_and_b32_e32 v8, 15, v19
	v_mov_b32_dpp v10, v6 row_shr:1 row_mask:0xf bank_mask:0xf
	v_cmp_eq_u32_e32 vcc, 0, v7
	v_mov_b32_dpp v9, v7 row_shr:1 row_mask:0xf bank_mask:0xf
	v_cndmask_b32_e32 v10, 0, v10, vcc
	v_cmp_eq_u32_e32 vcc, 0, v8
	v_cndmask_b32_e64 v9, v9, 0, vcc
	v_add_u32_e32 v7, v9, v7
	v_cndmask_b32_e64 v9, v10, 0, vcc
	v_add_u32_e32 v6, v9, v6
	v_cmp_eq_u32_e32 vcc, 0, v7
	v_mov_b32_dpp v9, v7 row_shr:2 row_mask:0xf bank_mask:0xf
	v_cmp_lt_u32_e64 s[26:27], 1, v8
	v_mov_b32_dpp v10, v6 row_shr:2 row_mask:0xf bank_mask:0xf
	v_cndmask_b32_e64 v9, 0, v9, s[26:27]
	s_and_b64 vcc, s[26:27], vcc
	v_cndmask_b32_e32 v10, 0, v10, vcc
	v_add_u32_e32 v7, v7, v9
	v_add_u32_e32 v6, v10, v6
	v_cmp_eq_u32_e32 vcc, 0, v7
	v_mov_b32_dpp v9, v7 row_shr:4 row_mask:0xf bank_mask:0xf
	v_cmp_lt_u32_e64 s[26:27], 3, v8
	v_mov_b32_dpp v10, v6 row_shr:4 row_mask:0xf bank_mask:0xf
	v_cndmask_b32_e64 v9, 0, v9, s[26:27]
	s_and_b64 vcc, s[26:27], vcc
	v_cndmask_b32_e32 v10, 0, v10, vcc
	v_add_u32_e32 v7, v9, v7
	v_add_u32_e32 v6, v6, v10
	v_cmp_eq_u32_e32 vcc, 0, v7
	v_cmp_lt_u32_e64 s[26:27], 7, v8
	v_mov_b32_dpp v9, v7 row_shr:8 row_mask:0xf bank_mask:0xf
	v_mov_b32_dpp v10, v6 row_shr:8 row_mask:0xf bank_mask:0xf
	s_and_b64 vcc, s[26:27], vcc
	v_cndmask_b32_e64 v8, 0, v9, s[26:27]
	v_cndmask_b32_e32 v9, 0, v10, vcc
	v_add_u32_e32 v6, v9, v6
	v_add_u32_e32 v7, v8, v7
	v_bfe_i32 v10, v19, 4, 1
	v_mov_b32_dpp v9, v6 row_bcast:15 row_mask:0xf bank_mask:0xf
	v_mov_b32_dpp v8, v7 row_bcast:15 row_mask:0xf bank_mask:0xf
	v_cmp_eq_u32_e32 vcc, 0, v7
	v_cndmask_b32_e32 v9, 0, v9, vcc
	v_and_b32_e32 v8, v10, v8
	v_add_u32_e32 v7, v8, v7
	v_and_b32_e32 v8, v10, v9
	v_add_u32_e32 v8, v8, v6
	v_mov_b32_dpp v6, v7 row_bcast:31 row_mask:0xf bank_mask:0xf
	v_cmp_eq_u32_e32 vcc, 0, v7
	v_cmp_lt_u32_e64 s[26:27], 31, v19
	v_mov_b32_dpp v9, v8 row_bcast:31 row_mask:0xf bank_mask:0xf
	v_cndmask_b32_e64 v6, 0, v6, s[26:27]
	s_and_b64 vcc, s[26:27], vcc
	v_add_u32_e32 v6, v6, v7
	v_cndmask_b32_e32 v7, 0, v9, vcc
	v_add_u32_e32 v7, v7, v8
	v_cmp_eq_u32_e32 vcc, v78, v0
	v_lshlrev_b32_e32 v8, 3, v77
	s_and_saveexec_b64 s[26:27], vcc
	s_cbranch_execz .LBB945_58
; %bb.57:
	ds_write_b64 v8, v[6:7] offset:1040
.LBB945_58:
	s_or_b64 exec, exec, s[26:27]
	v_cmp_gt_u32_e32 vcc, 4, v0
	s_waitcnt lgkmcnt(0)
	s_barrier
	s_and_saveexec_b64 s[30:31], vcc
	s_cbranch_execz .LBB945_60
; %bb.59:
	v_lshlrev_b32_e32 v9, 3, v0
	ds_read_b64 v[10:11], v9 offset:1040
	v_and_b32_e32 v16, 3, v19
	v_cmp_lt_u32_e64 s[26:27], 1, v16
	s_waitcnt lgkmcnt(0)
	v_mov_b32_dpp v18, v11 row_shr:1 row_mask:0xf bank_mask:0xf
	v_cmp_eq_u32_e32 vcc, 0, v10
	v_mov_b32_dpp v17, v10 row_shr:1 row_mask:0xf bank_mask:0xf
	v_cndmask_b32_e32 v18, 0, v18, vcc
	v_cmp_eq_u32_e32 vcc, 0, v16
	v_cndmask_b32_e64 v17, v17, 0, vcc
	v_add_u32_e32 v10, v17, v10
	v_cndmask_b32_e64 v17, v18, 0, vcc
	v_add_u32_e32 v11, v17, v11
	v_cmp_eq_u32_e32 vcc, 0, v10
	v_mov_b32_dpp v17, v10 row_shr:2 row_mask:0xf bank_mask:0xf
	v_mov_b32_dpp v18, v11 row_shr:2 row_mask:0xf bank_mask:0xf
	v_cndmask_b32_e64 v16, 0, v17, s[26:27]
	s_and_b64 vcc, s[26:27], vcc
	v_add_u32_e32 v10, v16, v10
	v_cndmask_b32_e32 v16, 0, v18, vcc
	v_add_u32_e32 v11, v16, v11
	ds_write_b64 v9, v[10:11] offset:1040
.LBB945_60:
	s_or_b64 exec, exec, s[30:31]
	v_cmp_gt_u32_e32 vcc, 64, v0
	v_cmp_lt_u32_e64 s[26:27], 63, v0
	v_mov_b32_e32 v16, 0
	v_mov_b32_e32 v17, 0
	s_waitcnt lgkmcnt(0)
	s_barrier
	s_and_saveexec_b64 s[30:31], s[26:27]
	s_cbranch_execz .LBB945_62
; %bb.61:
	ds_read_b64 v[16:17], v8 offset:1032
	v_cmp_eq_u32_e64 s[26:27], 0, v6
	s_waitcnt lgkmcnt(0)
	v_add_u32_e32 v8, v16, v6
	v_cndmask_b32_e64 v6, 0, v17, s[26:27]
	v_add_u32_e32 v7, v6, v7
	v_mov_b32_e32 v6, v8
.LBB945_62:
	s_or_b64 exec, exec, s[30:31]
	v_add_u32_e32 v8, -1, v19
	v_and_b32_e32 v9, 64, v19
	v_cmp_lt_i32_e64 s[26:27], v8, v9
	v_cndmask_b32_e64 v8, v8, v19, s[26:27]
	v_lshlrev_b32_e32 v8, 2, v8
	ds_bpermute_b32 v24, v8, v6
	ds_bpermute_b32 v25, v8, v7
	v_cmp_eq_u32_e64 s[26:27], 0, v19
	s_and_saveexec_b64 s[48:49], vcc
	s_cbranch_execz .LBB945_85
; %bb.63:
	v_mov_b32_e32 v11, 0
	ds_read_b64 v[6:7], v11 offset:1064
	s_waitcnt lgkmcnt(0)
	v_readfirstlane_b32 s7, v6
	v_readfirstlane_b32 s56, v7
	s_and_saveexec_b64 s[30:31], s[26:27]
	s_cbranch_execz .LBB945_65
; %bb.64:
	s_add_i32 s54, s6, 64
	s_mov_b32 s55, 0
	s_lshl_b64 s[58:59], s[54:55], 4
	s_add_u32 s58, s36, s58
	s_addc_u32 s59, s37, s59
	s_and_b32 s61, s56, 0xff000000
	s_mov_b32 s60, s55
	s_and_b32 s63, s56, 0xff0000
	s_mov_b32 s62, s55
	s_or_b64 s[60:61], s[62:63], s[60:61]
	s_and_b32 s63, s56, 0xff00
	s_or_b64 s[60:61], s[60:61], s[62:63]
	s_and_b32 s63, s56, 0xff
	s_or_b64 s[54:55], s[60:61], s[62:63]
	v_mov_b32_e32 v8, s7
	v_mov_b32_e32 v9, s55
	;; [unrolled: 1-line block ×3, first 2 shown]
	v_pk_mov_b32 v[6:7], s[58:59], s[58:59] op_sel:[0,1]
	;;#ASMSTART
	global_store_dwordx4 v[6:7], v[8:11] off	
s_waitcnt vmcnt(0)
	;;#ASMEND
.LBB945_65:
	s_or_b64 exec, exec, s[30:31]
	v_xad_u32 v18, v19, -1, s6
	v_add_u32_e32 v10, 64, v18
	v_lshlrev_b64 v[6:7], 4, v[10:11]
	v_mov_b32_e32 v8, s37
	v_add_co_u32_e32 v20, vcc, s36, v6
	v_addc_co_u32_e32 v21, vcc, v8, v7, vcc
	;;#ASMSTART
	global_load_dwordx4 v[6:9], v[20:21] off glc	
s_waitcnt vmcnt(0)
	;;#ASMEND
	v_and_b32_e32 v9, 0xff, v7
	v_and_b32_e32 v10, 0xff00, v7
	v_or3_b32 v9, 0, v9, v10
	v_or3_b32 v6, v6, 0, 0
	v_and_b32_e32 v10, 0xff000000, v7
	v_and_b32_e32 v7, 0xff0000, v7
	v_or3_b32 v7, v9, v7, v10
	v_or3_b32 v6, v6, 0, 0
	v_cmp_eq_u16_sdwa s[54:55], v8, v11 src0_sel:BYTE_0 src1_sel:DWORD
	s_and_saveexec_b64 s[30:31], s[54:55]
	s_cbranch_execz .LBB945_71
; %bb.66:
	s_mov_b32 s57, 1
	s_mov_b64 s[54:55], 0
	v_mov_b32_e32 v10, 0
.LBB945_67:                             ; =>This Loop Header: Depth=1
                                        ;     Child Loop BB945_68 Depth 2
	s_max_u32 s58, s57, 1
.LBB945_68:                             ;   Parent Loop BB945_67 Depth=1
                                        ; =>  This Inner Loop Header: Depth=2
	s_add_i32 s58, s58, -1
	s_cmp_eq_u32 s58, 0
	s_sleep 1
	s_cbranch_scc0 .LBB945_68
; %bb.69:                               ;   in Loop: Header=BB945_67 Depth=1
	s_cmp_lt_u32 s57, 32
	s_cselect_b64 s[58:59], -1, 0
	s_cmp_lg_u64 s[58:59], 0
	s_addc_u32 s57, s57, 0
	;;#ASMSTART
	global_load_dwordx4 v[6:9], v[20:21] off glc	
s_waitcnt vmcnt(0)
	;;#ASMEND
	v_cmp_ne_u16_sdwa s[58:59], v8, v10 src0_sel:BYTE_0 src1_sel:DWORD
	s_or_b64 s[54:55], s[58:59], s[54:55]
	s_andn2_b64 exec, exec, s[54:55]
	s_cbranch_execnz .LBB945_67
; %bb.70:
	s_or_b64 exec, exec, s[54:55]
.LBB945_71:
	s_or_b64 exec, exec, s[30:31]
	v_mov_b32_e32 v26, 2
	v_cmp_eq_u16_sdwa s[30:31], v8, v26 src0_sel:BYTE_0 src1_sel:DWORD
	v_lshlrev_b64 v[20:21], v19, -1
	v_and_b32_e32 v9, s31, v21
	v_and_b32_e32 v27, 63, v19
	v_or_b32_e32 v9, 0x80000000, v9
	v_cmp_ne_u32_e32 vcc, 63, v27
	v_and_b32_e32 v10, s30, v20
	v_ffbl_b32_e32 v9, v9
	v_addc_co_u32_e32 v11, vcc, 0, v19, vcc
	v_add_u32_e32 v9, 32, v9
	v_ffbl_b32_e32 v10, v10
	v_lshlrev_b32_e32 v28, 2, v11
	v_min_u32_e32 v9, v10, v9
	ds_bpermute_b32 v10, v28, v7
	v_cmp_eq_u32_e32 vcc, 0, v6
	v_cmp_lt_u32_e64 s[30:31], v27, v9
	ds_bpermute_b32 v11, v28, v6
	s_and_b64 vcc, s[30:31], vcc
	s_waitcnt lgkmcnt(1)
	v_cndmask_b32_e32 v10, 0, v10, vcc
	v_cmp_gt_u32_e32 vcc, 62, v27
	v_add_u32_e32 v7, v10, v7
	v_cndmask_b32_e64 v10, 0, 1, vcc
	v_lshlrev_b32_e32 v10, 1, v10
	v_add_lshl_u32 v29, v10, v19, 2
	s_waitcnt lgkmcnt(0)
	v_cndmask_b32_e64 v11, 0, v11, s[30:31]
	ds_bpermute_b32 v10, v29, v7
	v_add_u32_e32 v6, v11, v6
	ds_bpermute_b32 v11, v29, v6
	v_add_u32_e32 v30, 2, v27
	v_cmp_eq_u32_e32 vcc, 0, v6
	s_waitcnt lgkmcnt(1)
	v_cndmask_b32_e32 v10, 0, v10, vcc
	v_cmp_gt_u32_e32 vcc, v30, v9
	v_cndmask_b32_e64 v10, v10, 0, vcc
	v_add_u32_e32 v7, v10, v7
	s_waitcnt lgkmcnt(0)
	v_cndmask_b32_e64 v10, v11, 0, vcc
	v_cmp_gt_u32_e32 vcc, 60, v27
	v_cndmask_b32_e64 v11, 0, 1, vcc
	v_lshlrev_b32_e32 v11, 2, v11
	v_add_lshl_u32 v31, v11, v19, 2
	ds_bpermute_b32 v11, v31, v7
	v_add_u32_e32 v6, v6, v10
	ds_bpermute_b32 v10, v31, v6
	v_add_u32_e32 v32, 4, v27
	v_cmp_eq_u32_e32 vcc, 0, v6
	s_waitcnt lgkmcnt(1)
	v_cndmask_b32_e32 v11, 0, v11, vcc
	v_cmp_gt_u32_e32 vcc, v32, v9
	v_cndmask_b32_e64 v11, v11, 0, vcc
	s_waitcnt lgkmcnt(0)
	v_cndmask_b32_e64 v10, v10, 0, vcc
	v_cmp_gt_u32_e32 vcc, 56, v27
	v_add_u32_e32 v7, v7, v11
	v_cndmask_b32_e64 v11, 0, 1, vcc
	v_lshlrev_b32_e32 v11, 3, v11
	v_add_lshl_u32 v33, v11, v19, 2
	ds_bpermute_b32 v11, v33, v7
	v_add_u32_e32 v6, v6, v10
	ds_bpermute_b32 v10, v33, v6
	v_add_u32_e32 v34, 8, v27
	v_cmp_eq_u32_e32 vcc, 0, v6
	s_waitcnt lgkmcnt(1)
	v_cndmask_b32_e32 v11, 0, v11, vcc
	v_cmp_gt_u32_e32 vcc, v34, v9
	v_cndmask_b32_e64 v11, v11, 0, vcc
	s_waitcnt lgkmcnt(0)
	v_cndmask_b32_e64 v10, v10, 0, vcc
	v_cmp_gt_u32_e32 vcc, 48, v27
	v_add_u32_e32 v7, v7, v11
	;; [unrolled: 16-line block ×3, first 2 shown]
	v_cndmask_b32_e64 v11, 0, 1, vcc
	v_lshlrev_b32_e32 v11, 5, v11
	v_add_lshl_u32 v37, v11, v19, 2
	ds_bpermute_b32 v11, v37, v7
	v_add_u32_e32 v6, v6, v10
	ds_bpermute_b32 v10, v37, v6
	v_add_u32_e32 v38, 32, v27
	v_cmp_eq_u32_e32 vcc, 0, v6
	s_waitcnt lgkmcnt(1)
	v_cndmask_b32_e32 v11, 0, v11, vcc
	v_cmp_gt_u32_e32 vcc, v38, v9
	v_cndmask_b32_e64 v9, v11, 0, vcc
	v_add_u32_e32 v7, v9, v7
	s_waitcnt lgkmcnt(0)
	v_cndmask_b32_e64 v9, v10, 0, vcc
	v_add_u32_e32 v6, v9, v6
	v_mov_b32_e32 v19, 0
	s_branch .LBB945_73
.LBB945_72:                             ;   in Loop: Header=BB945_73 Depth=1
	s_or_b64 exec, exec, s[30:31]
	v_cmp_eq_u16_sdwa s[30:31], v8, v26 src0_sel:BYTE_0 src1_sel:DWORD
	v_and_b32_e32 v9, s31, v21
	v_or_b32_e32 v9, 0x80000000, v9
	v_and_b32_e32 v22, s30, v20
	v_ffbl_b32_e32 v9, v9
	v_add_u32_e32 v9, 32, v9
	v_ffbl_b32_e32 v22, v22
	v_min_u32_e32 v9, v22, v9
	ds_bpermute_b32 v22, v28, v7
	v_cmp_eq_u32_e32 vcc, 0, v6
	v_cmp_lt_u32_e64 s[30:31], v27, v9
	ds_bpermute_b32 v23, v28, v6
	s_and_b64 vcc, s[30:31], vcc
	s_waitcnt lgkmcnt(1)
	v_cndmask_b32_e32 v22, 0, v22, vcc
	v_add_u32_e32 v7, v22, v7
	ds_bpermute_b32 v22, v29, v7
	s_waitcnt lgkmcnt(1)
	v_cndmask_b32_e64 v23, 0, v23, s[30:31]
	v_add_u32_e32 v6, v23, v6
	v_cmp_eq_u32_e32 vcc, 0, v6
	ds_bpermute_b32 v23, v29, v6
	s_waitcnt lgkmcnt(1)
	v_cndmask_b32_e32 v22, 0, v22, vcc
	v_cmp_gt_u32_e32 vcc, v30, v9
	v_cndmask_b32_e64 v22, v22, 0, vcc
	v_add_u32_e32 v7, v22, v7
	ds_bpermute_b32 v22, v31, v7
	s_waitcnt lgkmcnt(1)
	v_cndmask_b32_e64 v23, v23, 0, vcc
	v_add_u32_e32 v6, v6, v23
	v_cmp_eq_u32_e32 vcc, 0, v6
	ds_bpermute_b32 v23, v31, v6
	s_waitcnt lgkmcnt(1)
	v_cndmask_b32_e32 v22, 0, v22, vcc
	v_cmp_gt_u32_e32 vcc, v32, v9
	v_cndmask_b32_e64 v22, v22, 0, vcc
	v_add_u32_e32 v7, v7, v22
	ds_bpermute_b32 v22, v33, v7
	s_waitcnt lgkmcnt(1)
	v_cndmask_b32_e64 v23, v23, 0, vcc
	v_add_u32_e32 v6, v6, v23
	ds_bpermute_b32 v23, v33, v6
	v_cmp_eq_u32_e32 vcc, 0, v6
	s_waitcnt lgkmcnt(1)
	v_cndmask_b32_e32 v22, 0, v22, vcc
	v_cmp_gt_u32_e32 vcc, v34, v9
	v_cndmask_b32_e64 v22, v22, 0, vcc
	v_add_u32_e32 v7, v7, v22
	ds_bpermute_b32 v22, v35, v7
	s_waitcnt lgkmcnt(1)
	v_cndmask_b32_e64 v23, v23, 0, vcc
	v_add_u32_e32 v6, v6, v23
	ds_bpermute_b32 v23, v35, v6
	v_cmp_eq_u32_e32 vcc, 0, v6
	;; [unrolled: 11-line block ×3, first 2 shown]
	s_waitcnt lgkmcnt(1)
	v_cndmask_b32_e32 v22, 0, v22, vcc
	v_cmp_gt_u32_e32 vcc, v38, v9
	v_cndmask_b32_e64 v9, v22, 0, vcc
	v_add_u32_e32 v7, v9, v7
	s_waitcnt lgkmcnt(0)
	v_cndmask_b32_e64 v9, v23, 0, vcc
	v_cmp_eq_u32_e32 vcc, 0, v10
	v_cndmask_b32_e32 v7, 0, v7, vcc
	v_subrev_u32_e32 v18, 64, v18
	v_add3_u32 v6, v6, v10, v9
	v_add_u32_e32 v7, v7, v11
.LBB945_73:                             ; =>This Loop Header: Depth=1
                                        ;     Child Loop BB945_76 Depth 2
                                        ;       Child Loop BB945_77 Depth 3
	v_cmp_ne_u16_sdwa s[30:31], v8, v26 src0_sel:BYTE_0 src1_sel:DWORD
	v_mov_b32_e32 v11, v7
	v_cndmask_b32_e64 v7, 0, 1, s[30:31]
	;;#ASMSTART
	;;#ASMEND
	v_cmp_ne_u32_e32 vcc, 0, v7
	s_cmp_lg_u64 vcc, exec
	v_mov_b32_e32 v10, v6
	s_cbranch_scc1 .LBB945_80
; %bb.74:                               ;   in Loop: Header=BB945_73 Depth=1
	v_lshlrev_b64 v[6:7], 4, v[18:19]
	v_mov_b32_e32 v8, s37
	v_add_co_u32_e32 v22, vcc, s36, v6
	v_addc_co_u32_e32 v23, vcc, v8, v7, vcc
	;;#ASMSTART
	global_load_dwordx4 v[6:9], v[22:23] off glc	
s_waitcnt vmcnt(0)
	;;#ASMEND
	v_and_b32_e32 v9, 0xff, v7
	v_and_b32_e32 v39, 0xff00, v7
	v_or3_b32 v9, 0, v9, v39
	v_or3_b32 v6, v6, 0, 0
	v_and_b32_e32 v39, 0xff000000, v7
	v_and_b32_e32 v7, 0xff0000, v7
	v_or3_b32 v7, v9, v7, v39
	v_or3_b32 v6, v6, 0, 0
	v_cmp_eq_u16_sdwa s[54:55], v8, v19 src0_sel:BYTE_0 src1_sel:DWORD
	s_and_saveexec_b64 s[30:31], s[54:55]
	s_cbranch_execz .LBB945_72
; %bb.75:                               ;   in Loop: Header=BB945_73 Depth=1
	s_mov_b32 s57, 1
	s_mov_b64 s[54:55], 0
.LBB945_76:                             ;   Parent Loop BB945_73 Depth=1
                                        ; =>  This Loop Header: Depth=2
                                        ;       Child Loop BB945_77 Depth 3
	s_max_u32 s58, s57, 1
.LBB945_77:                             ;   Parent Loop BB945_73 Depth=1
                                        ;     Parent Loop BB945_76 Depth=2
                                        ; =>    This Inner Loop Header: Depth=3
	s_add_i32 s58, s58, -1
	s_cmp_eq_u32 s58, 0
	s_sleep 1
	s_cbranch_scc0 .LBB945_77
; %bb.78:                               ;   in Loop: Header=BB945_76 Depth=2
	s_cmp_lt_u32 s57, 32
	s_cselect_b64 s[58:59], -1, 0
	s_cmp_lg_u64 s[58:59], 0
	s_addc_u32 s57, s57, 0
	;;#ASMSTART
	global_load_dwordx4 v[6:9], v[22:23] off glc	
s_waitcnt vmcnt(0)
	;;#ASMEND
	v_cmp_ne_u16_sdwa s[58:59], v8, v19 src0_sel:BYTE_0 src1_sel:DWORD
	s_or_b64 s[54:55], s[58:59], s[54:55]
	s_andn2_b64 exec, exec, s[54:55]
	s_cbranch_execnz .LBB945_76
; %bb.79:                               ;   in Loop: Header=BB945_73 Depth=1
	s_or_b64 exec, exec, s[54:55]
	s_branch .LBB945_72
.LBB945_80:                             ;   in Loop: Header=BB945_73 Depth=1
                                        ; implicit-def: $vgpr7
                                        ; implicit-def: $vgpr6
                                        ; implicit-def: $vgpr8
	s_cbranch_execz .LBB945_73
; %bb.81:
	s_and_saveexec_b64 s[30:31], s[26:27]
	s_cbranch_execz .LBB945_83
; %bb.82:
	s_cmp_eq_u32 s7, 0
	s_cselect_b64 vcc, -1, 0
	s_mov_b32 s55, 0
	v_cndmask_b32_e32 v6, 0, v11, vcc
	s_add_i32 s54, s6, 64
	v_add_u32_e32 v6, s56, v6
	s_lshl_b64 s[54:55], s[54:55], 4
	s_add_u32 s54, s36, s54
	v_and_b32_e32 v7, 0xff000000, v6
	v_and_b32_e32 v8, 0xff0000, v6
	s_addc_u32 s55, s37, s55
	v_or_b32_e32 v7, v8, v7
	v_and_b32_e32 v8, 0xff00, v6
	v_and_b32_e32 v6, 0xff, v6
	v_add_u32_e32 v18, s7, v10
	v_mov_b32_e32 v21, 0
	v_or3_b32 v19, v7, v8, v6
	v_mov_b32_e32 v20, 2
	v_pk_mov_b32 v[6:7], s[54:55], s[54:55] op_sel:[0,1]
	;;#ASMSTART
	global_store_dwordx4 v[6:7], v[18:21] off	
s_waitcnt vmcnt(0)
	;;#ASMEND
	v_mov_b32_e32 v8, s7
	v_mov_b32_e32 v9, s56
	ds_write_b128 v21, v[8:11] offset:1024
.LBB945_83:
	s_or_b64 exec, exec, s[30:31]
	v_cmp_eq_u32_e32 vcc, 0, v0
	s_and_b64 exec, exec, vcc
	s_cbranch_execz .LBB945_85
; %bb.84:
	v_mov_b32_e32 v6, 0
	ds_write_b64 v6, v[10:11] offset:1064
.LBB945_85:
	s_or_b64 exec, exec, s[48:49]
	v_mov_b32_e32 v8, 0
	s_waitcnt lgkmcnt(0)
	s_barrier
	ds_read_b64 v[6:7], v8 offset:1064
	v_cndmask_b32_e64 v10, v24, v16, s[26:27]
	v_cmp_eq_u32_e32 vcc, 0, v10
	v_cndmask_b32_e64 v9, v25, v17, s[26:27]
	s_waitcnt lgkmcnt(0)
	v_cndmask_b32_e32 v11, 0, v7, vcc
	v_add_u32_e32 v9, v11, v9
	v_cmp_eq_u32_e32 vcc, 0, v0
	v_cndmask_b32_e32 v49, v9, v7, vcc
	v_cndmask_b32_e64 v7, v10, 0, vcc
	v_cmp_eq_u32_e32 vcc, 0, v69
	v_add_u32_e32 v48, v6, v7
	v_cndmask_b32_e32 v6, 0, v49, vcc
	v_add_u32_e32 v45, v6, v54
	v_cndmask_b32_e64 v6, 0, v45, s[24:25]
	v_add_u32_e32 v43, v6, v76
	v_cndmask_b32_e64 v6, 0, v43, s[22:23]
	;; [unrolled: 2-line block ×8, first 2 shown]
	v_add_u32_e32 v44, v48, v69
	v_add_u32_e32 v29, v6, v50
	v_add_u32_e32 v42, v44, v68
	v_cndmask_b32_e64 v6, 0, v29, s[8:9]
	v_add_u32_e32 v40, v42, v67
	v_add_u32_e32 v27, v6, v72
	v_add_u32_e32 v38, v40, v66
	v_cndmask_b32_e64 v6, 0, v27, s[28:29]
	v_add_u32_e32 v36, v38, v65
	v_add_u32_e32 v25, v6, v51
	v_add_u32_e32 v34, v36, v64
	v_cndmask_b32_e64 v6, 0, v25, s[4:5]
	v_add_u32_e32 v32, v34, v63
	v_add_u32_e32 v23, v6, v71
	s_barrier
	ds_read_b128 v[6:9], v8 offset:1024
	v_add_u32_e32 v30, v32, v62
	v_add_u32_e32 v28, v30, v61
	;; [unrolled: 1-line block ×4, first 2 shown]
	v_cndmask_b32_e64 v10, 0, v23, s[2:3]
	v_add_u32_e32 v22, v24, v58
	v_add_u32_e32 v21, v10, v46
	s_waitcnt lgkmcnt(0)
	v_cmp_eq_u32_e32 vcc, 0, v6
	v_add_u32_e32 v20, v22, v57
	v_cndmask_b32_e64 v10, 0, v21, s[0:1]
	v_cndmask_b32_e32 v9, 0, v9, vcc
	v_add_u32_e32 v18, v20, v56
	v_add_u32_e32 v19, v10, v70
	;; [unrolled: 1-line block ×3, first 2 shown]
	s_branch .LBB945_98
.LBB945_86:
                                        ; implicit-def: $vgpr6
                                        ; implicit-def: $vgpr16
                                        ; implicit-def: $vgpr48_vgpr49
                                        ; implicit-def: $vgpr44_vgpr45
                                        ; implicit-def: $vgpr42_vgpr43
                                        ; implicit-def: $vgpr40_vgpr41
                                        ; implicit-def: $vgpr38_vgpr39
                                        ; implicit-def: $vgpr36_vgpr37
                                        ; implicit-def: $vgpr34_vgpr35
                                        ; implicit-def: $vgpr32_vgpr33
                                        ; implicit-def: $vgpr30_vgpr31
                                        ; implicit-def: $vgpr28_vgpr29
                                        ; implicit-def: $vgpr26_vgpr27
                                        ; implicit-def: $vgpr24_vgpr25
                                        ; implicit-def: $vgpr22_vgpr23
                                        ; implicit-def: $vgpr20_vgpr21
                                        ; implicit-def: $vgpr18_vgpr19
	s_cbranch_execz .LBB945_98
; %bb.87:
	s_and_b64 s[0:1], s[38:39], exec
	s_cselect_b32 s1, 0, s53
	s_cselect_b32 s0, 0, s52
	s_cmp_eq_u64 s[0:1], 0
	v_mov_b32_e32 v10, v54
	s_cbranch_scc1 .LBB945_89
; %bb.88:
	v_mov_b32_e32 v6, 0
	global_load_dword v10, v6, s[0:1]
.LBB945_89:
	v_cmp_eq_u32_e64 s[0:1], 0, v68
	v_cndmask_b32_e64 v6, 0, v54, s[0:1]
	v_add_u32_e32 v6, v6, v76
	v_cmp_eq_u32_e64 s[2:3], 0, v67
	v_cndmask_b32_e64 v6, 0, v6, s[2:3]
	v_add_u32_e32 v6, v6, v55
	;; [unrolled: 3-line block ×11, first 2 shown]
	v_cmp_eq_u32_e64 s[22:23], 0, v57
	v_cndmask_b32_e64 v6, 0, v6, s[22:23]
	v_add3_u32 v7, v80, v64, v63
	v_add_u32_e32 v6, v6, v46
	v_cmp_eq_u32_e32 vcc, 0, v56
	v_add3_u32 v7, v7, v62, v61
	v_cndmask_b32_e32 v6, 0, v6, vcc
	v_add3_u32 v7, v7, v60, v59
	v_add_u32_e32 v6, v6, v70
	v_cmp_eq_u32_e64 s[24:25], 0, v15
	v_add3_u32 v7, v7, v58, v57
	v_cndmask_b32_e64 v6, 0, v6, s[24:25]
	v_add3_u32 v7, v7, v56, v15
	v_add_u32_e32 v6, v6, v47
	v_mbcnt_hi_u32_b32 v11, -1, v79
	v_and_b32_e32 v8, 15, v11
	v_mov_b32_dpp v16, v6 row_shr:1 row_mask:0xf bank_mask:0xf
	v_cmp_eq_u32_e64 s[24:25], 0, v7
	v_mov_b32_dpp v9, v7 row_shr:1 row_mask:0xf bank_mask:0xf
	v_cndmask_b32_e64 v16, 0, v16, s[24:25]
	v_cmp_eq_u32_e64 s[24:25], 0, v8
	v_cndmask_b32_e64 v9, v9, 0, s[24:25]
	v_add_u32_e32 v7, v9, v7
	v_cndmask_b32_e64 v9, v16, 0, s[24:25]
	v_add_u32_e32 v6, v9, v6
	v_cmp_eq_u32_e64 s[24:25], 0, v7
	v_mov_b32_dpp v9, v7 row_shr:2 row_mask:0xf bank_mask:0xf
	v_cmp_lt_u32_e64 s[26:27], 1, v8
	v_mov_b32_dpp v16, v6 row_shr:2 row_mask:0xf bank_mask:0xf
	v_cndmask_b32_e64 v9, 0, v9, s[26:27]
	s_and_b64 s[24:25], s[26:27], s[24:25]
	v_cndmask_b32_e64 v16, 0, v16, s[24:25]
	v_add_u32_e32 v7, v7, v9
	v_add_u32_e32 v6, v16, v6
	v_cmp_eq_u32_e64 s[24:25], 0, v7
	v_mov_b32_dpp v9, v7 row_shr:4 row_mask:0xf bank_mask:0xf
	v_cmp_lt_u32_e64 s[26:27], 3, v8
	v_mov_b32_dpp v16, v6 row_shr:4 row_mask:0xf bank_mask:0xf
	v_cndmask_b32_e64 v9, 0, v9, s[26:27]
	s_and_b64 s[24:25], s[26:27], s[24:25]
	v_cndmask_b32_e64 v16, 0, v16, s[24:25]
	v_add_u32_e32 v7, v9, v7
	v_add_u32_e32 v6, v6, v16
	v_cmp_eq_u32_e64 s[24:25], 0, v7
	v_cmp_lt_u32_e64 s[26:27], 7, v8
	v_mov_b32_dpp v9, v7 row_shr:8 row_mask:0xf bank_mask:0xf
	v_mov_b32_dpp v16, v6 row_shr:8 row_mask:0xf bank_mask:0xf
	s_and_b64 s[24:25], s[26:27], s[24:25]
	v_cndmask_b32_e64 v8, 0, v9, s[26:27]
	v_cndmask_b32_e64 v9, 0, v16, s[24:25]
	v_add_u32_e32 v6, v9, v6
	v_add_u32_e32 v7, v8, v7
	v_bfe_i32 v16, v11, 4, 1
	v_mov_b32_dpp v9, v6 row_bcast:15 row_mask:0xf bank_mask:0xf
	v_mov_b32_dpp v8, v7 row_bcast:15 row_mask:0xf bank_mask:0xf
	v_cmp_eq_u32_e64 s[24:25], 0, v7
	v_cndmask_b32_e64 v9, 0, v9, s[24:25]
	v_and_b32_e32 v8, v16, v8
	v_add_u32_e32 v7, v8, v7
	v_and_b32_e32 v8, v16, v9
	v_add_u32_e32 v8, v8, v6
	v_mov_b32_dpp v6, v7 row_bcast:31 row_mask:0xf bank_mask:0xf
	v_cmp_eq_u32_e64 s[24:25], 0, v7
	v_cmp_lt_u32_e64 s[26:27], 31, v11
	v_mov_b32_dpp v9, v8 row_bcast:31 row_mask:0xf bank_mask:0xf
	v_cndmask_b32_e64 v6, 0, v6, s[26:27]
	s_and_b64 s[24:25], s[26:27], s[24:25]
	v_add_u32_e32 v6, v6, v7
	v_cndmask_b32_e64 v7, 0, v9, s[24:25]
	v_add_u32_e32 v7, v7, v8
	v_cmp_eq_u32_e64 s[24:25], v78, v0
	s_and_saveexec_b64 s[26:27], s[24:25]
	s_cbranch_execz .LBB945_91
; %bb.90:
	v_lshlrev_b32_e32 v8, 3, v77
	ds_write_b64 v8, v[6:7] offset:1040
.LBB945_91:
	s_or_b64 exec, exec, s[26:27]
	v_cmp_gt_u32_e64 s[24:25], 4, v0
	s_waitcnt lgkmcnt(0)
	s_barrier
	s_and_saveexec_b64 s[28:29], s[24:25]
	s_cbranch_execz .LBB945_93
; %bb.92:
	v_lshlrev_b32_e32 v16, 3, v0
	ds_read_b64 v[8:9], v16 offset:1040
	v_and_b32_e32 v17, 3, v11
	v_cmp_lt_u32_e64 s[26:27], 1, v17
	s_waitcnt lgkmcnt(0)
	v_mov_b32_dpp v19, v9 row_shr:1 row_mask:0xf bank_mask:0xf
	v_cmp_eq_u32_e64 s[24:25], 0, v8
	v_mov_b32_dpp v18, v8 row_shr:1 row_mask:0xf bank_mask:0xf
	v_cndmask_b32_e64 v19, 0, v19, s[24:25]
	v_cmp_eq_u32_e64 s[24:25], 0, v17
	v_cndmask_b32_e64 v18, v18, 0, s[24:25]
	v_add_u32_e32 v8, v18, v8
	v_cndmask_b32_e64 v18, v19, 0, s[24:25]
	v_add_u32_e32 v9, v18, v9
	v_cmp_eq_u32_e64 s[24:25], 0, v8
	v_mov_b32_dpp v18, v8 row_shr:2 row_mask:0xf bank_mask:0xf
	v_mov_b32_dpp v19, v9 row_shr:2 row_mask:0xf bank_mask:0xf
	v_cndmask_b32_e64 v17, 0, v18, s[26:27]
	s_and_b64 s[24:25], s[26:27], s[24:25]
	v_add_u32_e32 v8, v17, v8
	v_cndmask_b32_e64 v17, 0, v19, s[24:25]
	v_add_u32_e32 v9, v17, v9
	ds_write_b64 v16, v[8:9] offset:1040
.LBB945_93:
	s_or_b64 exec, exec, s[28:29]
	v_cmp_lt_u32_e64 s[24:25], 63, v0
	v_mov_b32_e32 v16, 0
	v_mov_b32_e32 v8, 0
	s_waitcnt vmcnt(0)
	v_mov_b32_e32 v9, v10
	s_waitcnt lgkmcnt(0)
	s_barrier
	s_and_saveexec_b64 s[26:27], s[24:25]
	s_cbranch_execz .LBB945_95
; %bb.94:
	v_lshlrev_b32_e32 v8, 3, v77
	ds_read_b64 v[8:9], v8 offset:1032
	s_waitcnt lgkmcnt(0)
	v_cmp_eq_u32_e64 s[24:25], 0, v8
	v_cndmask_b32_e64 v17, 0, v10, s[24:25]
	v_add_u32_e32 v9, v17, v9
.LBB945_95:
	s_or_b64 exec, exec, s[26:27]
	v_cmp_eq_u32_e64 s[24:25], 0, v6
	v_add_u32_e32 v17, v8, v6
	v_cndmask_b32_e64 v6, 0, v9, s[24:25]
	v_add_u32_e32 v6, v6, v7
	v_add_u32_e32 v7, -1, v11
	v_and_b32_e32 v18, 64, v11
	v_cmp_lt_i32_e64 s[24:25], v7, v18
	v_cndmask_b32_e64 v7, v7, v11, s[24:25]
	v_lshlrev_b32_e32 v7, 2, v7
	ds_bpermute_b32 v17, v7, v17
	ds_bpermute_b32 v6, v7, v6
	v_cmp_eq_u32_e64 s[24:25], 0, v11
	v_cmp_eq_u32_e64 s[26:27], 0, v69
	s_waitcnt lgkmcnt(1)
	v_cndmask_b32_e64 v7, v17, v8, s[24:25]
	s_waitcnt lgkmcnt(0)
	v_cndmask_b32_e64 v6, v6, v9, s[24:25]
	v_cmp_eq_u32_e64 s[24:25], 0, v0
	v_cndmask_b32_e64 v49, v6, v10, s[24:25]
	v_cndmask_b32_e64 v6, 0, v49, s[26:27]
	v_add_u32_e32 v45, v6, v54
	v_cndmask_b32_e64 v6, 0, v45, s[0:1]
	v_add_u32_e32 v43, v6, v76
	;; [unrolled: 2-line block ×8, first 2 shown]
	v_cndmask_b32_e64 v48, v7, 0, s[24:25]
	v_cndmask_b32_e64 v6, 0, v31, s[14:15]
	v_add_u32_e32 v44, v48, v69
	v_add_u32_e32 v29, v6, v50
	v_add_u32_e32 v42, v44, v68
	v_cndmask_b32_e64 v6, 0, v29, s[16:17]
	v_add_u32_e32 v40, v42, v67
	v_add_u32_e32 v27, v6, v72
	v_add_u32_e32 v38, v40, v66
	;; [unrolled: 4-line block ×3, first 2 shown]
	v_cndmask_b32_e64 v6, 0, v25, s[20:21]
	v_add_u32_e32 v32, v34, v63
	v_add_u32_e32 v23, v6, v71
	ds_read_b64 v[6:7], v16 offset:1064
	v_add_u32_e32 v30, v32, v62
	v_add_u32_e32 v28, v30, v61
	;; [unrolled: 1-line block ×3, first 2 shown]
	v_cndmask_b32_e64 v8, 0, v23, s[22:23]
	v_add_u32_e32 v24, v26, v59
	v_add_u32_e32 v21, v8, v46
	;; [unrolled: 1-line block ×3, first 2 shown]
	v_cndmask_b32_e32 v8, 0, v21, vcc
	s_waitcnt lgkmcnt(0)
	v_cmp_eq_u32_e32 vcc, 0, v6
	v_add_u32_e32 v20, v22, v57
	v_add_u32_e32 v19, v8, v70
	v_cndmask_b32_e32 v8, 0, v10, vcc
	v_add_u32_e32 v18, v20, v56
	v_add_u32_e32 v16, v8, v7
	s_and_saveexec_b64 s[0:1], s[24:25]
	s_cbranch_execz .LBB945_97
; %bb.96:
	s_add_u32 s2, s36, 0x400
	v_and_b32_e32 v7, 0xff000000, v16
	v_and_b32_e32 v8, 0xff0000, v16
	s_addc_u32 s3, s37, 0
	v_or_b32_e32 v7, v8, v7
	v_and_b32_e32 v8, 0xff00, v16
	v_and_b32_e32 v10, 0xff, v16
	v_mov_b32_e32 v9, 0
	v_or3_b32 v7, v7, v8, v10
	v_mov_b32_e32 v8, 2
	v_pk_mov_b32 v[10:11], s[2:3], s[2:3] op_sel:[0,1]
	;;#ASMSTART
	global_store_dwordx4 v[10:11], v[6:9] off	
s_waitcnt vmcnt(0)
	;;#ASMEND
.LBB945_97:
	s_or_b64 exec, exec, s[0:1]
	v_mov_b32_e32 v8, 0
.LBB945_98:
	s_and_b64 s[0:1], s[38:39], exec
	s_cselect_b32 s1, 0, s51
	s_cselect_b32 s0, 0, s50
	s_cmp_eq_u64 s[0:1], 0
	v_pk_mov_b32 v[46:47], 0, 0
	s_barrier
	s_cbranch_scc1 .LBB945_100
; %bb.99:
	v_mov_b32_e32 v7, 0
	global_load_dwordx2 v[46:47], v7, s[0:1]
.LBB945_100:
	s_waitcnt vmcnt(0)
	v_lshlrev_b64 v[10:11], 1, v[46:47]
	v_mov_b32_e32 v7, s45
	v_add_co_u32_e32 v17, vcc, s44, v10
	v_mov_b32_e32 v9, 0
	v_addc_co_u32_e32 v50, vcc, v7, v11, vcc
	v_lshlrev_b64 v[10:11], 1, v[8:9]
	v_add_co_u32_e32 v7, vcc, v17, v10
	v_addc_co_u32_e32 v17, vcc, v50, v11, vcc
	v_cmp_eq_u32_e32 vcc, 0, v69
	v_cndmask_b32_e64 v10, 1, 2, vcc
	v_cmp_eq_u32_e32 vcc, 0, v68
	v_cndmask_b32_e64 v11, 1, 2, vcc
	v_cmp_eq_u32_e32 vcc, 0, v67
	v_and_b32_e32 v10, v11, v10
	v_cndmask_b32_e64 v11, 1, 2, vcc
	v_cmp_eq_u32_e32 vcc, 0, v66
	v_and_b32_e32 v10, v10, v11
	;; [unrolled: 3-line block ×13, first 2 shown]
	v_cndmask_b32_e64 v11, 1, 2, vcc
	s_movk_i32 s30, 0x100
	v_and_b32_e32 v10, v10, v11
	v_cmp_gt_u32_e32 vcc, s30, v6
	v_cmp_ne_u32_e64 s[28:29], 0, v69
	v_cmp_ne_u32_e64 s[26:27], 0, v68
	;; [unrolled: 1-line block ×15, first 2 shown]
	s_mov_b64 s[36:37], -1
	v_cmp_gt_i16_e64 s[30:31], 2, v10
	s_cbranch_vccz .LBB945_107
; %bb.101:
	s_and_saveexec_b64 s[36:37], s[30:31]
	s_cbranch_execz .LBB945_106
; %bb.102:
	v_cmp_ne_u16_e32 vcc, 1, v10
	s_mov_b64 s[38:39], 0
	s_and_saveexec_b64 s[30:31], vcc
	s_xor_b64 s[30:31], exec, s[30:31]
	s_cbranch_execnz .LBB945_151
; %bb.103:
	s_andn2_saveexec_b64 s[30:31], s[30:31]
	s_cbranch_execnz .LBB945_167
.LBB945_104:
	s_or_b64 exec, exec, s[30:31]
	s_and_b64 exec, exec, s[38:39]
	s_cbranch_execz .LBB945_106
.LBB945_105:
	v_sub_u32_e32 v50, v18, v8
	v_mov_b32_e32 v51, 0
	v_lshlrev_b64 v[50:51], 1, v[50:51]
	v_add_co_u32_e32 v50, vcc, v7, v50
	v_addc_co_u32_e32 v51, vcc, v17, v51, vcc
	global_store_short_d16_hi v[50:51], v14, off
.LBB945_106:
	s_or_b64 exec, exec, s[36:37]
	s_mov_b64 s[36:37], 0
.LBB945_107:
	s_and_b64 vcc, exec, s[36:37]
	s_cbranch_vccz .LBB945_129
; %bb.108:
	v_cmp_gt_i16_e32 vcc, 2, v10
	s_and_saveexec_b64 s[30:31], vcc
	s_cbranch_execz .LBB945_113
; %bb.109:
	v_cmp_ne_u16_e32 vcc, 1, v10
	s_mov_b64 s[38:39], 0
	s_and_saveexec_b64 s[36:37], vcc
	s_xor_b64 s[36:37], exec, s[36:37]
	s_cbranch_execnz .LBB945_168
; %bb.110:
	s_andn2_saveexec_b64 s[0:1], s[36:37]
	s_cbranch_execnz .LBB945_184
.LBB945_111:
	s_or_b64 exec, exec, s[0:1]
	s_and_b64 exec, exec, s[38:39]
	s_cbranch_execz .LBB945_113
.LBB945_112:
	v_sub_u32_e32 v1, v18, v8
	v_lshlrev_b32_e32 v1, 1, v1
	ds_write_b16_d16_hi v1, v14
.LBB945_113:
	s_or_b64 exec, exec, s[30:31]
	v_cmp_lt_u32_e32 vcc, v0, v6
	s_waitcnt lgkmcnt(0)
	s_barrier
	s_and_saveexec_b64 s[2:3], vcc
	s_cbranch_execz .LBB945_128
; %bb.114:
	v_xad_u32 v1, v0, -1, v6
	s_movk_i32 s0, 0x1700
	v_cmp_gt_u32_e64 s[4:5], s0, v1
	s_movk_i32 s0, 0x16ff
	v_cmp_lt_u32_e32 vcc, s0, v1
	v_mov_b32_e32 v2, v0
	s_and_saveexec_b64 s[6:7], vcc
	s_cbranch_execz .LBB945_125
; %bb.115:
	v_sub_u32_e32 v2, v0, v6
	v_or_b32_e32 v2, 0xff, v2
	v_cmp_ge_u32_e32 vcc, v2, v0
	s_mov_b64 s[0:1], -1
	v_mov_b32_e32 v2, v0
	s_and_saveexec_b64 s[8:9], vcc
	s_cbranch_execz .LBB945_124
; %bb.116:
	v_lshrrev_b32_e32 v14, 8, v1
	v_or_b32_e32 v3, 0x300, v0
	v_or_b32_e32 v2, 0x200, v0
	v_add_u32_e32 v4, -3, v14
	v_or_b32_e32 v1, 0x100, v0
	v_lshrrev_b32_e32 v5, 2, v4
	v_pk_mov_b32 v[12:13], v[2:3], v[2:3] op_sel:[0,1]
	v_add_u32_e32 v51, 1, v5
	v_cmp_lt_u32_e32 vcc, 11, v4
	v_mov_b32_e32 v54, 0
	v_lshlrev_b32_e32 v50, 1, v0
	v_pk_mov_b32 v[10:11], v[0:1], v[0:1] op_sel:[0,1]
	s_and_saveexec_b64 s[10:11], vcc
	s_cbranch_execz .LBB945_120
; %bb.117:
	v_pk_mov_b32 v[12:13], v[2:3], v[2:3] op_sel:[0,1]
	v_and_b32_e32 v52, 0x7ffffffc, v51
	s_mov_b32 s14, 0
	s_mov_b64 s[12:13], 0
	v_mov_b32_e32 v5, 0
	v_mov_b32_e32 v53, v50
	v_pk_mov_b32 v[10:11], v[0:1], v[0:1] op_sel:[0,1]
.LBB945_118:                            ; =>This Inner Loop Header: Depth=1
	v_mov_b32_e32 v4, v10
	v_lshlrev_b64 v[84:85], 1, v[4:5]
	v_add_u32_e32 v70, 0x400, v11
	v_mov_b32_e32 v71, v5
	v_add_co_u32_e64 v84, s[0:1], v7, v84
	v_lshlrev_b64 v[70:71], 1, v[70:71]
	v_addc_co_u32_e64 v85, s[0:1], v17, v85, s[0:1]
	v_add_u32_e32 v54, 0x400, v12
	v_mov_b32_e32 v55, v5
	v_add_co_u32_e64 v70, s[0:1], v7, v70
	v_lshlrev_b64 v[86:87], 1, v[54:55]
	v_addc_co_u32_e64 v71, s[0:1], v17, v71, s[0:1]
	v_add_u32_e32 v2, 0x400, v13
	v_mov_b32_e32 v3, v5
	v_add_co_u32_e64 v86, s[0:1], v7, v86
	v_add_u32_e32 v52, -4, v52
	v_mov_b32_e32 v4, v11
	v_lshlrev_b64 v[2:3], 1, v[2:3]
	v_addc_co_u32_e64 v87, s[0:1], v17, v87, s[0:1]
	v_add_u32_e32 v76, 0x800, v11
	v_mov_b32_e32 v77, v5
	s_add_i32 s14, s14, 16
	v_cmp_eq_u32_e32 vcc, 0, v52
	v_lshlrev_b64 v[88:89], 1, v[4:5]
	v_add_co_u32_e64 v2, s[0:1], v7, v2
	v_lshlrev_b64 v[76:77], 1, v[76:77]
	v_mov_b32_e32 v4, v12
	v_addc_co_u32_e64 v3, s[0:1], v17, v3, s[0:1]
	s_or_b64 s[12:13], vcc, s[12:13]
	v_add_co_u32_e32 v88, vcc, v7, v88
	v_add_u32_e32 v74, 0x800, v12
	v_mov_b32_e32 v75, v5
	v_add_co_u32_e64 v76, s[0:1], v7, v76
	v_addc_co_u32_e32 v89, vcc, v17, v89, vcc
	v_lshlrev_b64 v[90:91], 1, v[4:5]
	v_lshlrev_b64 v[74:75], 1, v[74:75]
	v_addc_co_u32_e64 v77, s[0:1], v17, v77, s[0:1]
	v_mov_b32_e32 v4, v13
	v_add_co_u32_e32 v90, vcc, v7, v90
	ds_read_u16 v1, v53
	ds_read_u16 v94, v53 offset:512
	ds_read_u16 v95, v53 offset:1024
	;; [unrolled: 1-line block ×7, first 2 shown]
	v_add_u32_e32 v72, 0x800, v13
	v_mov_b32_e32 v73, v5
	v_add_co_u32_e64 v74, s[0:1], v7, v74
	v_addc_co_u32_e32 v91, vcc, v17, v91, vcc
	v_lshlrev_b64 v[92:93], 1, v[4:5]
	v_lshlrev_b64 v[72:73], 1, v[72:73]
	v_addc_co_u32_e64 v75, s[0:1], v17, v75, s[0:1]
	v_add_u32_e32 v4, 0x400, v10
	v_add_co_u32_e32 v92, vcc, v7, v92
	v_add_u32_e32 v82, 0xc00, v11
	v_mov_b32_e32 v83, v5
	ds_read_u16 v101, v53 offset:4096
	ds_read_u16 v102, v53 offset:4608
	;; [unrolled: 1-line block ×8, first 2 shown]
	v_add_co_u32_e64 v72, s[0:1], v7, v72
	v_addc_co_u32_e32 v93, vcc, v17, v93, vcc
	s_waitcnt lgkmcnt(14)
	global_store_short v[84:85], v1, off
	global_store_short v[88:89], v94, off
	s_waitcnt lgkmcnt(13)
	global_store_short v[90:91], v95, off
	v_lshlrev_b64 v[84:85], 1, v[4:5]
	v_lshlrev_b64 v[82:83], 1, v[82:83]
	v_addc_co_u32_e64 v73, s[0:1], v17, v73, s[0:1]
	v_add_u32_e32 v4, 0x800, v10
	v_add_co_u32_e32 v84, vcc, v7, v84
	v_add_u32_e32 v80, 0xc00, v12
	v_mov_b32_e32 v81, v5
	v_add_co_u32_e64 v82, s[0:1], v7, v82
	v_addc_co_u32_e32 v85, vcc, v17, v85, vcc
	v_lshlrev_b64 v[88:89], 1, v[4:5]
	v_lshlrev_b64 v[80:81], 1, v[80:81]
	v_addc_co_u32_e64 v83, s[0:1], v17, v83, s[0:1]
	s_waitcnt lgkmcnt(12)
	global_store_short v[92:93], v96, off
	v_add_u32_e32 v4, 0xc00, v10
	s_waitcnt lgkmcnt(11)
	global_store_short v[84:85], v97, off
	s_waitcnt lgkmcnt(10)
	global_store_short v[70:71], v98, off
	s_waitcnt lgkmcnt(9)
	global_store_short v[86:87], v99, off
	s_waitcnt lgkmcnt(8)
	global_store_short v[2:3], v100, off
	v_add_co_u32_e32 v2, vcc, v7, v88
	v_add_u32_e32 v78, 0xc00, v13
	v_mov_b32_e32 v79, v5
	v_add_co_u32_e64 v80, s[0:1], v7, v80
	v_addc_co_u32_e32 v3, vcc, v17, v89, vcc
	v_lshlrev_b64 v[70:71], 1, v[4:5]
	v_lshlrev_b64 v[78:79], 1, v[78:79]
	v_addc_co_u32_e64 v81, s[0:1], v17, v81, s[0:1]
	s_waitcnt lgkmcnt(7)
	global_store_short v[2:3], v101, off
	s_waitcnt lgkmcnt(6)
	global_store_short v[76:77], v102, off
	;; [unrolled: 2-line block ×4, first 2 shown]
	v_add_co_u32_e32 v2, vcc, v7, v70
	v_add_u32_e32 v53, 0x2000, v53
	v_add_u32_e32 v11, 0x1000, v11
	v_mov_b32_e32 v54, s14
	v_add_co_u32_e64 v78, s[0:1], v7, v78
	v_add_u32_e32 v12, 0x1000, v12
	v_add_u32_e32 v13, 0x1000, v13
	;; [unrolled: 1-line block ×3, first 2 shown]
	v_addc_co_u32_e32 v3, vcc, v17, v71, vcc
	v_addc_co_u32_e64 v79, s[0:1], v17, v79, s[0:1]
	s_waitcnt lgkmcnt(3)
	global_store_short v[2:3], v105, off
	s_waitcnt lgkmcnt(2)
	global_store_short v[82:83], v106, off
	;; [unrolled: 2-line block ×4, first 2 shown]
	s_andn2_b64 exec, exec, s[12:13]
	s_cbranch_execnz .LBB945_118
; %bb.119:
	s_or_b64 exec, exec, s[12:13]
.LBB945_120:
	s_or_b64 exec, exec, s[10:11]
	v_and_b32_e32 v1, 3, v51
	v_cmp_ne_u32_e32 vcc, 0, v1
	s_and_saveexec_b64 s[10:11], vcc
	s_cbranch_execz .LBB945_123
; %bb.121:
	v_lshl_or_b32 v4, v54, 9, v50
	s_mov_b64 s[12:13], 0
	v_mov_b32_e32 v3, 0
.LBB945_122:                            ; =>This Inner Loop Header: Depth=1
	v_mov_b32_e32 v2, v10
	v_add_u32_e32 v1, -1, v1
	v_lshlrev_b64 v[50:51], 1, v[2:3]
	v_mov_b32_e32 v2, v11
	v_cmp_eq_u32_e32 vcc, 0, v1
	v_lshlrev_b64 v[52:53], 1, v[2:3]
	ds_read_u16 v5, v4
	ds_read_u16 v72, v4 offset:512
	ds_read_u16 v73, v4 offset:1024
	;; [unrolled: 1-line block ×3, first 2 shown]
	v_mov_b32_e32 v2, v12
	s_or_b64 s[12:13], vcc, s[12:13]
	v_add_co_u32_e32 v52, vcc, v7, v52
	v_addc_co_u32_e32 v53, vcc, v17, v53, vcc
	v_lshlrev_b64 v[54:55], 1, v[2:3]
	v_mov_b32_e32 v2, v13
	v_add_co_u32_e32 v54, vcc, v7, v54
	v_add_co_u32_e64 v50, s[0:1], v7, v50
	v_addc_co_u32_e32 v55, vcc, v17, v55, vcc
	v_lshlrev_b64 v[70:71], 1, v[2:3]
	v_add_u32_e32 v10, 0x400, v10
	v_add_u32_e32 v4, 0x800, v4
	;; [unrolled: 1-line block ×3, first 2 shown]
	v_addc_co_u32_e64 v51, s[0:1], v17, v51, s[0:1]
	v_add_u32_e32 v12, 0x400, v12
	v_add_u32_e32 v13, 0x400, v13
	v_add_co_u32_e32 v70, vcc, v7, v70
	v_addc_co_u32_e32 v71, vcc, v17, v71, vcc
	s_waitcnt lgkmcnt(3)
	global_store_short v[50:51], v5, off
	s_waitcnt lgkmcnt(2)
	global_store_short v[52:53], v72, off
	;; [unrolled: 2-line block ×4, first 2 shown]
	s_andn2_b64 exec, exec, s[12:13]
	s_cbranch_execnz .LBB945_122
.LBB945_123:
	s_or_b64 exec, exec, s[10:11]
	v_add_u32_e32 v1, 1, v14
	v_and_b32_e32 v3, 0x1fffffc, v1
	v_cmp_ne_u32_e32 vcc, v1, v3
	v_lshl_or_b32 v2, v3, 8, v0
	s_orn2_b64 s[0:1], vcc, exec
.LBB945_124:
	s_or_b64 exec, exec, s[8:9]
	s_andn2_b64 s[4:5], s[4:5], exec
	s_and_b64 s[0:1], s[0:1], exec
	s_or_b64 s[4:5], s[4:5], s[0:1]
.LBB945_125:
	s_or_b64 exec, exec, s[6:7]
	s_and_b64 exec, exec, s[4:5]
	s_cbranch_execz .LBB945_128
; %bb.126:
	v_lshlrev_b32_e32 v1, 1, v2
	s_mov_b64 s[0:1], 0
	v_mov_b32_e32 v3, 0
.LBB945_127:                            ; =>This Inner Loop Header: Depth=1
	v_lshlrev_b64 v[4:5], 1, v[2:3]
	ds_read_u16 v10, v1
	v_add_co_u32_e32 v4, vcc, v7, v4
	v_add_u32_e32 v2, 0x100, v2
	v_addc_co_u32_e32 v5, vcc, v17, v5, vcc
	v_cmp_ge_u32_e32 vcc, v2, v6
	v_add_u32_e32 v1, 0x200, v1
	s_or_b64 s[0:1], vcc, s[0:1]
	s_waitcnt lgkmcnt(0)
	global_store_short v[4:5], v10, off
	s_andn2_b64 exec, exec, s[0:1]
	s_cbranch_execnz .LBB945_127
.LBB945_128:
	s_or_b64 exec, exec, s[2:3]
.LBB945_129:
	s_cmpk_lg_i32 s33, 0xf00
	s_cselect_b64 s[0:1], -1, 0
	v_cndmask_b32_e64 v10, 0, 1, s[42:43]
	s_and_b64 s[0:1], s[40:41], s[0:1]
	v_cmp_eq_u32_e32 vcc, 0, v0
	v_sub_u32_e32 v1, v6, v10
	v_cndmask_b32_e64 v2, 0, 1, s[0:1]
	s_and_b64 s[0:1], vcc, s[42:43]
	v_add_u32_e32 v1, v1, v2
	v_cndmask_b32_e64 v2, v69, 0, s[0:1]
	s_mul_hi_u32 s0, s33, 0x88888889
	s_lshr_b32 s0, s0, 3
	v_mad_i32_i24 v3, v0, -15, s33
	v_cmp_eq_u32_e32 vcc, s0, v0
	v_cmp_ne_u32_e64 s[0:1], 0, v3
	v_cndmask_b32_e64 v4, 1, v2, s[0:1]
	v_cmp_ne_u32_e64 s[0:1], 1, v3
	v_cndmask_b32_e64 v5, 1, v68, s[0:1]
	;; [unrolled: 2-line block ×15, first 2 shown]
	s_and_b64 vcc, s[40:41], vcc
	v_cndmask_b32_e32 v15, v15, v3, vcc
	v_cndmask_b32_e32 v53, v58, v53, vcc
	;; [unrolled: 1-line block ×3, first 2 shown]
	v_lshlrev_b64 v[2:3], 3, v[46:47]
	v_cndmask_b32_e32 v55, v56, v55, vcc
	v_cndmask_b32_e32 v54, v57, v54, vcc
	;; [unrolled: 1-line block ×12, first 2 shown]
	v_mov_b32_e32 v4, s47
	v_add_co_u32_e32 v5, vcc, s46, v2
	v_addc_co_u32_e32 v7, vcc, v4, v3, vcc
	v_lshlrev_b64 v[2:3], 3, v[8:9]
	v_add_co_u32_e32 v4, vcc, v5, v2
	v_addc_co_u32_e32 v5, vcc, v7, v3, vcc
	v_lshlrev_b32_e32 v2, 3, v10
	v_add_co_u32_e32 v2, vcc, v2, v4
	v_addc_co_u32_e32 v3, vcc, 0, v5, vcc
	v_add_co_u32_e32 v7, vcc, -8, v2
	v_addc_co_u32_e32 v9, vcc, -1, v3, vcc
	v_cmp_eq_u32_e32 vcc, 0, v58
	v_cndmask_b32_e64 v3, 1, 2, vcc
	v_cmp_eq_u32_e32 vcc, 0, v57
	v_add_u32_e32 v2, v8, v10
	v_cndmask_b32_e64 v10, 1, 2, vcc
	v_cmp_eq_u32_e32 vcc, 0, v56
	v_and_b32_e32 v3, v10, v3
	v_cndmask_b32_e64 v10, 1, 2, vcc
	v_cmp_eq_u32_e32 vcc, 0, v11
	v_and_b32_e32 v3, v3, v10
	;; [unrolled: 3-line block ×13, first 2 shown]
	v_cndmask_b32_e64 v10, 1, 2, vcc
	s_movk_i32 s30, 0x100
	v_and_b32_e32 v3, v3, v10
	v_cmp_gt_u32_e32 vcc, s30, v1
	v_cmp_ne_u32_e64 s[28:29], 0, v58
	v_cmp_ne_u32_e64 s[26:27], 0, v57
	;; [unrolled: 1-line block ×15, first 2 shown]
	s_mov_b64 s[36:37], -1
	v_cmp_gt_i16_e64 s[30:31], 2, v3
	s_barrier
	s_cbranch_vccz .LBB945_136
; %bb.130:
	s_and_saveexec_b64 s[36:37], s[30:31]
	s_cbranch_execz .LBB945_135
; %bb.131:
	v_cmp_ne_u16_e32 vcc, 1, v3
	s_mov_b64 s[38:39], 0
	s_and_saveexec_b64 s[30:31], vcc
	s_xor_b64 s[30:31], exec, s[30:31]
	s_cbranch_execnz .LBB945_185
; %bb.132:
	s_andn2_saveexec_b64 s[30:31], s[30:31]
	s_cbranch_execnz .LBB945_201
.LBB945_133:
	s_or_b64 exec, exec, s[30:31]
	s_and_b64 exec, exec, s[38:39]
	s_cbranch_execz .LBB945_135
.LBB945_134:
	v_mov_b32_e32 v11, 0
	v_sub_u32_e32 v12, v18, v2
	v_mov_b32_e32 v13, v11
	v_lshlrev_b64 v[12:13], 3, v[12:13]
	v_add_co_u32_e32 v12, vcc, v7, v12
	v_mov_b32_e32 v10, v19
	v_addc_co_u32_e32 v13, vcc, v9, v13, vcc
	global_store_dwordx2 v[12:13], v[10:11], off
.LBB945_135:
	s_or_b64 exec, exec, s[36:37]
	s_mov_b64 s[36:37], 0
.LBB945_136:
	s_and_b64 vcc, exec, s[36:37]
	s_cbranch_vccz .LBB945_146
; %bb.137:
	v_cmp_gt_i16_e32 vcc, 2, v3
	s_and_saveexec_b64 s[30:31], vcc
	s_cbranch_execz .LBB945_142
; %bb.138:
	v_cmp_ne_u16_e32 vcc, 1, v3
	s_mov_b64 s[38:39], 0
	s_and_saveexec_b64 s[36:37], vcc
	s_xor_b64 s[36:37], exec, s[36:37]
	s_cbranch_execnz .LBB945_202
; %bb.139:
	s_andn2_saveexec_b64 s[0:1], s[36:37]
	s_cbranch_execnz .LBB945_218
.LBB945_140:
	s_or_b64 exec, exec, s[0:1]
	s_and_b64 exec, exec, s[38:39]
	s_cbranch_execz .LBB945_142
.LBB945_141:
	v_sub_u32_e32 v2, v18, v2
	v_lshlrev_b32_e32 v2, 2, v2
	ds_write_b32 v2, v19
.LBB945_142:
	s_or_b64 exec, exec, s[30:31]
	v_cmp_lt_u32_e32 vcc, v0, v1
	s_waitcnt lgkmcnt(0)
	s_barrier
	s_and_saveexec_b64 s[0:1], vcc
	s_cbranch_execz .LBB945_145
; %bb.143:
	v_lshlrev_b32_e32 v10, 2, v0
	s_mov_b64 s[2:3], 0
	v_mov_b32_e32 v3, 0
	v_mov_b32_e32 v2, v0
.LBB945_144:                            ; =>This Inner Loop Header: Depth=1
	ds_read_b32 v12, v10
	v_lshlrev_b64 v[14:15], 3, v[2:3]
	v_add_co_u32_e32 v14, vcc, v7, v14
	v_add_u32_e32 v2, 0x100, v2
	v_addc_co_u32_e32 v15, vcc, v9, v15, vcc
	v_cmp_ge_u32_e32 vcc, v2, v1
	v_mov_b32_e32 v13, v3
	v_add_u32_e32 v10, 0x400, v10
	s_or_b64 s[2:3], vcc, s[2:3]
	s_waitcnt lgkmcnt(0)
	global_store_dwordx2 v[14:15], v[12:13], off
	s_andn2_b64 exec, exec, s[2:3]
	s_cbranch_execnz .LBB945_144
.LBB945_145:
	s_or_b64 exec, exec, s[0:1]
.LBB945_146:
	s_movk_i32 s0, 0xff
	v_cmp_eq_u32_e32 vcc, s0, v0
	s_and_b64 s[0:1], vcc, s[40:41]
	s_and_saveexec_b64 s[2:3], s[0:1]
	s_cbranch_execz .LBB945_149
; %bb.147:
	v_add_co_u32_e32 v0, vcc, v6, v8
	v_addc_co_u32_e64 v1, s[0:1], 0, 0, vcc
	v_add_co_u32_e32 v0, vcc, v0, v46
	v_mov_b32_e32 v7, 0
	v_addc_co_u32_e32 v1, vcc, v1, v47, vcc
	s_cmpk_lg_i32 s33, 0xf00
	global_store_dwordx2 v7, v[0:1], s[34:35]
	s_cbranch_scc1 .LBB945_149
; %bb.148:
	v_lshlrev_b64 v[0:1], 3, v[6:7]
	v_add_co_u32_e32 v0, vcc, v4, v0
	v_mov_b32_e32 v17, v7
	v_addc_co_u32_e32 v1, vcc, v5, v1, vcc
	global_store_dwordx2 v[0:1], v[16:17], off offset:-8
.LBB945_149:
	s_endpgm
.LBB945_150:
	s_or_b64 exec, exec, s[4:5]
	v_mov_b32_e32 v69, s7
	s_and_saveexec_b64 s[4:5], s[2:3]
	s_cbranch_execnz .LBB945_54
	s_branch .LBB945_55
.LBB945_151:
	s_and_saveexec_b64 s[38:39], s[28:29]
	s_cbranch_execnz .LBB945_219
; %bb.152:
	s_or_b64 exec, exec, s[38:39]
	s_and_saveexec_b64 s[38:39], s[26:27]
	s_cbranch_execnz .LBB945_220
.LBB945_153:
	s_or_b64 exec, exec, s[38:39]
	s_and_saveexec_b64 s[38:39], s[24:25]
	s_cbranch_execnz .LBB945_221
.LBB945_154:
	s_or_b64 exec, exec, s[38:39]
	s_and_saveexec_b64 s[38:39], s[22:23]
	s_cbranch_execnz .LBB945_222
.LBB945_155:
	s_or_b64 exec, exec, s[38:39]
	s_and_saveexec_b64 s[38:39], s[20:21]
	s_cbranch_execnz .LBB945_223
.LBB945_156:
	s_or_b64 exec, exec, s[38:39]
	s_and_saveexec_b64 s[38:39], s[18:19]
	s_cbranch_execnz .LBB945_224
.LBB945_157:
	s_or_b64 exec, exec, s[38:39]
	s_and_saveexec_b64 s[38:39], s[16:17]
	s_cbranch_execnz .LBB945_225
.LBB945_158:
	s_or_b64 exec, exec, s[38:39]
	s_and_saveexec_b64 s[38:39], s[14:15]
	s_cbranch_execnz .LBB945_226
.LBB945_159:
	s_or_b64 exec, exec, s[38:39]
	s_and_saveexec_b64 s[38:39], s[12:13]
	s_cbranch_execnz .LBB945_227
.LBB945_160:
	s_or_b64 exec, exec, s[38:39]
	s_and_saveexec_b64 s[38:39], s[10:11]
	s_cbranch_execnz .LBB945_228
.LBB945_161:
	s_or_b64 exec, exec, s[38:39]
	s_and_saveexec_b64 s[38:39], s[8:9]
	s_cbranch_execnz .LBB945_229
.LBB945_162:
	s_or_b64 exec, exec, s[38:39]
	s_and_saveexec_b64 s[38:39], s[6:7]
	s_cbranch_execnz .LBB945_230
.LBB945_163:
	s_or_b64 exec, exec, s[38:39]
	s_and_saveexec_b64 s[38:39], s[4:5]
	s_cbranch_execnz .LBB945_231
.LBB945_164:
	s_or_b64 exec, exec, s[38:39]
	s_and_saveexec_b64 s[38:39], s[2:3]
	s_cbranch_execz .LBB945_166
.LBB945_165:
	v_sub_u32_e32 v50, v20, v8
	v_mov_b32_e32 v51, 0
	v_lshlrev_b64 v[50:51], 1, v[50:51]
	v_add_co_u32_e32 v50, vcc, v7, v50
	v_addc_co_u32_e32 v51, vcc, v17, v51, vcc
	global_store_short v[50:51], v14, off
.LBB945_166:
	s_or_b64 exec, exec, s[38:39]
	s_and_b64 s[38:39], s[0:1], exec
	s_andn2_saveexec_b64 s[30:31], s[30:31]
	s_cbranch_execz .LBB945_104
.LBB945_167:
	v_sub_u32_e32 v50, v48, v8
	v_mov_b32_e32 v51, 0
	v_lshlrev_b64 v[52:53], 1, v[50:51]
	v_add_co_u32_e32 v52, vcc, v7, v52
	v_addc_co_u32_e32 v53, vcc, v17, v53, vcc
	v_sub_u32_e32 v50, v44, v8
	global_store_short v[52:53], v1, off
	v_lshlrev_b64 v[52:53], 1, v[50:51]
	v_add_co_u32_e32 v52, vcc, v7, v52
	v_addc_co_u32_e32 v53, vcc, v17, v53, vcc
	v_sub_u32_e32 v50, v42, v8
	global_store_short v[52:53], v2, off
	v_lshlrev_b64 v[52:53], 1, v[50:51]
	v_add_co_u32_e32 v52, vcc, v7, v52
	v_addc_co_u32_e32 v53, vcc, v17, v53, vcc
	v_sub_u32_e32 v50, v40, v8
	global_store_short_d16_hi v[52:53], v2, off
	v_lshlrev_b64 v[52:53], 1, v[50:51]
	v_add_co_u32_e32 v52, vcc, v7, v52
	v_addc_co_u32_e32 v53, vcc, v17, v53, vcc
	v_sub_u32_e32 v50, v38, v8
	global_store_short v[52:53], v3, off
	v_lshlrev_b64 v[52:53], 1, v[50:51]
	v_add_co_u32_e32 v52, vcc, v7, v52
	v_addc_co_u32_e32 v53, vcc, v17, v53, vcc
	v_sub_u32_e32 v50, v36, v8
	global_store_short_d16_hi v[52:53], v3, off
	;; [unrolled: 10-line block ×5, first 2 shown]
	v_lshlrev_b64 v[52:53], 1, v[50:51]
	v_add_co_u32_e32 v52, vcc, v7, v52
	v_addc_co_u32_e32 v53, vcc, v17, v53, vcc
	v_sub_u32_e32 v50, v22, v8
	global_store_short v[52:53], v13, off
	v_lshlrev_b64 v[52:53], 1, v[50:51]
	v_add_co_u32_e32 v52, vcc, v7, v52
	v_sub_u32_e32 v50, v20, v8
	v_addc_co_u32_e32 v53, vcc, v17, v53, vcc
	v_lshlrev_b64 v[50:51], 1, v[50:51]
	v_add_co_u32_e32 v50, vcc, v7, v50
	v_addc_co_u32_e32 v51, vcc, v17, v51, vcc
	s_or_b64 s[38:39], s[38:39], exec
	global_store_short_d16_hi v[52:53], v13, off
	global_store_short v[50:51], v14, off
	s_or_b64 exec, exec, s[30:31]
	s_and_b64 exec, exec, s[38:39]
	s_cbranch_execnz .LBB945_105
	s_branch .LBB945_106
.LBB945_168:
	s_and_saveexec_b64 s[38:39], s[28:29]
	s_cbranch_execnz .LBB945_232
; %bb.169:
	s_or_b64 exec, exec, s[38:39]
	s_and_saveexec_b64 s[28:29], s[26:27]
	s_cbranch_execnz .LBB945_233
.LBB945_170:
	s_or_b64 exec, exec, s[28:29]
	s_and_saveexec_b64 s[26:27], s[24:25]
	s_cbranch_execnz .LBB945_234
.LBB945_171:
	s_or_b64 exec, exec, s[26:27]
	s_and_saveexec_b64 s[24:25], s[22:23]
	s_cbranch_execnz .LBB945_235
.LBB945_172:
	s_or_b64 exec, exec, s[24:25]
	s_and_saveexec_b64 s[22:23], s[20:21]
	s_cbranch_execnz .LBB945_236
.LBB945_173:
	s_or_b64 exec, exec, s[22:23]
	s_and_saveexec_b64 s[20:21], s[18:19]
	s_cbranch_execnz .LBB945_237
.LBB945_174:
	s_or_b64 exec, exec, s[20:21]
	s_and_saveexec_b64 s[18:19], s[16:17]
	s_cbranch_execnz .LBB945_238
.LBB945_175:
	s_or_b64 exec, exec, s[18:19]
	s_and_saveexec_b64 s[16:17], s[14:15]
	s_cbranch_execnz .LBB945_239
.LBB945_176:
	s_or_b64 exec, exec, s[16:17]
	s_and_saveexec_b64 s[14:15], s[12:13]
	s_cbranch_execnz .LBB945_240
.LBB945_177:
	s_or_b64 exec, exec, s[14:15]
	s_and_saveexec_b64 s[12:13], s[10:11]
	s_cbranch_execnz .LBB945_241
.LBB945_178:
	s_or_b64 exec, exec, s[12:13]
	s_and_saveexec_b64 s[10:11], s[8:9]
	s_cbranch_execnz .LBB945_242
.LBB945_179:
	s_or_b64 exec, exec, s[10:11]
	s_and_saveexec_b64 s[8:9], s[6:7]
	s_cbranch_execnz .LBB945_243
.LBB945_180:
	s_or_b64 exec, exec, s[8:9]
	s_and_saveexec_b64 s[6:7], s[4:5]
	s_cbranch_execnz .LBB945_244
.LBB945_181:
	s_or_b64 exec, exec, s[6:7]
	s_and_saveexec_b64 s[4:5], s[2:3]
	s_cbranch_execz .LBB945_183
.LBB945_182:
	v_sub_u32_e32 v1, v20, v8
	v_lshlrev_b32_e32 v1, 1, v1
	ds_write_b16 v1, v14
.LBB945_183:
	s_or_b64 exec, exec, s[4:5]
	s_and_b64 s[38:39], s[0:1], exec
                                        ; implicit-def: $vgpr1
                                        ; implicit-def: $vgpr2
	s_andn2_saveexec_b64 s[0:1], s[36:37]
	s_cbranch_execz .LBB945_111
.LBB945_184:
	v_sub_u32_e32 v10, v48, v8
	v_lshlrev_b32_e32 v10, 1, v10
	ds_write_b16 v10, v1
	v_sub_u32_e32 v1, v44, v8
	v_lshlrev_b32_e32 v1, 1, v1
	ds_write_b16 v1, v2
	v_sub_u32_e32 v1, v42, v8
	v_lshlrev_b32_e32 v1, 1, v1
	ds_write_b16_d16_hi v1, v2
	v_sub_u32_e32 v1, v40, v8
	v_lshlrev_b32_e32 v1, 1, v1
	ds_write_b16 v1, v3
	v_sub_u32_e32 v1, v38, v8
	v_lshlrev_b32_e32 v1, 1, v1
	ds_write_b16_d16_hi v1, v3
	;; [unrolled: 6-line block ×6, first 2 shown]
	v_sub_u32_e32 v1, v20, v8
	v_lshlrev_b32_e32 v1, 1, v1
	s_or_b64 s[38:39], s[38:39], exec
	ds_write_b16 v1, v14
	s_or_b64 exec, exec, s[0:1]
	s_and_b64 exec, exec, s[38:39]
	s_cbranch_execnz .LBB945_112
	s_branch .LBB945_113
.LBB945_185:
	s_and_saveexec_b64 s[38:39], s[28:29]
	s_cbranch_execnz .LBB945_245
; %bb.186:
	s_or_b64 exec, exec, s[38:39]
	s_and_saveexec_b64 s[38:39], s[26:27]
	s_cbranch_execnz .LBB945_246
.LBB945_187:
	s_or_b64 exec, exec, s[38:39]
	s_and_saveexec_b64 s[38:39], s[24:25]
	s_cbranch_execnz .LBB945_247
.LBB945_188:
	s_or_b64 exec, exec, s[38:39]
	s_and_saveexec_b64 s[38:39], s[22:23]
	s_cbranch_execnz .LBB945_248
.LBB945_189:
	s_or_b64 exec, exec, s[38:39]
	s_and_saveexec_b64 s[38:39], s[20:21]
	s_cbranch_execnz .LBB945_249
.LBB945_190:
	s_or_b64 exec, exec, s[38:39]
	s_and_saveexec_b64 s[38:39], s[18:19]
	s_cbranch_execnz .LBB945_250
.LBB945_191:
	s_or_b64 exec, exec, s[38:39]
	s_and_saveexec_b64 s[38:39], s[16:17]
	s_cbranch_execnz .LBB945_251
.LBB945_192:
	s_or_b64 exec, exec, s[38:39]
	s_and_saveexec_b64 s[38:39], s[14:15]
	s_cbranch_execnz .LBB945_252
.LBB945_193:
	s_or_b64 exec, exec, s[38:39]
	s_and_saveexec_b64 s[38:39], s[12:13]
	s_cbranch_execnz .LBB945_253
.LBB945_194:
	s_or_b64 exec, exec, s[38:39]
	s_and_saveexec_b64 s[38:39], s[10:11]
	s_cbranch_execnz .LBB945_254
.LBB945_195:
	s_or_b64 exec, exec, s[38:39]
	s_and_saveexec_b64 s[38:39], s[8:9]
	s_cbranch_execnz .LBB945_255
.LBB945_196:
	s_or_b64 exec, exec, s[38:39]
	s_and_saveexec_b64 s[38:39], s[6:7]
	s_cbranch_execnz .LBB945_256
.LBB945_197:
	s_or_b64 exec, exec, s[38:39]
	s_and_saveexec_b64 s[38:39], s[4:5]
	s_cbranch_execnz .LBB945_257
.LBB945_198:
	s_or_b64 exec, exec, s[38:39]
	s_and_saveexec_b64 s[38:39], s[2:3]
	s_cbranch_execz .LBB945_200
.LBB945_199:
	v_sub_u32_e32 v10, v20, v2
	v_mov_b32_e32 v11, 0
	v_lshlrev_b64 v[12:13], 3, v[10:11]
	v_add_co_u32_e32 v12, vcc, v7, v12
	v_addc_co_u32_e32 v13, vcc, v9, v13, vcc
	v_mov_b32_e32 v10, v21
	global_store_dwordx2 v[12:13], v[10:11], off
.LBB945_200:
	s_or_b64 exec, exec, s[38:39]
	s_and_b64 s[38:39], s[0:1], exec
	s_andn2_saveexec_b64 s[30:31], s[30:31]
	s_cbranch_execz .LBB945_133
.LBB945_201:
	v_mov_b32_e32 v11, 0
	v_sub_u32_e32 v12, v48, v2
	v_mov_b32_e32 v13, v11
	v_lshlrev_b64 v[12:13], 3, v[12:13]
	v_add_co_u32_e32 v12, vcc, v7, v12
	v_mov_b32_e32 v10, v49
	v_addc_co_u32_e32 v13, vcc, v9, v13, vcc
	global_store_dwordx2 v[12:13], v[10:11], off
	v_sub_u32_e32 v12, v44, v2
	v_mov_b32_e32 v13, v11
	v_lshlrev_b64 v[12:13], 3, v[12:13]
	v_add_co_u32_e32 v12, vcc, v7, v12
	v_mov_b32_e32 v10, v45
	v_addc_co_u32_e32 v13, vcc, v9, v13, vcc
	global_store_dwordx2 v[12:13], v[10:11], off
	;; [unrolled: 7-line block ×13, first 2 shown]
	v_sub_u32_e32 v12, v20, v2
	v_mov_b32_e32 v13, v11
	v_lshlrev_b64 v[12:13], 3, v[12:13]
	v_add_co_u32_e32 v12, vcc, v7, v12
	v_mov_b32_e32 v10, v21
	v_addc_co_u32_e32 v13, vcc, v9, v13, vcc
	s_or_b64 s[38:39], s[38:39], exec
	global_store_dwordx2 v[12:13], v[10:11], off
	s_or_b64 exec, exec, s[30:31]
	s_and_b64 exec, exec, s[38:39]
	s_cbranch_execnz .LBB945_134
	s_branch .LBB945_135
.LBB945_202:
	s_and_saveexec_b64 s[38:39], s[28:29]
	s_cbranch_execnz .LBB945_258
; %bb.203:
	s_or_b64 exec, exec, s[38:39]
	s_and_saveexec_b64 s[28:29], s[26:27]
	s_cbranch_execnz .LBB945_259
.LBB945_204:
	s_or_b64 exec, exec, s[28:29]
	s_and_saveexec_b64 s[26:27], s[24:25]
	s_cbranch_execnz .LBB945_260
.LBB945_205:
	s_or_b64 exec, exec, s[26:27]
	s_and_saveexec_b64 s[24:25], s[22:23]
	s_cbranch_execnz .LBB945_261
.LBB945_206:
	s_or_b64 exec, exec, s[24:25]
	s_and_saveexec_b64 s[22:23], s[20:21]
	s_cbranch_execnz .LBB945_262
.LBB945_207:
	s_or_b64 exec, exec, s[22:23]
	s_and_saveexec_b64 s[20:21], s[18:19]
	s_cbranch_execnz .LBB945_263
.LBB945_208:
	s_or_b64 exec, exec, s[20:21]
	s_and_saveexec_b64 s[18:19], s[16:17]
	s_cbranch_execnz .LBB945_264
.LBB945_209:
	s_or_b64 exec, exec, s[18:19]
	s_and_saveexec_b64 s[16:17], s[14:15]
	s_cbranch_execnz .LBB945_265
.LBB945_210:
	s_or_b64 exec, exec, s[16:17]
	s_and_saveexec_b64 s[14:15], s[12:13]
	s_cbranch_execnz .LBB945_266
.LBB945_211:
	s_or_b64 exec, exec, s[14:15]
	s_and_saveexec_b64 s[12:13], s[10:11]
	s_cbranch_execnz .LBB945_267
.LBB945_212:
	s_or_b64 exec, exec, s[12:13]
	s_and_saveexec_b64 s[10:11], s[8:9]
	s_cbranch_execnz .LBB945_268
.LBB945_213:
	s_or_b64 exec, exec, s[10:11]
	s_and_saveexec_b64 s[8:9], s[6:7]
	s_cbranch_execnz .LBB945_269
.LBB945_214:
	s_or_b64 exec, exec, s[8:9]
	s_and_saveexec_b64 s[6:7], s[4:5]
	s_cbranch_execnz .LBB945_270
.LBB945_215:
	s_or_b64 exec, exec, s[6:7]
	s_and_saveexec_b64 s[4:5], s[2:3]
	s_cbranch_execz .LBB945_217
.LBB945_216:
	v_sub_u32_e32 v3, v20, v2
	v_lshlrev_b32_e32 v3, 2, v3
	ds_write_b32 v3, v21
.LBB945_217:
	s_or_b64 exec, exec, s[4:5]
	s_and_b64 s[38:39], s[0:1], exec
                                        ; implicit-def: $vgpr48_vgpr49
                                        ; implicit-def: $vgpr44_vgpr45
                                        ; implicit-def: $vgpr42_vgpr43
                                        ; implicit-def: $vgpr40_vgpr41
                                        ; implicit-def: $vgpr38_vgpr39
                                        ; implicit-def: $vgpr36_vgpr37
                                        ; implicit-def: $vgpr34_vgpr35
                                        ; implicit-def: $vgpr32_vgpr33
                                        ; implicit-def: $vgpr30_vgpr31
                                        ; implicit-def: $vgpr28_vgpr29
                                        ; implicit-def: $vgpr26_vgpr27
                                        ; implicit-def: $vgpr24_vgpr25
                                        ; implicit-def: $vgpr22_vgpr23
                                        ; implicit-def: $vgpr20_vgpr21
	s_andn2_saveexec_b64 s[0:1], s[36:37]
	s_cbranch_execz .LBB945_140
.LBB945_218:
	v_sub_u32_e32 v3, v48, v2
	v_lshlrev_b32_e32 v3, 2, v3
	ds_write_b32 v3, v49
	v_sub_u32_e32 v3, v44, v2
	v_lshlrev_b32_e32 v3, 2, v3
	ds_write_b32 v3, v45
	;; [unrolled: 3-line block ×13, first 2 shown]
	v_sub_u32_e32 v3, v20, v2
	v_lshlrev_b32_e32 v3, 2, v3
	s_or_b64 s[38:39], s[38:39], exec
	ds_write_b32 v3, v21
	s_or_b64 exec, exec, s[0:1]
	s_and_b64 exec, exec, s[38:39]
	s_cbranch_execnz .LBB945_141
	s_branch .LBB945_142
.LBB945_219:
	v_sub_u32_e32 v50, v48, v8
	v_mov_b32_e32 v51, 0
	v_lshlrev_b64 v[50:51], 1, v[50:51]
	v_add_co_u32_e32 v50, vcc, v7, v50
	v_addc_co_u32_e32 v51, vcc, v17, v51, vcc
	global_store_short v[50:51], v1, off
	s_or_b64 exec, exec, s[38:39]
	s_and_saveexec_b64 s[38:39], s[26:27]
	s_cbranch_execz .LBB945_153
.LBB945_220:
	v_sub_u32_e32 v50, v44, v8
	v_mov_b32_e32 v51, 0
	v_lshlrev_b64 v[50:51], 1, v[50:51]
	v_add_co_u32_e32 v50, vcc, v7, v50
	v_addc_co_u32_e32 v51, vcc, v17, v51, vcc
	global_store_short v[50:51], v2, off
	s_or_b64 exec, exec, s[38:39]
	s_and_saveexec_b64 s[38:39], s[24:25]
	s_cbranch_execz .LBB945_154
.LBB945_221:
	v_sub_u32_e32 v50, v42, v8
	v_mov_b32_e32 v51, 0
	v_lshlrev_b64 v[50:51], 1, v[50:51]
	v_add_co_u32_e32 v50, vcc, v7, v50
	v_addc_co_u32_e32 v51, vcc, v17, v51, vcc
	global_store_short_d16_hi v[50:51], v2, off
	s_or_b64 exec, exec, s[38:39]
	s_and_saveexec_b64 s[38:39], s[22:23]
	s_cbranch_execz .LBB945_155
.LBB945_222:
	v_sub_u32_e32 v50, v40, v8
	v_mov_b32_e32 v51, 0
	v_lshlrev_b64 v[50:51], 1, v[50:51]
	v_add_co_u32_e32 v50, vcc, v7, v50
	v_addc_co_u32_e32 v51, vcc, v17, v51, vcc
	global_store_short v[50:51], v3, off
	s_or_b64 exec, exec, s[38:39]
	s_and_saveexec_b64 s[38:39], s[20:21]
	s_cbranch_execz .LBB945_156
.LBB945_223:
	v_sub_u32_e32 v50, v38, v8
	v_mov_b32_e32 v51, 0
	v_lshlrev_b64 v[50:51], 1, v[50:51]
	v_add_co_u32_e32 v50, vcc, v7, v50
	v_addc_co_u32_e32 v51, vcc, v17, v51, vcc
	global_store_short_d16_hi v[50:51], v3, off
	s_or_b64 exec, exec, s[38:39]
	s_and_saveexec_b64 s[38:39], s[18:19]
	s_cbranch_execz .LBB945_157
.LBB945_224:
	v_sub_u32_e32 v50, v36, v8
	v_mov_b32_e32 v51, 0
	v_lshlrev_b64 v[50:51], 1, v[50:51]
	v_add_co_u32_e32 v50, vcc, v7, v50
	v_addc_co_u32_e32 v51, vcc, v17, v51, vcc
	global_store_short v[50:51], v4, off
	s_or_b64 exec, exec, s[38:39]
	s_and_saveexec_b64 s[38:39], s[16:17]
	s_cbranch_execz .LBB945_158
.LBB945_225:
	v_sub_u32_e32 v50, v34, v8
	v_mov_b32_e32 v51, 0
	v_lshlrev_b64 v[50:51], 1, v[50:51]
	v_add_co_u32_e32 v50, vcc, v7, v50
	v_addc_co_u32_e32 v51, vcc, v17, v51, vcc
	global_store_short_d16_hi v[50:51], v4, off
	s_or_b64 exec, exec, s[38:39]
	s_and_saveexec_b64 s[38:39], s[14:15]
	s_cbranch_execz .LBB945_159
.LBB945_226:
	v_sub_u32_e32 v50, v32, v8
	v_mov_b32_e32 v51, 0
	v_lshlrev_b64 v[50:51], 1, v[50:51]
	v_add_co_u32_e32 v50, vcc, v7, v50
	v_addc_co_u32_e32 v51, vcc, v17, v51, vcc
	global_store_short v[50:51], v5, off
	s_or_b64 exec, exec, s[38:39]
	s_and_saveexec_b64 s[38:39], s[12:13]
	s_cbranch_execz .LBB945_160
.LBB945_227:
	v_sub_u32_e32 v50, v30, v8
	v_mov_b32_e32 v51, 0
	v_lshlrev_b64 v[50:51], 1, v[50:51]
	v_add_co_u32_e32 v50, vcc, v7, v50
	v_addc_co_u32_e32 v51, vcc, v17, v51, vcc
	global_store_short_d16_hi v[50:51], v5, off
	s_or_b64 exec, exec, s[38:39]
	s_and_saveexec_b64 s[38:39], s[10:11]
	s_cbranch_execz .LBB945_161
.LBB945_228:
	v_sub_u32_e32 v50, v28, v8
	v_mov_b32_e32 v51, 0
	v_lshlrev_b64 v[50:51], 1, v[50:51]
	v_add_co_u32_e32 v50, vcc, v7, v50
	v_addc_co_u32_e32 v51, vcc, v17, v51, vcc
	global_store_short v[50:51], v12, off
	s_or_b64 exec, exec, s[38:39]
	s_and_saveexec_b64 s[38:39], s[8:9]
	s_cbranch_execz .LBB945_162
.LBB945_229:
	v_sub_u32_e32 v50, v26, v8
	v_mov_b32_e32 v51, 0
	v_lshlrev_b64 v[50:51], 1, v[50:51]
	v_add_co_u32_e32 v50, vcc, v7, v50
	v_addc_co_u32_e32 v51, vcc, v17, v51, vcc
	global_store_short_d16_hi v[50:51], v12, off
	s_or_b64 exec, exec, s[38:39]
	s_and_saveexec_b64 s[38:39], s[6:7]
	s_cbranch_execz .LBB945_163
.LBB945_230:
	v_sub_u32_e32 v50, v24, v8
	v_mov_b32_e32 v51, 0
	v_lshlrev_b64 v[50:51], 1, v[50:51]
	v_add_co_u32_e32 v50, vcc, v7, v50
	v_addc_co_u32_e32 v51, vcc, v17, v51, vcc
	global_store_short v[50:51], v13, off
	s_or_b64 exec, exec, s[38:39]
	s_and_saveexec_b64 s[38:39], s[4:5]
	s_cbranch_execz .LBB945_164
.LBB945_231:
	v_sub_u32_e32 v50, v22, v8
	v_mov_b32_e32 v51, 0
	v_lshlrev_b64 v[50:51], 1, v[50:51]
	v_add_co_u32_e32 v50, vcc, v7, v50
	v_addc_co_u32_e32 v51, vcc, v17, v51, vcc
	global_store_short_d16_hi v[50:51], v13, off
	s_or_b64 exec, exec, s[38:39]
	s_and_saveexec_b64 s[38:39], s[2:3]
	s_cbranch_execnz .LBB945_165
	s_branch .LBB945_166
.LBB945_232:
	v_sub_u32_e32 v10, v48, v8
	v_lshlrev_b32_e32 v10, 1, v10
	ds_write_b16 v10, v1
	s_or_b64 exec, exec, s[38:39]
	s_and_saveexec_b64 s[28:29], s[26:27]
	s_cbranch_execz .LBB945_170
.LBB945_233:
	v_sub_u32_e32 v1, v44, v8
	v_lshlrev_b32_e32 v1, 1, v1
	ds_write_b16 v1, v2
	s_or_b64 exec, exec, s[28:29]
	s_and_saveexec_b64 s[26:27], s[24:25]
	s_cbranch_execz .LBB945_171
.LBB945_234:
	v_sub_u32_e32 v1, v42, v8
	v_lshlrev_b32_e32 v1, 1, v1
	ds_write_b16_d16_hi v1, v2
	s_or_b64 exec, exec, s[26:27]
	s_and_saveexec_b64 s[24:25], s[22:23]
	s_cbranch_execz .LBB945_172
.LBB945_235:
	v_sub_u32_e32 v1, v40, v8
	v_lshlrev_b32_e32 v1, 1, v1
	ds_write_b16 v1, v3
	s_or_b64 exec, exec, s[24:25]
	s_and_saveexec_b64 s[22:23], s[20:21]
	s_cbranch_execz .LBB945_173
.LBB945_236:
	v_sub_u32_e32 v1, v38, v8
	v_lshlrev_b32_e32 v1, 1, v1
	ds_write_b16_d16_hi v1, v3
	s_or_b64 exec, exec, s[22:23]
	s_and_saveexec_b64 s[20:21], s[18:19]
	s_cbranch_execz .LBB945_174
.LBB945_237:
	v_sub_u32_e32 v1, v36, v8
	v_lshlrev_b32_e32 v1, 1, v1
	ds_write_b16 v1, v4
	s_or_b64 exec, exec, s[20:21]
	s_and_saveexec_b64 s[18:19], s[16:17]
	s_cbranch_execz .LBB945_175
.LBB945_238:
	v_sub_u32_e32 v1, v34, v8
	v_lshlrev_b32_e32 v1, 1, v1
	ds_write_b16_d16_hi v1, v4
	s_or_b64 exec, exec, s[18:19]
	s_and_saveexec_b64 s[16:17], s[14:15]
	s_cbranch_execz .LBB945_176
.LBB945_239:
	v_sub_u32_e32 v1, v32, v8
	v_lshlrev_b32_e32 v1, 1, v1
	ds_write_b16 v1, v5
	s_or_b64 exec, exec, s[16:17]
	s_and_saveexec_b64 s[14:15], s[12:13]
	s_cbranch_execz .LBB945_177
.LBB945_240:
	v_sub_u32_e32 v1, v30, v8
	v_lshlrev_b32_e32 v1, 1, v1
	ds_write_b16_d16_hi v1, v5
	s_or_b64 exec, exec, s[14:15]
	s_and_saveexec_b64 s[12:13], s[10:11]
	s_cbranch_execz .LBB945_178
.LBB945_241:
	v_sub_u32_e32 v1, v28, v8
	v_lshlrev_b32_e32 v1, 1, v1
	ds_write_b16 v1, v12
	s_or_b64 exec, exec, s[12:13]
	s_and_saveexec_b64 s[10:11], s[8:9]
	s_cbranch_execz .LBB945_179
.LBB945_242:
	v_sub_u32_e32 v1, v26, v8
	v_lshlrev_b32_e32 v1, 1, v1
	ds_write_b16_d16_hi v1, v12
	s_or_b64 exec, exec, s[10:11]
	s_and_saveexec_b64 s[8:9], s[6:7]
	s_cbranch_execz .LBB945_180
.LBB945_243:
	v_sub_u32_e32 v1, v24, v8
	v_lshlrev_b32_e32 v1, 1, v1
	ds_write_b16 v1, v13
	s_or_b64 exec, exec, s[8:9]
	s_and_saveexec_b64 s[6:7], s[4:5]
	s_cbranch_execz .LBB945_181
.LBB945_244:
	v_sub_u32_e32 v1, v22, v8
	v_lshlrev_b32_e32 v1, 1, v1
	ds_write_b16_d16_hi v1, v13
	s_or_b64 exec, exec, s[6:7]
	s_and_saveexec_b64 s[4:5], s[2:3]
	s_cbranch_execnz .LBB945_182
	s_branch .LBB945_183
.LBB945_245:
	v_sub_u32_e32 v10, v48, v2
	v_mov_b32_e32 v11, 0
	v_lshlrev_b64 v[12:13], 3, v[10:11]
	v_add_co_u32_e32 v12, vcc, v7, v12
	v_addc_co_u32_e32 v13, vcc, v9, v13, vcc
	v_mov_b32_e32 v10, v49
	global_store_dwordx2 v[12:13], v[10:11], off
	s_or_b64 exec, exec, s[38:39]
	s_and_saveexec_b64 s[38:39], s[26:27]
	s_cbranch_execz .LBB945_187
.LBB945_246:
	v_sub_u32_e32 v10, v44, v2
	v_mov_b32_e32 v11, 0
	v_lshlrev_b64 v[12:13], 3, v[10:11]
	v_add_co_u32_e32 v12, vcc, v7, v12
	v_addc_co_u32_e32 v13, vcc, v9, v13, vcc
	v_mov_b32_e32 v10, v45
	global_store_dwordx2 v[12:13], v[10:11], off
	s_or_b64 exec, exec, s[38:39]
	s_and_saveexec_b64 s[38:39], s[24:25]
	s_cbranch_execz .LBB945_188
.LBB945_247:
	v_sub_u32_e32 v10, v42, v2
	v_mov_b32_e32 v11, 0
	v_lshlrev_b64 v[12:13], 3, v[10:11]
	v_add_co_u32_e32 v12, vcc, v7, v12
	v_addc_co_u32_e32 v13, vcc, v9, v13, vcc
	v_mov_b32_e32 v10, v43
	global_store_dwordx2 v[12:13], v[10:11], off
	s_or_b64 exec, exec, s[38:39]
	s_and_saveexec_b64 s[38:39], s[22:23]
	s_cbranch_execz .LBB945_189
.LBB945_248:
	v_sub_u32_e32 v10, v40, v2
	v_mov_b32_e32 v11, 0
	v_lshlrev_b64 v[12:13], 3, v[10:11]
	v_add_co_u32_e32 v12, vcc, v7, v12
	v_addc_co_u32_e32 v13, vcc, v9, v13, vcc
	v_mov_b32_e32 v10, v41
	global_store_dwordx2 v[12:13], v[10:11], off
	s_or_b64 exec, exec, s[38:39]
	s_and_saveexec_b64 s[38:39], s[20:21]
	s_cbranch_execz .LBB945_190
.LBB945_249:
	v_sub_u32_e32 v10, v38, v2
	v_mov_b32_e32 v11, 0
	v_lshlrev_b64 v[12:13], 3, v[10:11]
	v_add_co_u32_e32 v12, vcc, v7, v12
	v_addc_co_u32_e32 v13, vcc, v9, v13, vcc
	v_mov_b32_e32 v10, v39
	global_store_dwordx2 v[12:13], v[10:11], off
	s_or_b64 exec, exec, s[38:39]
	s_and_saveexec_b64 s[38:39], s[18:19]
	s_cbranch_execz .LBB945_191
.LBB945_250:
	v_sub_u32_e32 v10, v36, v2
	v_mov_b32_e32 v11, 0
	v_lshlrev_b64 v[12:13], 3, v[10:11]
	v_add_co_u32_e32 v12, vcc, v7, v12
	v_addc_co_u32_e32 v13, vcc, v9, v13, vcc
	v_mov_b32_e32 v10, v37
	global_store_dwordx2 v[12:13], v[10:11], off
	s_or_b64 exec, exec, s[38:39]
	s_and_saveexec_b64 s[38:39], s[16:17]
	s_cbranch_execz .LBB945_192
.LBB945_251:
	v_sub_u32_e32 v10, v34, v2
	v_mov_b32_e32 v11, 0
	v_lshlrev_b64 v[12:13], 3, v[10:11]
	v_add_co_u32_e32 v12, vcc, v7, v12
	v_addc_co_u32_e32 v13, vcc, v9, v13, vcc
	v_mov_b32_e32 v10, v35
	global_store_dwordx2 v[12:13], v[10:11], off
	s_or_b64 exec, exec, s[38:39]
	s_and_saveexec_b64 s[38:39], s[14:15]
	s_cbranch_execz .LBB945_193
.LBB945_252:
	v_sub_u32_e32 v10, v32, v2
	v_mov_b32_e32 v11, 0
	v_lshlrev_b64 v[12:13], 3, v[10:11]
	v_add_co_u32_e32 v12, vcc, v7, v12
	v_addc_co_u32_e32 v13, vcc, v9, v13, vcc
	v_mov_b32_e32 v10, v33
	global_store_dwordx2 v[12:13], v[10:11], off
	s_or_b64 exec, exec, s[38:39]
	s_and_saveexec_b64 s[38:39], s[12:13]
	s_cbranch_execz .LBB945_194
.LBB945_253:
	v_sub_u32_e32 v10, v30, v2
	v_mov_b32_e32 v11, 0
	v_lshlrev_b64 v[12:13], 3, v[10:11]
	v_add_co_u32_e32 v12, vcc, v7, v12
	v_addc_co_u32_e32 v13, vcc, v9, v13, vcc
	v_mov_b32_e32 v10, v31
	global_store_dwordx2 v[12:13], v[10:11], off
	s_or_b64 exec, exec, s[38:39]
	s_and_saveexec_b64 s[38:39], s[10:11]
	s_cbranch_execz .LBB945_195
.LBB945_254:
	v_sub_u32_e32 v10, v28, v2
	v_mov_b32_e32 v11, 0
	v_lshlrev_b64 v[12:13], 3, v[10:11]
	v_add_co_u32_e32 v12, vcc, v7, v12
	v_addc_co_u32_e32 v13, vcc, v9, v13, vcc
	v_mov_b32_e32 v10, v29
	global_store_dwordx2 v[12:13], v[10:11], off
	s_or_b64 exec, exec, s[38:39]
	s_and_saveexec_b64 s[38:39], s[8:9]
	s_cbranch_execz .LBB945_196
.LBB945_255:
	v_sub_u32_e32 v10, v26, v2
	v_mov_b32_e32 v11, 0
	v_lshlrev_b64 v[12:13], 3, v[10:11]
	v_add_co_u32_e32 v12, vcc, v7, v12
	v_addc_co_u32_e32 v13, vcc, v9, v13, vcc
	v_mov_b32_e32 v10, v27
	global_store_dwordx2 v[12:13], v[10:11], off
	s_or_b64 exec, exec, s[38:39]
	s_and_saveexec_b64 s[38:39], s[6:7]
	s_cbranch_execz .LBB945_197
.LBB945_256:
	v_sub_u32_e32 v10, v24, v2
	v_mov_b32_e32 v11, 0
	v_lshlrev_b64 v[12:13], 3, v[10:11]
	v_add_co_u32_e32 v12, vcc, v7, v12
	v_addc_co_u32_e32 v13, vcc, v9, v13, vcc
	v_mov_b32_e32 v10, v25
	global_store_dwordx2 v[12:13], v[10:11], off
	s_or_b64 exec, exec, s[38:39]
	s_and_saveexec_b64 s[38:39], s[4:5]
	s_cbranch_execz .LBB945_198
.LBB945_257:
	v_sub_u32_e32 v10, v22, v2
	v_mov_b32_e32 v11, 0
	v_lshlrev_b64 v[12:13], 3, v[10:11]
	v_add_co_u32_e32 v12, vcc, v7, v12
	v_addc_co_u32_e32 v13, vcc, v9, v13, vcc
	v_mov_b32_e32 v10, v23
	global_store_dwordx2 v[12:13], v[10:11], off
	s_or_b64 exec, exec, s[38:39]
	s_and_saveexec_b64 s[38:39], s[2:3]
	s_cbranch_execnz .LBB945_199
	s_branch .LBB945_200
.LBB945_258:
	v_sub_u32_e32 v3, v48, v2
	v_lshlrev_b32_e32 v3, 2, v3
	ds_write_b32 v3, v49
	s_or_b64 exec, exec, s[38:39]
	s_and_saveexec_b64 s[28:29], s[26:27]
	s_cbranch_execz .LBB945_204
.LBB945_259:
	v_sub_u32_e32 v3, v44, v2
	v_lshlrev_b32_e32 v3, 2, v3
	ds_write_b32 v3, v45
	s_or_b64 exec, exec, s[28:29]
	s_and_saveexec_b64 s[26:27], s[24:25]
	s_cbranch_execz .LBB945_205
.LBB945_260:
	v_sub_u32_e32 v3, v42, v2
	v_lshlrev_b32_e32 v3, 2, v3
	ds_write_b32 v3, v43
	s_or_b64 exec, exec, s[26:27]
	s_and_saveexec_b64 s[24:25], s[22:23]
	s_cbranch_execz .LBB945_206
.LBB945_261:
	v_sub_u32_e32 v3, v40, v2
	v_lshlrev_b32_e32 v3, 2, v3
	ds_write_b32 v3, v41
	s_or_b64 exec, exec, s[24:25]
	s_and_saveexec_b64 s[22:23], s[20:21]
	s_cbranch_execz .LBB945_207
.LBB945_262:
	v_sub_u32_e32 v3, v38, v2
	v_lshlrev_b32_e32 v3, 2, v3
	ds_write_b32 v3, v39
	s_or_b64 exec, exec, s[22:23]
	s_and_saveexec_b64 s[20:21], s[18:19]
	s_cbranch_execz .LBB945_208
.LBB945_263:
	v_sub_u32_e32 v3, v36, v2
	v_lshlrev_b32_e32 v3, 2, v3
	ds_write_b32 v3, v37
	s_or_b64 exec, exec, s[20:21]
	s_and_saveexec_b64 s[18:19], s[16:17]
	s_cbranch_execz .LBB945_209
.LBB945_264:
	v_sub_u32_e32 v3, v34, v2
	v_lshlrev_b32_e32 v3, 2, v3
	ds_write_b32 v3, v35
	s_or_b64 exec, exec, s[18:19]
	s_and_saveexec_b64 s[16:17], s[14:15]
	s_cbranch_execz .LBB945_210
.LBB945_265:
	v_sub_u32_e32 v3, v32, v2
	v_lshlrev_b32_e32 v3, 2, v3
	ds_write_b32 v3, v33
	s_or_b64 exec, exec, s[16:17]
	s_and_saveexec_b64 s[14:15], s[12:13]
	s_cbranch_execz .LBB945_211
.LBB945_266:
	v_sub_u32_e32 v3, v30, v2
	v_lshlrev_b32_e32 v3, 2, v3
	ds_write_b32 v3, v31
	s_or_b64 exec, exec, s[14:15]
	s_and_saveexec_b64 s[12:13], s[10:11]
	s_cbranch_execz .LBB945_212
.LBB945_267:
	v_sub_u32_e32 v3, v28, v2
	v_lshlrev_b32_e32 v3, 2, v3
	ds_write_b32 v3, v29
	s_or_b64 exec, exec, s[12:13]
	s_and_saveexec_b64 s[10:11], s[8:9]
	s_cbranch_execz .LBB945_213
.LBB945_268:
	v_sub_u32_e32 v3, v26, v2
	v_lshlrev_b32_e32 v3, 2, v3
	ds_write_b32 v3, v27
	s_or_b64 exec, exec, s[10:11]
	s_and_saveexec_b64 s[8:9], s[6:7]
	s_cbranch_execz .LBB945_214
.LBB945_269:
	v_sub_u32_e32 v3, v24, v2
	v_lshlrev_b32_e32 v3, 2, v3
	ds_write_b32 v3, v25
	s_or_b64 exec, exec, s[8:9]
	s_and_saveexec_b64 s[6:7], s[4:5]
	s_cbranch_execz .LBB945_215
.LBB945_270:
	v_sub_u32_e32 v3, v22, v2
	v_lshlrev_b32_e32 v3, 2, v3
	ds_write_b32 v3, v23
	s_or_b64 exec, exec, s[6:7]
	s_and_saveexec_b64 s[4:5], s[2:3]
	s_cbranch_execnz .LBB945_216
	s_branch .LBB945_217
	.section	.rodata,"a",@progbits
	.p2align	6, 0x0
	.amdhsa_kernel _ZN7rocprim17ROCPRIM_400000_NS6detail17trampoline_kernelINS0_14default_configENS1_33run_length_encode_config_selectorIN3c104HalfEjNS0_4plusIjEEEEZZNS1_33reduce_by_key_impl_wrapped_configILNS1_25lookback_scan_determinismE0ES3_S9_PKS6_NS0_17constant_iteratorIjlEEPS6_PlSH_S8_NS0_8equal_toIS6_EEEE10hipError_tPvRmT2_T3_mT4_T5_T6_T7_T8_P12ihipStream_tbENKUlT_T0_E_clISt17integral_constantIbLb1EES10_IbLb0EEEEDaSW_SX_EUlSW_E_NS1_11comp_targetILNS1_3genE4ELNS1_11target_archE910ELNS1_3gpuE8ELNS1_3repE0EEENS1_30default_config_static_selectorELNS0_4arch9wavefront6targetE1EEEvT1_
		.amdhsa_group_segment_fixed_size 15360
		.amdhsa_private_segment_fixed_size 0
		.amdhsa_kernarg_size 128
		.amdhsa_user_sgpr_count 6
		.amdhsa_user_sgpr_private_segment_buffer 1
		.amdhsa_user_sgpr_dispatch_ptr 0
		.amdhsa_user_sgpr_queue_ptr 0
		.amdhsa_user_sgpr_kernarg_segment_ptr 1
		.amdhsa_user_sgpr_dispatch_id 0
		.amdhsa_user_sgpr_flat_scratch_init 0
		.amdhsa_user_sgpr_kernarg_preload_length 0
		.amdhsa_user_sgpr_kernarg_preload_offset 0
		.amdhsa_user_sgpr_private_segment_size 0
		.amdhsa_uses_dynamic_stack 0
		.amdhsa_system_sgpr_private_segment_wavefront_offset 0
		.amdhsa_system_sgpr_workgroup_id_x 1
		.amdhsa_system_sgpr_workgroup_id_y 0
		.amdhsa_system_sgpr_workgroup_id_z 0
		.amdhsa_system_sgpr_workgroup_info 0
		.amdhsa_system_vgpr_workitem_id 0
		.amdhsa_next_free_vgpr 109
		.amdhsa_next_free_sgpr 64
		.amdhsa_accum_offset 112
		.amdhsa_reserve_vcc 1
		.amdhsa_reserve_flat_scratch 0
		.amdhsa_float_round_mode_32 0
		.amdhsa_float_round_mode_16_64 0
		.amdhsa_float_denorm_mode_32 3
		.amdhsa_float_denorm_mode_16_64 3
		.amdhsa_dx10_clamp 1
		.amdhsa_ieee_mode 1
		.amdhsa_fp16_overflow 0
		.amdhsa_tg_split 0
		.amdhsa_exception_fp_ieee_invalid_op 0
		.amdhsa_exception_fp_denorm_src 0
		.amdhsa_exception_fp_ieee_div_zero 0
		.amdhsa_exception_fp_ieee_overflow 0
		.amdhsa_exception_fp_ieee_underflow 0
		.amdhsa_exception_fp_ieee_inexact 0
		.amdhsa_exception_int_div_zero 0
	.end_amdhsa_kernel
	.section	.text._ZN7rocprim17ROCPRIM_400000_NS6detail17trampoline_kernelINS0_14default_configENS1_33run_length_encode_config_selectorIN3c104HalfEjNS0_4plusIjEEEEZZNS1_33reduce_by_key_impl_wrapped_configILNS1_25lookback_scan_determinismE0ES3_S9_PKS6_NS0_17constant_iteratorIjlEEPS6_PlSH_S8_NS0_8equal_toIS6_EEEE10hipError_tPvRmT2_T3_mT4_T5_T6_T7_T8_P12ihipStream_tbENKUlT_T0_E_clISt17integral_constantIbLb1EES10_IbLb0EEEEDaSW_SX_EUlSW_E_NS1_11comp_targetILNS1_3genE4ELNS1_11target_archE910ELNS1_3gpuE8ELNS1_3repE0EEENS1_30default_config_static_selectorELNS0_4arch9wavefront6targetE1EEEvT1_,"axG",@progbits,_ZN7rocprim17ROCPRIM_400000_NS6detail17trampoline_kernelINS0_14default_configENS1_33run_length_encode_config_selectorIN3c104HalfEjNS0_4plusIjEEEEZZNS1_33reduce_by_key_impl_wrapped_configILNS1_25lookback_scan_determinismE0ES3_S9_PKS6_NS0_17constant_iteratorIjlEEPS6_PlSH_S8_NS0_8equal_toIS6_EEEE10hipError_tPvRmT2_T3_mT4_T5_T6_T7_T8_P12ihipStream_tbENKUlT_T0_E_clISt17integral_constantIbLb1EES10_IbLb0EEEEDaSW_SX_EUlSW_E_NS1_11comp_targetILNS1_3genE4ELNS1_11target_archE910ELNS1_3gpuE8ELNS1_3repE0EEENS1_30default_config_static_selectorELNS0_4arch9wavefront6targetE1EEEvT1_,comdat
.Lfunc_end945:
	.size	_ZN7rocprim17ROCPRIM_400000_NS6detail17trampoline_kernelINS0_14default_configENS1_33run_length_encode_config_selectorIN3c104HalfEjNS0_4plusIjEEEEZZNS1_33reduce_by_key_impl_wrapped_configILNS1_25lookback_scan_determinismE0ES3_S9_PKS6_NS0_17constant_iteratorIjlEEPS6_PlSH_S8_NS0_8equal_toIS6_EEEE10hipError_tPvRmT2_T3_mT4_T5_T6_T7_T8_P12ihipStream_tbENKUlT_T0_E_clISt17integral_constantIbLb1EES10_IbLb0EEEEDaSW_SX_EUlSW_E_NS1_11comp_targetILNS1_3genE4ELNS1_11target_archE910ELNS1_3gpuE8ELNS1_3repE0EEENS1_30default_config_static_selectorELNS0_4arch9wavefront6targetE1EEEvT1_, .Lfunc_end945-_ZN7rocprim17ROCPRIM_400000_NS6detail17trampoline_kernelINS0_14default_configENS1_33run_length_encode_config_selectorIN3c104HalfEjNS0_4plusIjEEEEZZNS1_33reduce_by_key_impl_wrapped_configILNS1_25lookback_scan_determinismE0ES3_S9_PKS6_NS0_17constant_iteratorIjlEEPS6_PlSH_S8_NS0_8equal_toIS6_EEEE10hipError_tPvRmT2_T3_mT4_T5_T6_T7_T8_P12ihipStream_tbENKUlT_T0_E_clISt17integral_constantIbLb1EES10_IbLb0EEEEDaSW_SX_EUlSW_E_NS1_11comp_targetILNS1_3genE4ELNS1_11target_archE910ELNS1_3gpuE8ELNS1_3repE0EEENS1_30default_config_static_selectorELNS0_4arch9wavefront6targetE1EEEvT1_
                                        ; -- End function
	.section	.AMDGPU.csdata,"",@progbits
; Kernel info:
; codeLenInByte = 15692
; NumSgprs: 68
; NumVgprs: 109
; NumAgprs: 0
; TotalNumVgprs: 109
; ScratchSize: 0
; MemoryBound: 0
; FloatMode: 240
; IeeeMode: 1
; LDSByteSize: 15360 bytes/workgroup (compile time only)
; SGPRBlocks: 8
; VGPRBlocks: 13
; NumSGPRsForWavesPerEU: 68
; NumVGPRsForWavesPerEU: 109
; AccumOffset: 112
; Occupancy: 4
; WaveLimiterHint : 1
; COMPUTE_PGM_RSRC2:SCRATCH_EN: 0
; COMPUTE_PGM_RSRC2:USER_SGPR: 6
; COMPUTE_PGM_RSRC2:TRAP_HANDLER: 0
; COMPUTE_PGM_RSRC2:TGID_X_EN: 1
; COMPUTE_PGM_RSRC2:TGID_Y_EN: 0
; COMPUTE_PGM_RSRC2:TGID_Z_EN: 0
; COMPUTE_PGM_RSRC2:TIDIG_COMP_CNT: 0
; COMPUTE_PGM_RSRC3_GFX90A:ACCUM_OFFSET: 27
; COMPUTE_PGM_RSRC3_GFX90A:TG_SPLIT: 0
	.section	.text._ZN7rocprim17ROCPRIM_400000_NS6detail17trampoline_kernelINS0_14default_configENS1_33run_length_encode_config_selectorIN3c104HalfEjNS0_4plusIjEEEEZZNS1_33reduce_by_key_impl_wrapped_configILNS1_25lookback_scan_determinismE0ES3_S9_PKS6_NS0_17constant_iteratorIjlEEPS6_PlSH_S8_NS0_8equal_toIS6_EEEE10hipError_tPvRmT2_T3_mT4_T5_T6_T7_T8_P12ihipStream_tbENKUlT_T0_E_clISt17integral_constantIbLb1EES10_IbLb0EEEEDaSW_SX_EUlSW_E_NS1_11comp_targetILNS1_3genE3ELNS1_11target_archE908ELNS1_3gpuE7ELNS1_3repE0EEENS1_30default_config_static_selectorELNS0_4arch9wavefront6targetE1EEEvT1_,"axG",@progbits,_ZN7rocprim17ROCPRIM_400000_NS6detail17trampoline_kernelINS0_14default_configENS1_33run_length_encode_config_selectorIN3c104HalfEjNS0_4plusIjEEEEZZNS1_33reduce_by_key_impl_wrapped_configILNS1_25lookback_scan_determinismE0ES3_S9_PKS6_NS0_17constant_iteratorIjlEEPS6_PlSH_S8_NS0_8equal_toIS6_EEEE10hipError_tPvRmT2_T3_mT4_T5_T6_T7_T8_P12ihipStream_tbENKUlT_T0_E_clISt17integral_constantIbLb1EES10_IbLb0EEEEDaSW_SX_EUlSW_E_NS1_11comp_targetILNS1_3genE3ELNS1_11target_archE908ELNS1_3gpuE7ELNS1_3repE0EEENS1_30default_config_static_selectorELNS0_4arch9wavefront6targetE1EEEvT1_,comdat
	.protected	_ZN7rocprim17ROCPRIM_400000_NS6detail17trampoline_kernelINS0_14default_configENS1_33run_length_encode_config_selectorIN3c104HalfEjNS0_4plusIjEEEEZZNS1_33reduce_by_key_impl_wrapped_configILNS1_25lookback_scan_determinismE0ES3_S9_PKS6_NS0_17constant_iteratorIjlEEPS6_PlSH_S8_NS0_8equal_toIS6_EEEE10hipError_tPvRmT2_T3_mT4_T5_T6_T7_T8_P12ihipStream_tbENKUlT_T0_E_clISt17integral_constantIbLb1EES10_IbLb0EEEEDaSW_SX_EUlSW_E_NS1_11comp_targetILNS1_3genE3ELNS1_11target_archE908ELNS1_3gpuE7ELNS1_3repE0EEENS1_30default_config_static_selectorELNS0_4arch9wavefront6targetE1EEEvT1_ ; -- Begin function _ZN7rocprim17ROCPRIM_400000_NS6detail17trampoline_kernelINS0_14default_configENS1_33run_length_encode_config_selectorIN3c104HalfEjNS0_4plusIjEEEEZZNS1_33reduce_by_key_impl_wrapped_configILNS1_25lookback_scan_determinismE0ES3_S9_PKS6_NS0_17constant_iteratorIjlEEPS6_PlSH_S8_NS0_8equal_toIS6_EEEE10hipError_tPvRmT2_T3_mT4_T5_T6_T7_T8_P12ihipStream_tbENKUlT_T0_E_clISt17integral_constantIbLb1EES10_IbLb0EEEEDaSW_SX_EUlSW_E_NS1_11comp_targetILNS1_3genE3ELNS1_11target_archE908ELNS1_3gpuE7ELNS1_3repE0EEENS1_30default_config_static_selectorELNS0_4arch9wavefront6targetE1EEEvT1_
	.globl	_ZN7rocprim17ROCPRIM_400000_NS6detail17trampoline_kernelINS0_14default_configENS1_33run_length_encode_config_selectorIN3c104HalfEjNS0_4plusIjEEEEZZNS1_33reduce_by_key_impl_wrapped_configILNS1_25lookback_scan_determinismE0ES3_S9_PKS6_NS0_17constant_iteratorIjlEEPS6_PlSH_S8_NS0_8equal_toIS6_EEEE10hipError_tPvRmT2_T3_mT4_T5_T6_T7_T8_P12ihipStream_tbENKUlT_T0_E_clISt17integral_constantIbLb1EES10_IbLb0EEEEDaSW_SX_EUlSW_E_NS1_11comp_targetILNS1_3genE3ELNS1_11target_archE908ELNS1_3gpuE7ELNS1_3repE0EEENS1_30default_config_static_selectorELNS0_4arch9wavefront6targetE1EEEvT1_
	.p2align	8
	.type	_ZN7rocprim17ROCPRIM_400000_NS6detail17trampoline_kernelINS0_14default_configENS1_33run_length_encode_config_selectorIN3c104HalfEjNS0_4plusIjEEEEZZNS1_33reduce_by_key_impl_wrapped_configILNS1_25lookback_scan_determinismE0ES3_S9_PKS6_NS0_17constant_iteratorIjlEEPS6_PlSH_S8_NS0_8equal_toIS6_EEEE10hipError_tPvRmT2_T3_mT4_T5_T6_T7_T8_P12ihipStream_tbENKUlT_T0_E_clISt17integral_constantIbLb1EES10_IbLb0EEEEDaSW_SX_EUlSW_E_NS1_11comp_targetILNS1_3genE3ELNS1_11target_archE908ELNS1_3gpuE7ELNS1_3repE0EEENS1_30default_config_static_selectorELNS0_4arch9wavefront6targetE1EEEvT1_,@function
_ZN7rocprim17ROCPRIM_400000_NS6detail17trampoline_kernelINS0_14default_configENS1_33run_length_encode_config_selectorIN3c104HalfEjNS0_4plusIjEEEEZZNS1_33reduce_by_key_impl_wrapped_configILNS1_25lookback_scan_determinismE0ES3_S9_PKS6_NS0_17constant_iteratorIjlEEPS6_PlSH_S8_NS0_8equal_toIS6_EEEE10hipError_tPvRmT2_T3_mT4_T5_T6_T7_T8_P12ihipStream_tbENKUlT_T0_E_clISt17integral_constantIbLb1EES10_IbLb0EEEEDaSW_SX_EUlSW_E_NS1_11comp_targetILNS1_3genE3ELNS1_11target_archE908ELNS1_3gpuE7ELNS1_3repE0EEENS1_30default_config_static_selectorELNS0_4arch9wavefront6targetE1EEEvT1_: ; @_ZN7rocprim17ROCPRIM_400000_NS6detail17trampoline_kernelINS0_14default_configENS1_33run_length_encode_config_selectorIN3c104HalfEjNS0_4plusIjEEEEZZNS1_33reduce_by_key_impl_wrapped_configILNS1_25lookback_scan_determinismE0ES3_S9_PKS6_NS0_17constant_iteratorIjlEEPS6_PlSH_S8_NS0_8equal_toIS6_EEEE10hipError_tPvRmT2_T3_mT4_T5_T6_T7_T8_P12ihipStream_tbENKUlT_T0_E_clISt17integral_constantIbLb1EES10_IbLb0EEEEDaSW_SX_EUlSW_E_NS1_11comp_targetILNS1_3genE3ELNS1_11target_archE908ELNS1_3gpuE7ELNS1_3repE0EEENS1_30default_config_static_selectorELNS0_4arch9wavefront6targetE1EEEvT1_
; %bb.0:
	.section	.rodata,"a",@progbits
	.p2align	6, 0x0
	.amdhsa_kernel _ZN7rocprim17ROCPRIM_400000_NS6detail17trampoline_kernelINS0_14default_configENS1_33run_length_encode_config_selectorIN3c104HalfEjNS0_4plusIjEEEEZZNS1_33reduce_by_key_impl_wrapped_configILNS1_25lookback_scan_determinismE0ES3_S9_PKS6_NS0_17constant_iteratorIjlEEPS6_PlSH_S8_NS0_8equal_toIS6_EEEE10hipError_tPvRmT2_T3_mT4_T5_T6_T7_T8_P12ihipStream_tbENKUlT_T0_E_clISt17integral_constantIbLb1EES10_IbLb0EEEEDaSW_SX_EUlSW_E_NS1_11comp_targetILNS1_3genE3ELNS1_11target_archE908ELNS1_3gpuE7ELNS1_3repE0EEENS1_30default_config_static_selectorELNS0_4arch9wavefront6targetE1EEEvT1_
		.amdhsa_group_segment_fixed_size 0
		.amdhsa_private_segment_fixed_size 0
		.amdhsa_kernarg_size 128
		.amdhsa_user_sgpr_count 6
		.amdhsa_user_sgpr_private_segment_buffer 1
		.amdhsa_user_sgpr_dispatch_ptr 0
		.amdhsa_user_sgpr_queue_ptr 0
		.amdhsa_user_sgpr_kernarg_segment_ptr 1
		.amdhsa_user_sgpr_dispatch_id 0
		.amdhsa_user_sgpr_flat_scratch_init 0
		.amdhsa_user_sgpr_kernarg_preload_length 0
		.amdhsa_user_sgpr_kernarg_preload_offset 0
		.amdhsa_user_sgpr_private_segment_size 0
		.amdhsa_uses_dynamic_stack 0
		.amdhsa_system_sgpr_private_segment_wavefront_offset 0
		.amdhsa_system_sgpr_workgroup_id_x 1
		.amdhsa_system_sgpr_workgroup_id_y 0
		.amdhsa_system_sgpr_workgroup_id_z 0
		.amdhsa_system_sgpr_workgroup_info 0
		.amdhsa_system_vgpr_workitem_id 0
		.amdhsa_next_free_vgpr 1
		.amdhsa_next_free_sgpr 0
		.amdhsa_accum_offset 4
		.amdhsa_reserve_vcc 0
		.amdhsa_reserve_flat_scratch 0
		.amdhsa_float_round_mode_32 0
		.amdhsa_float_round_mode_16_64 0
		.amdhsa_float_denorm_mode_32 3
		.amdhsa_float_denorm_mode_16_64 3
		.amdhsa_dx10_clamp 1
		.amdhsa_ieee_mode 1
		.amdhsa_fp16_overflow 0
		.amdhsa_tg_split 0
		.amdhsa_exception_fp_ieee_invalid_op 0
		.amdhsa_exception_fp_denorm_src 0
		.amdhsa_exception_fp_ieee_div_zero 0
		.amdhsa_exception_fp_ieee_overflow 0
		.amdhsa_exception_fp_ieee_underflow 0
		.amdhsa_exception_fp_ieee_inexact 0
		.amdhsa_exception_int_div_zero 0
	.end_amdhsa_kernel
	.section	.text._ZN7rocprim17ROCPRIM_400000_NS6detail17trampoline_kernelINS0_14default_configENS1_33run_length_encode_config_selectorIN3c104HalfEjNS0_4plusIjEEEEZZNS1_33reduce_by_key_impl_wrapped_configILNS1_25lookback_scan_determinismE0ES3_S9_PKS6_NS0_17constant_iteratorIjlEEPS6_PlSH_S8_NS0_8equal_toIS6_EEEE10hipError_tPvRmT2_T3_mT4_T5_T6_T7_T8_P12ihipStream_tbENKUlT_T0_E_clISt17integral_constantIbLb1EES10_IbLb0EEEEDaSW_SX_EUlSW_E_NS1_11comp_targetILNS1_3genE3ELNS1_11target_archE908ELNS1_3gpuE7ELNS1_3repE0EEENS1_30default_config_static_selectorELNS0_4arch9wavefront6targetE1EEEvT1_,"axG",@progbits,_ZN7rocprim17ROCPRIM_400000_NS6detail17trampoline_kernelINS0_14default_configENS1_33run_length_encode_config_selectorIN3c104HalfEjNS0_4plusIjEEEEZZNS1_33reduce_by_key_impl_wrapped_configILNS1_25lookback_scan_determinismE0ES3_S9_PKS6_NS0_17constant_iteratorIjlEEPS6_PlSH_S8_NS0_8equal_toIS6_EEEE10hipError_tPvRmT2_T3_mT4_T5_T6_T7_T8_P12ihipStream_tbENKUlT_T0_E_clISt17integral_constantIbLb1EES10_IbLb0EEEEDaSW_SX_EUlSW_E_NS1_11comp_targetILNS1_3genE3ELNS1_11target_archE908ELNS1_3gpuE7ELNS1_3repE0EEENS1_30default_config_static_selectorELNS0_4arch9wavefront6targetE1EEEvT1_,comdat
.Lfunc_end946:
	.size	_ZN7rocprim17ROCPRIM_400000_NS6detail17trampoline_kernelINS0_14default_configENS1_33run_length_encode_config_selectorIN3c104HalfEjNS0_4plusIjEEEEZZNS1_33reduce_by_key_impl_wrapped_configILNS1_25lookback_scan_determinismE0ES3_S9_PKS6_NS0_17constant_iteratorIjlEEPS6_PlSH_S8_NS0_8equal_toIS6_EEEE10hipError_tPvRmT2_T3_mT4_T5_T6_T7_T8_P12ihipStream_tbENKUlT_T0_E_clISt17integral_constantIbLb1EES10_IbLb0EEEEDaSW_SX_EUlSW_E_NS1_11comp_targetILNS1_3genE3ELNS1_11target_archE908ELNS1_3gpuE7ELNS1_3repE0EEENS1_30default_config_static_selectorELNS0_4arch9wavefront6targetE1EEEvT1_, .Lfunc_end946-_ZN7rocprim17ROCPRIM_400000_NS6detail17trampoline_kernelINS0_14default_configENS1_33run_length_encode_config_selectorIN3c104HalfEjNS0_4plusIjEEEEZZNS1_33reduce_by_key_impl_wrapped_configILNS1_25lookback_scan_determinismE0ES3_S9_PKS6_NS0_17constant_iteratorIjlEEPS6_PlSH_S8_NS0_8equal_toIS6_EEEE10hipError_tPvRmT2_T3_mT4_T5_T6_T7_T8_P12ihipStream_tbENKUlT_T0_E_clISt17integral_constantIbLb1EES10_IbLb0EEEEDaSW_SX_EUlSW_E_NS1_11comp_targetILNS1_3genE3ELNS1_11target_archE908ELNS1_3gpuE7ELNS1_3repE0EEENS1_30default_config_static_selectorELNS0_4arch9wavefront6targetE1EEEvT1_
                                        ; -- End function
	.section	.AMDGPU.csdata,"",@progbits
; Kernel info:
; codeLenInByte = 0
; NumSgprs: 4
; NumVgprs: 0
; NumAgprs: 0
; TotalNumVgprs: 0
; ScratchSize: 0
; MemoryBound: 0
; FloatMode: 240
; IeeeMode: 1
; LDSByteSize: 0 bytes/workgroup (compile time only)
; SGPRBlocks: 0
; VGPRBlocks: 0
; NumSGPRsForWavesPerEU: 4
; NumVGPRsForWavesPerEU: 1
; AccumOffset: 4
; Occupancy: 8
; WaveLimiterHint : 0
; COMPUTE_PGM_RSRC2:SCRATCH_EN: 0
; COMPUTE_PGM_RSRC2:USER_SGPR: 6
; COMPUTE_PGM_RSRC2:TRAP_HANDLER: 0
; COMPUTE_PGM_RSRC2:TGID_X_EN: 1
; COMPUTE_PGM_RSRC2:TGID_Y_EN: 0
; COMPUTE_PGM_RSRC2:TGID_Z_EN: 0
; COMPUTE_PGM_RSRC2:TIDIG_COMP_CNT: 0
; COMPUTE_PGM_RSRC3_GFX90A:ACCUM_OFFSET: 0
; COMPUTE_PGM_RSRC3_GFX90A:TG_SPLIT: 0
	.section	.text._ZN7rocprim17ROCPRIM_400000_NS6detail17trampoline_kernelINS0_14default_configENS1_33run_length_encode_config_selectorIN3c104HalfEjNS0_4plusIjEEEEZZNS1_33reduce_by_key_impl_wrapped_configILNS1_25lookback_scan_determinismE0ES3_S9_PKS6_NS0_17constant_iteratorIjlEEPS6_PlSH_S8_NS0_8equal_toIS6_EEEE10hipError_tPvRmT2_T3_mT4_T5_T6_T7_T8_P12ihipStream_tbENKUlT_T0_E_clISt17integral_constantIbLb1EES10_IbLb0EEEEDaSW_SX_EUlSW_E_NS1_11comp_targetILNS1_3genE2ELNS1_11target_archE906ELNS1_3gpuE6ELNS1_3repE0EEENS1_30default_config_static_selectorELNS0_4arch9wavefront6targetE1EEEvT1_,"axG",@progbits,_ZN7rocprim17ROCPRIM_400000_NS6detail17trampoline_kernelINS0_14default_configENS1_33run_length_encode_config_selectorIN3c104HalfEjNS0_4plusIjEEEEZZNS1_33reduce_by_key_impl_wrapped_configILNS1_25lookback_scan_determinismE0ES3_S9_PKS6_NS0_17constant_iteratorIjlEEPS6_PlSH_S8_NS0_8equal_toIS6_EEEE10hipError_tPvRmT2_T3_mT4_T5_T6_T7_T8_P12ihipStream_tbENKUlT_T0_E_clISt17integral_constantIbLb1EES10_IbLb0EEEEDaSW_SX_EUlSW_E_NS1_11comp_targetILNS1_3genE2ELNS1_11target_archE906ELNS1_3gpuE6ELNS1_3repE0EEENS1_30default_config_static_selectorELNS0_4arch9wavefront6targetE1EEEvT1_,comdat
	.protected	_ZN7rocprim17ROCPRIM_400000_NS6detail17trampoline_kernelINS0_14default_configENS1_33run_length_encode_config_selectorIN3c104HalfEjNS0_4plusIjEEEEZZNS1_33reduce_by_key_impl_wrapped_configILNS1_25lookback_scan_determinismE0ES3_S9_PKS6_NS0_17constant_iteratorIjlEEPS6_PlSH_S8_NS0_8equal_toIS6_EEEE10hipError_tPvRmT2_T3_mT4_T5_T6_T7_T8_P12ihipStream_tbENKUlT_T0_E_clISt17integral_constantIbLb1EES10_IbLb0EEEEDaSW_SX_EUlSW_E_NS1_11comp_targetILNS1_3genE2ELNS1_11target_archE906ELNS1_3gpuE6ELNS1_3repE0EEENS1_30default_config_static_selectorELNS0_4arch9wavefront6targetE1EEEvT1_ ; -- Begin function _ZN7rocprim17ROCPRIM_400000_NS6detail17trampoline_kernelINS0_14default_configENS1_33run_length_encode_config_selectorIN3c104HalfEjNS0_4plusIjEEEEZZNS1_33reduce_by_key_impl_wrapped_configILNS1_25lookback_scan_determinismE0ES3_S9_PKS6_NS0_17constant_iteratorIjlEEPS6_PlSH_S8_NS0_8equal_toIS6_EEEE10hipError_tPvRmT2_T3_mT4_T5_T6_T7_T8_P12ihipStream_tbENKUlT_T0_E_clISt17integral_constantIbLb1EES10_IbLb0EEEEDaSW_SX_EUlSW_E_NS1_11comp_targetILNS1_3genE2ELNS1_11target_archE906ELNS1_3gpuE6ELNS1_3repE0EEENS1_30default_config_static_selectorELNS0_4arch9wavefront6targetE1EEEvT1_
	.globl	_ZN7rocprim17ROCPRIM_400000_NS6detail17trampoline_kernelINS0_14default_configENS1_33run_length_encode_config_selectorIN3c104HalfEjNS0_4plusIjEEEEZZNS1_33reduce_by_key_impl_wrapped_configILNS1_25lookback_scan_determinismE0ES3_S9_PKS6_NS0_17constant_iteratorIjlEEPS6_PlSH_S8_NS0_8equal_toIS6_EEEE10hipError_tPvRmT2_T3_mT4_T5_T6_T7_T8_P12ihipStream_tbENKUlT_T0_E_clISt17integral_constantIbLb1EES10_IbLb0EEEEDaSW_SX_EUlSW_E_NS1_11comp_targetILNS1_3genE2ELNS1_11target_archE906ELNS1_3gpuE6ELNS1_3repE0EEENS1_30default_config_static_selectorELNS0_4arch9wavefront6targetE1EEEvT1_
	.p2align	8
	.type	_ZN7rocprim17ROCPRIM_400000_NS6detail17trampoline_kernelINS0_14default_configENS1_33run_length_encode_config_selectorIN3c104HalfEjNS0_4plusIjEEEEZZNS1_33reduce_by_key_impl_wrapped_configILNS1_25lookback_scan_determinismE0ES3_S9_PKS6_NS0_17constant_iteratorIjlEEPS6_PlSH_S8_NS0_8equal_toIS6_EEEE10hipError_tPvRmT2_T3_mT4_T5_T6_T7_T8_P12ihipStream_tbENKUlT_T0_E_clISt17integral_constantIbLb1EES10_IbLb0EEEEDaSW_SX_EUlSW_E_NS1_11comp_targetILNS1_3genE2ELNS1_11target_archE906ELNS1_3gpuE6ELNS1_3repE0EEENS1_30default_config_static_selectorELNS0_4arch9wavefront6targetE1EEEvT1_,@function
_ZN7rocprim17ROCPRIM_400000_NS6detail17trampoline_kernelINS0_14default_configENS1_33run_length_encode_config_selectorIN3c104HalfEjNS0_4plusIjEEEEZZNS1_33reduce_by_key_impl_wrapped_configILNS1_25lookback_scan_determinismE0ES3_S9_PKS6_NS0_17constant_iteratorIjlEEPS6_PlSH_S8_NS0_8equal_toIS6_EEEE10hipError_tPvRmT2_T3_mT4_T5_T6_T7_T8_P12ihipStream_tbENKUlT_T0_E_clISt17integral_constantIbLb1EES10_IbLb0EEEEDaSW_SX_EUlSW_E_NS1_11comp_targetILNS1_3genE2ELNS1_11target_archE906ELNS1_3gpuE6ELNS1_3repE0EEENS1_30default_config_static_selectorELNS0_4arch9wavefront6targetE1EEEvT1_: ; @_ZN7rocprim17ROCPRIM_400000_NS6detail17trampoline_kernelINS0_14default_configENS1_33run_length_encode_config_selectorIN3c104HalfEjNS0_4plusIjEEEEZZNS1_33reduce_by_key_impl_wrapped_configILNS1_25lookback_scan_determinismE0ES3_S9_PKS6_NS0_17constant_iteratorIjlEEPS6_PlSH_S8_NS0_8equal_toIS6_EEEE10hipError_tPvRmT2_T3_mT4_T5_T6_T7_T8_P12ihipStream_tbENKUlT_T0_E_clISt17integral_constantIbLb1EES10_IbLb0EEEEDaSW_SX_EUlSW_E_NS1_11comp_targetILNS1_3genE2ELNS1_11target_archE906ELNS1_3gpuE6ELNS1_3repE0EEENS1_30default_config_static_selectorELNS0_4arch9wavefront6targetE1EEEvT1_
; %bb.0:
	.section	.rodata,"a",@progbits
	.p2align	6, 0x0
	.amdhsa_kernel _ZN7rocprim17ROCPRIM_400000_NS6detail17trampoline_kernelINS0_14default_configENS1_33run_length_encode_config_selectorIN3c104HalfEjNS0_4plusIjEEEEZZNS1_33reduce_by_key_impl_wrapped_configILNS1_25lookback_scan_determinismE0ES3_S9_PKS6_NS0_17constant_iteratorIjlEEPS6_PlSH_S8_NS0_8equal_toIS6_EEEE10hipError_tPvRmT2_T3_mT4_T5_T6_T7_T8_P12ihipStream_tbENKUlT_T0_E_clISt17integral_constantIbLb1EES10_IbLb0EEEEDaSW_SX_EUlSW_E_NS1_11comp_targetILNS1_3genE2ELNS1_11target_archE906ELNS1_3gpuE6ELNS1_3repE0EEENS1_30default_config_static_selectorELNS0_4arch9wavefront6targetE1EEEvT1_
		.amdhsa_group_segment_fixed_size 0
		.amdhsa_private_segment_fixed_size 0
		.amdhsa_kernarg_size 128
		.amdhsa_user_sgpr_count 6
		.amdhsa_user_sgpr_private_segment_buffer 1
		.amdhsa_user_sgpr_dispatch_ptr 0
		.amdhsa_user_sgpr_queue_ptr 0
		.amdhsa_user_sgpr_kernarg_segment_ptr 1
		.amdhsa_user_sgpr_dispatch_id 0
		.amdhsa_user_sgpr_flat_scratch_init 0
		.amdhsa_user_sgpr_kernarg_preload_length 0
		.amdhsa_user_sgpr_kernarg_preload_offset 0
		.amdhsa_user_sgpr_private_segment_size 0
		.amdhsa_uses_dynamic_stack 0
		.amdhsa_system_sgpr_private_segment_wavefront_offset 0
		.amdhsa_system_sgpr_workgroup_id_x 1
		.amdhsa_system_sgpr_workgroup_id_y 0
		.amdhsa_system_sgpr_workgroup_id_z 0
		.amdhsa_system_sgpr_workgroup_info 0
		.amdhsa_system_vgpr_workitem_id 0
		.amdhsa_next_free_vgpr 1
		.amdhsa_next_free_sgpr 0
		.amdhsa_accum_offset 4
		.amdhsa_reserve_vcc 0
		.amdhsa_reserve_flat_scratch 0
		.amdhsa_float_round_mode_32 0
		.amdhsa_float_round_mode_16_64 0
		.amdhsa_float_denorm_mode_32 3
		.amdhsa_float_denorm_mode_16_64 3
		.amdhsa_dx10_clamp 1
		.amdhsa_ieee_mode 1
		.amdhsa_fp16_overflow 0
		.amdhsa_tg_split 0
		.amdhsa_exception_fp_ieee_invalid_op 0
		.amdhsa_exception_fp_denorm_src 0
		.amdhsa_exception_fp_ieee_div_zero 0
		.amdhsa_exception_fp_ieee_overflow 0
		.amdhsa_exception_fp_ieee_underflow 0
		.amdhsa_exception_fp_ieee_inexact 0
		.amdhsa_exception_int_div_zero 0
	.end_amdhsa_kernel
	.section	.text._ZN7rocprim17ROCPRIM_400000_NS6detail17trampoline_kernelINS0_14default_configENS1_33run_length_encode_config_selectorIN3c104HalfEjNS0_4plusIjEEEEZZNS1_33reduce_by_key_impl_wrapped_configILNS1_25lookback_scan_determinismE0ES3_S9_PKS6_NS0_17constant_iteratorIjlEEPS6_PlSH_S8_NS0_8equal_toIS6_EEEE10hipError_tPvRmT2_T3_mT4_T5_T6_T7_T8_P12ihipStream_tbENKUlT_T0_E_clISt17integral_constantIbLb1EES10_IbLb0EEEEDaSW_SX_EUlSW_E_NS1_11comp_targetILNS1_3genE2ELNS1_11target_archE906ELNS1_3gpuE6ELNS1_3repE0EEENS1_30default_config_static_selectorELNS0_4arch9wavefront6targetE1EEEvT1_,"axG",@progbits,_ZN7rocprim17ROCPRIM_400000_NS6detail17trampoline_kernelINS0_14default_configENS1_33run_length_encode_config_selectorIN3c104HalfEjNS0_4plusIjEEEEZZNS1_33reduce_by_key_impl_wrapped_configILNS1_25lookback_scan_determinismE0ES3_S9_PKS6_NS0_17constant_iteratorIjlEEPS6_PlSH_S8_NS0_8equal_toIS6_EEEE10hipError_tPvRmT2_T3_mT4_T5_T6_T7_T8_P12ihipStream_tbENKUlT_T0_E_clISt17integral_constantIbLb1EES10_IbLb0EEEEDaSW_SX_EUlSW_E_NS1_11comp_targetILNS1_3genE2ELNS1_11target_archE906ELNS1_3gpuE6ELNS1_3repE0EEENS1_30default_config_static_selectorELNS0_4arch9wavefront6targetE1EEEvT1_,comdat
.Lfunc_end947:
	.size	_ZN7rocprim17ROCPRIM_400000_NS6detail17trampoline_kernelINS0_14default_configENS1_33run_length_encode_config_selectorIN3c104HalfEjNS0_4plusIjEEEEZZNS1_33reduce_by_key_impl_wrapped_configILNS1_25lookback_scan_determinismE0ES3_S9_PKS6_NS0_17constant_iteratorIjlEEPS6_PlSH_S8_NS0_8equal_toIS6_EEEE10hipError_tPvRmT2_T3_mT4_T5_T6_T7_T8_P12ihipStream_tbENKUlT_T0_E_clISt17integral_constantIbLb1EES10_IbLb0EEEEDaSW_SX_EUlSW_E_NS1_11comp_targetILNS1_3genE2ELNS1_11target_archE906ELNS1_3gpuE6ELNS1_3repE0EEENS1_30default_config_static_selectorELNS0_4arch9wavefront6targetE1EEEvT1_, .Lfunc_end947-_ZN7rocprim17ROCPRIM_400000_NS6detail17trampoline_kernelINS0_14default_configENS1_33run_length_encode_config_selectorIN3c104HalfEjNS0_4plusIjEEEEZZNS1_33reduce_by_key_impl_wrapped_configILNS1_25lookback_scan_determinismE0ES3_S9_PKS6_NS0_17constant_iteratorIjlEEPS6_PlSH_S8_NS0_8equal_toIS6_EEEE10hipError_tPvRmT2_T3_mT4_T5_T6_T7_T8_P12ihipStream_tbENKUlT_T0_E_clISt17integral_constantIbLb1EES10_IbLb0EEEEDaSW_SX_EUlSW_E_NS1_11comp_targetILNS1_3genE2ELNS1_11target_archE906ELNS1_3gpuE6ELNS1_3repE0EEENS1_30default_config_static_selectorELNS0_4arch9wavefront6targetE1EEEvT1_
                                        ; -- End function
	.section	.AMDGPU.csdata,"",@progbits
; Kernel info:
; codeLenInByte = 0
; NumSgprs: 4
; NumVgprs: 0
; NumAgprs: 0
; TotalNumVgprs: 0
; ScratchSize: 0
; MemoryBound: 0
; FloatMode: 240
; IeeeMode: 1
; LDSByteSize: 0 bytes/workgroup (compile time only)
; SGPRBlocks: 0
; VGPRBlocks: 0
; NumSGPRsForWavesPerEU: 4
; NumVGPRsForWavesPerEU: 1
; AccumOffset: 4
; Occupancy: 8
; WaveLimiterHint : 0
; COMPUTE_PGM_RSRC2:SCRATCH_EN: 0
; COMPUTE_PGM_RSRC2:USER_SGPR: 6
; COMPUTE_PGM_RSRC2:TRAP_HANDLER: 0
; COMPUTE_PGM_RSRC2:TGID_X_EN: 1
; COMPUTE_PGM_RSRC2:TGID_Y_EN: 0
; COMPUTE_PGM_RSRC2:TGID_Z_EN: 0
; COMPUTE_PGM_RSRC2:TIDIG_COMP_CNT: 0
; COMPUTE_PGM_RSRC3_GFX90A:ACCUM_OFFSET: 0
; COMPUTE_PGM_RSRC3_GFX90A:TG_SPLIT: 0
	.section	.text._ZN7rocprim17ROCPRIM_400000_NS6detail17trampoline_kernelINS0_14default_configENS1_33run_length_encode_config_selectorIN3c104HalfEjNS0_4plusIjEEEEZZNS1_33reduce_by_key_impl_wrapped_configILNS1_25lookback_scan_determinismE0ES3_S9_PKS6_NS0_17constant_iteratorIjlEEPS6_PlSH_S8_NS0_8equal_toIS6_EEEE10hipError_tPvRmT2_T3_mT4_T5_T6_T7_T8_P12ihipStream_tbENKUlT_T0_E_clISt17integral_constantIbLb1EES10_IbLb0EEEEDaSW_SX_EUlSW_E_NS1_11comp_targetILNS1_3genE10ELNS1_11target_archE1201ELNS1_3gpuE5ELNS1_3repE0EEENS1_30default_config_static_selectorELNS0_4arch9wavefront6targetE1EEEvT1_,"axG",@progbits,_ZN7rocprim17ROCPRIM_400000_NS6detail17trampoline_kernelINS0_14default_configENS1_33run_length_encode_config_selectorIN3c104HalfEjNS0_4plusIjEEEEZZNS1_33reduce_by_key_impl_wrapped_configILNS1_25lookback_scan_determinismE0ES3_S9_PKS6_NS0_17constant_iteratorIjlEEPS6_PlSH_S8_NS0_8equal_toIS6_EEEE10hipError_tPvRmT2_T3_mT4_T5_T6_T7_T8_P12ihipStream_tbENKUlT_T0_E_clISt17integral_constantIbLb1EES10_IbLb0EEEEDaSW_SX_EUlSW_E_NS1_11comp_targetILNS1_3genE10ELNS1_11target_archE1201ELNS1_3gpuE5ELNS1_3repE0EEENS1_30default_config_static_selectorELNS0_4arch9wavefront6targetE1EEEvT1_,comdat
	.protected	_ZN7rocprim17ROCPRIM_400000_NS6detail17trampoline_kernelINS0_14default_configENS1_33run_length_encode_config_selectorIN3c104HalfEjNS0_4plusIjEEEEZZNS1_33reduce_by_key_impl_wrapped_configILNS1_25lookback_scan_determinismE0ES3_S9_PKS6_NS0_17constant_iteratorIjlEEPS6_PlSH_S8_NS0_8equal_toIS6_EEEE10hipError_tPvRmT2_T3_mT4_T5_T6_T7_T8_P12ihipStream_tbENKUlT_T0_E_clISt17integral_constantIbLb1EES10_IbLb0EEEEDaSW_SX_EUlSW_E_NS1_11comp_targetILNS1_3genE10ELNS1_11target_archE1201ELNS1_3gpuE5ELNS1_3repE0EEENS1_30default_config_static_selectorELNS0_4arch9wavefront6targetE1EEEvT1_ ; -- Begin function _ZN7rocprim17ROCPRIM_400000_NS6detail17trampoline_kernelINS0_14default_configENS1_33run_length_encode_config_selectorIN3c104HalfEjNS0_4plusIjEEEEZZNS1_33reduce_by_key_impl_wrapped_configILNS1_25lookback_scan_determinismE0ES3_S9_PKS6_NS0_17constant_iteratorIjlEEPS6_PlSH_S8_NS0_8equal_toIS6_EEEE10hipError_tPvRmT2_T3_mT4_T5_T6_T7_T8_P12ihipStream_tbENKUlT_T0_E_clISt17integral_constantIbLb1EES10_IbLb0EEEEDaSW_SX_EUlSW_E_NS1_11comp_targetILNS1_3genE10ELNS1_11target_archE1201ELNS1_3gpuE5ELNS1_3repE0EEENS1_30default_config_static_selectorELNS0_4arch9wavefront6targetE1EEEvT1_
	.globl	_ZN7rocprim17ROCPRIM_400000_NS6detail17trampoline_kernelINS0_14default_configENS1_33run_length_encode_config_selectorIN3c104HalfEjNS0_4plusIjEEEEZZNS1_33reduce_by_key_impl_wrapped_configILNS1_25lookback_scan_determinismE0ES3_S9_PKS6_NS0_17constant_iteratorIjlEEPS6_PlSH_S8_NS0_8equal_toIS6_EEEE10hipError_tPvRmT2_T3_mT4_T5_T6_T7_T8_P12ihipStream_tbENKUlT_T0_E_clISt17integral_constantIbLb1EES10_IbLb0EEEEDaSW_SX_EUlSW_E_NS1_11comp_targetILNS1_3genE10ELNS1_11target_archE1201ELNS1_3gpuE5ELNS1_3repE0EEENS1_30default_config_static_selectorELNS0_4arch9wavefront6targetE1EEEvT1_
	.p2align	8
	.type	_ZN7rocprim17ROCPRIM_400000_NS6detail17trampoline_kernelINS0_14default_configENS1_33run_length_encode_config_selectorIN3c104HalfEjNS0_4plusIjEEEEZZNS1_33reduce_by_key_impl_wrapped_configILNS1_25lookback_scan_determinismE0ES3_S9_PKS6_NS0_17constant_iteratorIjlEEPS6_PlSH_S8_NS0_8equal_toIS6_EEEE10hipError_tPvRmT2_T3_mT4_T5_T6_T7_T8_P12ihipStream_tbENKUlT_T0_E_clISt17integral_constantIbLb1EES10_IbLb0EEEEDaSW_SX_EUlSW_E_NS1_11comp_targetILNS1_3genE10ELNS1_11target_archE1201ELNS1_3gpuE5ELNS1_3repE0EEENS1_30default_config_static_selectorELNS0_4arch9wavefront6targetE1EEEvT1_,@function
_ZN7rocprim17ROCPRIM_400000_NS6detail17trampoline_kernelINS0_14default_configENS1_33run_length_encode_config_selectorIN3c104HalfEjNS0_4plusIjEEEEZZNS1_33reduce_by_key_impl_wrapped_configILNS1_25lookback_scan_determinismE0ES3_S9_PKS6_NS0_17constant_iteratorIjlEEPS6_PlSH_S8_NS0_8equal_toIS6_EEEE10hipError_tPvRmT2_T3_mT4_T5_T6_T7_T8_P12ihipStream_tbENKUlT_T0_E_clISt17integral_constantIbLb1EES10_IbLb0EEEEDaSW_SX_EUlSW_E_NS1_11comp_targetILNS1_3genE10ELNS1_11target_archE1201ELNS1_3gpuE5ELNS1_3repE0EEENS1_30default_config_static_selectorELNS0_4arch9wavefront6targetE1EEEvT1_: ; @_ZN7rocprim17ROCPRIM_400000_NS6detail17trampoline_kernelINS0_14default_configENS1_33run_length_encode_config_selectorIN3c104HalfEjNS0_4plusIjEEEEZZNS1_33reduce_by_key_impl_wrapped_configILNS1_25lookback_scan_determinismE0ES3_S9_PKS6_NS0_17constant_iteratorIjlEEPS6_PlSH_S8_NS0_8equal_toIS6_EEEE10hipError_tPvRmT2_T3_mT4_T5_T6_T7_T8_P12ihipStream_tbENKUlT_T0_E_clISt17integral_constantIbLb1EES10_IbLb0EEEEDaSW_SX_EUlSW_E_NS1_11comp_targetILNS1_3genE10ELNS1_11target_archE1201ELNS1_3gpuE5ELNS1_3repE0EEENS1_30default_config_static_selectorELNS0_4arch9wavefront6targetE1EEEvT1_
; %bb.0:
	.section	.rodata,"a",@progbits
	.p2align	6, 0x0
	.amdhsa_kernel _ZN7rocprim17ROCPRIM_400000_NS6detail17trampoline_kernelINS0_14default_configENS1_33run_length_encode_config_selectorIN3c104HalfEjNS0_4plusIjEEEEZZNS1_33reduce_by_key_impl_wrapped_configILNS1_25lookback_scan_determinismE0ES3_S9_PKS6_NS0_17constant_iteratorIjlEEPS6_PlSH_S8_NS0_8equal_toIS6_EEEE10hipError_tPvRmT2_T3_mT4_T5_T6_T7_T8_P12ihipStream_tbENKUlT_T0_E_clISt17integral_constantIbLb1EES10_IbLb0EEEEDaSW_SX_EUlSW_E_NS1_11comp_targetILNS1_3genE10ELNS1_11target_archE1201ELNS1_3gpuE5ELNS1_3repE0EEENS1_30default_config_static_selectorELNS0_4arch9wavefront6targetE1EEEvT1_
		.amdhsa_group_segment_fixed_size 0
		.amdhsa_private_segment_fixed_size 0
		.amdhsa_kernarg_size 128
		.amdhsa_user_sgpr_count 6
		.amdhsa_user_sgpr_private_segment_buffer 1
		.amdhsa_user_sgpr_dispatch_ptr 0
		.amdhsa_user_sgpr_queue_ptr 0
		.amdhsa_user_sgpr_kernarg_segment_ptr 1
		.amdhsa_user_sgpr_dispatch_id 0
		.amdhsa_user_sgpr_flat_scratch_init 0
		.amdhsa_user_sgpr_kernarg_preload_length 0
		.amdhsa_user_sgpr_kernarg_preload_offset 0
		.amdhsa_user_sgpr_private_segment_size 0
		.amdhsa_uses_dynamic_stack 0
		.amdhsa_system_sgpr_private_segment_wavefront_offset 0
		.amdhsa_system_sgpr_workgroup_id_x 1
		.amdhsa_system_sgpr_workgroup_id_y 0
		.amdhsa_system_sgpr_workgroup_id_z 0
		.amdhsa_system_sgpr_workgroup_info 0
		.amdhsa_system_vgpr_workitem_id 0
		.amdhsa_next_free_vgpr 1
		.amdhsa_next_free_sgpr 0
		.amdhsa_accum_offset 4
		.amdhsa_reserve_vcc 0
		.amdhsa_reserve_flat_scratch 0
		.amdhsa_float_round_mode_32 0
		.amdhsa_float_round_mode_16_64 0
		.amdhsa_float_denorm_mode_32 3
		.amdhsa_float_denorm_mode_16_64 3
		.amdhsa_dx10_clamp 1
		.amdhsa_ieee_mode 1
		.amdhsa_fp16_overflow 0
		.amdhsa_tg_split 0
		.amdhsa_exception_fp_ieee_invalid_op 0
		.amdhsa_exception_fp_denorm_src 0
		.amdhsa_exception_fp_ieee_div_zero 0
		.amdhsa_exception_fp_ieee_overflow 0
		.amdhsa_exception_fp_ieee_underflow 0
		.amdhsa_exception_fp_ieee_inexact 0
		.amdhsa_exception_int_div_zero 0
	.end_amdhsa_kernel
	.section	.text._ZN7rocprim17ROCPRIM_400000_NS6detail17trampoline_kernelINS0_14default_configENS1_33run_length_encode_config_selectorIN3c104HalfEjNS0_4plusIjEEEEZZNS1_33reduce_by_key_impl_wrapped_configILNS1_25lookback_scan_determinismE0ES3_S9_PKS6_NS0_17constant_iteratorIjlEEPS6_PlSH_S8_NS0_8equal_toIS6_EEEE10hipError_tPvRmT2_T3_mT4_T5_T6_T7_T8_P12ihipStream_tbENKUlT_T0_E_clISt17integral_constantIbLb1EES10_IbLb0EEEEDaSW_SX_EUlSW_E_NS1_11comp_targetILNS1_3genE10ELNS1_11target_archE1201ELNS1_3gpuE5ELNS1_3repE0EEENS1_30default_config_static_selectorELNS0_4arch9wavefront6targetE1EEEvT1_,"axG",@progbits,_ZN7rocprim17ROCPRIM_400000_NS6detail17trampoline_kernelINS0_14default_configENS1_33run_length_encode_config_selectorIN3c104HalfEjNS0_4plusIjEEEEZZNS1_33reduce_by_key_impl_wrapped_configILNS1_25lookback_scan_determinismE0ES3_S9_PKS6_NS0_17constant_iteratorIjlEEPS6_PlSH_S8_NS0_8equal_toIS6_EEEE10hipError_tPvRmT2_T3_mT4_T5_T6_T7_T8_P12ihipStream_tbENKUlT_T0_E_clISt17integral_constantIbLb1EES10_IbLb0EEEEDaSW_SX_EUlSW_E_NS1_11comp_targetILNS1_3genE10ELNS1_11target_archE1201ELNS1_3gpuE5ELNS1_3repE0EEENS1_30default_config_static_selectorELNS0_4arch9wavefront6targetE1EEEvT1_,comdat
.Lfunc_end948:
	.size	_ZN7rocprim17ROCPRIM_400000_NS6detail17trampoline_kernelINS0_14default_configENS1_33run_length_encode_config_selectorIN3c104HalfEjNS0_4plusIjEEEEZZNS1_33reduce_by_key_impl_wrapped_configILNS1_25lookback_scan_determinismE0ES3_S9_PKS6_NS0_17constant_iteratorIjlEEPS6_PlSH_S8_NS0_8equal_toIS6_EEEE10hipError_tPvRmT2_T3_mT4_T5_T6_T7_T8_P12ihipStream_tbENKUlT_T0_E_clISt17integral_constantIbLb1EES10_IbLb0EEEEDaSW_SX_EUlSW_E_NS1_11comp_targetILNS1_3genE10ELNS1_11target_archE1201ELNS1_3gpuE5ELNS1_3repE0EEENS1_30default_config_static_selectorELNS0_4arch9wavefront6targetE1EEEvT1_, .Lfunc_end948-_ZN7rocprim17ROCPRIM_400000_NS6detail17trampoline_kernelINS0_14default_configENS1_33run_length_encode_config_selectorIN3c104HalfEjNS0_4plusIjEEEEZZNS1_33reduce_by_key_impl_wrapped_configILNS1_25lookback_scan_determinismE0ES3_S9_PKS6_NS0_17constant_iteratorIjlEEPS6_PlSH_S8_NS0_8equal_toIS6_EEEE10hipError_tPvRmT2_T3_mT4_T5_T6_T7_T8_P12ihipStream_tbENKUlT_T0_E_clISt17integral_constantIbLb1EES10_IbLb0EEEEDaSW_SX_EUlSW_E_NS1_11comp_targetILNS1_3genE10ELNS1_11target_archE1201ELNS1_3gpuE5ELNS1_3repE0EEENS1_30default_config_static_selectorELNS0_4arch9wavefront6targetE1EEEvT1_
                                        ; -- End function
	.section	.AMDGPU.csdata,"",@progbits
; Kernel info:
; codeLenInByte = 0
; NumSgprs: 4
; NumVgprs: 0
; NumAgprs: 0
; TotalNumVgprs: 0
; ScratchSize: 0
; MemoryBound: 0
; FloatMode: 240
; IeeeMode: 1
; LDSByteSize: 0 bytes/workgroup (compile time only)
; SGPRBlocks: 0
; VGPRBlocks: 0
; NumSGPRsForWavesPerEU: 4
; NumVGPRsForWavesPerEU: 1
; AccumOffset: 4
; Occupancy: 8
; WaveLimiterHint : 0
; COMPUTE_PGM_RSRC2:SCRATCH_EN: 0
; COMPUTE_PGM_RSRC2:USER_SGPR: 6
; COMPUTE_PGM_RSRC2:TRAP_HANDLER: 0
; COMPUTE_PGM_RSRC2:TGID_X_EN: 1
; COMPUTE_PGM_RSRC2:TGID_Y_EN: 0
; COMPUTE_PGM_RSRC2:TGID_Z_EN: 0
; COMPUTE_PGM_RSRC2:TIDIG_COMP_CNT: 0
; COMPUTE_PGM_RSRC3_GFX90A:ACCUM_OFFSET: 0
; COMPUTE_PGM_RSRC3_GFX90A:TG_SPLIT: 0
	.section	.text._ZN7rocprim17ROCPRIM_400000_NS6detail17trampoline_kernelINS0_14default_configENS1_33run_length_encode_config_selectorIN3c104HalfEjNS0_4plusIjEEEEZZNS1_33reduce_by_key_impl_wrapped_configILNS1_25lookback_scan_determinismE0ES3_S9_PKS6_NS0_17constant_iteratorIjlEEPS6_PlSH_S8_NS0_8equal_toIS6_EEEE10hipError_tPvRmT2_T3_mT4_T5_T6_T7_T8_P12ihipStream_tbENKUlT_T0_E_clISt17integral_constantIbLb1EES10_IbLb0EEEEDaSW_SX_EUlSW_E_NS1_11comp_targetILNS1_3genE10ELNS1_11target_archE1200ELNS1_3gpuE4ELNS1_3repE0EEENS1_30default_config_static_selectorELNS0_4arch9wavefront6targetE1EEEvT1_,"axG",@progbits,_ZN7rocprim17ROCPRIM_400000_NS6detail17trampoline_kernelINS0_14default_configENS1_33run_length_encode_config_selectorIN3c104HalfEjNS0_4plusIjEEEEZZNS1_33reduce_by_key_impl_wrapped_configILNS1_25lookback_scan_determinismE0ES3_S9_PKS6_NS0_17constant_iteratorIjlEEPS6_PlSH_S8_NS0_8equal_toIS6_EEEE10hipError_tPvRmT2_T3_mT4_T5_T6_T7_T8_P12ihipStream_tbENKUlT_T0_E_clISt17integral_constantIbLb1EES10_IbLb0EEEEDaSW_SX_EUlSW_E_NS1_11comp_targetILNS1_3genE10ELNS1_11target_archE1200ELNS1_3gpuE4ELNS1_3repE0EEENS1_30default_config_static_selectorELNS0_4arch9wavefront6targetE1EEEvT1_,comdat
	.protected	_ZN7rocprim17ROCPRIM_400000_NS6detail17trampoline_kernelINS0_14default_configENS1_33run_length_encode_config_selectorIN3c104HalfEjNS0_4plusIjEEEEZZNS1_33reduce_by_key_impl_wrapped_configILNS1_25lookback_scan_determinismE0ES3_S9_PKS6_NS0_17constant_iteratorIjlEEPS6_PlSH_S8_NS0_8equal_toIS6_EEEE10hipError_tPvRmT2_T3_mT4_T5_T6_T7_T8_P12ihipStream_tbENKUlT_T0_E_clISt17integral_constantIbLb1EES10_IbLb0EEEEDaSW_SX_EUlSW_E_NS1_11comp_targetILNS1_3genE10ELNS1_11target_archE1200ELNS1_3gpuE4ELNS1_3repE0EEENS1_30default_config_static_selectorELNS0_4arch9wavefront6targetE1EEEvT1_ ; -- Begin function _ZN7rocprim17ROCPRIM_400000_NS6detail17trampoline_kernelINS0_14default_configENS1_33run_length_encode_config_selectorIN3c104HalfEjNS0_4plusIjEEEEZZNS1_33reduce_by_key_impl_wrapped_configILNS1_25lookback_scan_determinismE0ES3_S9_PKS6_NS0_17constant_iteratorIjlEEPS6_PlSH_S8_NS0_8equal_toIS6_EEEE10hipError_tPvRmT2_T3_mT4_T5_T6_T7_T8_P12ihipStream_tbENKUlT_T0_E_clISt17integral_constantIbLb1EES10_IbLb0EEEEDaSW_SX_EUlSW_E_NS1_11comp_targetILNS1_3genE10ELNS1_11target_archE1200ELNS1_3gpuE4ELNS1_3repE0EEENS1_30default_config_static_selectorELNS0_4arch9wavefront6targetE1EEEvT1_
	.globl	_ZN7rocprim17ROCPRIM_400000_NS6detail17trampoline_kernelINS0_14default_configENS1_33run_length_encode_config_selectorIN3c104HalfEjNS0_4plusIjEEEEZZNS1_33reduce_by_key_impl_wrapped_configILNS1_25lookback_scan_determinismE0ES3_S9_PKS6_NS0_17constant_iteratorIjlEEPS6_PlSH_S8_NS0_8equal_toIS6_EEEE10hipError_tPvRmT2_T3_mT4_T5_T6_T7_T8_P12ihipStream_tbENKUlT_T0_E_clISt17integral_constantIbLb1EES10_IbLb0EEEEDaSW_SX_EUlSW_E_NS1_11comp_targetILNS1_3genE10ELNS1_11target_archE1200ELNS1_3gpuE4ELNS1_3repE0EEENS1_30default_config_static_selectorELNS0_4arch9wavefront6targetE1EEEvT1_
	.p2align	8
	.type	_ZN7rocprim17ROCPRIM_400000_NS6detail17trampoline_kernelINS0_14default_configENS1_33run_length_encode_config_selectorIN3c104HalfEjNS0_4plusIjEEEEZZNS1_33reduce_by_key_impl_wrapped_configILNS1_25lookback_scan_determinismE0ES3_S9_PKS6_NS0_17constant_iteratorIjlEEPS6_PlSH_S8_NS0_8equal_toIS6_EEEE10hipError_tPvRmT2_T3_mT4_T5_T6_T7_T8_P12ihipStream_tbENKUlT_T0_E_clISt17integral_constantIbLb1EES10_IbLb0EEEEDaSW_SX_EUlSW_E_NS1_11comp_targetILNS1_3genE10ELNS1_11target_archE1200ELNS1_3gpuE4ELNS1_3repE0EEENS1_30default_config_static_selectorELNS0_4arch9wavefront6targetE1EEEvT1_,@function
_ZN7rocprim17ROCPRIM_400000_NS6detail17trampoline_kernelINS0_14default_configENS1_33run_length_encode_config_selectorIN3c104HalfEjNS0_4plusIjEEEEZZNS1_33reduce_by_key_impl_wrapped_configILNS1_25lookback_scan_determinismE0ES3_S9_PKS6_NS0_17constant_iteratorIjlEEPS6_PlSH_S8_NS0_8equal_toIS6_EEEE10hipError_tPvRmT2_T3_mT4_T5_T6_T7_T8_P12ihipStream_tbENKUlT_T0_E_clISt17integral_constantIbLb1EES10_IbLb0EEEEDaSW_SX_EUlSW_E_NS1_11comp_targetILNS1_3genE10ELNS1_11target_archE1200ELNS1_3gpuE4ELNS1_3repE0EEENS1_30default_config_static_selectorELNS0_4arch9wavefront6targetE1EEEvT1_: ; @_ZN7rocprim17ROCPRIM_400000_NS6detail17trampoline_kernelINS0_14default_configENS1_33run_length_encode_config_selectorIN3c104HalfEjNS0_4plusIjEEEEZZNS1_33reduce_by_key_impl_wrapped_configILNS1_25lookback_scan_determinismE0ES3_S9_PKS6_NS0_17constant_iteratorIjlEEPS6_PlSH_S8_NS0_8equal_toIS6_EEEE10hipError_tPvRmT2_T3_mT4_T5_T6_T7_T8_P12ihipStream_tbENKUlT_T0_E_clISt17integral_constantIbLb1EES10_IbLb0EEEEDaSW_SX_EUlSW_E_NS1_11comp_targetILNS1_3genE10ELNS1_11target_archE1200ELNS1_3gpuE4ELNS1_3repE0EEENS1_30default_config_static_selectorELNS0_4arch9wavefront6targetE1EEEvT1_
; %bb.0:
	.section	.rodata,"a",@progbits
	.p2align	6, 0x0
	.amdhsa_kernel _ZN7rocprim17ROCPRIM_400000_NS6detail17trampoline_kernelINS0_14default_configENS1_33run_length_encode_config_selectorIN3c104HalfEjNS0_4plusIjEEEEZZNS1_33reduce_by_key_impl_wrapped_configILNS1_25lookback_scan_determinismE0ES3_S9_PKS6_NS0_17constant_iteratorIjlEEPS6_PlSH_S8_NS0_8equal_toIS6_EEEE10hipError_tPvRmT2_T3_mT4_T5_T6_T7_T8_P12ihipStream_tbENKUlT_T0_E_clISt17integral_constantIbLb1EES10_IbLb0EEEEDaSW_SX_EUlSW_E_NS1_11comp_targetILNS1_3genE10ELNS1_11target_archE1200ELNS1_3gpuE4ELNS1_3repE0EEENS1_30default_config_static_selectorELNS0_4arch9wavefront6targetE1EEEvT1_
		.amdhsa_group_segment_fixed_size 0
		.amdhsa_private_segment_fixed_size 0
		.amdhsa_kernarg_size 128
		.amdhsa_user_sgpr_count 6
		.amdhsa_user_sgpr_private_segment_buffer 1
		.amdhsa_user_sgpr_dispatch_ptr 0
		.amdhsa_user_sgpr_queue_ptr 0
		.amdhsa_user_sgpr_kernarg_segment_ptr 1
		.amdhsa_user_sgpr_dispatch_id 0
		.amdhsa_user_sgpr_flat_scratch_init 0
		.amdhsa_user_sgpr_kernarg_preload_length 0
		.amdhsa_user_sgpr_kernarg_preload_offset 0
		.amdhsa_user_sgpr_private_segment_size 0
		.amdhsa_uses_dynamic_stack 0
		.amdhsa_system_sgpr_private_segment_wavefront_offset 0
		.amdhsa_system_sgpr_workgroup_id_x 1
		.amdhsa_system_sgpr_workgroup_id_y 0
		.amdhsa_system_sgpr_workgroup_id_z 0
		.amdhsa_system_sgpr_workgroup_info 0
		.amdhsa_system_vgpr_workitem_id 0
		.amdhsa_next_free_vgpr 1
		.amdhsa_next_free_sgpr 0
		.amdhsa_accum_offset 4
		.amdhsa_reserve_vcc 0
		.amdhsa_reserve_flat_scratch 0
		.amdhsa_float_round_mode_32 0
		.amdhsa_float_round_mode_16_64 0
		.amdhsa_float_denorm_mode_32 3
		.amdhsa_float_denorm_mode_16_64 3
		.amdhsa_dx10_clamp 1
		.amdhsa_ieee_mode 1
		.amdhsa_fp16_overflow 0
		.amdhsa_tg_split 0
		.amdhsa_exception_fp_ieee_invalid_op 0
		.amdhsa_exception_fp_denorm_src 0
		.amdhsa_exception_fp_ieee_div_zero 0
		.amdhsa_exception_fp_ieee_overflow 0
		.amdhsa_exception_fp_ieee_underflow 0
		.amdhsa_exception_fp_ieee_inexact 0
		.amdhsa_exception_int_div_zero 0
	.end_amdhsa_kernel
	.section	.text._ZN7rocprim17ROCPRIM_400000_NS6detail17trampoline_kernelINS0_14default_configENS1_33run_length_encode_config_selectorIN3c104HalfEjNS0_4plusIjEEEEZZNS1_33reduce_by_key_impl_wrapped_configILNS1_25lookback_scan_determinismE0ES3_S9_PKS6_NS0_17constant_iteratorIjlEEPS6_PlSH_S8_NS0_8equal_toIS6_EEEE10hipError_tPvRmT2_T3_mT4_T5_T6_T7_T8_P12ihipStream_tbENKUlT_T0_E_clISt17integral_constantIbLb1EES10_IbLb0EEEEDaSW_SX_EUlSW_E_NS1_11comp_targetILNS1_3genE10ELNS1_11target_archE1200ELNS1_3gpuE4ELNS1_3repE0EEENS1_30default_config_static_selectorELNS0_4arch9wavefront6targetE1EEEvT1_,"axG",@progbits,_ZN7rocprim17ROCPRIM_400000_NS6detail17trampoline_kernelINS0_14default_configENS1_33run_length_encode_config_selectorIN3c104HalfEjNS0_4plusIjEEEEZZNS1_33reduce_by_key_impl_wrapped_configILNS1_25lookback_scan_determinismE0ES3_S9_PKS6_NS0_17constant_iteratorIjlEEPS6_PlSH_S8_NS0_8equal_toIS6_EEEE10hipError_tPvRmT2_T3_mT4_T5_T6_T7_T8_P12ihipStream_tbENKUlT_T0_E_clISt17integral_constantIbLb1EES10_IbLb0EEEEDaSW_SX_EUlSW_E_NS1_11comp_targetILNS1_3genE10ELNS1_11target_archE1200ELNS1_3gpuE4ELNS1_3repE0EEENS1_30default_config_static_selectorELNS0_4arch9wavefront6targetE1EEEvT1_,comdat
.Lfunc_end949:
	.size	_ZN7rocprim17ROCPRIM_400000_NS6detail17trampoline_kernelINS0_14default_configENS1_33run_length_encode_config_selectorIN3c104HalfEjNS0_4plusIjEEEEZZNS1_33reduce_by_key_impl_wrapped_configILNS1_25lookback_scan_determinismE0ES3_S9_PKS6_NS0_17constant_iteratorIjlEEPS6_PlSH_S8_NS0_8equal_toIS6_EEEE10hipError_tPvRmT2_T3_mT4_T5_T6_T7_T8_P12ihipStream_tbENKUlT_T0_E_clISt17integral_constantIbLb1EES10_IbLb0EEEEDaSW_SX_EUlSW_E_NS1_11comp_targetILNS1_3genE10ELNS1_11target_archE1200ELNS1_3gpuE4ELNS1_3repE0EEENS1_30default_config_static_selectorELNS0_4arch9wavefront6targetE1EEEvT1_, .Lfunc_end949-_ZN7rocprim17ROCPRIM_400000_NS6detail17trampoline_kernelINS0_14default_configENS1_33run_length_encode_config_selectorIN3c104HalfEjNS0_4plusIjEEEEZZNS1_33reduce_by_key_impl_wrapped_configILNS1_25lookback_scan_determinismE0ES3_S9_PKS6_NS0_17constant_iteratorIjlEEPS6_PlSH_S8_NS0_8equal_toIS6_EEEE10hipError_tPvRmT2_T3_mT4_T5_T6_T7_T8_P12ihipStream_tbENKUlT_T0_E_clISt17integral_constantIbLb1EES10_IbLb0EEEEDaSW_SX_EUlSW_E_NS1_11comp_targetILNS1_3genE10ELNS1_11target_archE1200ELNS1_3gpuE4ELNS1_3repE0EEENS1_30default_config_static_selectorELNS0_4arch9wavefront6targetE1EEEvT1_
                                        ; -- End function
	.section	.AMDGPU.csdata,"",@progbits
; Kernel info:
; codeLenInByte = 0
; NumSgprs: 4
; NumVgprs: 0
; NumAgprs: 0
; TotalNumVgprs: 0
; ScratchSize: 0
; MemoryBound: 0
; FloatMode: 240
; IeeeMode: 1
; LDSByteSize: 0 bytes/workgroup (compile time only)
; SGPRBlocks: 0
; VGPRBlocks: 0
; NumSGPRsForWavesPerEU: 4
; NumVGPRsForWavesPerEU: 1
; AccumOffset: 4
; Occupancy: 8
; WaveLimiterHint : 0
; COMPUTE_PGM_RSRC2:SCRATCH_EN: 0
; COMPUTE_PGM_RSRC2:USER_SGPR: 6
; COMPUTE_PGM_RSRC2:TRAP_HANDLER: 0
; COMPUTE_PGM_RSRC2:TGID_X_EN: 1
; COMPUTE_PGM_RSRC2:TGID_Y_EN: 0
; COMPUTE_PGM_RSRC2:TGID_Z_EN: 0
; COMPUTE_PGM_RSRC2:TIDIG_COMP_CNT: 0
; COMPUTE_PGM_RSRC3_GFX90A:ACCUM_OFFSET: 0
; COMPUTE_PGM_RSRC3_GFX90A:TG_SPLIT: 0
	.section	.text._ZN7rocprim17ROCPRIM_400000_NS6detail17trampoline_kernelINS0_14default_configENS1_33run_length_encode_config_selectorIN3c104HalfEjNS0_4plusIjEEEEZZNS1_33reduce_by_key_impl_wrapped_configILNS1_25lookback_scan_determinismE0ES3_S9_PKS6_NS0_17constant_iteratorIjlEEPS6_PlSH_S8_NS0_8equal_toIS6_EEEE10hipError_tPvRmT2_T3_mT4_T5_T6_T7_T8_P12ihipStream_tbENKUlT_T0_E_clISt17integral_constantIbLb1EES10_IbLb0EEEEDaSW_SX_EUlSW_E_NS1_11comp_targetILNS1_3genE9ELNS1_11target_archE1100ELNS1_3gpuE3ELNS1_3repE0EEENS1_30default_config_static_selectorELNS0_4arch9wavefront6targetE1EEEvT1_,"axG",@progbits,_ZN7rocprim17ROCPRIM_400000_NS6detail17trampoline_kernelINS0_14default_configENS1_33run_length_encode_config_selectorIN3c104HalfEjNS0_4plusIjEEEEZZNS1_33reduce_by_key_impl_wrapped_configILNS1_25lookback_scan_determinismE0ES3_S9_PKS6_NS0_17constant_iteratorIjlEEPS6_PlSH_S8_NS0_8equal_toIS6_EEEE10hipError_tPvRmT2_T3_mT4_T5_T6_T7_T8_P12ihipStream_tbENKUlT_T0_E_clISt17integral_constantIbLb1EES10_IbLb0EEEEDaSW_SX_EUlSW_E_NS1_11comp_targetILNS1_3genE9ELNS1_11target_archE1100ELNS1_3gpuE3ELNS1_3repE0EEENS1_30default_config_static_selectorELNS0_4arch9wavefront6targetE1EEEvT1_,comdat
	.protected	_ZN7rocprim17ROCPRIM_400000_NS6detail17trampoline_kernelINS0_14default_configENS1_33run_length_encode_config_selectorIN3c104HalfEjNS0_4plusIjEEEEZZNS1_33reduce_by_key_impl_wrapped_configILNS1_25lookback_scan_determinismE0ES3_S9_PKS6_NS0_17constant_iteratorIjlEEPS6_PlSH_S8_NS0_8equal_toIS6_EEEE10hipError_tPvRmT2_T3_mT4_T5_T6_T7_T8_P12ihipStream_tbENKUlT_T0_E_clISt17integral_constantIbLb1EES10_IbLb0EEEEDaSW_SX_EUlSW_E_NS1_11comp_targetILNS1_3genE9ELNS1_11target_archE1100ELNS1_3gpuE3ELNS1_3repE0EEENS1_30default_config_static_selectorELNS0_4arch9wavefront6targetE1EEEvT1_ ; -- Begin function _ZN7rocprim17ROCPRIM_400000_NS6detail17trampoline_kernelINS0_14default_configENS1_33run_length_encode_config_selectorIN3c104HalfEjNS0_4plusIjEEEEZZNS1_33reduce_by_key_impl_wrapped_configILNS1_25lookback_scan_determinismE0ES3_S9_PKS6_NS0_17constant_iteratorIjlEEPS6_PlSH_S8_NS0_8equal_toIS6_EEEE10hipError_tPvRmT2_T3_mT4_T5_T6_T7_T8_P12ihipStream_tbENKUlT_T0_E_clISt17integral_constantIbLb1EES10_IbLb0EEEEDaSW_SX_EUlSW_E_NS1_11comp_targetILNS1_3genE9ELNS1_11target_archE1100ELNS1_3gpuE3ELNS1_3repE0EEENS1_30default_config_static_selectorELNS0_4arch9wavefront6targetE1EEEvT1_
	.globl	_ZN7rocprim17ROCPRIM_400000_NS6detail17trampoline_kernelINS0_14default_configENS1_33run_length_encode_config_selectorIN3c104HalfEjNS0_4plusIjEEEEZZNS1_33reduce_by_key_impl_wrapped_configILNS1_25lookback_scan_determinismE0ES3_S9_PKS6_NS0_17constant_iteratorIjlEEPS6_PlSH_S8_NS0_8equal_toIS6_EEEE10hipError_tPvRmT2_T3_mT4_T5_T6_T7_T8_P12ihipStream_tbENKUlT_T0_E_clISt17integral_constantIbLb1EES10_IbLb0EEEEDaSW_SX_EUlSW_E_NS1_11comp_targetILNS1_3genE9ELNS1_11target_archE1100ELNS1_3gpuE3ELNS1_3repE0EEENS1_30default_config_static_selectorELNS0_4arch9wavefront6targetE1EEEvT1_
	.p2align	8
	.type	_ZN7rocprim17ROCPRIM_400000_NS6detail17trampoline_kernelINS0_14default_configENS1_33run_length_encode_config_selectorIN3c104HalfEjNS0_4plusIjEEEEZZNS1_33reduce_by_key_impl_wrapped_configILNS1_25lookback_scan_determinismE0ES3_S9_PKS6_NS0_17constant_iteratorIjlEEPS6_PlSH_S8_NS0_8equal_toIS6_EEEE10hipError_tPvRmT2_T3_mT4_T5_T6_T7_T8_P12ihipStream_tbENKUlT_T0_E_clISt17integral_constantIbLb1EES10_IbLb0EEEEDaSW_SX_EUlSW_E_NS1_11comp_targetILNS1_3genE9ELNS1_11target_archE1100ELNS1_3gpuE3ELNS1_3repE0EEENS1_30default_config_static_selectorELNS0_4arch9wavefront6targetE1EEEvT1_,@function
_ZN7rocprim17ROCPRIM_400000_NS6detail17trampoline_kernelINS0_14default_configENS1_33run_length_encode_config_selectorIN3c104HalfEjNS0_4plusIjEEEEZZNS1_33reduce_by_key_impl_wrapped_configILNS1_25lookback_scan_determinismE0ES3_S9_PKS6_NS0_17constant_iteratorIjlEEPS6_PlSH_S8_NS0_8equal_toIS6_EEEE10hipError_tPvRmT2_T3_mT4_T5_T6_T7_T8_P12ihipStream_tbENKUlT_T0_E_clISt17integral_constantIbLb1EES10_IbLb0EEEEDaSW_SX_EUlSW_E_NS1_11comp_targetILNS1_3genE9ELNS1_11target_archE1100ELNS1_3gpuE3ELNS1_3repE0EEENS1_30default_config_static_selectorELNS0_4arch9wavefront6targetE1EEEvT1_: ; @_ZN7rocprim17ROCPRIM_400000_NS6detail17trampoline_kernelINS0_14default_configENS1_33run_length_encode_config_selectorIN3c104HalfEjNS0_4plusIjEEEEZZNS1_33reduce_by_key_impl_wrapped_configILNS1_25lookback_scan_determinismE0ES3_S9_PKS6_NS0_17constant_iteratorIjlEEPS6_PlSH_S8_NS0_8equal_toIS6_EEEE10hipError_tPvRmT2_T3_mT4_T5_T6_T7_T8_P12ihipStream_tbENKUlT_T0_E_clISt17integral_constantIbLb1EES10_IbLb0EEEEDaSW_SX_EUlSW_E_NS1_11comp_targetILNS1_3genE9ELNS1_11target_archE1100ELNS1_3gpuE3ELNS1_3repE0EEENS1_30default_config_static_selectorELNS0_4arch9wavefront6targetE1EEEvT1_
; %bb.0:
	.section	.rodata,"a",@progbits
	.p2align	6, 0x0
	.amdhsa_kernel _ZN7rocprim17ROCPRIM_400000_NS6detail17trampoline_kernelINS0_14default_configENS1_33run_length_encode_config_selectorIN3c104HalfEjNS0_4plusIjEEEEZZNS1_33reduce_by_key_impl_wrapped_configILNS1_25lookback_scan_determinismE0ES3_S9_PKS6_NS0_17constant_iteratorIjlEEPS6_PlSH_S8_NS0_8equal_toIS6_EEEE10hipError_tPvRmT2_T3_mT4_T5_T6_T7_T8_P12ihipStream_tbENKUlT_T0_E_clISt17integral_constantIbLb1EES10_IbLb0EEEEDaSW_SX_EUlSW_E_NS1_11comp_targetILNS1_3genE9ELNS1_11target_archE1100ELNS1_3gpuE3ELNS1_3repE0EEENS1_30default_config_static_selectorELNS0_4arch9wavefront6targetE1EEEvT1_
		.amdhsa_group_segment_fixed_size 0
		.amdhsa_private_segment_fixed_size 0
		.amdhsa_kernarg_size 128
		.amdhsa_user_sgpr_count 6
		.amdhsa_user_sgpr_private_segment_buffer 1
		.amdhsa_user_sgpr_dispatch_ptr 0
		.amdhsa_user_sgpr_queue_ptr 0
		.amdhsa_user_sgpr_kernarg_segment_ptr 1
		.amdhsa_user_sgpr_dispatch_id 0
		.amdhsa_user_sgpr_flat_scratch_init 0
		.amdhsa_user_sgpr_kernarg_preload_length 0
		.amdhsa_user_sgpr_kernarg_preload_offset 0
		.amdhsa_user_sgpr_private_segment_size 0
		.amdhsa_uses_dynamic_stack 0
		.amdhsa_system_sgpr_private_segment_wavefront_offset 0
		.amdhsa_system_sgpr_workgroup_id_x 1
		.amdhsa_system_sgpr_workgroup_id_y 0
		.amdhsa_system_sgpr_workgroup_id_z 0
		.amdhsa_system_sgpr_workgroup_info 0
		.amdhsa_system_vgpr_workitem_id 0
		.amdhsa_next_free_vgpr 1
		.amdhsa_next_free_sgpr 0
		.amdhsa_accum_offset 4
		.amdhsa_reserve_vcc 0
		.amdhsa_reserve_flat_scratch 0
		.amdhsa_float_round_mode_32 0
		.amdhsa_float_round_mode_16_64 0
		.amdhsa_float_denorm_mode_32 3
		.amdhsa_float_denorm_mode_16_64 3
		.amdhsa_dx10_clamp 1
		.amdhsa_ieee_mode 1
		.amdhsa_fp16_overflow 0
		.amdhsa_tg_split 0
		.amdhsa_exception_fp_ieee_invalid_op 0
		.amdhsa_exception_fp_denorm_src 0
		.amdhsa_exception_fp_ieee_div_zero 0
		.amdhsa_exception_fp_ieee_overflow 0
		.amdhsa_exception_fp_ieee_underflow 0
		.amdhsa_exception_fp_ieee_inexact 0
		.amdhsa_exception_int_div_zero 0
	.end_amdhsa_kernel
	.section	.text._ZN7rocprim17ROCPRIM_400000_NS6detail17trampoline_kernelINS0_14default_configENS1_33run_length_encode_config_selectorIN3c104HalfEjNS0_4plusIjEEEEZZNS1_33reduce_by_key_impl_wrapped_configILNS1_25lookback_scan_determinismE0ES3_S9_PKS6_NS0_17constant_iteratorIjlEEPS6_PlSH_S8_NS0_8equal_toIS6_EEEE10hipError_tPvRmT2_T3_mT4_T5_T6_T7_T8_P12ihipStream_tbENKUlT_T0_E_clISt17integral_constantIbLb1EES10_IbLb0EEEEDaSW_SX_EUlSW_E_NS1_11comp_targetILNS1_3genE9ELNS1_11target_archE1100ELNS1_3gpuE3ELNS1_3repE0EEENS1_30default_config_static_selectorELNS0_4arch9wavefront6targetE1EEEvT1_,"axG",@progbits,_ZN7rocprim17ROCPRIM_400000_NS6detail17trampoline_kernelINS0_14default_configENS1_33run_length_encode_config_selectorIN3c104HalfEjNS0_4plusIjEEEEZZNS1_33reduce_by_key_impl_wrapped_configILNS1_25lookback_scan_determinismE0ES3_S9_PKS6_NS0_17constant_iteratorIjlEEPS6_PlSH_S8_NS0_8equal_toIS6_EEEE10hipError_tPvRmT2_T3_mT4_T5_T6_T7_T8_P12ihipStream_tbENKUlT_T0_E_clISt17integral_constantIbLb1EES10_IbLb0EEEEDaSW_SX_EUlSW_E_NS1_11comp_targetILNS1_3genE9ELNS1_11target_archE1100ELNS1_3gpuE3ELNS1_3repE0EEENS1_30default_config_static_selectorELNS0_4arch9wavefront6targetE1EEEvT1_,comdat
.Lfunc_end950:
	.size	_ZN7rocprim17ROCPRIM_400000_NS6detail17trampoline_kernelINS0_14default_configENS1_33run_length_encode_config_selectorIN3c104HalfEjNS0_4plusIjEEEEZZNS1_33reduce_by_key_impl_wrapped_configILNS1_25lookback_scan_determinismE0ES3_S9_PKS6_NS0_17constant_iteratorIjlEEPS6_PlSH_S8_NS0_8equal_toIS6_EEEE10hipError_tPvRmT2_T3_mT4_T5_T6_T7_T8_P12ihipStream_tbENKUlT_T0_E_clISt17integral_constantIbLb1EES10_IbLb0EEEEDaSW_SX_EUlSW_E_NS1_11comp_targetILNS1_3genE9ELNS1_11target_archE1100ELNS1_3gpuE3ELNS1_3repE0EEENS1_30default_config_static_selectorELNS0_4arch9wavefront6targetE1EEEvT1_, .Lfunc_end950-_ZN7rocprim17ROCPRIM_400000_NS6detail17trampoline_kernelINS0_14default_configENS1_33run_length_encode_config_selectorIN3c104HalfEjNS0_4plusIjEEEEZZNS1_33reduce_by_key_impl_wrapped_configILNS1_25lookback_scan_determinismE0ES3_S9_PKS6_NS0_17constant_iteratorIjlEEPS6_PlSH_S8_NS0_8equal_toIS6_EEEE10hipError_tPvRmT2_T3_mT4_T5_T6_T7_T8_P12ihipStream_tbENKUlT_T0_E_clISt17integral_constantIbLb1EES10_IbLb0EEEEDaSW_SX_EUlSW_E_NS1_11comp_targetILNS1_3genE9ELNS1_11target_archE1100ELNS1_3gpuE3ELNS1_3repE0EEENS1_30default_config_static_selectorELNS0_4arch9wavefront6targetE1EEEvT1_
                                        ; -- End function
	.section	.AMDGPU.csdata,"",@progbits
; Kernel info:
; codeLenInByte = 0
; NumSgprs: 4
; NumVgprs: 0
; NumAgprs: 0
; TotalNumVgprs: 0
; ScratchSize: 0
; MemoryBound: 0
; FloatMode: 240
; IeeeMode: 1
; LDSByteSize: 0 bytes/workgroup (compile time only)
; SGPRBlocks: 0
; VGPRBlocks: 0
; NumSGPRsForWavesPerEU: 4
; NumVGPRsForWavesPerEU: 1
; AccumOffset: 4
; Occupancy: 8
; WaveLimiterHint : 0
; COMPUTE_PGM_RSRC2:SCRATCH_EN: 0
; COMPUTE_PGM_RSRC2:USER_SGPR: 6
; COMPUTE_PGM_RSRC2:TRAP_HANDLER: 0
; COMPUTE_PGM_RSRC2:TGID_X_EN: 1
; COMPUTE_PGM_RSRC2:TGID_Y_EN: 0
; COMPUTE_PGM_RSRC2:TGID_Z_EN: 0
; COMPUTE_PGM_RSRC2:TIDIG_COMP_CNT: 0
; COMPUTE_PGM_RSRC3_GFX90A:ACCUM_OFFSET: 0
; COMPUTE_PGM_RSRC3_GFX90A:TG_SPLIT: 0
	.section	.text._ZN7rocprim17ROCPRIM_400000_NS6detail17trampoline_kernelINS0_14default_configENS1_33run_length_encode_config_selectorIN3c104HalfEjNS0_4plusIjEEEEZZNS1_33reduce_by_key_impl_wrapped_configILNS1_25lookback_scan_determinismE0ES3_S9_PKS6_NS0_17constant_iteratorIjlEEPS6_PlSH_S8_NS0_8equal_toIS6_EEEE10hipError_tPvRmT2_T3_mT4_T5_T6_T7_T8_P12ihipStream_tbENKUlT_T0_E_clISt17integral_constantIbLb1EES10_IbLb0EEEEDaSW_SX_EUlSW_E_NS1_11comp_targetILNS1_3genE8ELNS1_11target_archE1030ELNS1_3gpuE2ELNS1_3repE0EEENS1_30default_config_static_selectorELNS0_4arch9wavefront6targetE1EEEvT1_,"axG",@progbits,_ZN7rocprim17ROCPRIM_400000_NS6detail17trampoline_kernelINS0_14default_configENS1_33run_length_encode_config_selectorIN3c104HalfEjNS0_4plusIjEEEEZZNS1_33reduce_by_key_impl_wrapped_configILNS1_25lookback_scan_determinismE0ES3_S9_PKS6_NS0_17constant_iteratorIjlEEPS6_PlSH_S8_NS0_8equal_toIS6_EEEE10hipError_tPvRmT2_T3_mT4_T5_T6_T7_T8_P12ihipStream_tbENKUlT_T0_E_clISt17integral_constantIbLb1EES10_IbLb0EEEEDaSW_SX_EUlSW_E_NS1_11comp_targetILNS1_3genE8ELNS1_11target_archE1030ELNS1_3gpuE2ELNS1_3repE0EEENS1_30default_config_static_selectorELNS0_4arch9wavefront6targetE1EEEvT1_,comdat
	.protected	_ZN7rocprim17ROCPRIM_400000_NS6detail17trampoline_kernelINS0_14default_configENS1_33run_length_encode_config_selectorIN3c104HalfEjNS0_4plusIjEEEEZZNS1_33reduce_by_key_impl_wrapped_configILNS1_25lookback_scan_determinismE0ES3_S9_PKS6_NS0_17constant_iteratorIjlEEPS6_PlSH_S8_NS0_8equal_toIS6_EEEE10hipError_tPvRmT2_T3_mT4_T5_T6_T7_T8_P12ihipStream_tbENKUlT_T0_E_clISt17integral_constantIbLb1EES10_IbLb0EEEEDaSW_SX_EUlSW_E_NS1_11comp_targetILNS1_3genE8ELNS1_11target_archE1030ELNS1_3gpuE2ELNS1_3repE0EEENS1_30default_config_static_selectorELNS0_4arch9wavefront6targetE1EEEvT1_ ; -- Begin function _ZN7rocprim17ROCPRIM_400000_NS6detail17trampoline_kernelINS0_14default_configENS1_33run_length_encode_config_selectorIN3c104HalfEjNS0_4plusIjEEEEZZNS1_33reduce_by_key_impl_wrapped_configILNS1_25lookback_scan_determinismE0ES3_S9_PKS6_NS0_17constant_iteratorIjlEEPS6_PlSH_S8_NS0_8equal_toIS6_EEEE10hipError_tPvRmT2_T3_mT4_T5_T6_T7_T8_P12ihipStream_tbENKUlT_T0_E_clISt17integral_constantIbLb1EES10_IbLb0EEEEDaSW_SX_EUlSW_E_NS1_11comp_targetILNS1_3genE8ELNS1_11target_archE1030ELNS1_3gpuE2ELNS1_3repE0EEENS1_30default_config_static_selectorELNS0_4arch9wavefront6targetE1EEEvT1_
	.globl	_ZN7rocprim17ROCPRIM_400000_NS6detail17trampoline_kernelINS0_14default_configENS1_33run_length_encode_config_selectorIN3c104HalfEjNS0_4plusIjEEEEZZNS1_33reduce_by_key_impl_wrapped_configILNS1_25lookback_scan_determinismE0ES3_S9_PKS6_NS0_17constant_iteratorIjlEEPS6_PlSH_S8_NS0_8equal_toIS6_EEEE10hipError_tPvRmT2_T3_mT4_T5_T6_T7_T8_P12ihipStream_tbENKUlT_T0_E_clISt17integral_constantIbLb1EES10_IbLb0EEEEDaSW_SX_EUlSW_E_NS1_11comp_targetILNS1_3genE8ELNS1_11target_archE1030ELNS1_3gpuE2ELNS1_3repE0EEENS1_30default_config_static_selectorELNS0_4arch9wavefront6targetE1EEEvT1_
	.p2align	8
	.type	_ZN7rocprim17ROCPRIM_400000_NS6detail17trampoline_kernelINS0_14default_configENS1_33run_length_encode_config_selectorIN3c104HalfEjNS0_4plusIjEEEEZZNS1_33reduce_by_key_impl_wrapped_configILNS1_25lookback_scan_determinismE0ES3_S9_PKS6_NS0_17constant_iteratorIjlEEPS6_PlSH_S8_NS0_8equal_toIS6_EEEE10hipError_tPvRmT2_T3_mT4_T5_T6_T7_T8_P12ihipStream_tbENKUlT_T0_E_clISt17integral_constantIbLb1EES10_IbLb0EEEEDaSW_SX_EUlSW_E_NS1_11comp_targetILNS1_3genE8ELNS1_11target_archE1030ELNS1_3gpuE2ELNS1_3repE0EEENS1_30default_config_static_selectorELNS0_4arch9wavefront6targetE1EEEvT1_,@function
_ZN7rocprim17ROCPRIM_400000_NS6detail17trampoline_kernelINS0_14default_configENS1_33run_length_encode_config_selectorIN3c104HalfEjNS0_4plusIjEEEEZZNS1_33reduce_by_key_impl_wrapped_configILNS1_25lookback_scan_determinismE0ES3_S9_PKS6_NS0_17constant_iteratorIjlEEPS6_PlSH_S8_NS0_8equal_toIS6_EEEE10hipError_tPvRmT2_T3_mT4_T5_T6_T7_T8_P12ihipStream_tbENKUlT_T0_E_clISt17integral_constantIbLb1EES10_IbLb0EEEEDaSW_SX_EUlSW_E_NS1_11comp_targetILNS1_3genE8ELNS1_11target_archE1030ELNS1_3gpuE2ELNS1_3repE0EEENS1_30default_config_static_selectorELNS0_4arch9wavefront6targetE1EEEvT1_: ; @_ZN7rocprim17ROCPRIM_400000_NS6detail17trampoline_kernelINS0_14default_configENS1_33run_length_encode_config_selectorIN3c104HalfEjNS0_4plusIjEEEEZZNS1_33reduce_by_key_impl_wrapped_configILNS1_25lookback_scan_determinismE0ES3_S9_PKS6_NS0_17constant_iteratorIjlEEPS6_PlSH_S8_NS0_8equal_toIS6_EEEE10hipError_tPvRmT2_T3_mT4_T5_T6_T7_T8_P12ihipStream_tbENKUlT_T0_E_clISt17integral_constantIbLb1EES10_IbLb0EEEEDaSW_SX_EUlSW_E_NS1_11comp_targetILNS1_3genE8ELNS1_11target_archE1030ELNS1_3gpuE2ELNS1_3repE0EEENS1_30default_config_static_selectorELNS0_4arch9wavefront6targetE1EEEvT1_
; %bb.0:
	.section	.rodata,"a",@progbits
	.p2align	6, 0x0
	.amdhsa_kernel _ZN7rocprim17ROCPRIM_400000_NS6detail17trampoline_kernelINS0_14default_configENS1_33run_length_encode_config_selectorIN3c104HalfEjNS0_4plusIjEEEEZZNS1_33reduce_by_key_impl_wrapped_configILNS1_25lookback_scan_determinismE0ES3_S9_PKS6_NS0_17constant_iteratorIjlEEPS6_PlSH_S8_NS0_8equal_toIS6_EEEE10hipError_tPvRmT2_T3_mT4_T5_T6_T7_T8_P12ihipStream_tbENKUlT_T0_E_clISt17integral_constantIbLb1EES10_IbLb0EEEEDaSW_SX_EUlSW_E_NS1_11comp_targetILNS1_3genE8ELNS1_11target_archE1030ELNS1_3gpuE2ELNS1_3repE0EEENS1_30default_config_static_selectorELNS0_4arch9wavefront6targetE1EEEvT1_
		.amdhsa_group_segment_fixed_size 0
		.amdhsa_private_segment_fixed_size 0
		.amdhsa_kernarg_size 128
		.amdhsa_user_sgpr_count 6
		.amdhsa_user_sgpr_private_segment_buffer 1
		.amdhsa_user_sgpr_dispatch_ptr 0
		.amdhsa_user_sgpr_queue_ptr 0
		.amdhsa_user_sgpr_kernarg_segment_ptr 1
		.amdhsa_user_sgpr_dispatch_id 0
		.amdhsa_user_sgpr_flat_scratch_init 0
		.amdhsa_user_sgpr_kernarg_preload_length 0
		.amdhsa_user_sgpr_kernarg_preload_offset 0
		.amdhsa_user_sgpr_private_segment_size 0
		.amdhsa_uses_dynamic_stack 0
		.amdhsa_system_sgpr_private_segment_wavefront_offset 0
		.amdhsa_system_sgpr_workgroup_id_x 1
		.amdhsa_system_sgpr_workgroup_id_y 0
		.amdhsa_system_sgpr_workgroup_id_z 0
		.amdhsa_system_sgpr_workgroup_info 0
		.amdhsa_system_vgpr_workitem_id 0
		.amdhsa_next_free_vgpr 1
		.amdhsa_next_free_sgpr 0
		.amdhsa_accum_offset 4
		.amdhsa_reserve_vcc 0
		.amdhsa_reserve_flat_scratch 0
		.amdhsa_float_round_mode_32 0
		.amdhsa_float_round_mode_16_64 0
		.amdhsa_float_denorm_mode_32 3
		.amdhsa_float_denorm_mode_16_64 3
		.amdhsa_dx10_clamp 1
		.amdhsa_ieee_mode 1
		.amdhsa_fp16_overflow 0
		.amdhsa_tg_split 0
		.amdhsa_exception_fp_ieee_invalid_op 0
		.amdhsa_exception_fp_denorm_src 0
		.amdhsa_exception_fp_ieee_div_zero 0
		.amdhsa_exception_fp_ieee_overflow 0
		.amdhsa_exception_fp_ieee_underflow 0
		.amdhsa_exception_fp_ieee_inexact 0
		.amdhsa_exception_int_div_zero 0
	.end_amdhsa_kernel
	.section	.text._ZN7rocprim17ROCPRIM_400000_NS6detail17trampoline_kernelINS0_14default_configENS1_33run_length_encode_config_selectorIN3c104HalfEjNS0_4plusIjEEEEZZNS1_33reduce_by_key_impl_wrapped_configILNS1_25lookback_scan_determinismE0ES3_S9_PKS6_NS0_17constant_iteratorIjlEEPS6_PlSH_S8_NS0_8equal_toIS6_EEEE10hipError_tPvRmT2_T3_mT4_T5_T6_T7_T8_P12ihipStream_tbENKUlT_T0_E_clISt17integral_constantIbLb1EES10_IbLb0EEEEDaSW_SX_EUlSW_E_NS1_11comp_targetILNS1_3genE8ELNS1_11target_archE1030ELNS1_3gpuE2ELNS1_3repE0EEENS1_30default_config_static_selectorELNS0_4arch9wavefront6targetE1EEEvT1_,"axG",@progbits,_ZN7rocprim17ROCPRIM_400000_NS6detail17trampoline_kernelINS0_14default_configENS1_33run_length_encode_config_selectorIN3c104HalfEjNS0_4plusIjEEEEZZNS1_33reduce_by_key_impl_wrapped_configILNS1_25lookback_scan_determinismE0ES3_S9_PKS6_NS0_17constant_iteratorIjlEEPS6_PlSH_S8_NS0_8equal_toIS6_EEEE10hipError_tPvRmT2_T3_mT4_T5_T6_T7_T8_P12ihipStream_tbENKUlT_T0_E_clISt17integral_constantIbLb1EES10_IbLb0EEEEDaSW_SX_EUlSW_E_NS1_11comp_targetILNS1_3genE8ELNS1_11target_archE1030ELNS1_3gpuE2ELNS1_3repE0EEENS1_30default_config_static_selectorELNS0_4arch9wavefront6targetE1EEEvT1_,comdat
.Lfunc_end951:
	.size	_ZN7rocprim17ROCPRIM_400000_NS6detail17trampoline_kernelINS0_14default_configENS1_33run_length_encode_config_selectorIN3c104HalfEjNS0_4plusIjEEEEZZNS1_33reduce_by_key_impl_wrapped_configILNS1_25lookback_scan_determinismE0ES3_S9_PKS6_NS0_17constant_iteratorIjlEEPS6_PlSH_S8_NS0_8equal_toIS6_EEEE10hipError_tPvRmT2_T3_mT4_T5_T6_T7_T8_P12ihipStream_tbENKUlT_T0_E_clISt17integral_constantIbLb1EES10_IbLb0EEEEDaSW_SX_EUlSW_E_NS1_11comp_targetILNS1_3genE8ELNS1_11target_archE1030ELNS1_3gpuE2ELNS1_3repE0EEENS1_30default_config_static_selectorELNS0_4arch9wavefront6targetE1EEEvT1_, .Lfunc_end951-_ZN7rocprim17ROCPRIM_400000_NS6detail17trampoline_kernelINS0_14default_configENS1_33run_length_encode_config_selectorIN3c104HalfEjNS0_4plusIjEEEEZZNS1_33reduce_by_key_impl_wrapped_configILNS1_25lookback_scan_determinismE0ES3_S9_PKS6_NS0_17constant_iteratorIjlEEPS6_PlSH_S8_NS0_8equal_toIS6_EEEE10hipError_tPvRmT2_T3_mT4_T5_T6_T7_T8_P12ihipStream_tbENKUlT_T0_E_clISt17integral_constantIbLb1EES10_IbLb0EEEEDaSW_SX_EUlSW_E_NS1_11comp_targetILNS1_3genE8ELNS1_11target_archE1030ELNS1_3gpuE2ELNS1_3repE0EEENS1_30default_config_static_selectorELNS0_4arch9wavefront6targetE1EEEvT1_
                                        ; -- End function
	.section	.AMDGPU.csdata,"",@progbits
; Kernel info:
; codeLenInByte = 0
; NumSgprs: 4
; NumVgprs: 0
; NumAgprs: 0
; TotalNumVgprs: 0
; ScratchSize: 0
; MemoryBound: 0
; FloatMode: 240
; IeeeMode: 1
; LDSByteSize: 0 bytes/workgroup (compile time only)
; SGPRBlocks: 0
; VGPRBlocks: 0
; NumSGPRsForWavesPerEU: 4
; NumVGPRsForWavesPerEU: 1
; AccumOffset: 4
; Occupancy: 8
; WaveLimiterHint : 0
; COMPUTE_PGM_RSRC2:SCRATCH_EN: 0
; COMPUTE_PGM_RSRC2:USER_SGPR: 6
; COMPUTE_PGM_RSRC2:TRAP_HANDLER: 0
; COMPUTE_PGM_RSRC2:TGID_X_EN: 1
; COMPUTE_PGM_RSRC2:TGID_Y_EN: 0
; COMPUTE_PGM_RSRC2:TGID_Z_EN: 0
; COMPUTE_PGM_RSRC2:TIDIG_COMP_CNT: 0
; COMPUTE_PGM_RSRC3_GFX90A:ACCUM_OFFSET: 0
; COMPUTE_PGM_RSRC3_GFX90A:TG_SPLIT: 0
	.section	.text._ZN7rocprim17ROCPRIM_400000_NS6detail17trampoline_kernelINS0_14default_configENS1_33run_length_encode_config_selectorIN3c104HalfEjNS0_4plusIjEEEEZZNS1_33reduce_by_key_impl_wrapped_configILNS1_25lookback_scan_determinismE0ES3_S9_PKS6_NS0_17constant_iteratorIjlEEPS6_PlSH_S8_NS0_8equal_toIS6_EEEE10hipError_tPvRmT2_T3_mT4_T5_T6_T7_T8_P12ihipStream_tbENKUlT_T0_E_clISt17integral_constantIbLb0EES10_IbLb1EEEEDaSW_SX_EUlSW_E_NS1_11comp_targetILNS1_3genE0ELNS1_11target_archE4294967295ELNS1_3gpuE0ELNS1_3repE0EEENS1_30default_config_static_selectorELNS0_4arch9wavefront6targetE1EEEvT1_,"axG",@progbits,_ZN7rocprim17ROCPRIM_400000_NS6detail17trampoline_kernelINS0_14default_configENS1_33run_length_encode_config_selectorIN3c104HalfEjNS0_4plusIjEEEEZZNS1_33reduce_by_key_impl_wrapped_configILNS1_25lookback_scan_determinismE0ES3_S9_PKS6_NS0_17constant_iteratorIjlEEPS6_PlSH_S8_NS0_8equal_toIS6_EEEE10hipError_tPvRmT2_T3_mT4_T5_T6_T7_T8_P12ihipStream_tbENKUlT_T0_E_clISt17integral_constantIbLb0EES10_IbLb1EEEEDaSW_SX_EUlSW_E_NS1_11comp_targetILNS1_3genE0ELNS1_11target_archE4294967295ELNS1_3gpuE0ELNS1_3repE0EEENS1_30default_config_static_selectorELNS0_4arch9wavefront6targetE1EEEvT1_,comdat
	.protected	_ZN7rocprim17ROCPRIM_400000_NS6detail17trampoline_kernelINS0_14default_configENS1_33run_length_encode_config_selectorIN3c104HalfEjNS0_4plusIjEEEEZZNS1_33reduce_by_key_impl_wrapped_configILNS1_25lookback_scan_determinismE0ES3_S9_PKS6_NS0_17constant_iteratorIjlEEPS6_PlSH_S8_NS0_8equal_toIS6_EEEE10hipError_tPvRmT2_T3_mT4_T5_T6_T7_T8_P12ihipStream_tbENKUlT_T0_E_clISt17integral_constantIbLb0EES10_IbLb1EEEEDaSW_SX_EUlSW_E_NS1_11comp_targetILNS1_3genE0ELNS1_11target_archE4294967295ELNS1_3gpuE0ELNS1_3repE0EEENS1_30default_config_static_selectorELNS0_4arch9wavefront6targetE1EEEvT1_ ; -- Begin function _ZN7rocprim17ROCPRIM_400000_NS6detail17trampoline_kernelINS0_14default_configENS1_33run_length_encode_config_selectorIN3c104HalfEjNS0_4plusIjEEEEZZNS1_33reduce_by_key_impl_wrapped_configILNS1_25lookback_scan_determinismE0ES3_S9_PKS6_NS0_17constant_iteratorIjlEEPS6_PlSH_S8_NS0_8equal_toIS6_EEEE10hipError_tPvRmT2_T3_mT4_T5_T6_T7_T8_P12ihipStream_tbENKUlT_T0_E_clISt17integral_constantIbLb0EES10_IbLb1EEEEDaSW_SX_EUlSW_E_NS1_11comp_targetILNS1_3genE0ELNS1_11target_archE4294967295ELNS1_3gpuE0ELNS1_3repE0EEENS1_30default_config_static_selectorELNS0_4arch9wavefront6targetE1EEEvT1_
	.globl	_ZN7rocprim17ROCPRIM_400000_NS6detail17trampoline_kernelINS0_14default_configENS1_33run_length_encode_config_selectorIN3c104HalfEjNS0_4plusIjEEEEZZNS1_33reduce_by_key_impl_wrapped_configILNS1_25lookback_scan_determinismE0ES3_S9_PKS6_NS0_17constant_iteratorIjlEEPS6_PlSH_S8_NS0_8equal_toIS6_EEEE10hipError_tPvRmT2_T3_mT4_T5_T6_T7_T8_P12ihipStream_tbENKUlT_T0_E_clISt17integral_constantIbLb0EES10_IbLb1EEEEDaSW_SX_EUlSW_E_NS1_11comp_targetILNS1_3genE0ELNS1_11target_archE4294967295ELNS1_3gpuE0ELNS1_3repE0EEENS1_30default_config_static_selectorELNS0_4arch9wavefront6targetE1EEEvT1_
	.p2align	8
	.type	_ZN7rocprim17ROCPRIM_400000_NS6detail17trampoline_kernelINS0_14default_configENS1_33run_length_encode_config_selectorIN3c104HalfEjNS0_4plusIjEEEEZZNS1_33reduce_by_key_impl_wrapped_configILNS1_25lookback_scan_determinismE0ES3_S9_PKS6_NS0_17constant_iteratorIjlEEPS6_PlSH_S8_NS0_8equal_toIS6_EEEE10hipError_tPvRmT2_T3_mT4_T5_T6_T7_T8_P12ihipStream_tbENKUlT_T0_E_clISt17integral_constantIbLb0EES10_IbLb1EEEEDaSW_SX_EUlSW_E_NS1_11comp_targetILNS1_3genE0ELNS1_11target_archE4294967295ELNS1_3gpuE0ELNS1_3repE0EEENS1_30default_config_static_selectorELNS0_4arch9wavefront6targetE1EEEvT1_,@function
_ZN7rocprim17ROCPRIM_400000_NS6detail17trampoline_kernelINS0_14default_configENS1_33run_length_encode_config_selectorIN3c104HalfEjNS0_4plusIjEEEEZZNS1_33reduce_by_key_impl_wrapped_configILNS1_25lookback_scan_determinismE0ES3_S9_PKS6_NS0_17constant_iteratorIjlEEPS6_PlSH_S8_NS0_8equal_toIS6_EEEE10hipError_tPvRmT2_T3_mT4_T5_T6_T7_T8_P12ihipStream_tbENKUlT_T0_E_clISt17integral_constantIbLb0EES10_IbLb1EEEEDaSW_SX_EUlSW_E_NS1_11comp_targetILNS1_3genE0ELNS1_11target_archE4294967295ELNS1_3gpuE0ELNS1_3repE0EEENS1_30default_config_static_selectorELNS0_4arch9wavefront6targetE1EEEvT1_: ; @_ZN7rocprim17ROCPRIM_400000_NS6detail17trampoline_kernelINS0_14default_configENS1_33run_length_encode_config_selectorIN3c104HalfEjNS0_4plusIjEEEEZZNS1_33reduce_by_key_impl_wrapped_configILNS1_25lookback_scan_determinismE0ES3_S9_PKS6_NS0_17constant_iteratorIjlEEPS6_PlSH_S8_NS0_8equal_toIS6_EEEE10hipError_tPvRmT2_T3_mT4_T5_T6_T7_T8_P12ihipStream_tbENKUlT_T0_E_clISt17integral_constantIbLb0EES10_IbLb1EEEEDaSW_SX_EUlSW_E_NS1_11comp_targetILNS1_3genE0ELNS1_11target_archE4294967295ELNS1_3gpuE0ELNS1_3repE0EEENS1_30default_config_static_selectorELNS0_4arch9wavefront6targetE1EEEvT1_
; %bb.0:
	.section	.rodata,"a",@progbits
	.p2align	6, 0x0
	.amdhsa_kernel _ZN7rocprim17ROCPRIM_400000_NS6detail17trampoline_kernelINS0_14default_configENS1_33run_length_encode_config_selectorIN3c104HalfEjNS0_4plusIjEEEEZZNS1_33reduce_by_key_impl_wrapped_configILNS1_25lookback_scan_determinismE0ES3_S9_PKS6_NS0_17constant_iteratorIjlEEPS6_PlSH_S8_NS0_8equal_toIS6_EEEE10hipError_tPvRmT2_T3_mT4_T5_T6_T7_T8_P12ihipStream_tbENKUlT_T0_E_clISt17integral_constantIbLb0EES10_IbLb1EEEEDaSW_SX_EUlSW_E_NS1_11comp_targetILNS1_3genE0ELNS1_11target_archE4294967295ELNS1_3gpuE0ELNS1_3repE0EEENS1_30default_config_static_selectorELNS0_4arch9wavefront6targetE1EEEvT1_
		.amdhsa_group_segment_fixed_size 0
		.amdhsa_private_segment_fixed_size 0
		.amdhsa_kernarg_size 128
		.amdhsa_user_sgpr_count 6
		.amdhsa_user_sgpr_private_segment_buffer 1
		.amdhsa_user_sgpr_dispatch_ptr 0
		.amdhsa_user_sgpr_queue_ptr 0
		.amdhsa_user_sgpr_kernarg_segment_ptr 1
		.amdhsa_user_sgpr_dispatch_id 0
		.amdhsa_user_sgpr_flat_scratch_init 0
		.amdhsa_user_sgpr_kernarg_preload_length 0
		.amdhsa_user_sgpr_kernarg_preload_offset 0
		.amdhsa_user_sgpr_private_segment_size 0
		.amdhsa_uses_dynamic_stack 0
		.amdhsa_system_sgpr_private_segment_wavefront_offset 0
		.amdhsa_system_sgpr_workgroup_id_x 1
		.amdhsa_system_sgpr_workgroup_id_y 0
		.amdhsa_system_sgpr_workgroup_id_z 0
		.amdhsa_system_sgpr_workgroup_info 0
		.amdhsa_system_vgpr_workitem_id 0
		.amdhsa_next_free_vgpr 1
		.amdhsa_next_free_sgpr 0
		.amdhsa_accum_offset 4
		.amdhsa_reserve_vcc 0
		.amdhsa_reserve_flat_scratch 0
		.amdhsa_float_round_mode_32 0
		.amdhsa_float_round_mode_16_64 0
		.amdhsa_float_denorm_mode_32 3
		.amdhsa_float_denorm_mode_16_64 3
		.amdhsa_dx10_clamp 1
		.amdhsa_ieee_mode 1
		.amdhsa_fp16_overflow 0
		.amdhsa_tg_split 0
		.amdhsa_exception_fp_ieee_invalid_op 0
		.amdhsa_exception_fp_denorm_src 0
		.amdhsa_exception_fp_ieee_div_zero 0
		.amdhsa_exception_fp_ieee_overflow 0
		.amdhsa_exception_fp_ieee_underflow 0
		.amdhsa_exception_fp_ieee_inexact 0
		.amdhsa_exception_int_div_zero 0
	.end_amdhsa_kernel
	.section	.text._ZN7rocprim17ROCPRIM_400000_NS6detail17trampoline_kernelINS0_14default_configENS1_33run_length_encode_config_selectorIN3c104HalfEjNS0_4plusIjEEEEZZNS1_33reduce_by_key_impl_wrapped_configILNS1_25lookback_scan_determinismE0ES3_S9_PKS6_NS0_17constant_iteratorIjlEEPS6_PlSH_S8_NS0_8equal_toIS6_EEEE10hipError_tPvRmT2_T3_mT4_T5_T6_T7_T8_P12ihipStream_tbENKUlT_T0_E_clISt17integral_constantIbLb0EES10_IbLb1EEEEDaSW_SX_EUlSW_E_NS1_11comp_targetILNS1_3genE0ELNS1_11target_archE4294967295ELNS1_3gpuE0ELNS1_3repE0EEENS1_30default_config_static_selectorELNS0_4arch9wavefront6targetE1EEEvT1_,"axG",@progbits,_ZN7rocprim17ROCPRIM_400000_NS6detail17trampoline_kernelINS0_14default_configENS1_33run_length_encode_config_selectorIN3c104HalfEjNS0_4plusIjEEEEZZNS1_33reduce_by_key_impl_wrapped_configILNS1_25lookback_scan_determinismE0ES3_S9_PKS6_NS0_17constant_iteratorIjlEEPS6_PlSH_S8_NS0_8equal_toIS6_EEEE10hipError_tPvRmT2_T3_mT4_T5_T6_T7_T8_P12ihipStream_tbENKUlT_T0_E_clISt17integral_constantIbLb0EES10_IbLb1EEEEDaSW_SX_EUlSW_E_NS1_11comp_targetILNS1_3genE0ELNS1_11target_archE4294967295ELNS1_3gpuE0ELNS1_3repE0EEENS1_30default_config_static_selectorELNS0_4arch9wavefront6targetE1EEEvT1_,comdat
.Lfunc_end952:
	.size	_ZN7rocprim17ROCPRIM_400000_NS6detail17trampoline_kernelINS0_14default_configENS1_33run_length_encode_config_selectorIN3c104HalfEjNS0_4plusIjEEEEZZNS1_33reduce_by_key_impl_wrapped_configILNS1_25lookback_scan_determinismE0ES3_S9_PKS6_NS0_17constant_iteratorIjlEEPS6_PlSH_S8_NS0_8equal_toIS6_EEEE10hipError_tPvRmT2_T3_mT4_T5_T6_T7_T8_P12ihipStream_tbENKUlT_T0_E_clISt17integral_constantIbLb0EES10_IbLb1EEEEDaSW_SX_EUlSW_E_NS1_11comp_targetILNS1_3genE0ELNS1_11target_archE4294967295ELNS1_3gpuE0ELNS1_3repE0EEENS1_30default_config_static_selectorELNS0_4arch9wavefront6targetE1EEEvT1_, .Lfunc_end952-_ZN7rocprim17ROCPRIM_400000_NS6detail17trampoline_kernelINS0_14default_configENS1_33run_length_encode_config_selectorIN3c104HalfEjNS0_4plusIjEEEEZZNS1_33reduce_by_key_impl_wrapped_configILNS1_25lookback_scan_determinismE0ES3_S9_PKS6_NS0_17constant_iteratorIjlEEPS6_PlSH_S8_NS0_8equal_toIS6_EEEE10hipError_tPvRmT2_T3_mT4_T5_T6_T7_T8_P12ihipStream_tbENKUlT_T0_E_clISt17integral_constantIbLb0EES10_IbLb1EEEEDaSW_SX_EUlSW_E_NS1_11comp_targetILNS1_3genE0ELNS1_11target_archE4294967295ELNS1_3gpuE0ELNS1_3repE0EEENS1_30default_config_static_selectorELNS0_4arch9wavefront6targetE1EEEvT1_
                                        ; -- End function
	.section	.AMDGPU.csdata,"",@progbits
; Kernel info:
; codeLenInByte = 0
; NumSgprs: 4
; NumVgprs: 0
; NumAgprs: 0
; TotalNumVgprs: 0
; ScratchSize: 0
; MemoryBound: 0
; FloatMode: 240
; IeeeMode: 1
; LDSByteSize: 0 bytes/workgroup (compile time only)
; SGPRBlocks: 0
; VGPRBlocks: 0
; NumSGPRsForWavesPerEU: 4
; NumVGPRsForWavesPerEU: 1
; AccumOffset: 4
; Occupancy: 8
; WaveLimiterHint : 0
; COMPUTE_PGM_RSRC2:SCRATCH_EN: 0
; COMPUTE_PGM_RSRC2:USER_SGPR: 6
; COMPUTE_PGM_RSRC2:TRAP_HANDLER: 0
; COMPUTE_PGM_RSRC2:TGID_X_EN: 1
; COMPUTE_PGM_RSRC2:TGID_Y_EN: 0
; COMPUTE_PGM_RSRC2:TGID_Z_EN: 0
; COMPUTE_PGM_RSRC2:TIDIG_COMP_CNT: 0
; COMPUTE_PGM_RSRC3_GFX90A:ACCUM_OFFSET: 0
; COMPUTE_PGM_RSRC3_GFX90A:TG_SPLIT: 0
	.section	.text._ZN7rocprim17ROCPRIM_400000_NS6detail17trampoline_kernelINS0_14default_configENS1_33run_length_encode_config_selectorIN3c104HalfEjNS0_4plusIjEEEEZZNS1_33reduce_by_key_impl_wrapped_configILNS1_25lookback_scan_determinismE0ES3_S9_PKS6_NS0_17constant_iteratorIjlEEPS6_PlSH_S8_NS0_8equal_toIS6_EEEE10hipError_tPvRmT2_T3_mT4_T5_T6_T7_T8_P12ihipStream_tbENKUlT_T0_E_clISt17integral_constantIbLb0EES10_IbLb1EEEEDaSW_SX_EUlSW_E_NS1_11comp_targetILNS1_3genE5ELNS1_11target_archE942ELNS1_3gpuE9ELNS1_3repE0EEENS1_30default_config_static_selectorELNS0_4arch9wavefront6targetE1EEEvT1_,"axG",@progbits,_ZN7rocprim17ROCPRIM_400000_NS6detail17trampoline_kernelINS0_14default_configENS1_33run_length_encode_config_selectorIN3c104HalfEjNS0_4plusIjEEEEZZNS1_33reduce_by_key_impl_wrapped_configILNS1_25lookback_scan_determinismE0ES3_S9_PKS6_NS0_17constant_iteratorIjlEEPS6_PlSH_S8_NS0_8equal_toIS6_EEEE10hipError_tPvRmT2_T3_mT4_T5_T6_T7_T8_P12ihipStream_tbENKUlT_T0_E_clISt17integral_constantIbLb0EES10_IbLb1EEEEDaSW_SX_EUlSW_E_NS1_11comp_targetILNS1_3genE5ELNS1_11target_archE942ELNS1_3gpuE9ELNS1_3repE0EEENS1_30default_config_static_selectorELNS0_4arch9wavefront6targetE1EEEvT1_,comdat
	.protected	_ZN7rocprim17ROCPRIM_400000_NS6detail17trampoline_kernelINS0_14default_configENS1_33run_length_encode_config_selectorIN3c104HalfEjNS0_4plusIjEEEEZZNS1_33reduce_by_key_impl_wrapped_configILNS1_25lookback_scan_determinismE0ES3_S9_PKS6_NS0_17constant_iteratorIjlEEPS6_PlSH_S8_NS0_8equal_toIS6_EEEE10hipError_tPvRmT2_T3_mT4_T5_T6_T7_T8_P12ihipStream_tbENKUlT_T0_E_clISt17integral_constantIbLb0EES10_IbLb1EEEEDaSW_SX_EUlSW_E_NS1_11comp_targetILNS1_3genE5ELNS1_11target_archE942ELNS1_3gpuE9ELNS1_3repE0EEENS1_30default_config_static_selectorELNS0_4arch9wavefront6targetE1EEEvT1_ ; -- Begin function _ZN7rocprim17ROCPRIM_400000_NS6detail17trampoline_kernelINS0_14default_configENS1_33run_length_encode_config_selectorIN3c104HalfEjNS0_4plusIjEEEEZZNS1_33reduce_by_key_impl_wrapped_configILNS1_25lookback_scan_determinismE0ES3_S9_PKS6_NS0_17constant_iteratorIjlEEPS6_PlSH_S8_NS0_8equal_toIS6_EEEE10hipError_tPvRmT2_T3_mT4_T5_T6_T7_T8_P12ihipStream_tbENKUlT_T0_E_clISt17integral_constantIbLb0EES10_IbLb1EEEEDaSW_SX_EUlSW_E_NS1_11comp_targetILNS1_3genE5ELNS1_11target_archE942ELNS1_3gpuE9ELNS1_3repE0EEENS1_30default_config_static_selectorELNS0_4arch9wavefront6targetE1EEEvT1_
	.globl	_ZN7rocprim17ROCPRIM_400000_NS6detail17trampoline_kernelINS0_14default_configENS1_33run_length_encode_config_selectorIN3c104HalfEjNS0_4plusIjEEEEZZNS1_33reduce_by_key_impl_wrapped_configILNS1_25lookback_scan_determinismE0ES3_S9_PKS6_NS0_17constant_iteratorIjlEEPS6_PlSH_S8_NS0_8equal_toIS6_EEEE10hipError_tPvRmT2_T3_mT4_T5_T6_T7_T8_P12ihipStream_tbENKUlT_T0_E_clISt17integral_constantIbLb0EES10_IbLb1EEEEDaSW_SX_EUlSW_E_NS1_11comp_targetILNS1_3genE5ELNS1_11target_archE942ELNS1_3gpuE9ELNS1_3repE0EEENS1_30default_config_static_selectorELNS0_4arch9wavefront6targetE1EEEvT1_
	.p2align	8
	.type	_ZN7rocprim17ROCPRIM_400000_NS6detail17trampoline_kernelINS0_14default_configENS1_33run_length_encode_config_selectorIN3c104HalfEjNS0_4plusIjEEEEZZNS1_33reduce_by_key_impl_wrapped_configILNS1_25lookback_scan_determinismE0ES3_S9_PKS6_NS0_17constant_iteratorIjlEEPS6_PlSH_S8_NS0_8equal_toIS6_EEEE10hipError_tPvRmT2_T3_mT4_T5_T6_T7_T8_P12ihipStream_tbENKUlT_T0_E_clISt17integral_constantIbLb0EES10_IbLb1EEEEDaSW_SX_EUlSW_E_NS1_11comp_targetILNS1_3genE5ELNS1_11target_archE942ELNS1_3gpuE9ELNS1_3repE0EEENS1_30default_config_static_selectorELNS0_4arch9wavefront6targetE1EEEvT1_,@function
_ZN7rocprim17ROCPRIM_400000_NS6detail17trampoline_kernelINS0_14default_configENS1_33run_length_encode_config_selectorIN3c104HalfEjNS0_4plusIjEEEEZZNS1_33reduce_by_key_impl_wrapped_configILNS1_25lookback_scan_determinismE0ES3_S9_PKS6_NS0_17constant_iteratorIjlEEPS6_PlSH_S8_NS0_8equal_toIS6_EEEE10hipError_tPvRmT2_T3_mT4_T5_T6_T7_T8_P12ihipStream_tbENKUlT_T0_E_clISt17integral_constantIbLb0EES10_IbLb1EEEEDaSW_SX_EUlSW_E_NS1_11comp_targetILNS1_3genE5ELNS1_11target_archE942ELNS1_3gpuE9ELNS1_3repE0EEENS1_30default_config_static_selectorELNS0_4arch9wavefront6targetE1EEEvT1_: ; @_ZN7rocprim17ROCPRIM_400000_NS6detail17trampoline_kernelINS0_14default_configENS1_33run_length_encode_config_selectorIN3c104HalfEjNS0_4plusIjEEEEZZNS1_33reduce_by_key_impl_wrapped_configILNS1_25lookback_scan_determinismE0ES3_S9_PKS6_NS0_17constant_iteratorIjlEEPS6_PlSH_S8_NS0_8equal_toIS6_EEEE10hipError_tPvRmT2_T3_mT4_T5_T6_T7_T8_P12ihipStream_tbENKUlT_T0_E_clISt17integral_constantIbLb0EES10_IbLb1EEEEDaSW_SX_EUlSW_E_NS1_11comp_targetILNS1_3genE5ELNS1_11target_archE942ELNS1_3gpuE9ELNS1_3repE0EEENS1_30default_config_static_selectorELNS0_4arch9wavefront6targetE1EEEvT1_
; %bb.0:
	.section	.rodata,"a",@progbits
	.p2align	6, 0x0
	.amdhsa_kernel _ZN7rocprim17ROCPRIM_400000_NS6detail17trampoline_kernelINS0_14default_configENS1_33run_length_encode_config_selectorIN3c104HalfEjNS0_4plusIjEEEEZZNS1_33reduce_by_key_impl_wrapped_configILNS1_25lookback_scan_determinismE0ES3_S9_PKS6_NS0_17constant_iteratorIjlEEPS6_PlSH_S8_NS0_8equal_toIS6_EEEE10hipError_tPvRmT2_T3_mT4_T5_T6_T7_T8_P12ihipStream_tbENKUlT_T0_E_clISt17integral_constantIbLb0EES10_IbLb1EEEEDaSW_SX_EUlSW_E_NS1_11comp_targetILNS1_3genE5ELNS1_11target_archE942ELNS1_3gpuE9ELNS1_3repE0EEENS1_30default_config_static_selectorELNS0_4arch9wavefront6targetE1EEEvT1_
		.amdhsa_group_segment_fixed_size 0
		.amdhsa_private_segment_fixed_size 0
		.amdhsa_kernarg_size 128
		.amdhsa_user_sgpr_count 6
		.amdhsa_user_sgpr_private_segment_buffer 1
		.amdhsa_user_sgpr_dispatch_ptr 0
		.amdhsa_user_sgpr_queue_ptr 0
		.amdhsa_user_sgpr_kernarg_segment_ptr 1
		.amdhsa_user_sgpr_dispatch_id 0
		.amdhsa_user_sgpr_flat_scratch_init 0
		.amdhsa_user_sgpr_kernarg_preload_length 0
		.amdhsa_user_sgpr_kernarg_preload_offset 0
		.amdhsa_user_sgpr_private_segment_size 0
		.amdhsa_uses_dynamic_stack 0
		.amdhsa_system_sgpr_private_segment_wavefront_offset 0
		.amdhsa_system_sgpr_workgroup_id_x 1
		.amdhsa_system_sgpr_workgroup_id_y 0
		.amdhsa_system_sgpr_workgroup_id_z 0
		.amdhsa_system_sgpr_workgroup_info 0
		.amdhsa_system_vgpr_workitem_id 0
		.amdhsa_next_free_vgpr 1
		.amdhsa_next_free_sgpr 0
		.amdhsa_accum_offset 4
		.amdhsa_reserve_vcc 0
		.amdhsa_reserve_flat_scratch 0
		.amdhsa_float_round_mode_32 0
		.amdhsa_float_round_mode_16_64 0
		.amdhsa_float_denorm_mode_32 3
		.amdhsa_float_denorm_mode_16_64 3
		.amdhsa_dx10_clamp 1
		.amdhsa_ieee_mode 1
		.amdhsa_fp16_overflow 0
		.amdhsa_tg_split 0
		.amdhsa_exception_fp_ieee_invalid_op 0
		.amdhsa_exception_fp_denorm_src 0
		.amdhsa_exception_fp_ieee_div_zero 0
		.amdhsa_exception_fp_ieee_overflow 0
		.amdhsa_exception_fp_ieee_underflow 0
		.amdhsa_exception_fp_ieee_inexact 0
		.amdhsa_exception_int_div_zero 0
	.end_amdhsa_kernel
	.section	.text._ZN7rocprim17ROCPRIM_400000_NS6detail17trampoline_kernelINS0_14default_configENS1_33run_length_encode_config_selectorIN3c104HalfEjNS0_4plusIjEEEEZZNS1_33reduce_by_key_impl_wrapped_configILNS1_25lookback_scan_determinismE0ES3_S9_PKS6_NS0_17constant_iteratorIjlEEPS6_PlSH_S8_NS0_8equal_toIS6_EEEE10hipError_tPvRmT2_T3_mT4_T5_T6_T7_T8_P12ihipStream_tbENKUlT_T0_E_clISt17integral_constantIbLb0EES10_IbLb1EEEEDaSW_SX_EUlSW_E_NS1_11comp_targetILNS1_3genE5ELNS1_11target_archE942ELNS1_3gpuE9ELNS1_3repE0EEENS1_30default_config_static_selectorELNS0_4arch9wavefront6targetE1EEEvT1_,"axG",@progbits,_ZN7rocprim17ROCPRIM_400000_NS6detail17trampoline_kernelINS0_14default_configENS1_33run_length_encode_config_selectorIN3c104HalfEjNS0_4plusIjEEEEZZNS1_33reduce_by_key_impl_wrapped_configILNS1_25lookback_scan_determinismE0ES3_S9_PKS6_NS0_17constant_iteratorIjlEEPS6_PlSH_S8_NS0_8equal_toIS6_EEEE10hipError_tPvRmT2_T3_mT4_T5_T6_T7_T8_P12ihipStream_tbENKUlT_T0_E_clISt17integral_constantIbLb0EES10_IbLb1EEEEDaSW_SX_EUlSW_E_NS1_11comp_targetILNS1_3genE5ELNS1_11target_archE942ELNS1_3gpuE9ELNS1_3repE0EEENS1_30default_config_static_selectorELNS0_4arch9wavefront6targetE1EEEvT1_,comdat
.Lfunc_end953:
	.size	_ZN7rocprim17ROCPRIM_400000_NS6detail17trampoline_kernelINS0_14default_configENS1_33run_length_encode_config_selectorIN3c104HalfEjNS0_4plusIjEEEEZZNS1_33reduce_by_key_impl_wrapped_configILNS1_25lookback_scan_determinismE0ES3_S9_PKS6_NS0_17constant_iteratorIjlEEPS6_PlSH_S8_NS0_8equal_toIS6_EEEE10hipError_tPvRmT2_T3_mT4_T5_T6_T7_T8_P12ihipStream_tbENKUlT_T0_E_clISt17integral_constantIbLb0EES10_IbLb1EEEEDaSW_SX_EUlSW_E_NS1_11comp_targetILNS1_3genE5ELNS1_11target_archE942ELNS1_3gpuE9ELNS1_3repE0EEENS1_30default_config_static_selectorELNS0_4arch9wavefront6targetE1EEEvT1_, .Lfunc_end953-_ZN7rocprim17ROCPRIM_400000_NS6detail17trampoline_kernelINS0_14default_configENS1_33run_length_encode_config_selectorIN3c104HalfEjNS0_4plusIjEEEEZZNS1_33reduce_by_key_impl_wrapped_configILNS1_25lookback_scan_determinismE0ES3_S9_PKS6_NS0_17constant_iteratorIjlEEPS6_PlSH_S8_NS0_8equal_toIS6_EEEE10hipError_tPvRmT2_T3_mT4_T5_T6_T7_T8_P12ihipStream_tbENKUlT_T0_E_clISt17integral_constantIbLb0EES10_IbLb1EEEEDaSW_SX_EUlSW_E_NS1_11comp_targetILNS1_3genE5ELNS1_11target_archE942ELNS1_3gpuE9ELNS1_3repE0EEENS1_30default_config_static_selectorELNS0_4arch9wavefront6targetE1EEEvT1_
                                        ; -- End function
	.section	.AMDGPU.csdata,"",@progbits
; Kernel info:
; codeLenInByte = 0
; NumSgprs: 4
; NumVgprs: 0
; NumAgprs: 0
; TotalNumVgprs: 0
; ScratchSize: 0
; MemoryBound: 0
; FloatMode: 240
; IeeeMode: 1
; LDSByteSize: 0 bytes/workgroup (compile time only)
; SGPRBlocks: 0
; VGPRBlocks: 0
; NumSGPRsForWavesPerEU: 4
; NumVGPRsForWavesPerEU: 1
; AccumOffset: 4
; Occupancy: 8
; WaveLimiterHint : 0
; COMPUTE_PGM_RSRC2:SCRATCH_EN: 0
; COMPUTE_PGM_RSRC2:USER_SGPR: 6
; COMPUTE_PGM_RSRC2:TRAP_HANDLER: 0
; COMPUTE_PGM_RSRC2:TGID_X_EN: 1
; COMPUTE_PGM_RSRC2:TGID_Y_EN: 0
; COMPUTE_PGM_RSRC2:TGID_Z_EN: 0
; COMPUTE_PGM_RSRC2:TIDIG_COMP_CNT: 0
; COMPUTE_PGM_RSRC3_GFX90A:ACCUM_OFFSET: 0
; COMPUTE_PGM_RSRC3_GFX90A:TG_SPLIT: 0
	.section	.text._ZN7rocprim17ROCPRIM_400000_NS6detail17trampoline_kernelINS0_14default_configENS1_33run_length_encode_config_selectorIN3c104HalfEjNS0_4plusIjEEEEZZNS1_33reduce_by_key_impl_wrapped_configILNS1_25lookback_scan_determinismE0ES3_S9_PKS6_NS0_17constant_iteratorIjlEEPS6_PlSH_S8_NS0_8equal_toIS6_EEEE10hipError_tPvRmT2_T3_mT4_T5_T6_T7_T8_P12ihipStream_tbENKUlT_T0_E_clISt17integral_constantIbLb0EES10_IbLb1EEEEDaSW_SX_EUlSW_E_NS1_11comp_targetILNS1_3genE4ELNS1_11target_archE910ELNS1_3gpuE8ELNS1_3repE0EEENS1_30default_config_static_selectorELNS0_4arch9wavefront6targetE1EEEvT1_,"axG",@progbits,_ZN7rocprim17ROCPRIM_400000_NS6detail17trampoline_kernelINS0_14default_configENS1_33run_length_encode_config_selectorIN3c104HalfEjNS0_4plusIjEEEEZZNS1_33reduce_by_key_impl_wrapped_configILNS1_25lookback_scan_determinismE0ES3_S9_PKS6_NS0_17constant_iteratorIjlEEPS6_PlSH_S8_NS0_8equal_toIS6_EEEE10hipError_tPvRmT2_T3_mT4_T5_T6_T7_T8_P12ihipStream_tbENKUlT_T0_E_clISt17integral_constantIbLb0EES10_IbLb1EEEEDaSW_SX_EUlSW_E_NS1_11comp_targetILNS1_3genE4ELNS1_11target_archE910ELNS1_3gpuE8ELNS1_3repE0EEENS1_30default_config_static_selectorELNS0_4arch9wavefront6targetE1EEEvT1_,comdat
	.protected	_ZN7rocprim17ROCPRIM_400000_NS6detail17trampoline_kernelINS0_14default_configENS1_33run_length_encode_config_selectorIN3c104HalfEjNS0_4plusIjEEEEZZNS1_33reduce_by_key_impl_wrapped_configILNS1_25lookback_scan_determinismE0ES3_S9_PKS6_NS0_17constant_iteratorIjlEEPS6_PlSH_S8_NS0_8equal_toIS6_EEEE10hipError_tPvRmT2_T3_mT4_T5_T6_T7_T8_P12ihipStream_tbENKUlT_T0_E_clISt17integral_constantIbLb0EES10_IbLb1EEEEDaSW_SX_EUlSW_E_NS1_11comp_targetILNS1_3genE4ELNS1_11target_archE910ELNS1_3gpuE8ELNS1_3repE0EEENS1_30default_config_static_selectorELNS0_4arch9wavefront6targetE1EEEvT1_ ; -- Begin function _ZN7rocprim17ROCPRIM_400000_NS6detail17trampoline_kernelINS0_14default_configENS1_33run_length_encode_config_selectorIN3c104HalfEjNS0_4plusIjEEEEZZNS1_33reduce_by_key_impl_wrapped_configILNS1_25lookback_scan_determinismE0ES3_S9_PKS6_NS0_17constant_iteratorIjlEEPS6_PlSH_S8_NS0_8equal_toIS6_EEEE10hipError_tPvRmT2_T3_mT4_T5_T6_T7_T8_P12ihipStream_tbENKUlT_T0_E_clISt17integral_constantIbLb0EES10_IbLb1EEEEDaSW_SX_EUlSW_E_NS1_11comp_targetILNS1_3genE4ELNS1_11target_archE910ELNS1_3gpuE8ELNS1_3repE0EEENS1_30default_config_static_selectorELNS0_4arch9wavefront6targetE1EEEvT1_
	.globl	_ZN7rocprim17ROCPRIM_400000_NS6detail17trampoline_kernelINS0_14default_configENS1_33run_length_encode_config_selectorIN3c104HalfEjNS0_4plusIjEEEEZZNS1_33reduce_by_key_impl_wrapped_configILNS1_25lookback_scan_determinismE0ES3_S9_PKS6_NS0_17constant_iteratorIjlEEPS6_PlSH_S8_NS0_8equal_toIS6_EEEE10hipError_tPvRmT2_T3_mT4_T5_T6_T7_T8_P12ihipStream_tbENKUlT_T0_E_clISt17integral_constantIbLb0EES10_IbLb1EEEEDaSW_SX_EUlSW_E_NS1_11comp_targetILNS1_3genE4ELNS1_11target_archE910ELNS1_3gpuE8ELNS1_3repE0EEENS1_30default_config_static_selectorELNS0_4arch9wavefront6targetE1EEEvT1_
	.p2align	8
	.type	_ZN7rocprim17ROCPRIM_400000_NS6detail17trampoline_kernelINS0_14default_configENS1_33run_length_encode_config_selectorIN3c104HalfEjNS0_4plusIjEEEEZZNS1_33reduce_by_key_impl_wrapped_configILNS1_25lookback_scan_determinismE0ES3_S9_PKS6_NS0_17constant_iteratorIjlEEPS6_PlSH_S8_NS0_8equal_toIS6_EEEE10hipError_tPvRmT2_T3_mT4_T5_T6_T7_T8_P12ihipStream_tbENKUlT_T0_E_clISt17integral_constantIbLb0EES10_IbLb1EEEEDaSW_SX_EUlSW_E_NS1_11comp_targetILNS1_3genE4ELNS1_11target_archE910ELNS1_3gpuE8ELNS1_3repE0EEENS1_30default_config_static_selectorELNS0_4arch9wavefront6targetE1EEEvT1_,@function
_ZN7rocprim17ROCPRIM_400000_NS6detail17trampoline_kernelINS0_14default_configENS1_33run_length_encode_config_selectorIN3c104HalfEjNS0_4plusIjEEEEZZNS1_33reduce_by_key_impl_wrapped_configILNS1_25lookback_scan_determinismE0ES3_S9_PKS6_NS0_17constant_iteratorIjlEEPS6_PlSH_S8_NS0_8equal_toIS6_EEEE10hipError_tPvRmT2_T3_mT4_T5_T6_T7_T8_P12ihipStream_tbENKUlT_T0_E_clISt17integral_constantIbLb0EES10_IbLb1EEEEDaSW_SX_EUlSW_E_NS1_11comp_targetILNS1_3genE4ELNS1_11target_archE910ELNS1_3gpuE8ELNS1_3repE0EEENS1_30default_config_static_selectorELNS0_4arch9wavefront6targetE1EEEvT1_: ; @_ZN7rocprim17ROCPRIM_400000_NS6detail17trampoline_kernelINS0_14default_configENS1_33run_length_encode_config_selectorIN3c104HalfEjNS0_4plusIjEEEEZZNS1_33reduce_by_key_impl_wrapped_configILNS1_25lookback_scan_determinismE0ES3_S9_PKS6_NS0_17constant_iteratorIjlEEPS6_PlSH_S8_NS0_8equal_toIS6_EEEE10hipError_tPvRmT2_T3_mT4_T5_T6_T7_T8_P12ihipStream_tbENKUlT_T0_E_clISt17integral_constantIbLb0EES10_IbLb1EEEEDaSW_SX_EUlSW_E_NS1_11comp_targetILNS1_3genE4ELNS1_11target_archE910ELNS1_3gpuE8ELNS1_3repE0EEENS1_30default_config_static_selectorELNS0_4arch9wavefront6targetE1EEEvT1_
; %bb.0:
	s_load_dword s12, s[4:5], 0x10
	s_load_dwordx4 s[44:47], s[4:5], 0x20
	s_load_dwordx2 s[52:53], s[4:5], 0x30
	s_load_dwordx2 s[34:35], s[4:5], 0x70
	s_load_dwordx4 s[48:51], s[4:5], 0x60
	s_load_dwordx8 s[36:43], s[4:5], 0x40
	v_cmp_ne_u32_e64 s[2:3], 0, v0
	v_cmp_eq_u32_e64 s[0:1], 0, v0
	s_and_saveexec_b64 s[6:7], s[0:1]
	s_cbranch_execz .LBB954_4
; %bb.1:
	s_mov_b64 s[10:11], exec
	v_mbcnt_lo_u32_b32 v1, s10, 0
	v_mbcnt_hi_u32_b32 v1, s11, v1
	v_cmp_eq_u32_e32 vcc, 0, v1
                                        ; implicit-def: $vgpr2
	s_and_saveexec_b64 s[8:9], vcc
	s_cbranch_execz .LBB954_3
; %bb.2:
	s_load_dwordx2 s[14:15], s[4:5], 0x78
	s_bcnt1_i32_b64 s10, s[10:11]
	v_mov_b32_e32 v2, 0
	v_mov_b32_e32 v3, s10
	s_waitcnt lgkmcnt(0)
	global_atomic_add v2, v2, v3, s[14:15] glc
.LBB954_3:
	s_or_b64 exec, exec, s[8:9]
	s_waitcnt vmcnt(0)
	v_readfirstlane_b32 s8, v2
	v_add_u32_e32 v1, s8, v1
	v_mov_b32_e32 v2, 0
	ds_write_b32 v2, v1
.LBB954_4:
	s_or_b64 exec, exec, s[6:7]
	s_load_dwordx4 s[4:7], s[4:5], 0x0
	v_mov_b32_e32 v3, 0
	s_waitcnt lgkmcnt(0)
	s_barrier
	ds_read_b32 v1, v3
	s_mul_i32 s8, s40, s39
	s_mul_hi_u32 s9, s40, s38
	s_add_i32 s8, s9, s8
	s_mul_i32 s9, s41, s38
	s_add_i32 s8, s8, s9
	s_lshl_b64 s[6:7], s[6:7], 1
	s_add_u32 s4, s4, s6
	s_mul_i32 s9, s40, s38
	s_addc_u32 s5, s5, s7
	s_waitcnt lgkmcnt(0)
	v_readfirstlane_b32 s58, v1
	s_movk_i32 s6, 0xf00
	v_mul_lo_u32 v2, v1, s6
	s_add_u32 s6, s9, s58
	s_addc_u32 s7, s8, 0
	s_add_u32 s10, s42, -1
	v_lshlrev_b64 v[2:3], 1, v[2:3]
	s_addc_u32 s11, s43, -1
	v_mov_b32_e32 v1, s5
	v_add_co_u32_e32 v24, vcc, s4, v2
	s_cmp_eq_u64 s[6:7], s[10:11]
	v_addc_co_u32_e32 v25, vcc, v1, v3, vcc
	s_cselect_b64 s[40:41], -1, 0
	s_cmp_lg_u64 s[6:7], s[10:11]
	s_mov_b64 s[8:9], -1
	s_cselect_b64 s[4:5], -1, 0
	s_mul_i32 s33, s10, 0xfffff100
	s_and_b64 vcc, exec, s[40:41]
	v_mad_u32_u24 v6, v0, 15, 1
	v_mad_u32_u24 v8, v0, 15, 3
	;; [unrolled: 1-line block ×7, first 2 shown]
	s_barrier
	s_cbranch_vccnz .LBB954_6
; %bb.5:
	v_lshlrev_b32_e32 v1, 1, v0
	v_add_co_u32_e32 v2, vcc, v24, v1
	v_addc_co_u32_e32 v3, vcc, 0, v25, vcc
	v_add_co_u32_e32 v2, vcc, 0x1000, v2
	v_readfirstlane_b32 s8, v24
	v_readfirstlane_b32 s9, v25
	v_addc_co_u32_e32 v3, vcc, 0, v3, vcc
	s_nop 3
	global_load_ushort v4, v1, s[8:9]
	global_load_ushort v5, v1, s[8:9] offset:512
	global_load_ushort v12, v1, s[8:9] offset:1024
	;; [unrolled: 1-line block ×7, first 2 shown]
	global_load_ushort v29, v[2:3], off
	global_load_ushort v30, v[2:3], off offset:512
	global_load_ushort v31, v[2:3], off offset:1024
	;; [unrolled: 1-line block ×6, first 2 shown]
	v_mad_u32_u24 v37, v0, 28, v1
	s_movk_i32 s8, 0xffe6
	v_mul_u32_u24_e32 v7, 15, v0
	v_mad_u32_u24 v21, v0, 15, 1
	v_mad_u32_u24 v23, v0, 15, 3
	;; [unrolled: 1-line block ×7, first 2 shown]
	v_mov_b32_e32 v36, s12
	v_mad_i32_i24 v38, v0, s8, v37
	s_waitcnt vmcnt(14)
	ds_write_b16 v1, v4
	s_waitcnt vmcnt(13)
	ds_write_b16 v1, v5 offset:512
	s_waitcnt vmcnt(12)
	ds_write_b16 v1, v12 offset:1024
	;; [unrolled: 2-line block ×14, first 2 shown]
	s_waitcnt lgkmcnt(0)
	s_barrier
	ds_read_u16 v1, v37
	ds_read_b128 v[2:5], v37 offset:2
	ds_read_b96 v[12:14], v37 offset:18
	s_waitcnt lgkmcnt(0)
	s_barrier
	ds_write2st64_b32 v38, v36, v36 offset1:4
	ds_write2st64_b32 v38, v36, v36 offset0:8 offset1:12
	ds_write2st64_b32 v38, v36, v36 offset0:16 offset1:20
	;; [unrolled: 1-line block ×6, first 2 shown]
	ds_write_b32 v38, v36 offset:14336
	s_waitcnt lgkmcnt(0)
	s_barrier
	s_add_i32 s33, s33, s48
	s_cbranch_execz .LBB954_7
	s_branch .LBB954_38
.LBB954_6:
                                        ; implicit-def: $vgpr2
                                        ; implicit-def: $vgpr12
                                        ; implicit-def: $vgpr9
                                        ; implicit-def: $vgpr11
                                        ; implicit-def: $vgpr15
                                        ; implicit-def: $vgpr17
                                        ; implicit-def: $vgpr19
                                        ; implicit-def: $vgpr23
                                        ; implicit-def: $vgpr21
                                        ; implicit-def: $vgpr7
                                        ; implicit-def: $vgpr1
	s_andn2_b64 vcc, exec, s[8:9]
	s_add_i32 s33, s33, s48
	s_cbranch_vccnz .LBB954_38
.LBB954_7:
	v_cmp_gt_u32_e32 vcc, s33, v0
                                        ; implicit-def: $vgpr1
	s_and_saveexec_b64 s[8:9], vcc
	s_cbranch_execz .LBB954_9
; %bb.8:
	v_lshlrev_b32_e32 v1, 1, v0
	v_readfirstlane_b32 s10, v24
	v_readfirstlane_b32 s11, v25
	s_nop 4
	global_load_ushort v1, v1, s[10:11]
.LBB954_9:
	s_or_b64 exec, exec, s[8:9]
	v_or_b32_e32 v2, 0x100, v0
	v_cmp_gt_u32_e32 vcc, s33, v2
                                        ; implicit-def: $vgpr2
	s_and_saveexec_b64 s[8:9], vcc
	s_cbranch_execz .LBB954_11
; %bb.10:
	v_lshlrev_b32_e32 v2, 1, v0
	v_readfirstlane_b32 s10, v24
	v_readfirstlane_b32 s11, v25
	s_nop 4
	global_load_ushort v2, v2, s[10:11] offset:512
.LBB954_11:
	s_or_b64 exec, exec, s[8:9]
	v_or_b32_e32 v3, 0x200, v0
	v_cmp_gt_u32_e32 vcc, s33, v3
                                        ; implicit-def: $vgpr3
	s_and_saveexec_b64 s[8:9], vcc
	s_cbranch_execz .LBB954_13
; %bb.12:
	v_lshlrev_b32_e32 v3, 1, v0
	v_readfirstlane_b32 s10, v24
	v_readfirstlane_b32 s11, v25
	s_nop 4
	global_load_ushort v3, v3, s[10:11] offset:1024
.LBB954_13:
	s_or_b64 exec, exec, s[8:9]
	v_or_b32_e32 v4, 0x300, v0
	v_cmp_gt_u32_e32 vcc, s33, v4
                                        ; implicit-def: $vgpr4
	s_and_saveexec_b64 s[8:9], vcc
	s_cbranch_execz .LBB954_15
; %bb.14:
	v_lshlrev_b32_e32 v4, 1, v0
	v_readfirstlane_b32 s10, v24
	v_readfirstlane_b32 s11, v25
	s_nop 4
	global_load_ushort v4, v4, s[10:11] offset:1536
.LBB954_15:
	s_or_b64 exec, exec, s[8:9]
	v_or_b32_e32 v5, 0x400, v0
	v_cmp_gt_u32_e32 vcc, s33, v5
                                        ; implicit-def: $vgpr5
	s_and_saveexec_b64 s[8:9], vcc
	s_cbranch_execz .LBB954_17
; %bb.16:
	v_lshlrev_b32_e32 v5, 1, v0
	v_readfirstlane_b32 s10, v24
	v_readfirstlane_b32 s11, v25
	s_nop 4
	global_load_ushort v5, v5, s[10:11] offset:2048
.LBB954_17:
	s_or_b64 exec, exec, s[8:9]
	v_or_b32_e32 v7, 0x500, v0
	v_cmp_gt_u32_e32 vcc, s33, v7
                                        ; implicit-def: $vgpr7
	s_and_saveexec_b64 s[8:9], vcc
	s_cbranch_execz .LBB954_19
; %bb.18:
	v_lshlrev_b32_e32 v7, 1, v0
	v_readfirstlane_b32 s10, v24
	v_readfirstlane_b32 s11, v25
	s_nop 4
	global_load_ushort v7, v7, s[10:11] offset:2560
.LBB954_19:
	s_or_b64 exec, exec, s[8:9]
	v_or_b32_e32 v9, 0x600, v0
	v_cmp_gt_u32_e32 vcc, s33, v9
                                        ; implicit-def: $vgpr9
	s_and_saveexec_b64 s[8:9], vcc
	s_cbranch_execz .LBB954_21
; %bb.20:
	v_lshlrev_b32_e32 v9, 1, v0
	v_readfirstlane_b32 s10, v24
	v_readfirstlane_b32 s11, v25
	s_nop 4
	global_load_ushort v9, v9, s[10:11] offset:3072
.LBB954_21:
	s_or_b64 exec, exec, s[8:9]
	v_or_b32_e32 v11, 0x700, v0
	v_cmp_gt_u32_e32 vcc, s33, v11
                                        ; implicit-def: $vgpr11
	s_and_saveexec_b64 s[8:9], vcc
	s_cbranch_execz .LBB954_23
; %bb.22:
	v_lshlrev_b32_e32 v11, 1, v0
	v_readfirstlane_b32 s10, v24
	v_readfirstlane_b32 s11, v25
	s_nop 4
	global_load_ushort v11, v11, s[10:11] offset:3584
.LBB954_23:
	s_or_b64 exec, exec, s[8:9]
	v_or_b32_e32 v13, 0x800, v0
	v_cmp_gt_u32_e32 vcc, s33, v13
                                        ; implicit-def: $vgpr12
	s_and_saveexec_b64 s[8:9], vcc
	s_cbranch_execz .LBB954_25
; %bb.24:
	v_lshlrev_b32_e32 v12, 1, v13
	v_readfirstlane_b32 s10, v24
	v_readfirstlane_b32 s11, v25
	s_nop 4
	global_load_ushort v12, v12, s[10:11]
.LBB954_25:
	s_or_b64 exec, exec, s[8:9]
	v_or_b32_e32 v14, 0x900, v0
	v_cmp_gt_u32_e32 vcc, s33, v14
                                        ; implicit-def: $vgpr13
	s_and_saveexec_b64 s[8:9], vcc
	s_cbranch_execz .LBB954_27
; %bb.26:
	v_lshlrev_b32_e32 v13, 1, v14
	v_readfirstlane_b32 s10, v24
	v_readfirstlane_b32 s11, v25
	s_nop 4
	global_load_ushort v13, v13, s[10:11]
.LBB954_27:
	s_or_b64 exec, exec, s[8:9]
	v_or_b32_e32 v15, 0xa00, v0
	v_cmp_gt_u32_e32 vcc, s33, v15
                                        ; implicit-def: $vgpr14
	s_and_saveexec_b64 s[8:9], vcc
	s_cbranch_execz .LBB954_29
; %bb.28:
	v_lshlrev_b32_e32 v14, 1, v15
	v_readfirstlane_b32 s10, v24
	v_readfirstlane_b32 s11, v25
	s_nop 4
	global_load_ushort v14, v14, s[10:11]
.LBB954_29:
	s_or_b64 exec, exec, s[8:9]
	v_or_b32_e32 v17, 0xb00, v0
	v_cmp_gt_u32_e32 vcc, s33, v17
                                        ; implicit-def: $vgpr15
	s_and_saveexec_b64 s[8:9], vcc
	s_cbranch_execz .LBB954_31
; %bb.30:
	v_lshlrev_b32_e32 v15, 1, v17
	v_readfirstlane_b32 s10, v24
	v_readfirstlane_b32 s11, v25
	s_nop 4
	global_load_ushort v15, v15, s[10:11]
.LBB954_31:
	s_or_b64 exec, exec, s[8:9]
	v_or_b32_e32 v19, 0xc00, v0
	v_cmp_gt_u32_e32 vcc, s33, v19
                                        ; implicit-def: $vgpr17
	s_and_saveexec_b64 s[8:9], vcc
	s_cbranch_execz .LBB954_33
; %bb.32:
	v_lshlrev_b32_e32 v17, 1, v19
	v_readfirstlane_b32 s10, v24
	v_readfirstlane_b32 s11, v25
	s_nop 4
	global_load_ushort v17, v17, s[10:11]
.LBB954_33:
	s_or_b64 exec, exec, s[8:9]
	v_or_b32_e32 v21, 0xd00, v0
	v_cmp_gt_u32_e32 vcc, s33, v21
                                        ; implicit-def: $vgpr19
	s_and_saveexec_b64 s[8:9], vcc
	s_cbranch_execz .LBB954_35
; %bb.34:
	v_lshlrev_b32_e32 v19, 1, v21
	v_readfirstlane_b32 s10, v24
	v_readfirstlane_b32 s11, v25
	s_nop 4
	global_load_ushort v19, v19, s[10:11]
.LBB954_35:
	s_or_b64 exec, exec, s[8:9]
	v_or_b32_e32 v23, 0xe00, v0
	v_cmp_gt_u32_e32 vcc, s33, v23
                                        ; implicit-def: $vgpr21
	s_and_saveexec_b64 s[8:9], vcc
	s_cbranch_execz .LBB954_37
; %bb.36:
	v_lshlrev_b32_e32 v21, 1, v23
	v_readfirstlane_b32 s10, v24
	v_readfirstlane_b32 s11, v25
	s_nop 4
	global_load_ushort v21, v21, s[10:11]
.LBB954_37:
	s_or_b64 exec, exec, s[8:9]
	v_lshlrev_b32_e32 v23, 1, v0
	s_waitcnt vmcnt(0)
	ds_write_b16 v23, v1
	ds_write_b16 v23, v2 offset:512
	ds_write_b16 v23, v3 offset:1024
	;; [unrolled: 1-line block ×14, first 2 shown]
	v_mad_u32_u24 v9, v0, 28, v23
	s_waitcnt lgkmcnt(0)
	s_barrier
	ds_read_u16 v1, v9
	ds_read_b128 v[2:5], v9 offset:2
	ds_read_b96 v[12:14], v9 offset:18
	s_movk_i32 s8, 0xffe6
	v_mad_i32_i24 v9, v0, s8, v9
	v_mov_b32_e32 v11, s12
	v_mul_u32_u24_e32 v7, 15, v0
	s_waitcnt lgkmcnt(0)
	s_barrier
	ds_write2st64_b32 v9, v11, v11 offset1:4
	ds_write2st64_b32 v9, v11, v11 offset0:8 offset1:12
	ds_write2st64_b32 v9, v11, v11 offset0:16 offset1:20
	;; [unrolled: 1-line block ×6, first 2 shown]
	ds_write_b32 v9, v11 offset:14336
	v_mov_b32_e32 v9, v22
	v_mov_b32_e32 v11, v20
	;; [unrolled: 1-line block ×7, first 2 shown]
	s_waitcnt lgkmcnt(0)
	s_barrier
.LBB954_38:
	v_lshlrev_b32_e32 v7, 2, v7
	ds_read2_b32 v[54:55], v7 offset1:2
	ds_read2_b32 v[52:53], v7 offset0:4 offset1:6
	ds_read2_b32 v[50:51], v7 offset0:8 offset1:10
	;; [unrolled: 1-line block ×3, first 2 shown]
	v_lshlrev_b32_e32 v7, 2, v21
	v_lshlrev_b32_e32 v21, 2, v23
	;; [unrolled: 1-line block ×7, first 2 shown]
	ds_read_b32 v76, v7
	ds_read_b32 v75, v21
	ds_read_b32 v74, v19
	ds_read_b32 v73, v17
	ds_read_b32 v72, v15
	ds_read_b32 v71, v11
	ds_read_b32 v70, v9
	s_cmp_eq_u64 s[6:7], 0
	s_cselect_b64 s[42:43], -1, 0
	s_cmp_lg_u64 s[6:7], 0
	s_mov_b64 s[8:9], 0
	s_cselect_b64 s[10:11], -1, 0
	s_and_b64 vcc, exec, s[4:5]
	s_waitcnt lgkmcnt(0)
	s_barrier
	s_cbranch_vccz .LBB954_44
; %bb.39:
	s_and_b64 vcc, exec, s[10:11]
	s_cbranch_vccz .LBB954_45
; %bb.40:
	global_load_ushort v7, v[24:25], off offset:-2
	v_lshrrev_b32_e32 v11, 16, v14
	v_lshlrev_b32_e32 v9, 1, v0
	v_cmp_neq_f16_e32 vcc, v14, v11
	v_cmp_neq_f16_sdwa s[8:9], v13, v14 src0_sel:WORD_1 src1_sel:DWORD
	v_cmp_neq_f16_sdwa s[12:13], v13, v13 src0_sel:DWORD src1_sel:WORD_1
	v_cmp_neq_f16_sdwa s[14:15], v12, v13 src0_sel:WORD_1 src1_sel:DWORD
	v_cmp_neq_f16_sdwa s[16:17], v12, v12 src0_sel:DWORD src1_sel:WORD_1
	v_cmp_neq_f16_sdwa s[18:19], v5, v12 src0_sel:WORD_1 src1_sel:DWORD
	v_cmp_neq_f16_sdwa s[20:21], v5, v5 src0_sel:DWORD src1_sel:WORD_1
	v_cmp_neq_f16_sdwa s[22:23], v4, v5 src0_sel:WORD_1 src1_sel:DWORD
	v_cmp_neq_f16_sdwa s[24:25], v4, v4 src0_sel:DWORD src1_sel:WORD_1
	v_cmp_neq_f16_sdwa s[26:27], v3, v4 src0_sel:WORD_1 src1_sel:DWORD
	v_cmp_neq_f16_sdwa s[28:29], v3, v3 src0_sel:DWORD src1_sel:WORD_1
	v_cmp_neq_f16_sdwa s[30:31], v2, v3 src0_sel:WORD_1 src1_sel:DWORD
	v_cmp_neq_f16_sdwa s[54:55], v2, v2 src0_sel:DWORD src1_sel:WORD_1
	v_cmp_neq_f16_e64 s[4:5], v1, v2
	ds_write_b16 v9, v11
	s_waitcnt lgkmcnt(0)
	s_barrier
	s_and_saveexec_b64 s[56:57], s[2:3]
	s_cbranch_execz .LBB954_42
; %bb.41:
	s_waitcnt vmcnt(0)
	v_add_u32_e32 v7, -2, v9
	ds_read_u16 v7, v7
.LBB954_42:
	s_or_b64 exec, exec, s[56:57]
	v_cndmask_b32_e64 v15, 0, 1, vcc
	v_cndmask_b32_e64 v56, 0, 1, s[8:9]
	v_cndmask_b32_e64 v57, 0, 1, s[12:13]
	;; [unrolled: 1-line block ×13, first 2 shown]
	s_waitcnt vmcnt(0) lgkmcnt(0)
	v_cmp_neq_f16_e64 s[4:5], v1, v7
	s_mov_b64 s[8:9], -1
.LBB954_43:
                                        ; implicit-def: $sgpr14
	s_branch .LBB954_57
.LBB954_44:
                                        ; implicit-def: $sgpr4_sgpr5
                                        ; implicit-def: $vgpr15
                                        ; implicit-def: $vgpr56
                                        ; implicit-def: $vgpr57
                                        ; implicit-def: $vgpr58
                                        ; implicit-def: $vgpr59
                                        ; implicit-def: $vgpr60
                                        ; implicit-def: $vgpr61
                                        ; implicit-def: $vgpr62
                                        ; implicit-def: $vgpr63
                                        ; implicit-def: $vgpr64
                                        ; implicit-def: $vgpr65
                                        ; implicit-def: $vgpr66
                                        ; implicit-def: $vgpr67
                                        ; implicit-def: $vgpr68
                                        ; implicit-def: $sgpr14
	s_cbranch_execnz .LBB954_49
	s_branch .LBB954_57
.LBB954_45:
                                        ; implicit-def: $sgpr4_sgpr5
                                        ; implicit-def: $vgpr15
                                        ; implicit-def: $vgpr56
                                        ; implicit-def: $vgpr57
                                        ; implicit-def: $vgpr58
                                        ; implicit-def: $vgpr59
                                        ; implicit-def: $vgpr60
                                        ; implicit-def: $vgpr61
                                        ; implicit-def: $vgpr62
                                        ; implicit-def: $vgpr63
                                        ; implicit-def: $vgpr64
                                        ; implicit-def: $vgpr65
                                        ; implicit-def: $vgpr66
                                        ; implicit-def: $vgpr67
                                        ; implicit-def: $vgpr68
	s_cbranch_execz .LBB954_43
; %bb.46:
	v_cmp_neq_f16_sdwa s[4:5], v13, v14 src0_sel:WORD_1 src1_sel:DWORD
	v_cndmask_b32_e64 v56, 0, 1, s[4:5]
	v_cmp_neq_f16_sdwa s[4:5], v13, v13 src0_sel:DWORD src1_sel:WORD_1
	v_cndmask_b32_e64 v57, 0, 1, s[4:5]
	v_cmp_neq_f16_sdwa s[4:5], v12, v13 src0_sel:WORD_1 src1_sel:DWORD
	v_cndmask_b32_e64 v58, 0, 1, s[4:5]
	v_cmp_neq_f16_sdwa s[4:5], v12, v12 src0_sel:DWORD src1_sel:WORD_1
	v_cndmask_b32_e64 v59, 0, 1, s[4:5]
	;; [unrolled: 4-line block ×4, first 2 shown]
	v_cmp_neq_f16_sdwa s[4:5], v3, v4 src0_sel:WORD_1 src1_sel:DWORD
	v_lshrrev_b32_e32 v9, 16, v14
	v_cndmask_b32_e64 v64, 0, 1, s[4:5]
	v_cmp_neq_f16_sdwa s[4:5], v3, v3 src0_sel:DWORD src1_sel:WORD_1
	v_cmp_neq_f16_e32 vcc, v14, v9
	v_cndmask_b32_e64 v65, 0, 1, s[4:5]
	v_cmp_neq_f16_sdwa s[4:5], v2, v3 src0_sel:WORD_1 src1_sel:DWORD
	v_cndmask_b32_e64 v15, 0, 1, vcc
	v_cndmask_b32_e64 v66, 0, 1, s[4:5]
	v_cmp_neq_f16_sdwa s[4:5], v2, v2 src0_sel:DWORD src1_sel:WORD_1
	v_cmp_neq_f16_e32 vcc, v1, v2
	s_mov_b32 s14, 1
	v_lshlrev_b32_e32 v7, 1, v0
	v_cndmask_b32_e64 v67, 0, 1, s[4:5]
	v_cndmask_b32_e64 v68, 0, 1, vcc
	ds_write_b16 v7, v9
	s_waitcnt lgkmcnt(0)
	s_barrier
	s_waitcnt lgkmcnt(0)
                                        ; implicit-def: $sgpr4_sgpr5
	s_and_saveexec_b64 s[12:13], s[2:3]
	s_xor_b64 s[12:13], exec, s[12:13]
	s_cbranch_execz .LBB954_48
; %bb.47:
	v_add_u32_e32 v7, -2, v7
	ds_read_u16 v7, v7
	s_or_b64 s[8:9], s[8:9], exec
	s_waitcnt lgkmcnt(0)
	v_cmp_neq_f16_e32 vcc, v7, v1
	s_and_b64 s[4:5], vcc, exec
.LBB954_48:
	s_or_b64 exec, exec, s[12:13]
	s_branch .LBB954_57
.LBB954_49:
	s_mul_hi_u32 s5, s6, 0xfffff100
	s_mul_i32 s4, s7, 0xfffff100
	s_sub_i32 s5, s5, s6
	s_add_i32 s5, s5, s4
	s_mul_i32 s4, s6, 0xfffff100
	s_add_u32 s12, s4, s48
	s_addc_u32 s13, s5, s49
	s_and_b64 vcc, exec, s[10:11]
	v_lshrrev_b32_e32 v40, 16, v14
	v_mad_u32_u24 v26, v0, 15, 14
	v_cmp_neq_f16_sdwa s[54:55], v13, v14 src0_sel:WORD_1 src1_sel:DWORD
	v_mad_u32_u24 v38, v0, 15, 12
	v_cmp_neq_f16_sdwa s[10:11], v13, v13 src0_sel:DWORD src1_sel:WORD_1
	v_cmp_neq_f16_sdwa s[16:17], v12, v13 src0_sel:WORD_1 src1_sel:DWORD
	v_mad_u32_u24 v36, v0, 15, 10
	v_cmp_neq_f16_sdwa s[20:21], v12, v12 src0_sel:DWORD src1_sel:WORD_1
	v_cmp_neq_f16_sdwa s[24:25], v5, v12 src0_sel:WORD_1 src1_sel:DWORD
	v_mad_u32_u24 v34, v0, 15, 8
	v_cmp_neq_f16_sdwa s[28:29], v5, v5 src0_sel:DWORD src1_sel:WORD_1
	v_cmp_neq_f16_sdwa s[48:49], v4, v5 src0_sel:WORD_1 src1_sel:DWORD
	v_mad_u32_u24 v32, v0, 15, 6
	v_cmp_neq_f16_sdwa s[30:31], v4, v4 src0_sel:DWORD src1_sel:WORD_1
	v_cmp_neq_f16_sdwa s[26:27], v3, v4 src0_sel:WORD_1 src1_sel:DWORD
	v_mad_u32_u24 v30, v0, 15, 4
	v_cmp_neq_f16_sdwa s[22:23], v3, v3 src0_sel:DWORD src1_sel:WORD_1
	v_cmp_neq_f16_sdwa s[18:19], v2, v3 src0_sel:WORD_1 src1_sel:DWORD
	v_mad_u32_u24 v28, v0, 15, 2
	v_cmp_neq_f16_sdwa s[14:15], v2, v2 src0_sel:DWORD src1_sel:WORD_1
	v_cmp_neq_f16_e64 s[4:5], v1, v2
	s_cbranch_vccz .LBB954_54
; %bb.50:
	global_load_ushort v41, v[24:25], off offset:-2
	v_mov_b32_e32 v27, 0
	v_cmp_gt_u64_e32 vcc, s[12:13], v[26:27]
	v_cmp_neq_f16_e64 s[6:7], v14, v40
	v_mov_b32_e32 v23, v27
	s_and_b64 s[6:7], vcc, s[6:7]
	v_cmp_gt_u64_e32 vcc, s[12:13], v[22:23]
	v_mov_b32_e32 v39, v27
	s_and_b64 s[8:9], vcc, s[54:55]
	v_cmp_gt_u64_e32 vcc, s[12:13], v[38:39]
	;; [unrolled: 3-line block ×13, first 2 shown]
	v_lshlrev_b32_e32 v15, 1, v0
	v_mul_u32_u24_e32 v24, 15, v0
	s_and_b64 s[4:5], vcc, s[4:5]
	ds_write_b16 v15, v40
	s_waitcnt lgkmcnt(0)
	s_barrier
	s_and_saveexec_b64 s[54:55], s[2:3]
	s_cbranch_execz .LBB954_52
; %bb.51:
	v_add_u32_e32 v7, -2, v15
	s_waitcnt vmcnt(0)
	ds_read_u16 v41, v7
.LBB954_52:
	s_or_b64 exec, exec, s[54:55]
	v_mov_b32_e32 v25, v27
	v_cndmask_b32_e64 v68, 0, 1, s[4:5]
	v_cmp_gt_u64_e32 vcc, s[12:13], v[24:25]
	s_waitcnt vmcnt(0) lgkmcnt(0)
	v_cmp_neq_f16_e64 s[4:5], v1, v41
	v_cndmask_b32_e64 v15, 0, 1, s[6:7]
	v_cndmask_b32_e64 v56, 0, 1, s[8:9]
	;; [unrolled: 1-line block ×13, first 2 shown]
	s_and_b64 s[4:5], vcc, s[4:5]
	s_mov_b64 s[8:9], -1
.LBB954_53:
                                        ; implicit-def: $sgpr14
	v_mov_b32_e32 v69, s14
	s_and_saveexec_b64 s[2:3], s[8:9]
	s_cbranch_execnz .LBB954_58
	s_branch .LBB954_59
.LBB954_54:
                                        ; implicit-def: $sgpr4_sgpr5
                                        ; implicit-def: $vgpr15
                                        ; implicit-def: $vgpr56
                                        ; implicit-def: $vgpr57
                                        ; implicit-def: $vgpr58
                                        ; implicit-def: $vgpr59
                                        ; implicit-def: $vgpr60
                                        ; implicit-def: $vgpr61
                                        ; implicit-def: $vgpr62
                                        ; implicit-def: $vgpr63
                                        ; implicit-def: $vgpr64
                                        ; implicit-def: $vgpr65
                                        ; implicit-def: $vgpr66
                                        ; implicit-def: $vgpr67
                                        ; implicit-def: $vgpr68
	s_cbranch_execz .LBB954_53
; %bb.55:
	v_mov_b32_e32 v27, 0
	v_cmp_gt_u64_e32 vcc, s[12:13], v[26:27]
	v_cmp_neq_f16_e64 s[4:5], v14, v40
	s_and_b64 s[4:5], vcc, s[4:5]
	v_mov_b32_e32 v23, v27
	v_cndmask_b32_e64 v15, 0, 1, s[4:5]
	v_cmp_gt_u64_e32 vcc, s[12:13], v[22:23]
	v_cmp_neq_f16_sdwa s[4:5], v13, v14 src0_sel:WORD_1 src1_sel:DWORD
	s_and_b64 s[4:5], vcc, s[4:5]
	v_mov_b32_e32 v39, v27
	v_cndmask_b32_e64 v56, 0, 1, s[4:5]
	v_cmp_gt_u64_e32 vcc, s[12:13], v[38:39]
	v_cmp_neq_f16_sdwa s[4:5], v13, v13 src0_sel:DWORD src1_sel:WORD_1
	s_and_b64 s[4:5], vcc, s[4:5]
	v_mov_b32_e32 v21, v27
	v_cndmask_b32_e64 v57, 0, 1, s[4:5]
	v_cmp_gt_u64_e32 vcc, s[12:13], v[20:21]
	v_cmp_neq_f16_sdwa s[4:5], v12, v13 src0_sel:WORD_1 src1_sel:DWORD
	s_and_b64 s[4:5], vcc, s[4:5]
	v_mov_b32_e32 v37, v27
	v_cndmask_b32_e64 v58, 0, 1, s[4:5]
	v_cmp_gt_u64_e32 vcc, s[12:13], v[36:37]
	v_cmp_neq_f16_sdwa s[4:5], v12, v12 src0_sel:DWORD src1_sel:WORD_1
	;; [unrolled: 10-line block ×6, first 2 shown]
	s_and_b64 s[4:5], vcc, s[4:5]
	v_mov_b32_e32 v7, v27
	v_cndmask_b32_e64 v67, 0, 1, s[4:5]
	v_cmp_gt_u64_e32 vcc, s[12:13], v[6:7]
	v_cmp_neq_f16_e64 s[4:5], v1, v2
	s_and_b64 s[4:5], vcc, s[4:5]
	s_mov_b32 s14, 1
	v_lshlrev_b32_e32 v24, 1, v0
	v_cndmask_b32_e64 v68, 0, 1, s[4:5]
	ds_write_b16 v24, v40
	s_waitcnt lgkmcnt(0)
	s_barrier
	s_waitcnt lgkmcnt(0)
                                        ; implicit-def: $sgpr4_sgpr5
	s_and_saveexec_b64 s[6:7], s[2:3]
	s_cbranch_execz .LBB954_150
; %bb.56:
	v_add_u32_e32 v6, -2, v24
	ds_read_u16 v6, v6
	v_mul_u32_u24_e32 v26, 15, v0
	v_cmp_gt_u64_e32 vcc, s[12:13], v[26:27]
	s_or_b64 s[8:9], s[8:9], exec
	s_waitcnt lgkmcnt(0)
	v_cmp_neq_f16_e64 s[2:3], v6, v1
	s_and_b64 s[2:3], vcc, s[2:3]
	s_and_b64 s[4:5], s[2:3], exec
	s_or_b64 exec, exec, s[6:7]
.LBB954_57:
	v_mov_b32_e32 v69, s14
	s_and_saveexec_b64 s[2:3], s[8:9]
.LBB954_58:
	v_cndmask_b32_e64 v69, 0, 1, s[4:5]
.LBB954_59:
	s_or_b64 exec, exec, s[2:3]
	s_cmp_eq_u64 s[38:39], 0
	v_add3_u32 v6, v68, v69, v67
	s_cselect_b64 s[38:39], -1, 0
	s_cmp_lg_u32 s58, 0
	v_cmp_eq_u32_e64 s[26:27], 0, v68
	v_cmp_eq_u32_e64 s[24:25], 0, v67
	;; [unrolled: 1-line block ×3, first 2 shown]
	v_add3_u32 v80, v6, v66, v65
	v_cmp_eq_u32_e64 s[20:21], 0, v65
	v_cmp_eq_u32_e64 s[18:19], 0, v64
	;; [unrolled: 1-line block ×10, first 2 shown]
	v_cmp_eq_u32_e32 vcc, 0, v15
	v_mbcnt_lo_u32_b32 v79, -1, 0
	v_lshrrev_b32_e32 v77, 6, v0
	v_or_b32_e32 v78, 63, v0
	s_cbranch_scc0 .LBB954_86
; %bb.60:
	v_cndmask_b32_e64 v6, 0, v54, s[26:27]
	v_add_u32_e32 v6, v6, v76
	v_cndmask_b32_e64 v6, 0, v6, s[24:25]
	v_add_u32_e32 v6, v6, v55
	;; [unrolled: 2-line block ×11, first 2 shown]
	v_cndmask_b32_e64 v6, 0, v6, s[4:5]
	v_add3_u32 v7, v80, v64, v63
	v_add_u32_e32 v6, v6, v48
	v_add3_u32 v7, v7, v62, v61
	v_cndmask_b32_e64 v6, 0, v6, s[2:3]
	v_add3_u32 v7, v7, v60, v59
	v_add_u32_e32 v6, v6, v70
	v_add3_u32 v7, v7, v58, v57
	v_cndmask_b32_e32 v6, 0, v6, vcc
	v_add3_u32 v7, v7, v56, v15
	v_add_u32_e32 v6, v6, v49
	v_mbcnt_hi_u32_b32 v19, -1, v79
	v_and_b32_e32 v8, 15, v19
	v_mov_b32_dpp v10, v6 row_shr:1 row_mask:0xf bank_mask:0xf
	v_cmp_eq_u32_e32 vcc, 0, v7
	v_mov_b32_dpp v9, v7 row_shr:1 row_mask:0xf bank_mask:0xf
	v_cndmask_b32_e32 v10, 0, v10, vcc
	v_cmp_eq_u32_e32 vcc, 0, v8
	v_cndmask_b32_e64 v9, v9, 0, vcc
	v_add_u32_e32 v7, v9, v7
	v_cndmask_b32_e64 v9, v10, 0, vcc
	v_add_u32_e32 v6, v9, v6
	v_cmp_eq_u32_e32 vcc, 0, v7
	v_mov_b32_dpp v9, v7 row_shr:2 row_mask:0xf bank_mask:0xf
	v_cmp_lt_u32_e64 s[28:29], 1, v8
	v_mov_b32_dpp v10, v6 row_shr:2 row_mask:0xf bank_mask:0xf
	v_cndmask_b32_e64 v9, 0, v9, s[28:29]
	s_and_b64 vcc, s[28:29], vcc
	v_cndmask_b32_e32 v10, 0, v10, vcc
	v_add_u32_e32 v7, v7, v9
	v_add_u32_e32 v6, v10, v6
	v_cmp_eq_u32_e32 vcc, 0, v7
	v_mov_b32_dpp v9, v7 row_shr:4 row_mask:0xf bank_mask:0xf
	v_cmp_lt_u32_e64 s[28:29], 3, v8
	v_mov_b32_dpp v10, v6 row_shr:4 row_mask:0xf bank_mask:0xf
	v_cndmask_b32_e64 v9, 0, v9, s[28:29]
	s_and_b64 vcc, s[28:29], vcc
	v_cndmask_b32_e32 v10, 0, v10, vcc
	v_add_u32_e32 v7, v9, v7
	v_add_u32_e32 v6, v6, v10
	v_cmp_eq_u32_e32 vcc, 0, v7
	v_cmp_lt_u32_e64 s[28:29], 7, v8
	v_mov_b32_dpp v9, v7 row_shr:8 row_mask:0xf bank_mask:0xf
	v_mov_b32_dpp v10, v6 row_shr:8 row_mask:0xf bank_mask:0xf
	s_and_b64 vcc, s[28:29], vcc
	v_cndmask_b32_e64 v8, 0, v9, s[28:29]
	v_cndmask_b32_e32 v9, 0, v10, vcc
	v_add_u32_e32 v6, v9, v6
	v_add_u32_e32 v7, v8, v7
	v_bfe_i32 v10, v19, 4, 1
	v_mov_b32_dpp v9, v6 row_bcast:15 row_mask:0xf bank_mask:0xf
	v_mov_b32_dpp v8, v7 row_bcast:15 row_mask:0xf bank_mask:0xf
	v_cmp_eq_u32_e32 vcc, 0, v7
	v_cndmask_b32_e32 v9, 0, v9, vcc
	v_and_b32_e32 v8, v10, v8
	v_add_u32_e32 v7, v8, v7
	v_and_b32_e32 v8, v10, v9
	v_add_u32_e32 v8, v8, v6
	v_mov_b32_dpp v6, v7 row_bcast:31 row_mask:0xf bank_mask:0xf
	v_cmp_eq_u32_e32 vcc, 0, v7
	v_cmp_lt_u32_e64 s[28:29], 31, v19
	v_mov_b32_dpp v9, v8 row_bcast:31 row_mask:0xf bank_mask:0xf
	v_cndmask_b32_e64 v6, 0, v6, s[28:29]
	s_and_b64 vcc, s[28:29], vcc
	v_add_u32_e32 v6, v6, v7
	v_cndmask_b32_e32 v7, 0, v9, vcc
	v_add_u32_e32 v7, v7, v8
	v_cmp_eq_u32_e32 vcc, v78, v0
	v_lshlrev_b32_e32 v8, 3, v77
	s_and_saveexec_b64 s[28:29], vcc
	s_cbranch_execz .LBB954_62
; %bb.61:
	ds_write_b64 v8, v[6:7] offset:1040
.LBB954_62:
	s_or_b64 exec, exec, s[28:29]
	v_cmp_gt_u32_e32 vcc, 4, v0
	s_waitcnt lgkmcnt(0)
	s_barrier
	s_and_saveexec_b64 s[30:31], vcc
	s_cbranch_execz .LBB954_64
; %bb.63:
	v_lshlrev_b32_e32 v9, 3, v0
	ds_read_b64 v[10:11], v9 offset:1040
	v_and_b32_e32 v16, 3, v19
	v_cmp_lt_u32_e64 s[28:29], 1, v16
	s_waitcnt lgkmcnt(0)
	v_mov_b32_dpp v18, v11 row_shr:1 row_mask:0xf bank_mask:0xf
	v_cmp_eq_u32_e32 vcc, 0, v10
	v_mov_b32_dpp v17, v10 row_shr:1 row_mask:0xf bank_mask:0xf
	v_cndmask_b32_e32 v18, 0, v18, vcc
	v_cmp_eq_u32_e32 vcc, 0, v16
	v_cndmask_b32_e64 v17, v17, 0, vcc
	v_add_u32_e32 v10, v17, v10
	v_cndmask_b32_e64 v17, v18, 0, vcc
	v_add_u32_e32 v11, v17, v11
	v_cmp_eq_u32_e32 vcc, 0, v10
	v_mov_b32_dpp v17, v10 row_shr:2 row_mask:0xf bank_mask:0xf
	v_mov_b32_dpp v18, v11 row_shr:2 row_mask:0xf bank_mask:0xf
	v_cndmask_b32_e64 v16, 0, v17, s[28:29]
	s_and_b64 vcc, s[28:29], vcc
	v_add_u32_e32 v10, v16, v10
	v_cndmask_b32_e32 v16, 0, v18, vcc
	v_add_u32_e32 v11, v16, v11
	ds_write_b64 v9, v[10:11] offset:1040
.LBB954_64:
	s_or_b64 exec, exec, s[30:31]
	v_cmp_gt_u32_e32 vcc, 64, v0
	v_cmp_lt_u32_e64 s[28:29], 63, v0
	v_mov_b32_e32 v16, 0
	v_mov_b32_e32 v17, 0
	s_waitcnt lgkmcnt(0)
	s_barrier
	s_and_saveexec_b64 s[30:31], s[28:29]
	s_cbranch_execz .LBB954_66
; %bb.65:
	ds_read_b64 v[16:17], v8 offset:1032
	v_cmp_eq_u32_e64 s[28:29], 0, v6
	s_waitcnt lgkmcnt(0)
	v_add_u32_e32 v8, v16, v6
	v_cndmask_b32_e64 v6, 0, v17, s[28:29]
	v_add_u32_e32 v7, v6, v7
	v_mov_b32_e32 v6, v8
.LBB954_66:
	s_or_b64 exec, exec, s[30:31]
	v_add_u32_e32 v8, -1, v19
	v_and_b32_e32 v9, 64, v19
	v_cmp_lt_i32_e64 s[28:29], v8, v9
	v_cndmask_b32_e64 v8, v8, v19, s[28:29]
	v_lshlrev_b32_e32 v8, 2, v8
	ds_bpermute_b32 v24, v8, v6
	ds_bpermute_b32 v25, v8, v7
	v_cmp_eq_u32_e64 s[28:29], 0, v19
	s_and_saveexec_b64 s[48:49], vcc
	s_cbranch_execz .LBB954_85
; %bb.67:
	v_mov_b32_e32 v11, 0
	ds_read_b64 v[6:7], v11 offset:1064
	s_waitcnt lgkmcnt(0)
	v_readfirstlane_b32 s56, v6
	v_readfirstlane_b32 s57, v7
	s_and_saveexec_b64 s[30:31], s[28:29]
	s_cbranch_execz .LBB954_69
; %bb.68:
	s_add_i32 s54, s58, 64
	s_mov_b32 s55, 0
	s_lshl_b64 s[60:61], s[54:55], 4
	s_add_u32 s60, s36, s60
	s_addc_u32 s61, s37, s61
	s_and_b32 s63, s57, 0xff000000
	s_mov_b32 s62, s55
	s_and_b32 s65, s57, 0xff0000
	s_mov_b32 s64, s55
	s_or_b64 s[62:63], s[64:65], s[62:63]
	s_and_b32 s65, s57, 0xff00
	s_or_b64 s[62:63], s[62:63], s[64:65]
	s_and_b32 s65, s57, 0xff
	s_or_b64 s[54:55], s[62:63], s[64:65]
	v_mov_b32_e32 v8, s56
	v_mov_b32_e32 v9, s55
	;; [unrolled: 1-line block ×3, first 2 shown]
	v_pk_mov_b32 v[6:7], s[60:61], s[60:61] op_sel:[0,1]
	;;#ASMSTART
	global_store_dwordx4 v[6:7], v[8:11] off	
s_waitcnt vmcnt(0)
	;;#ASMEND
.LBB954_69:
	s_or_b64 exec, exec, s[30:31]
	v_xad_u32 v18, v19, -1, s58
	v_add_u32_e32 v10, 64, v18
	v_lshlrev_b64 v[6:7], 4, v[10:11]
	v_mov_b32_e32 v8, s37
	v_add_co_u32_e32 v20, vcc, s36, v6
	v_addc_co_u32_e32 v21, vcc, v8, v7, vcc
	;;#ASMSTART
	global_load_dwordx4 v[6:9], v[20:21] off glc	
s_waitcnt vmcnt(0)
	;;#ASMEND
	v_and_b32_e32 v9, 0xff, v7
	v_and_b32_e32 v10, 0xff00, v7
	v_or3_b32 v9, 0, v9, v10
	v_or3_b32 v6, v6, 0, 0
	v_and_b32_e32 v10, 0xff000000, v7
	v_and_b32_e32 v7, 0xff0000, v7
	v_or3_b32 v7, v9, v7, v10
	v_or3_b32 v6, v6, 0, 0
	v_cmp_eq_u16_sdwa s[54:55], v8, v11 src0_sel:BYTE_0 src1_sel:DWORD
	s_and_saveexec_b64 s[30:31], s[54:55]
	s_cbranch_execz .LBB954_73
; %bb.70:
	s_mov_b64 s[54:55], 0
	v_mov_b32_e32 v10, 0
.LBB954_71:                             ; =>This Inner Loop Header: Depth=1
	;;#ASMSTART
	global_load_dwordx4 v[6:9], v[20:21] off glc	
s_waitcnt vmcnt(0)
	;;#ASMEND
	v_cmp_ne_u16_sdwa s[60:61], v8, v10 src0_sel:BYTE_0 src1_sel:DWORD
	s_or_b64 s[54:55], s[60:61], s[54:55]
	s_andn2_b64 exec, exec, s[54:55]
	s_cbranch_execnz .LBB954_71
; %bb.72:
	s_or_b64 exec, exec, s[54:55]
.LBB954_73:
	s_or_b64 exec, exec, s[30:31]
	v_mov_b32_e32 v26, 2
	v_cmp_eq_u16_sdwa s[30:31], v8, v26 src0_sel:BYTE_0 src1_sel:DWORD
	v_lshlrev_b64 v[20:21], v19, -1
	v_and_b32_e32 v9, s31, v21
	v_and_b32_e32 v27, 63, v19
	v_or_b32_e32 v9, 0x80000000, v9
	v_cmp_ne_u32_e32 vcc, 63, v27
	v_and_b32_e32 v10, s30, v20
	v_ffbl_b32_e32 v9, v9
	v_addc_co_u32_e32 v11, vcc, 0, v19, vcc
	v_add_u32_e32 v9, 32, v9
	v_ffbl_b32_e32 v10, v10
	v_lshlrev_b32_e32 v28, 2, v11
	v_min_u32_e32 v9, v10, v9
	ds_bpermute_b32 v10, v28, v7
	v_cmp_eq_u32_e32 vcc, 0, v6
	v_cmp_lt_u32_e64 s[30:31], v27, v9
	ds_bpermute_b32 v11, v28, v6
	s_and_b64 vcc, s[30:31], vcc
	s_waitcnt lgkmcnt(1)
	v_cndmask_b32_e32 v10, 0, v10, vcc
	v_cmp_gt_u32_e32 vcc, 62, v27
	v_add_u32_e32 v7, v10, v7
	v_cndmask_b32_e64 v10, 0, 1, vcc
	v_lshlrev_b32_e32 v10, 1, v10
	v_add_lshl_u32 v29, v10, v19, 2
	s_waitcnt lgkmcnt(0)
	v_cndmask_b32_e64 v11, 0, v11, s[30:31]
	ds_bpermute_b32 v10, v29, v7
	v_add_u32_e32 v6, v11, v6
	ds_bpermute_b32 v11, v29, v6
	v_add_u32_e32 v30, 2, v27
	v_cmp_eq_u32_e32 vcc, 0, v6
	s_waitcnt lgkmcnt(1)
	v_cndmask_b32_e32 v10, 0, v10, vcc
	v_cmp_gt_u32_e32 vcc, v30, v9
	v_cndmask_b32_e64 v10, v10, 0, vcc
	v_add_u32_e32 v7, v10, v7
	s_waitcnt lgkmcnt(0)
	v_cndmask_b32_e64 v10, v11, 0, vcc
	v_cmp_gt_u32_e32 vcc, 60, v27
	v_cndmask_b32_e64 v11, 0, 1, vcc
	v_lshlrev_b32_e32 v11, 2, v11
	v_add_lshl_u32 v31, v11, v19, 2
	ds_bpermute_b32 v11, v31, v7
	v_add_u32_e32 v6, v6, v10
	ds_bpermute_b32 v10, v31, v6
	v_add_u32_e32 v32, 4, v27
	v_cmp_eq_u32_e32 vcc, 0, v6
	s_waitcnt lgkmcnt(1)
	v_cndmask_b32_e32 v11, 0, v11, vcc
	v_cmp_gt_u32_e32 vcc, v32, v9
	v_cndmask_b32_e64 v11, v11, 0, vcc
	s_waitcnt lgkmcnt(0)
	v_cndmask_b32_e64 v10, v10, 0, vcc
	v_cmp_gt_u32_e32 vcc, 56, v27
	v_add_u32_e32 v7, v7, v11
	v_cndmask_b32_e64 v11, 0, 1, vcc
	v_lshlrev_b32_e32 v11, 3, v11
	v_add_lshl_u32 v33, v11, v19, 2
	ds_bpermute_b32 v11, v33, v7
	v_add_u32_e32 v6, v6, v10
	ds_bpermute_b32 v10, v33, v6
	v_add_u32_e32 v34, 8, v27
	v_cmp_eq_u32_e32 vcc, 0, v6
	s_waitcnt lgkmcnt(1)
	v_cndmask_b32_e32 v11, 0, v11, vcc
	v_cmp_gt_u32_e32 vcc, v34, v9
	v_cndmask_b32_e64 v11, v11, 0, vcc
	s_waitcnt lgkmcnt(0)
	v_cndmask_b32_e64 v10, v10, 0, vcc
	v_cmp_gt_u32_e32 vcc, 48, v27
	v_add_u32_e32 v7, v7, v11
	;; [unrolled: 16-line block ×3, first 2 shown]
	v_cndmask_b32_e64 v11, 0, 1, vcc
	v_lshlrev_b32_e32 v11, 5, v11
	v_add_lshl_u32 v37, v11, v19, 2
	ds_bpermute_b32 v11, v37, v7
	v_add_u32_e32 v6, v6, v10
	ds_bpermute_b32 v10, v37, v6
	v_add_u32_e32 v38, 32, v27
	v_cmp_eq_u32_e32 vcc, 0, v6
	s_waitcnt lgkmcnt(1)
	v_cndmask_b32_e32 v11, 0, v11, vcc
	v_cmp_gt_u32_e32 vcc, v38, v9
	v_cndmask_b32_e64 v9, v11, 0, vcc
	v_add_u32_e32 v7, v9, v7
	s_waitcnt lgkmcnt(0)
	v_cndmask_b32_e64 v9, v10, 0, vcc
	v_add_u32_e32 v6, v9, v6
	v_mov_b32_e32 v19, 0
	s_branch .LBB954_75
.LBB954_74:                             ;   in Loop: Header=BB954_75 Depth=1
	s_or_b64 exec, exec, s[30:31]
	v_cmp_eq_u16_sdwa s[30:31], v8, v26 src0_sel:BYTE_0 src1_sel:DWORD
	v_and_b32_e32 v9, s31, v21
	v_or_b32_e32 v9, 0x80000000, v9
	v_and_b32_e32 v22, s30, v20
	v_ffbl_b32_e32 v9, v9
	v_add_u32_e32 v9, 32, v9
	v_ffbl_b32_e32 v22, v22
	v_min_u32_e32 v9, v22, v9
	ds_bpermute_b32 v22, v28, v7
	v_cmp_eq_u32_e32 vcc, 0, v6
	v_cmp_lt_u32_e64 s[30:31], v27, v9
	ds_bpermute_b32 v23, v28, v6
	s_and_b64 vcc, s[30:31], vcc
	s_waitcnt lgkmcnt(1)
	v_cndmask_b32_e32 v22, 0, v22, vcc
	v_add_u32_e32 v7, v22, v7
	ds_bpermute_b32 v22, v29, v7
	s_waitcnt lgkmcnt(1)
	v_cndmask_b32_e64 v23, 0, v23, s[30:31]
	v_add_u32_e32 v6, v23, v6
	v_cmp_eq_u32_e32 vcc, 0, v6
	ds_bpermute_b32 v23, v29, v6
	s_waitcnt lgkmcnt(1)
	v_cndmask_b32_e32 v22, 0, v22, vcc
	v_cmp_gt_u32_e32 vcc, v30, v9
	v_cndmask_b32_e64 v22, v22, 0, vcc
	v_add_u32_e32 v7, v22, v7
	ds_bpermute_b32 v22, v31, v7
	s_waitcnt lgkmcnt(1)
	v_cndmask_b32_e64 v23, v23, 0, vcc
	v_add_u32_e32 v6, v6, v23
	v_cmp_eq_u32_e32 vcc, 0, v6
	ds_bpermute_b32 v23, v31, v6
	s_waitcnt lgkmcnt(1)
	v_cndmask_b32_e32 v22, 0, v22, vcc
	v_cmp_gt_u32_e32 vcc, v32, v9
	v_cndmask_b32_e64 v22, v22, 0, vcc
	v_add_u32_e32 v7, v7, v22
	ds_bpermute_b32 v22, v33, v7
	s_waitcnt lgkmcnt(1)
	v_cndmask_b32_e64 v23, v23, 0, vcc
	v_add_u32_e32 v6, v6, v23
	ds_bpermute_b32 v23, v33, v6
	v_cmp_eq_u32_e32 vcc, 0, v6
	s_waitcnt lgkmcnt(1)
	v_cndmask_b32_e32 v22, 0, v22, vcc
	v_cmp_gt_u32_e32 vcc, v34, v9
	v_cndmask_b32_e64 v22, v22, 0, vcc
	v_add_u32_e32 v7, v7, v22
	ds_bpermute_b32 v22, v35, v7
	s_waitcnt lgkmcnt(1)
	v_cndmask_b32_e64 v23, v23, 0, vcc
	v_add_u32_e32 v6, v6, v23
	ds_bpermute_b32 v23, v35, v6
	v_cmp_eq_u32_e32 vcc, 0, v6
	;; [unrolled: 11-line block ×3, first 2 shown]
	s_waitcnt lgkmcnt(1)
	v_cndmask_b32_e32 v22, 0, v22, vcc
	v_cmp_gt_u32_e32 vcc, v38, v9
	v_cndmask_b32_e64 v9, v22, 0, vcc
	v_add_u32_e32 v7, v9, v7
	s_waitcnt lgkmcnt(0)
	v_cndmask_b32_e64 v9, v23, 0, vcc
	v_cmp_eq_u32_e32 vcc, 0, v10
	v_cndmask_b32_e32 v7, 0, v7, vcc
	v_subrev_u32_e32 v18, 64, v18
	v_add3_u32 v6, v6, v10, v9
	v_add_u32_e32 v7, v7, v11
.LBB954_75:                             ; =>This Loop Header: Depth=1
                                        ;     Child Loop BB954_78 Depth 2
	v_cmp_ne_u16_sdwa s[30:31], v8, v26 src0_sel:BYTE_0 src1_sel:DWORD
	v_mov_b32_e32 v11, v7
	v_cndmask_b32_e64 v7, 0, 1, s[30:31]
	;;#ASMSTART
	;;#ASMEND
	v_cmp_ne_u32_e32 vcc, 0, v7
	s_cmp_lg_u64 vcc, exec
	v_mov_b32_e32 v10, v6
	s_cbranch_scc1 .LBB954_80
; %bb.76:                               ;   in Loop: Header=BB954_75 Depth=1
	v_lshlrev_b64 v[6:7], 4, v[18:19]
	v_mov_b32_e32 v8, s37
	v_add_co_u32_e32 v22, vcc, s36, v6
	v_addc_co_u32_e32 v23, vcc, v8, v7, vcc
	;;#ASMSTART
	global_load_dwordx4 v[6:9], v[22:23] off glc	
s_waitcnt vmcnt(0)
	;;#ASMEND
	v_and_b32_e32 v9, 0xff, v7
	v_and_b32_e32 v39, 0xff00, v7
	v_or3_b32 v9, 0, v9, v39
	v_or3_b32 v6, v6, 0, 0
	v_and_b32_e32 v39, 0xff000000, v7
	v_and_b32_e32 v7, 0xff0000, v7
	v_or3_b32 v7, v9, v7, v39
	v_or3_b32 v6, v6, 0, 0
	v_cmp_eq_u16_sdwa s[54:55], v8, v19 src0_sel:BYTE_0 src1_sel:DWORD
	s_and_saveexec_b64 s[30:31], s[54:55]
	s_cbranch_execz .LBB954_74
; %bb.77:                               ;   in Loop: Header=BB954_75 Depth=1
	s_mov_b64 s[54:55], 0
.LBB954_78:                             ;   Parent Loop BB954_75 Depth=1
                                        ; =>  This Inner Loop Header: Depth=2
	;;#ASMSTART
	global_load_dwordx4 v[6:9], v[22:23] off glc	
s_waitcnt vmcnt(0)
	;;#ASMEND
	v_cmp_ne_u16_sdwa s[60:61], v8, v19 src0_sel:BYTE_0 src1_sel:DWORD
	s_or_b64 s[54:55], s[60:61], s[54:55]
	s_andn2_b64 exec, exec, s[54:55]
	s_cbranch_execnz .LBB954_78
; %bb.79:                               ;   in Loop: Header=BB954_75 Depth=1
	s_or_b64 exec, exec, s[54:55]
	s_branch .LBB954_74
.LBB954_80:                             ;   in Loop: Header=BB954_75 Depth=1
                                        ; implicit-def: $vgpr7
                                        ; implicit-def: $vgpr6
                                        ; implicit-def: $vgpr8
	s_cbranch_execz .LBB954_75
; %bb.81:
	s_and_saveexec_b64 s[30:31], s[28:29]
	s_cbranch_execz .LBB954_83
; %bb.82:
	s_cmp_eq_u32 s56, 0
	s_cselect_b64 vcc, -1, 0
	s_mov_b32 s55, 0
	v_cndmask_b32_e32 v6, 0, v11, vcc
	s_add_i32 s54, s58, 64
	v_add_u32_e32 v6, s57, v6
	s_lshl_b64 s[54:55], s[54:55], 4
	s_add_u32 s54, s36, s54
	v_and_b32_e32 v7, 0xff000000, v6
	v_and_b32_e32 v8, 0xff0000, v6
	s_addc_u32 s55, s37, s55
	v_or_b32_e32 v7, v8, v7
	v_and_b32_e32 v8, 0xff00, v6
	v_and_b32_e32 v6, 0xff, v6
	v_add_u32_e32 v18, s56, v10
	v_mov_b32_e32 v21, 0
	v_or3_b32 v19, v7, v8, v6
	v_mov_b32_e32 v20, 2
	v_pk_mov_b32 v[6:7], s[54:55], s[54:55] op_sel:[0,1]
	;;#ASMSTART
	global_store_dwordx4 v[6:7], v[18:21] off	
s_waitcnt vmcnt(0)
	;;#ASMEND
	v_mov_b32_e32 v8, s56
	v_mov_b32_e32 v9, s57
	ds_write_b128 v21, v[8:11] offset:1024
.LBB954_83:
	s_or_b64 exec, exec, s[30:31]
	s_and_b64 exec, exec, s[0:1]
	s_cbranch_execz .LBB954_85
; %bb.84:
	v_mov_b32_e32 v6, 0
	ds_write_b64 v6, v[10:11] offset:1064
.LBB954_85:
	s_or_b64 exec, exec, s[48:49]
	v_mov_b32_e32 v8, 0
	s_waitcnt lgkmcnt(0)
	s_barrier
	ds_read_b64 v[6:7], v8 offset:1064
	v_cndmask_b32_e64 v10, v24, v16, s[28:29]
	v_cmp_eq_u32_e32 vcc, 0, v10
	v_cndmask_b32_e64 v9, v25, v17, s[28:29]
	s_waitcnt lgkmcnt(0)
	v_cndmask_b32_e32 v11, 0, v7, vcc
	v_add_u32_e32 v9, v11, v9
	v_cndmask_b32_e64 v47, v9, v7, s[0:1]
	v_cndmask_b32_e64 v7, v10, 0, s[0:1]
	v_cmp_eq_u32_e32 vcc, 0, v69
	v_add_u32_e32 v46, v6, v7
	v_cndmask_b32_e32 v6, 0, v47, vcc
	v_add_u32_e32 v45, v6, v54
	v_cndmask_b32_e64 v6, 0, v45, s[26:27]
	v_add_u32_e32 v43, v6, v76
	v_cndmask_b32_e64 v6, 0, v43, s[24:25]
	;; [unrolled: 2-line block ×8, first 2 shown]
	v_add_u32_e32 v44, v46, v69
	v_add_u32_e32 v29, v6, v50
	v_add_u32_e32 v42, v44, v68
	v_cndmask_b32_e64 v6, 0, v29, s[10:11]
	v_add_u32_e32 v40, v42, v67
	v_add_u32_e32 v27, v6, v72
	v_add_u32_e32 v38, v40, v66
	v_cndmask_b32_e64 v6, 0, v27, s[8:9]
	;; [unrolled: 4-line block ×3, first 2 shown]
	v_add_u32_e32 v32, v34, v63
	v_add_u32_e32 v23, v6, v71
	s_barrier
	ds_read_b128 v[6:9], v8 offset:1024
	v_add_u32_e32 v30, v32, v62
	v_add_u32_e32 v28, v30, v61
	;; [unrolled: 1-line block ×4, first 2 shown]
	v_cndmask_b32_e64 v10, 0, v23, s[4:5]
	v_add_u32_e32 v22, v24, v58
	v_add_u32_e32 v21, v10, v48
	s_waitcnt lgkmcnt(0)
	v_cmp_eq_u32_e32 vcc, 0, v6
	v_add_u32_e32 v20, v22, v57
	v_cndmask_b32_e64 v10, 0, v21, s[2:3]
	v_cndmask_b32_e32 v9, 0, v9, vcc
	v_add_u32_e32 v18, v20, v56
	v_add_u32_e32 v19, v10, v70
	;; [unrolled: 1-line block ×3, first 2 shown]
	s_branch .LBB954_98
.LBB954_86:
                                        ; implicit-def: $vgpr6
                                        ; implicit-def: $vgpr16
                                        ; implicit-def: $vgpr46_vgpr47
                                        ; implicit-def: $vgpr44_vgpr45
                                        ; implicit-def: $vgpr42_vgpr43
                                        ; implicit-def: $vgpr40_vgpr41
                                        ; implicit-def: $vgpr38_vgpr39
                                        ; implicit-def: $vgpr36_vgpr37
                                        ; implicit-def: $vgpr34_vgpr35
                                        ; implicit-def: $vgpr32_vgpr33
                                        ; implicit-def: $vgpr30_vgpr31
                                        ; implicit-def: $vgpr28_vgpr29
                                        ; implicit-def: $vgpr26_vgpr27
                                        ; implicit-def: $vgpr24_vgpr25
                                        ; implicit-def: $vgpr22_vgpr23
                                        ; implicit-def: $vgpr20_vgpr21
                                        ; implicit-def: $vgpr18_vgpr19
	s_cbranch_execz .LBB954_98
; %bb.87:
	s_and_b64 s[2:3], s[38:39], exec
	s_cselect_b32 s3, 0, s35
	s_cselect_b32 s2, 0, s34
	s_cmp_eq_u64 s[2:3], 0
	v_mov_b32_e32 v10, v54
	s_cbranch_scc1 .LBB954_89
; %bb.88:
	v_mov_b32_e32 v6, 0
	global_load_dword v10, v6, s[2:3]
.LBB954_89:
	v_cmp_eq_u32_e64 s[2:3], 0, v68
	v_cndmask_b32_e64 v6, 0, v54, s[2:3]
	v_add_u32_e32 v6, v6, v76
	v_cmp_eq_u32_e64 s[4:5], 0, v67
	v_cndmask_b32_e64 v6, 0, v6, s[4:5]
	v_add_u32_e32 v6, v6, v55
	;; [unrolled: 3-line block ×11, first 2 shown]
	v_cmp_eq_u32_e64 s[24:25], 0, v57
	v_cndmask_b32_e64 v6, 0, v6, s[24:25]
	v_add3_u32 v7, v80, v64, v63
	v_add_u32_e32 v6, v6, v48
	v_cmp_eq_u32_e32 vcc, 0, v56
	v_add3_u32 v7, v7, v62, v61
	v_cndmask_b32_e32 v6, 0, v6, vcc
	v_add3_u32 v7, v7, v60, v59
	v_add_u32_e32 v6, v6, v70
	v_cmp_eq_u32_e64 s[26:27], 0, v15
	v_add3_u32 v7, v7, v58, v57
	v_cndmask_b32_e64 v6, 0, v6, s[26:27]
	v_add3_u32 v7, v7, v56, v15
	v_add_u32_e32 v6, v6, v49
	v_mbcnt_hi_u32_b32 v11, -1, v79
	v_and_b32_e32 v8, 15, v11
	v_mov_b32_dpp v16, v6 row_shr:1 row_mask:0xf bank_mask:0xf
	v_cmp_eq_u32_e64 s[26:27], 0, v7
	v_mov_b32_dpp v9, v7 row_shr:1 row_mask:0xf bank_mask:0xf
	v_cndmask_b32_e64 v16, 0, v16, s[26:27]
	v_cmp_eq_u32_e64 s[26:27], 0, v8
	v_cndmask_b32_e64 v9, v9, 0, s[26:27]
	v_add_u32_e32 v7, v9, v7
	v_cndmask_b32_e64 v9, v16, 0, s[26:27]
	v_add_u32_e32 v6, v9, v6
	v_cmp_eq_u32_e64 s[26:27], 0, v7
	v_mov_b32_dpp v9, v7 row_shr:2 row_mask:0xf bank_mask:0xf
	v_cmp_lt_u32_e64 s[28:29], 1, v8
	v_mov_b32_dpp v16, v6 row_shr:2 row_mask:0xf bank_mask:0xf
	v_cndmask_b32_e64 v9, 0, v9, s[28:29]
	s_and_b64 s[26:27], s[28:29], s[26:27]
	v_cndmask_b32_e64 v16, 0, v16, s[26:27]
	v_add_u32_e32 v7, v7, v9
	v_add_u32_e32 v6, v16, v6
	v_cmp_eq_u32_e64 s[26:27], 0, v7
	v_mov_b32_dpp v9, v7 row_shr:4 row_mask:0xf bank_mask:0xf
	v_cmp_lt_u32_e64 s[28:29], 3, v8
	v_mov_b32_dpp v16, v6 row_shr:4 row_mask:0xf bank_mask:0xf
	v_cndmask_b32_e64 v9, 0, v9, s[28:29]
	s_and_b64 s[26:27], s[28:29], s[26:27]
	v_cndmask_b32_e64 v16, 0, v16, s[26:27]
	v_add_u32_e32 v7, v9, v7
	v_add_u32_e32 v6, v6, v16
	v_cmp_eq_u32_e64 s[26:27], 0, v7
	v_cmp_lt_u32_e64 s[28:29], 7, v8
	v_mov_b32_dpp v9, v7 row_shr:8 row_mask:0xf bank_mask:0xf
	v_mov_b32_dpp v16, v6 row_shr:8 row_mask:0xf bank_mask:0xf
	s_and_b64 s[26:27], s[28:29], s[26:27]
	v_cndmask_b32_e64 v8, 0, v9, s[28:29]
	v_cndmask_b32_e64 v9, 0, v16, s[26:27]
	v_add_u32_e32 v6, v9, v6
	v_add_u32_e32 v7, v8, v7
	v_bfe_i32 v16, v11, 4, 1
	v_mov_b32_dpp v9, v6 row_bcast:15 row_mask:0xf bank_mask:0xf
	v_mov_b32_dpp v8, v7 row_bcast:15 row_mask:0xf bank_mask:0xf
	v_cmp_eq_u32_e64 s[26:27], 0, v7
	v_cndmask_b32_e64 v9, 0, v9, s[26:27]
	v_and_b32_e32 v8, v16, v8
	v_add_u32_e32 v7, v8, v7
	v_and_b32_e32 v8, v16, v9
	v_add_u32_e32 v8, v8, v6
	v_mov_b32_dpp v6, v7 row_bcast:31 row_mask:0xf bank_mask:0xf
	v_cmp_eq_u32_e64 s[26:27], 0, v7
	v_cmp_lt_u32_e64 s[28:29], 31, v11
	v_mov_b32_dpp v9, v8 row_bcast:31 row_mask:0xf bank_mask:0xf
	v_cndmask_b32_e64 v6, 0, v6, s[28:29]
	s_and_b64 s[26:27], s[28:29], s[26:27]
	v_add_u32_e32 v6, v6, v7
	v_cndmask_b32_e64 v7, 0, v9, s[26:27]
	v_add_u32_e32 v7, v7, v8
	v_cmp_eq_u32_e64 s[26:27], v78, v0
	v_lshlrev_b32_e32 v9, 3, v77
	s_and_saveexec_b64 s[28:29], s[26:27]
	s_cbranch_execz .LBB954_91
; %bb.90:
	ds_write_b64 v9, v[6:7] offset:1040
.LBB954_91:
	s_or_b64 exec, exec, s[28:29]
	v_cmp_gt_u32_e64 s[26:27], 4, v0
	s_waitcnt lgkmcnt(0)
	s_barrier
	s_and_saveexec_b64 s[30:31], s[26:27]
	s_cbranch_execz .LBB954_93
; %bb.92:
	v_lshlrev_b32_e32 v8, 3, v0
	ds_read_b64 v[16:17], v8 offset:1040
	v_and_b32_e32 v18, 3, v11
	v_cmp_lt_u32_e64 s[28:29], 1, v18
	s_waitcnt lgkmcnt(0)
	v_mov_b32_dpp v20, v17 row_shr:1 row_mask:0xf bank_mask:0xf
	v_cmp_eq_u32_e64 s[26:27], 0, v16
	v_mov_b32_dpp v19, v16 row_shr:1 row_mask:0xf bank_mask:0xf
	v_cndmask_b32_e64 v20, 0, v20, s[26:27]
	v_cmp_eq_u32_e64 s[26:27], 0, v18
	v_cndmask_b32_e64 v19, v19, 0, s[26:27]
	v_add_u32_e32 v16, v19, v16
	v_cndmask_b32_e64 v19, v20, 0, s[26:27]
	v_add_u32_e32 v17, v19, v17
	v_cmp_eq_u32_e64 s[26:27], 0, v16
	v_mov_b32_dpp v19, v16 row_shr:2 row_mask:0xf bank_mask:0xf
	v_mov_b32_dpp v20, v17 row_shr:2 row_mask:0xf bank_mask:0xf
	v_cndmask_b32_e64 v18, 0, v19, s[28:29]
	s_and_b64 s[26:27], s[28:29], s[26:27]
	v_add_u32_e32 v16, v18, v16
	v_cndmask_b32_e64 v18, 0, v20, s[26:27]
	v_add_u32_e32 v17, v18, v17
	ds_write_b64 v8, v[16:17] offset:1040
.LBB954_93:
	s_or_b64 exec, exec, s[30:31]
	v_cmp_lt_u32_e64 s[26:27], 63, v0
	v_mov_b32_e32 v16, 0
	v_mov_b32_e32 v8, 0
	s_waitcnt vmcnt(0)
	v_mov_b32_e32 v17, v10
	s_waitcnt lgkmcnt(0)
	s_barrier
	s_and_saveexec_b64 s[28:29], s[26:27]
	s_cbranch_execz .LBB954_95
; %bb.94:
	ds_read_b64 v[8:9], v9 offset:1032
	s_waitcnt lgkmcnt(0)
	v_cmp_eq_u32_e64 s[26:27], 0, v8
	v_cndmask_b32_e64 v17, 0, v10, s[26:27]
	v_add_u32_e32 v17, v17, v9
.LBB954_95:
	s_or_b64 exec, exec, s[28:29]
	v_cmp_eq_u32_e64 s[26:27], 0, v6
	v_add_u32_e32 v9, v8, v6
	v_cndmask_b32_e64 v6, 0, v17, s[26:27]
	v_add_u32_e32 v6, v6, v7
	v_add_u32_e32 v7, -1, v11
	v_and_b32_e32 v18, 64, v11
	v_cmp_lt_i32_e64 s[26:27], v7, v18
	v_cndmask_b32_e64 v7, v7, v11, s[26:27]
	v_lshlrev_b32_e32 v7, 2, v7
	ds_bpermute_b32 v6, v7, v6
	ds_bpermute_b32 v9, v7, v9
	v_cmp_eq_u32_e64 s[26:27], 0, v11
	s_waitcnt lgkmcnt(1)
	v_cndmask_b32_e64 v6, v6, v17, s[26:27]
	s_waitcnt lgkmcnt(0)
	v_cndmask_b32_e64 v7, v9, v8, s[26:27]
	v_cndmask_b32_e64 v47, v6, v10, s[0:1]
	v_cmp_eq_u32_e64 s[26:27], 0, v69
	v_cndmask_b32_e64 v6, 0, v47, s[26:27]
	v_add_u32_e32 v45, v6, v54
	v_cndmask_b32_e64 v6, 0, v45, s[2:3]
	v_add_u32_e32 v43, v6, v76
	;; [unrolled: 2-line block ×8, first 2 shown]
	v_cndmask_b32_e64 v46, v7, 0, s[0:1]
	v_cndmask_b32_e64 v6, 0, v31, s[16:17]
	v_add_u32_e32 v44, v46, v69
	v_add_u32_e32 v29, v6, v50
	v_add_u32_e32 v42, v44, v68
	v_cndmask_b32_e64 v6, 0, v29, s[18:19]
	v_add_u32_e32 v40, v42, v67
	v_add_u32_e32 v27, v6, v72
	v_add_u32_e32 v38, v40, v66
	;; [unrolled: 4-line block ×3, first 2 shown]
	v_cndmask_b32_e64 v6, 0, v25, s[22:23]
	v_add_u32_e32 v32, v34, v63
	v_add_u32_e32 v23, v6, v71
	ds_read_b64 v[6:7], v16 offset:1064
	v_add_u32_e32 v30, v32, v62
	v_add_u32_e32 v28, v30, v61
	;; [unrolled: 1-line block ×3, first 2 shown]
	v_cndmask_b32_e64 v8, 0, v23, s[24:25]
	v_add_u32_e32 v24, v26, v59
	v_add_u32_e32 v21, v8, v48
	;; [unrolled: 1-line block ×3, first 2 shown]
	v_cndmask_b32_e32 v8, 0, v21, vcc
	s_waitcnt lgkmcnt(0)
	v_cmp_eq_u32_e32 vcc, 0, v6
	v_add_u32_e32 v20, v22, v57
	v_add_u32_e32 v19, v8, v70
	v_cndmask_b32_e32 v8, 0, v10, vcc
	v_add_u32_e32 v18, v20, v56
	v_add_u32_e32 v16, v8, v7
	s_and_saveexec_b64 s[2:3], s[0:1]
	s_cbranch_execz .LBB954_97
; %bb.96:
	s_add_u32 s4, s36, 0x400
	v_and_b32_e32 v7, 0xff000000, v16
	v_and_b32_e32 v8, 0xff0000, v16
	s_addc_u32 s5, s37, 0
	v_or_b32_e32 v7, v8, v7
	v_and_b32_e32 v8, 0xff00, v16
	v_and_b32_e32 v10, 0xff, v16
	v_mov_b32_e32 v9, 0
	v_or3_b32 v7, v7, v8, v10
	v_mov_b32_e32 v8, 2
	v_pk_mov_b32 v[10:11], s[4:5], s[4:5] op_sel:[0,1]
	;;#ASMSTART
	global_store_dwordx4 v[10:11], v[6:9] off	
s_waitcnt vmcnt(0)
	;;#ASMEND
.LBB954_97:
	s_or_b64 exec, exec, s[2:3]
	v_mov_b32_e32 v8, 0
.LBB954_98:
	s_and_b64 s[2:3], s[38:39], exec
	s_cselect_b32 s3, 0, s51
	s_cselect_b32 s2, 0, s50
	s_cmp_eq_u64 s[2:3], 0
	v_pk_mov_b32 v[48:49], 0, 0
	s_barrier
	s_cbranch_scc1 .LBB954_100
; %bb.99:
	v_mov_b32_e32 v7, 0
	global_load_dwordx2 v[48:49], v7, s[2:3]
.LBB954_100:
	s_waitcnt vmcnt(0)
	v_lshlrev_b64 v[10:11], 1, v[48:49]
	v_mov_b32_e32 v7, s45
	v_add_co_u32_e32 v17, vcc, s44, v10
	v_mov_b32_e32 v9, 0
	v_addc_co_u32_e32 v50, vcc, v7, v11, vcc
	v_lshlrev_b64 v[10:11], 1, v[8:9]
	v_add_co_u32_e32 v7, vcc, v17, v10
	v_addc_co_u32_e32 v17, vcc, v50, v11, vcc
	v_cmp_eq_u32_e32 vcc, 0, v69
	v_cndmask_b32_e64 v10, 1, 2, vcc
	v_cmp_eq_u32_e32 vcc, 0, v68
	v_cndmask_b32_e64 v11, 1, 2, vcc
	v_cmp_eq_u32_e32 vcc, 0, v67
	v_and_b32_e32 v10, v11, v10
	v_cndmask_b32_e64 v11, 1, 2, vcc
	v_cmp_eq_u32_e32 vcc, 0, v66
	v_and_b32_e32 v10, v10, v11
	;; [unrolled: 3-line block ×13, first 2 shown]
	v_cndmask_b32_e64 v11, 1, 2, vcc
	s_movk_i32 s34, 0x100
	v_and_b32_e32 v10, v10, v11
	v_cmp_gt_u32_e32 vcc, s34, v6
	v_cmp_ne_u32_e64 s[30:31], 0, v69
	v_cmp_ne_u32_e64 s[28:29], 0, v68
	;; [unrolled: 1-line block ×15, first 2 shown]
	s_mov_b64 s[36:37], -1
	v_cmp_gt_i16_e64 s[34:35], 2, v10
	s_cbranch_vccz .LBB954_107
; %bb.101:
	s_and_saveexec_b64 s[36:37], s[34:35]
	s_cbranch_execz .LBB954_106
; %bb.102:
	v_cmp_ne_u16_e32 vcc, 1, v10
	s_mov_b64 s[38:39], 0
	s_and_saveexec_b64 s[34:35], vcc
	s_xor_b64 s[34:35], exec, s[34:35]
	s_cbranch_execnz .LBB954_151
; %bb.103:
	s_andn2_saveexec_b64 s[34:35], s[34:35]
	s_cbranch_execnz .LBB954_167
.LBB954_104:
	s_or_b64 exec, exec, s[34:35]
	s_and_b64 exec, exec, s[38:39]
	s_cbranch_execz .LBB954_106
.LBB954_105:
	v_sub_u32_e32 v50, v18, v8
	v_mov_b32_e32 v51, 0
	v_lshlrev_b64 v[50:51], 1, v[50:51]
	v_add_co_u32_e32 v50, vcc, v7, v50
	v_addc_co_u32_e32 v51, vcc, v17, v51, vcc
	global_store_short_d16_hi v[50:51], v14, off
.LBB954_106:
	s_or_b64 exec, exec, s[36:37]
	s_mov_b64 s[36:37], 0
.LBB954_107:
	s_and_b64 vcc, exec, s[36:37]
	s_cbranch_vccz .LBB954_129
; %bb.108:
	v_cmp_gt_i16_e32 vcc, 2, v10
	s_and_saveexec_b64 s[34:35], vcc
	s_cbranch_execz .LBB954_113
; %bb.109:
	v_cmp_ne_u16_e32 vcc, 1, v10
	s_mov_b64 s[38:39], 0
	s_and_saveexec_b64 s[36:37], vcc
	s_xor_b64 s[36:37], exec, s[36:37]
	s_cbranch_execnz .LBB954_168
; %bb.110:
	s_andn2_saveexec_b64 s[2:3], s[36:37]
	s_cbranch_execnz .LBB954_184
.LBB954_111:
	s_or_b64 exec, exec, s[2:3]
	s_and_b64 exec, exec, s[38:39]
	s_cbranch_execz .LBB954_113
.LBB954_112:
	v_sub_u32_e32 v1, v18, v8
	v_lshlrev_b32_e32 v1, 1, v1
	ds_write_b16_d16_hi v1, v14
.LBB954_113:
	s_or_b64 exec, exec, s[34:35]
	v_cmp_lt_u32_e32 vcc, v0, v6
	s_waitcnt lgkmcnt(0)
	s_barrier
	s_and_saveexec_b64 s[4:5], vcc
	s_cbranch_execz .LBB954_128
; %bb.114:
	v_xad_u32 v1, v0, -1, v6
	s_movk_i32 s2, 0x1700
	v_cmp_gt_u32_e64 s[6:7], s2, v1
	s_movk_i32 s2, 0x16ff
	v_cmp_lt_u32_e32 vcc, s2, v1
	v_mov_b32_e32 v2, v0
	s_and_saveexec_b64 s[8:9], vcc
	s_cbranch_execz .LBB954_125
; %bb.115:
	v_sub_u32_e32 v2, v0, v6
	v_or_b32_e32 v2, 0xff, v2
	v_cmp_ge_u32_e32 vcc, v2, v0
	s_mov_b64 s[2:3], -1
	v_mov_b32_e32 v2, v0
	s_and_saveexec_b64 s[10:11], vcc
	s_cbranch_execz .LBB954_124
; %bb.116:
	v_lshrrev_b32_e32 v14, 8, v1
	v_or_b32_e32 v3, 0x300, v0
	v_or_b32_e32 v2, 0x200, v0
	v_add_u32_e32 v4, -3, v14
	v_or_b32_e32 v1, 0x100, v0
	v_lshrrev_b32_e32 v5, 2, v4
	v_pk_mov_b32 v[12:13], v[2:3], v[2:3] op_sel:[0,1]
	v_add_u32_e32 v51, 1, v5
	v_cmp_lt_u32_e32 vcc, 11, v4
	v_mov_b32_e32 v54, 0
	v_lshlrev_b32_e32 v50, 1, v0
	v_pk_mov_b32 v[10:11], v[0:1], v[0:1] op_sel:[0,1]
	s_and_saveexec_b64 s[12:13], vcc
	s_cbranch_execz .LBB954_120
; %bb.117:
	v_pk_mov_b32 v[12:13], v[2:3], v[2:3] op_sel:[0,1]
	v_and_b32_e32 v52, 0x7ffffffc, v51
	s_mov_b32 s16, 0
	s_mov_b64 s[14:15], 0
	v_mov_b32_e32 v5, 0
	v_mov_b32_e32 v53, v50
	v_pk_mov_b32 v[10:11], v[0:1], v[0:1] op_sel:[0,1]
.LBB954_118:                            ; =>This Inner Loop Header: Depth=1
	v_mov_b32_e32 v4, v10
	v_lshlrev_b64 v[84:85], 1, v[4:5]
	v_add_u32_e32 v70, 0x400, v11
	v_mov_b32_e32 v71, v5
	v_add_co_u32_e64 v84, s[2:3], v7, v84
	v_lshlrev_b64 v[70:71], 1, v[70:71]
	v_addc_co_u32_e64 v85, s[2:3], v17, v85, s[2:3]
	v_add_u32_e32 v54, 0x400, v12
	v_mov_b32_e32 v55, v5
	v_add_co_u32_e64 v70, s[2:3], v7, v70
	v_lshlrev_b64 v[86:87], 1, v[54:55]
	v_addc_co_u32_e64 v71, s[2:3], v17, v71, s[2:3]
	v_add_u32_e32 v2, 0x400, v13
	v_mov_b32_e32 v3, v5
	v_add_co_u32_e64 v86, s[2:3], v7, v86
	v_add_u32_e32 v52, -4, v52
	v_mov_b32_e32 v4, v11
	v_lshlrev_b64 v[2:3], 1, v[2:3]
	v_addc_co_u32_e64 v87, s[2:3], v17, v87, s[2:3]
	v_add_u32_e32 v76, 0x800, v11
	v_mov_b32_e32 v77, v5
	s_add_i32 s16, s16, 16
	v_cmp_eq_u32_e32 vcc, 0, v52
	v_lshlrev_b64 v[88:89], 1, v[4:5]
	v_add_co_u32_e64 v2, s[2:3], v7, v2
	v_lshlrev_b64 v[76:77], 1, v[76:77]
	v_mov_b32_e32 v4, v12
	v_addc_co_u32_e64 v3, s[2:3], v17, v3, s[2:3]
	s_or_b64 s[14:15], vcc, s[14:15]
	v_add_co_u32_e32 v88, vcc, v7, v88
	v_add_u32_e32 v74, 0x800, v12
	v_mov_b32_e32 v75, v5
	v_add_co_u32_e64 v76, s[2:3], v7, v76
	v_addc_co_u32_e32 v89, vcc, v17, v89, vcc
	v_lshlrev_b64 v[90:91], 1, v[4:5]
	v_lshlrev_b64 v[74:75], 1, v[74:75]
	v_addc_co_u32_e64 v77, s[2:3], v17, v77, s[2:3]
	v_mov_b32_e32 v4, v13
	v_add_co_u32_e32 v90, vcc, v7, v90
	ds_read_u16 v1, v53
	ds_read_u16 v94, v53 offset:512
	ds_read_u16 v95, v53 offset:1024
	;; [unrolled: 1-line block ×7, first 2 shown]
	v_add_u32_e32 v72, 0x800, v13
	v_mov_b32_e32 v73, v5
	v_add_co_u32_e64 v74, s[2:3], v7, v74
	v_addc_co_u32_e32 v91, vcc, v17, v91, vcc
	v_lshlrev_b64 v[92:93], 1, v[4:5]
	v_lshlrev_b64 v[72:73], 1, v[72:73]
	v_addc_co_u32_e64 v75, s[2:3], v17, v75, s[2:3]
	v_add_u32_e32 v4, 0x400, v10
	v_add_co_u32_e32 v92, vcc, v7, v92
	v_add_u32_e32 v82, 0xc00, v11
	v_mov_b32_e32 v83, v5
	ds_read_u16 v101, v53 offset:4096
	ds_read_u16 v102, v53 offset:4608
	;; [unrolled: 1-line block ×8, first 2 shown]
	v_add_co_u32_e64 v72, s[2:3], v7, v72
	v_addc_co_u32_e32 v93, vcc, v17, v93, vcc
	s_waitcnt lgkmcnt(14)
	global_store_short v[84:85], v1, off
	global_store_short v[88:89], v94, off
	s_waitcnt lgkmcnt(13)
	global_store_short v[90:91], v95, off
	v_lshlrev_b64 v[84:85], 1, v[4:5]
	v_lshlrev_b64 v[82:83], 1, v[82:83]
	v_addc_co_u32_e64 v73, s[2:3], v17, v73, s[2:3]
	v_add_u32_e32 v4, 0x800, v10
	v_add_co_u32_e32 v84, vcc, v7, v84
	v_add_u32_e32 v80, 0xc00, v12
	v_mov_b32_e32 v81, v5
	v_add_co_u32_e64 v82, s[2:3], v7, v82
	v_addc_co_u32_e32 v85, vcc, v17, v85, vcc
	v_lshlrev_b64 v[88:89], 1, v[4:5]
	v_lshlrev_b64 v[80:81], 1, v[80:81]
	v_addc_co_u32_e64 v83, s[2:3], v17, v83, s[2:3]
	s_waitcnt lgkmcnt(12)
	global_store_short v[92:93], v96, off
	v_add_u32_e32 v4, 0xc00, v10
	s_waitcnt lgkmcnt(11)
	global_store_short v[84:85], v97, off
	s_waitcnt lgkmcnt(10)
	global_store_short v[70:71], v98, off
	;; [unrolled: 2-line block ×4, first 2 shown]
	v_add_co_u32_e32 v2, vcc, v7, v88
	v_add_u32_e32 v78, 0xc00, v13
	v_mov_b32_e32 v79, v5
	v_add_co_u32_e64 v80, s[2:3], v7, v80
	v_addc_co_u32_e32 v3, vcc, v17, v89, vcc
	v_lshlrev_b64 v[70:71], 1, v[4:5]
	v_lshlrev_b64 v[78:79], 1, v[78:79]
	v_addc_co_u32_e64 v81, s[2:3], v17, v81, s[2:3]
	s_waitcnt lgkmcnt(7)
	global_store_short v[2:3], v101, off
	s_waitcnt lgkmcnt(6)
	global_store_short v[76:77], v102, off
	;; [unrolled: 2-line block ×4, first 2 shown]
	v_add_co_u32_e32 v2, vcc, v7, v70
	v_add_u32_e32 v53, 0x2000, v53
	v_add_u32_e32 v11, 0x1000, v11
	v_mov_b32_e32 v54, s16
	v_add_co_u32_e64 v78, s[2:3], v7, v78
	v_add_u32_e32 v12, 0x1000, v12
	v_add_u32_e32 v13, 0x1000, v13
	;; [unrolled: 1-line block ×3, first 2 shown]
	v_addc_co_u32_e32 v3, vcc, v17, v71, vcc
	v_addc_co_u32_e64 v79, s[2:3], v17, v79, s[2:3]
	s_waitcnt lgkmcnt(3)
	global_store_short v[2:3], v105, off
	s_waitcnt lgkmcnt(2)
	global_store_short v[82:83], v106, off
	;; [unrolled: 2-line block ×4, first 2 shown]
	s_andn2_b64 exec, exec, s[14:15]
	s_cbranch_execnz .LBB954_118
; %bb.119:
	s_or_b64 exec, exec, s[14:15]
.LBB954_120:
	s_or_b64 exec, exec, s[12:13]
	v_and_b32_e32 v1, 3, v51
	v_cmp_ne_u32_e32 vcc, 0, v1
	s_and_saveexec_b64 s[12:13], vcc
	s_cbranch_execz .LBB954_123
; %bb.121:
	v_lshl_or_b32 v4, v54, 9, v50
	s_mov_b64 s[14:15], 0
	v_mov_b32_e32 v3, 0
.LBB954_122:                            ; =>This Inner Loop Header: Depth=1
	v_mov_b32_e32 v2, v10
	v_add_u32_e32 v1, -1, v1
	v_lshlrev_b64 v[50:51], 1, v[2:3]
	v_mov_b32_e32 v2, v11
	v_cmp_eq_u32_e32 vcc, 0, v1
	v_lshlrev_b64 v[52:53], 1, v[2:3]
	ds_read_u16 v5, v4
	ds_read_u16 v72, v4 offset:512
	ds_read_u16 v73, v4 offset:1024
	;; [unrolled: 1-line block ×3, first 2 shown]
	v_mov_b32_e32 v2, v12
	s_or_b64 s[14:15], vcc, s[14:15]
	v_add_co_u32_e32 v52, vcc, v7, v52
	v_addc_co_u32_e32 v53, vcc, v17, v53, vcc
	v_lshlrev_b64 v[54:55], 1, v[2:3]
	v_mov_b32_e32 v2, v13
	v_add_co_u32_e32 v54, vcc, v7, v54
	v_add_co_u32_e64 v50, s[2:3], v7, v50
	v_addc_co_u32_e32 v55, vcc, v17, v55, vcc
	v_lshlrev_b64 v[70:71], 1, v[2:3]
	v_add_u32_e32 v10, 0x400, v10
	v_add_u32_e32 v4, 0x800, v4
	;; [unrolled: 1-line block ×3, first 2 shown]
	v_addc_co_u32_e64 v51, s[2:3], v17, v51, s[2:3]
	v_add_u32_e32 v12, 0x400, v12
	v_add_u32_e32 v13, 0x400, v13
	v_add_co_u32_e32 v70, vcc, v7, v70
	v_addc_co_u32_e32 v71, vcc, v17, v71, vcc
	s_waitcnt lgkmcnt(3)
	global_store_short v[50:51], v5, off
	s_waitcnt lgkmcnt(2)
	global_store_short v[52:53], v72, off
	s_waitcnt lgkmcnt(1)
	global_store_short v[54:55], v73, off
	s_waitcnt lgkmcnt(0)
	global_store_short v[70:71], v74, off
	s_andn2_b64 exec, exec, s[14:15]
	s_cbranch_execnz .LBB954_122
.LBB954_123:
	s_or_b64 exec, exec, s[12:13]
	v_add_u32_e32 v1, 1, v14
	v_and_b32_e32 v3, 0x1fffffc, v1
	v_cmp_ne_u32_e32 vcc, v1, v3
	v_lshl_or_b32 v2, v3, 8, v0
	s_orn2_b64 s[2:3], vcc, exec
.LBB954_124:
	s_or_b64 exec, exec, s[10:11]
	s_andn2_b64 s[6:7], s[6:7], exec
	s_and_b64 s[2:3], s[2:3], exec
	s_or_b64 s[6:7], s[6:7], s[2:3]
.LBB954_125:
	s_or_b64 exec, exec, s[8:9]
	s_and_b64 exec, exec, s[6:7]
	s_cbranch_execz .LBB954_128
; %bb.126:
	v_lshlrev_b32_e32 v1, 1, v2
	s_mov_b64 s[2:3], 0
	v_mov_b32_e32 v3, 0
.LBB954_127:                            ; =>This Inner Loop Header: Depth=1
	v_lshlrev_b64 v[4:5], 1, v[2:3]
	ds_read_u16 v10, v1
	v_add_co_u32_e32 v4, vcc, v7, v4
	v_add_u32_e32 v2, 0x100, v2
	v_addc_co_u32_e32 v5, vcc, v17, v5, vcc
	v_cmp_ge_u32_e32 vcc, v2, v6
	v_add_u32_e32 v1, 0x200, v1
	s_or_b64 s[2:3], vcc, s[2:3]
	s_waitcnt lgkmcnt(0)
	global_store_short v[4:5], v10, off
	s_andn2_b64 exec, exec, s[2:3]
	s_cbranch_execnz .LBB954_127
.LBB954_128:
	s_or_b64 exec, exec, s[4:5]
.LBB954_129:
	s_cmpk_lg_i32 s33, 0xf00
	s_cselect_b64 s[2:3], -1, 0
	v_cndmask_b32_e64 v10, 0, 1, s[42:43]
	s_and_b64 s[2:3], s[2:3], s[40:41]
	v_sub_u32_e32 v1, v6, v10
	v_cndmask_b32_e64 v2, 0, 1, s[2:3]
	s_and_b64 s[0:1], s[0:1], s[42:43]
	v_add_u32_e32 v1, v1, v2
	v_cndmask_b32_e64 v2, v69, 0, s[0:1]
	s_mul_hi_u32 s0, s33, 0x88888889
	s_lshr_b32 s0, s0, 3
	v_mad_i32_i24 v3, v0, -15, s33
	v_cmp_eq_u32_e32 vcc, s0, v0
	v_cmp_ne_u32_e64 s[0:1], 0, v3
	v_cndmask_b32_e64 v4, 1, v2, s[0:1]
	v_cmp_ne_u32_e64 s[0:1], 1, v3
	v_cndmask_b32_e64 v5, 1, v68, s[0:1]
	;; [unrolled: 2-line block ×15, first 2 shown]
	s_and_b64 vcc, vcc, s[40:41]
	v_cndmask_b32_e32 v15, v15, v3, vcc
	v_cndmask_b32_e32 v53, v58, v53, vcc
	;; [unrolled: 1-line block ×3, first 2 shown]
	v_lshlrev_b64 v[2:3], 3, v[48:49]
	v_cndmask_b32_e32 v55, v56, v55, vcc
	v_cndmask_b32_e32 v54, v57, v54, vcc
	;; [unrolled: 1-line block ×12, first 2 shown]
	v_mov_b32_e32 v4, s47
	v_add_co_u32_e32 v5, vcc, s46, v2
	v_addc_co_u32_e32 v7, vcc, v4, v3, vcc
	v_lshlrev_b64 v[2:3], 3, v[8:9]
	v_add_co_u32_e32 v4, vcc, v5, v2
	v_addc_co_u32_e32 v5, vcc, v7, v3, vcc
	v_lshlrev_b32_e32 v2, 3, v10
	v_add_co_u32_e32 v2, vcc, v2, v4
	v_addc_co_u32_e32 v3, vcc, 0, v5, vcc
	v_add_co_u32_e32 v7, vcc, -8, v2
	v_addc_co_u32_e32 v9, vcc, -1, v3, vcc
	v_cmp_eq_u32_e32 vcc, 0, v58
	v_cndmask_b32_e64 v3, 1, 2, vcc
	v_cmp_eq_u32_e32 vcc, 0, v57
	v_add_u32_e32 v2, v8, v10
	v_cndmask_b32_e64 v10, 1, 2, vcc
	v_cmp_eq_u32_e32 vcc, 0, v56
	v_and_b32_e32 v3, v10, v3
	v_cndmask_b32_e64 v10, 1, 2, vcc
	v_cmp_eq_u32_e32 vcc, 0, v11
	v_and_b32_e32 v3, v3, v10
	;; [unrolled: 3-line block ×13, first 2 shown]
	v_cndmask_b32_e64 v10, 1, 2, vcc
	s_movk_i32 s30, 0x100
	v_and_b32_e32 v3, v3, v10
	v_cmp_gt_u32_e32 vcc, s30, v1
	v_cmp_ne_u32_e64 s[28:29], 0, v58
	v_cmp_ne_u32_e64 s[26:27], 0, v57
	;; [unrolled: 1-line block ×15, first 2 shown]
	s_mov_b64 s[34:35], -1
	v_cmp_gt_i16_e64 s[30:31], 2, v3
	s_barrier
	s_cbranch_vccz .LBB954_136
; %bb.130:
	s_and_saveexec_b64 s[34:35], s[30:31]
	s_cbranch_execz .LBB954_135
; %bb.131:
	v_cmp_ne_u16_e32 vcc, 1, v3
	s_mov_b64 s[36:37], 0
	s_and_saveexec_b64 s[30:31], vcc
	s_xor_b64 s[30:31], exec, s[30:31]
	s_cbranch_execnz .LBB954_185
; %bb.132:
	s_andn2_saveexec_b64 s[30:31], s[30:31]
	s_cbranch_execnz .LBB954_201
.LBB954_133:
	s_or_b64 exec, exec, s[30:31]
	s_and_b64 exec, exec, s[36:37]
	s_cbranch_execz .LBB954_135
.LBB954_134:
	v_mov_b32_e32 v11, 0
	v_sub_u32_e32 v12, v18, v2
	v_mov_b32_e32 v13, v11
	v_lshlrev_b64 v[12:13], 3, v[12:13]
	v_add_co_u32_e32 v12, vcc, v7, v12
	v_mov_b32_e32 v10, v19
	v_addc_co_u32_e32 v13, vcc, v9, v13, vcc
	global_store_dwordx2 v[12:13], v[10:11], off
.LBB954_135:
	s_or_b64 exec, exec, s[34:35]
	s_mov_b64 s[34:35], 0
.LBB954_136:
	s_and_b64 vcc, exec, s[34:35]
	s_cbranch_vccz .LBB954_146
; %bb.137:
	v_cmp_gt_i16_e32 vcc, 2, v3
	s_and_saveexec_b64 s[30:31], vcc
	s_cbranch_execz .LBB954_142
; %bb.138:
	v_cmp_ne_u16_e32 vcc, 1, v3
	s_mov_b64 s[36:37], 0
	s_and_saveexec_b64 s[34:35], vcc
	s_xor_b64 s[34:35], exec, s[34:35]
	s_cbranch_execnz .LBB954_202
; %bb.139:
	s_andn2_saveexec_b64 s[0:1], s[34:35]
	s_cbranch_execnz .LBB954_218
.LBB954_140:
	s_or_b64 exec, exec, s[0:1]
	s_and_b64 exec, exec, s[36:37]
	s_cbranch_execz .LBB954_142
.LBB954_141:
	v_sub_u32_e32 v2, v18, v2
	v_lshlrev_b32_e32 v2, 2, v2
	ds_write_b32 v2, v19
.LBB954_142:
	s_or_b64 exec, exec, s[30:31]
	v_cmp_lt_u32_e32 vcc, v0, v1
	s_waitcnt lgkmcnt(0)
	s_barrier
	s_and_saveexec_b64 s[0:1], vcc
	s_cbranch_execz .LBB954_145
; %bb.143:
	v_lshlrev_b32_e32 v10, 2, v0
	s_mov_b64 s[2:3], 0
	v_mov_b32_e32 v3, 0
	v_mov_b32_e32 v2, v0
.LBB954_144:                            ; =>This Inner Loop Header: Depth=1
	ds_read_b32 v12, v10
	v_lshlrev_b64 v[14:15], 3, v[2:3]
	v_add_co_u32_e32 v14, vcc, v7, v14
	v_add_u32_e32 v2, 0x100, v2
	v_addc_co_u32_e32 v15, vcc, v9, v15, vcc
	v_cmp_ge_u32_e32 vcc, v2, v1
	v_mov_b32_e32 v13, v3
	v_add_u32_e32 v10, 0x400, v10
	s_or_b64 s[2:3], vcc, s[2:3]
	s_waitcnt lgkmcnt(0)
	global_store_dwordx2 v[14:15], v[12:13], off
	s_andn2_b64 exec, exec, s[2:3]
	s_cbranch_execnz .LBB954_144
.LBB954_145:
	s_or_b64 exec, exec, s[0:1]
.LBB954_146:
	s_movk_i32 s0, 0xff
	v_cmp_eq_u32_e32 vcc, s0, v0
	s_and_b64 s[0:1], vcc, s[40:41]
	s_and_saveexec_b64 s[2:3], s[0:1]
	s_cbranch_execz .LBB954_149
; %bb.147:
	v_add_co_u32_e32 v0, vcc, v6, v8
	v_addc_co_u32_e64 v1, s[0:1], 0, 0, vcc
	v_add_co_u32_e32 v0, vcc, v0, v48
	v_mov_b32_e32 v7, 0
	v_addc_co_u32_e32 v1, vcc, v1, v49, vcc
	s_cmpk_lg_i32 s33, 0xf00
	global_store_dwordx2 v7, v[0:1], s[52:53]
	s_cbranch_scc1 .LBB954_149
; %bb.148:
	v_lshlrev_b64 v[0:1], 3, v[6:7]
	v_add_co_u32_e32 v0, vcc, v4, v0
	v_mov_b32_e32 v17, v7
	v_addc_co_u32_e32 v1, vcc, v5, v1, vcc
	global_store_dwordx2 v[0:1], v[16:17], off offset:-8
.LBB954_149:
	s_endpgm
.LBB954_150:
	s_or_b64 exec, exec, s[6:7]
	v_mov_b32_e32 v69, s14
	s_and_saveexec_b64 s[2:3], s[8:9]
	s_cbranch_execnz .LBB954_58
	s_branch .LBB954_59
.LBB954_151:
	s_and_saveexec_b64 s[38:39], s[30:31]
	s_cbranch_execnz .LBB954_219
; %bb.152:
	s_or_b64 exec, exec, s[38:39]
	s_and_saveexec_b64 s[38:39], s[28:29]
	s_cbranch_execnz .LBB954_220
.LBB954_153:
	s_or_b64 exec, exec, s[38:39]
	s_and_saveexec_b64 s[38:39], s[26:27]
	s_cbranch_execnz .LBB954_221
.LBB954_154:
	s_or_b64 exec, exec, s[38:39]
	s_and_saveexec_b64 s[38:39], s[24:25]
	s_cbranch_execnz .LBB954_222
.LBB954_155:
	s_or_b64 exec, exec, s[38:39]
	s_and_saveexec_b64 s[38:39], s[22:23]
	s_cbranch_execnz .LBB954_223
.LBB954_156:
	s_or_b64 exec, exec, s[38:39]
	s_and_saveexec_b64 s[38:39], s[20:21]
	s_cbranch_execnz .LBB954_224
.LBB954_157:
	s_or_b64 exec, exec, s[38:39]
	s_and_saveexec_b64 s[38:39], s[18:19]
	s_cbranch_execnz .LBB954_225
.LBB954_158:
	s_or_b64 exec, exec, s[38:39]
	s_and_saveexec_b64 s[38:39], s[16:17]
	s_cbranch_execnz .LBB954_226
.LBB954_159:
	s_or_b64 exec, exec, s[38:39]
	s_and_saveexec_b64 s[38:39], s[14:15]
	s_cbranch_execnz .LBB954_227
.LBB954_160:
	s_or_b64 exec, exec, s[38:39]
	s_and_saveexec_b64 s[38:39], s[12:13]
	s_cbranch_execnz .LBB954_228
.LBB954_161:
	s_or_b64 exec, exec, s[38:39]
	s_and_saveexec_b64 s[38:39], s[10:11]
	s_cbranch_execnz .LBB954_229
.LBB954_162:
	s_or_b64 exec, exec, s[38:39]
	s_and_saveexec_b64 s[38:39], s[8:9]
	s_cbranch_execnz .LBB954_230
.LBB954_163:
	s_or_b64 exec, exec, s[38:39]
	s_and_saveexec_b64 s[38:39], s[6:7]
	s_cbranch_execnz .LBB954_231
.LBB954_164:
	s_or_b64 exec, exec, s[38:39]
	s_and_saveexec_b64 s[38:39], s[4:5]
	s_cbranch_execz .LBB954_166
.LBB954_165:
	v_sub_u32_e32 v50, v20, v8
	v_mov_b32_e32 v51, 0
	v_lshlrev_b64 v[50:51], 1, v[50:51]
	v_add_co_u32_e32 v50, vcc, v7, v50
	v_addc_co_u32_e32 v51, vcc, v17, v51, vcc
	global_store_short v[50:51], v14, off
.LBB954_166:
	s_or_b64 exec, exec, s[38:39]
	s_and_b64 s[38:39], s[2:3], exec
	s_andn2_saveexec_b64 s[34:35], s[34:35]
	s_cbranch_execz .LBB954_104
.LBB954_167:
	v_sub_u32_e32 v50, v46, v8
	v_mov_b32_e32 v51, 0
	v_lshlrev_b64 v[52:53], 1, v[50:51]
	v_add_co_u32_e32 v52, vcc, v7, v52
	v_addc_co_u32_e32 v53, vcc, v17, v53, vcc
	v_sub_u32_e32 v50, v44, v8
	global_store_short v[52:53], v1, off
	v_lshlrev_b64 v[52:53], 1, v[50:51]
	v_add_co_u32_e32 v52, vcc, v7, v52
	v_addc_co_u32_e32 v53, vcc, v17, v53, vcc
	v_sub_u32_e32 v50, v42, v8
	global_store_short v[52:53], v2, off
	v_lshlrev_b64 v[52:53], 1, v[50:51]
	v_add_co_u32_e32 v52, vcc, v7, v52
	v_addc_co_u32_e32 v53, vcc, v17, v53, vcc
	v_sub_u32_e32 v50, v40, v8
	global_store_short_d16_hi v[52:53], v2, off
	v_lshlrev_b64 v[52:53], 1, v[50:51]
	v_add_co_u32_e32 v52, vcc, v7, v52
	v_addc_co_u32_e32 v53, vcc, v17, v53, vcc
	v_sub_u32_e32 v50, v38, v8
	global_store_short v[52:53], v3, off
	v_lshlrev_b64 v[52:53], 1, v[50:51]
	v_add_co_u32_e32 v52, vcc, v7, v52
	v_addc_co_u32_e32 v53, vcc, v17, v53, vcc
	v_sub_u32_e32 v50, v36, v8
	global_store_short_d16_hi v[52:53], v3, off
	;; [unrolled: 10-line block ×5, first 2 shown]
	v_lshlrev_b64 v[52:53], 1, v[50:51]
	v_add_co_u32_e32 v52, vcc, v7, v52
	v_addc_co_u32_e32 v53, vcc, v17, v53, vcc
	v_sub_u32_e32 v50, v22, v8
	global_store_short v[52:53], v13, off
	v_lshlrev_b64 v[52:53], 1, v[50:51]
	v_add_co_u32_e32 v52, vcc, v7, v52
	v_sub_u32_e32 v50, v20, v8
	v_addc_co_u32_e32 v53, vcc, v17, v53, vcc
	v_lshlrev_b64 v[50:51], 1, v[50:51]
	v_add_co_u32_e32 v50, vcc, v7, v50
	v_addc_co_u32_e32 v51, vcc, v17, v51, vcc
	s_or_b64 s[38:39], s[38:39], exec
	global_store_short_d16_hi v[52:53], v13, off
	global_store_short v[50:51], v14, off
	s_or_b64 exec, exec, s[34:35]
	s_and_b64 exec, exec, s[38:39]
	s_cbranch_execnz .LBB954_105
	s_branch .LBB954_106
.LBB954_168:
	s_and_saveexec_b64 s[38:39], s[30:31]
	s_cbranch_execnz .LBB954_232
; %bb.169:
	s_or_b64 exec, exec, s[38:39]
	s_and_saveexec_b64 s[30:31], s[28:29]
	s_cbranch_execnz .LBB954_233
.LBB954_170:
	s_or_b64 exec, exec, s[30:31]
	s_and_saveexec_b64 s[28:29], s[26:27]
	s_cbranch_execnz .LBB954_234
.LBB954_171:
	s_or_b64 exec, exec, s[28:29]
	s_and_saveexec_b64 s[26:27], s[24:25]
	s_cbranch_execnz .LBB954_235
.LBB954_172:
	s_or_b64 exec, exec, s[26:27]
	s_and_saveexec_b64 s[24:25], s[22:23]
	s_cbranch_execnz .LBB954_236
.LBB954_173:
	s_or_b64 exec, exec, s[24:25]
	s_and_saveexec_b64 s[22:23], s[20:21]
	s_cbranch_execnz .LBB954_237
.LBB954_174:
	s_or_b64 exec, exec, s[22:23]
	s_and_saveexec_b64 s[20:21], s[18:19]
	s_cbranch_execnz .LBB954_238
.LBB954_175:
	s_or_b64 exec, exec, s[20:21]
	s_and_saveexec_b64 s[18:19], s[16:17]
	s_cbranch_execnz .LBB954_239
.LBB954_176:
	s_or_b64 exec, exec, s[18:19]
	s_and_saveexec_b64 s[16:17], s[14:15]
	s_cbranch_execnz .LBB954_240
.LBB954_177:
	s_or_b64 exec, exec, s[16:17]
	s_and_saveexec_b64 s[14:15], s[12:13]
	s_cbranch_execnz .LBB954_241
.LBB954_178:
	s_or_b64 exec, exec, s[14:15]
	s_and_saveexec_b64 s[12:13], s[10:11]
	s_cbranch_execnz .LBB954_242
.LBB954_179:
	s_or_b64 exec, exec, s[12:13]
	s_and_saveexec_b64 s[10:11], s[8:9]
	s_cbranch_execnz .LBB954_243
.LBB954_180:
	s_or_b64 exec, exec, s[10:11]
	s_and_saveexec_b64 s[8:9], s[6:7]
	s_cbranch_execnz .LBB954_244
.LBB954_181:
	s_or_b64 exec, exec, s[8:9]
	s_and_saveexec_b64 s[6:7], s[4:5]
	s_cbranch_execz .LBB954_183
.LBB954_182:
	v_sub_u32_e32 v1, v20, v8
	v_lshlrev_b32_e32 v1, 1, v1
	ds_write_b16 v1, v14
.LBB954_183:
	s_or_b64 exec, exec, s[6:7]
	s_and_b64 s[38:39], s[2:3], exec
                                        ; implicit-def: $vgpr1
                                        ; implicit-def: $vgpr2
	s_andn2_saveexec_b64 s[2:3], s[36:37]
	s_cbranch_execz .LBB954_111
.LBB954_184:
	v_sub_u32_e32 v10, v46, v8
	v_lshlrev_b32_e32 v10, 1, v10
	ds_write_b16 v10, v1
	v_sub_u32_e32 v1, v44, v8
	v_lshlrev_b32_e32 v1, 1, v1
	ds_write_b16 v1, v2
	v_sub_u32_e32 v1, v42, v8
	v_lshlrev_b32_e32 v1, 1, v1
	ds_write_b16_d16_hi v1, v2
	v_sub_u32_e32 v1, v40, v8
	v_lshlrev_b32_e32 v1, 1, v1
	ds_write_b16 v1, v3
	v_sub_u32_e32 v1, v38, v8
	v_lshlrev_b32_e32 v1, 1, v1
	ds_write_b16_d16_hi v1, v3
	;; [unrolled: 6-line block ×6, first 2 shown]
	v_sub_u32_e32 v1, v20, v8
	v_lshlrev_b32_e32 v1, 1, v1
	s_or_b64 s[38:39], s[38:39], exec
	ds_write_b16 v1, v14
	s_or_b64 exec, exec, s[2:3]
	s_and_b64 exec, exec, s[38:39]
	s_cbranch_execnz .LBB954_112
	s_branch .LBB954_113
.LBB954_185:
	s_and_saveexec_b64 s[36:37], s[28:29]
	s_cbranch_execnz .LBB954_245
; %bb.186:
	s_or_b64 exec, exec, s[36:37]
	s_and_saveexec_b64 s[36:37], s[26:27]
	s_cbranch_execnz .LBB954_246
.LBB954_187:
	s_or_b64 exec, exec, s[36:37]
	s_and_saveexec_b64 s[36:37], s[24:25]
	s_cbranch_execnz .LBB954_247
.LBB954_188:
	s_or_b64 exec, exec, s[36:37]
	s_and_saveexec_b64 s[36:37], s[22:23]
	s_cbranch_execnz .LBB954_248
.LBB954_189:
	s_or_b64 exec, exec, s[36:37]
	s_and_saveexec_b64 s[36:37], s[20:21]
	s_cbranch_execnz .LBB954_249
.LBB954_190:
	s_or_b64 exec, exec, s[36:37]
	s_and_saveexec_b64 s[36:37], s[18:19]
	s_cbranch_execnz .LBB954_250
.LBB954_191:
	s_or_b64 exec, exec, s[36:37]
	s_and_saveexec_b64 s[36:37], s[16:17]
	s_cbranch_execnz .LBB954_251
.LBB954_192:
	s_or_b64 exec, exec, s[36:37]
	s_and_saveexec_b64 s[36:37], s[14:15]
	s_cbranch_execnz .LBB954_252
.LBB954_193:
	s_or_b64 exec, exec, s[36:37]
	s_and_saveexec_b64 s[36:37], s[12:13]
	s_cbranch_execnz .LBB954_253
.LBB954_194:
	s_or_b64 exec, exec, s[36:37]
	s_and_saveexec_b64 s[36:37], s[10:11]
	s_cbranch_execnz .LBB954_254
.LBB954_195:
	s_or_b64 exec, exec, s[36:37]
	s_and_saveexec_b64 s[36:37], s[8:9]
	s_cbranch_execnz .LBB954_255
.LBB954_196:
	s_or_b64 exec, exec, s[36:37]
	s_and_saveexec_b64 s[36:37], s[6:7]
	s_cbranch_execnz .LBB954_256
.LBB954_197:
	s_or_b64 exec, exec, s[36:37]
	s_and_saveexec_b64 s[36:37], s[4:5]
	s_cbranch_execnz .LBB954_257
.LBB954_198:
	s_or_b64 exec, exec, s[36:37]
	s_and_saveexec_b64 s[36:37], s[2:3]
	s_cbranch_execz .LBB954_200
.LBB954_199:
	v_sub_u32_e32 v10, v20, v2
	v_mov_b32_e32 v11, 0
	v_lshlrev_b64 v[12:13], 3, v[10:11]
	v_add_co_u32_e32 v12, vcc, v7, v12
	v_addc_co_u32_e32 v13, vcc, v9, v13, vcc
	v_mov_b32_e32 v10, v21
	global_store_dwordx2 v[12:13], v[10:11], off
.LBB954_200:
	s_or_b64 exec, exec, s[36:37]
	s_and_b64 s[36:37], s[0:1], exec
	s_andn2_saveexec_b64 s[30:31], s[30:31]
	s_cbranch_execz .LBB954_133
.LBB954_201:
	v_mov_b32_e32 v11, 0
	v_sub_u32_e32 v12, v46, v2
	v_mov_b32_e32 v13, v11
	v_lshlrev_b64 v[12:13], 3, v[12:13]
	v_add_co_u32_e32 v12, vcc, v7, v12
	v_mov_b32_e32 v10, v47
	v_addc_co_u32_e32 v13, vcc, v9, v13, vcc
	global_store_dwordx2 v[12:13], v[10:11], off
	v_sub_u32_e32 v12, v44, v2
	v_mov_b32_e32 v13, v11
	v_lshlrev_b64 v[12:13], 3, v[12:13]
	v_add_co_u32_e32 v12, vcc, v7, v12
	v_mov_b32_e32 v10, v45
	v_addc_co_u32_e32 v13, vcc, v9, v13, vcc
	global_store_dwordx2 v[12:13], v[10:11], off
	;; [unrolled: 7-line block ×13, first 2 shown]
	v_sub_u32_e32 v12, v20, v2
	v_mov_b32_e32 v13, v11
	v_lshlrev_b64 v[12:13], 3, v[12:13]
	v_add_co_u32_e32 v12, vcc, v7, v12
	v_mov_b32_e32 v10, v21
	v_addc_co_u32_e32 v13, vcc, v9, v13, vcc
	s_or_b64 s[36:37], s[36:37], exec
	global_store_dwordx2 v[12:13], v[10:11], off
	s_or_b64 exec, exec, s[30:31]
	s_and_b64 exec, exec, s[36:37]
	s_cbranch_execnz .LBB954_134
	s_branch .LBB954_135
.LBB954_202:
	s_and_saveexec_b64 s[36:37], s[28:29]
	s_cbranch_execnz .LBB954_258
; %bb.203:
	s_or_b64 exec, exec, s[36:37]
	s_and_saveexec_b64 s[28:29], s[26:27]
	s_cbranch_execnz .LBB954_259
.LBB954_204:
	s_or_b64 exec, exec, s[28:29]
	s_and_saveexec_b64 s[26:27], s[24:25]
	s_cbranch_execnz .LBB954_260
.LBB954_205:
	s_or_b64 exec, exec, s[26:27]
	s_and_saveexec_b64 s[24:25], s[22:23]
	s_cbranch_execnz .LBB954_261
.LBB954_206:
	s_or_b64 exec, exec, s[24:25]
	s_and_saveexec_b64 s[22:23], s[20:21]
	s_cbranch_execnz .LBB954_262
.LBB954_207:
	s_or_b64 exec, exec, s[22:23]
	s_and_saveexec_b64 s[20:21], s[18:19]
	s_cbranch_execnz .LBB954_263
.LBB954_208:
	s_or_b64 exec, exec, s[20:21]
	s_and_saveexec_b64 s[18:19], s[16:17]
	s_cbranch_execnz .LBB954_264
.LBB954_209:
	s_or_b64 exec, exec, s[18:19]
	s_and_saveexec_b64 s[16:17], s[14:15]
	s_cbranch_execnz .LBB954_265
.LBB954_210:
	s_or_b64 exec, exec, s[16:17]
	s_and_saveexec_b64 s[14:15], s[12:13]
	s_cbranch_execnz .LBB954_266
.LBB954_211:
	s_or_b64 exec, exec, s[14:15]
	s_and_saveexec_b64 s[12:13], s[10:11]
	s_cbranch_execnz .LBB954_267
.LBB954_212:
	s_or_b64 exec, exec, s[12:13]
	s_and_saveexec_b64 s[10:11], s[8:9]
	s_cbranch_execnz .LBB954_268
.LBB954_213:
	s_or_b64 exec, exec, s[10:11]
	s_and_saveexec_b64 s[8:9], s[6:7]
	s_cbranch_execnz .LBB954_269
.LBB954_214:
	s_or_b64 exec, exec, s[8:9]
	s_and_saveexec_b64 s[6:7], s[4:5]
	s_cbranch_execnz .LBB954_270
.LBB954_215:
	s_or_b64 exec, exec, s[6:7]
	s_and_saveexec_b64 s[4:5], s[2:3]
	s_cbranch_execz .LBB954_217
.LBB954_216:
	v_sub_u32_e32 v3, v20, v2
	v_lshlrev_b32_e32 v3, 2, v3
	ds_write_b32 v3, v21
.LBB954_217:
	s_or_b64 exec, exec, s[4:5]
	s_and_b64 s[36:37], s[0:1], exec
                                        ; implicit-def: $vgpr46_vgpr47
                                        ; implicit-def: $vgpr44_vgpr45
                                        ; implicit-def: $vgpr42_vgpr43
                                        ; implicit-def: $vgpr40_vgpr41
                                        ; implicit-def: $vgpr38_vgpr39
                                        ; implicit-def: $vgpr36_vgpr37
                                        ; implicit-def: $vgpr34_vgpr35
                                        ; implicit-def: $vgpr32_vgpr33
                                        ; implicit-def: $vgpr30_vgpr31
                                        ; implicit-def: $vgpr28_vgpr29
                                        ; implicit-def: $vgpr26_vgpr27
                                        ; implicit-def: $vgpr24_vgpr25
                                        ; implicit-def: $vgpr22_vgpr23
                                        ; implicit-def: $vgpr20_vgpr21
	s_andn2_saveexec_b64 s[0:1], s[34:35]
	s_cbranch_execz .LBB954_140
.LBB954_218:
	v_sub_u32_e32 v3, v46, v2
	v_lshlrev_b32_e32 v3, 2, v3
	ds_write_b32 v3, v47
	v_sub_u32_e32 v3, v44, v2
	v_lshlrev_b32_e32 v3, 2, v3
	ds_write_b32 v3, v45
	;; [unrolled: 3-line block ×13, first 2 shown]
	v_sub_u32_e32 v3, v20, v2
	v_lshlrev_b32_e32 v3, 2, v3
	s_or_b64 s[36:37], s[36:37], exec
	ds_write_b32 v3, v21
	s_or_b64 exec, exec, s[0:1]
	s_and_b64 exec, exec, s[36:37]
	s_cbranch_execnz .LBB954_141
	s_branch .LBB954_142
.LBB954_219:
	v_sub_u32_e32 v50, v46, v8
	v_mov_b32_e32 v51, 0
	v_lshlrev_b64 v[50:51], 1, v[50:51]
	v_add_co_u32_e32 v50, vcc, v7, v50
	v_addc_co_u32_e32 v51, vcc, v17, v51, vcc
	global_store_short v[50:51], v1, off
	s_or_b64 exec, exec, s[38:39]
	s_and_saveexec_b64 s[38:39], s[28:29]
	s_cbranch_execz .LBB954_153
.LBB954_220:
	v_sub_u32_e32 v50, v44, v8
	v_mov_b32_e32 v51, 0
	v_lshlrev_b64 v[50:51], 1, v[50:51]
	v_add_co_u32_e32 v50, vcc, v7, v50
	v_addc_co_u32_e32 v51, vcc, v17, v51, vcc
	global_store_short v[50:51], v2, off
	s_or_b64 exec, exec, s[38:39]
	s_and_saveexec_b64 s[38:39], s[26:27]
	s_cbranch_execz .LBB954_154
.LBB954_221:
	v_sub_u32_e32 v50, v42, v8
	v_mov_b32_e32 v51, 0
	v_lshlrev_b64 v[50:51], 1, v[50:51]
	v_add_co_u32_e32 v50, vcc, v7, v50
	v_addc_co_u32_e32 v51, vcc, v17, v51, vcc
	global_store_short_d16_hi v[50:51], v2, off
	s_or_b64 exec, exec, s[38:39]
	s_and_saveexec_b64 s[38:39], s[24:25]
	s_cbranch_execz .LBB954_155
.LBB954_222:
	v_sub_u32_e32 v50, v40, v8
	v_mov_b32_e32 v51, 0
	v_lshlrev_b64 v[50:51], 1, v[50:51]
	v_add_co_u32_e32 v50, vcc, v7, v50
	v_addc_co_u32_e32 v51, vcc, v17, v51, vcc
	global_store_short v[50:51], v3, off
	s_or_b64 exec, exec, s[38:39]
	s_and_saveexec_b64 s[38:39], s[22:23]
	s_cbranch_execz .LBB954_156
.LBB954_223:
	v_sub_u32_e32 v50, v38, v8
	v_mov_b32_e32 v51, 0
	v_lshlrev_b64 v[50:51], 1, v[50:51]
	v_add_co_u32_e32 v50, vcc, v7, v50
	v_addc_co_u32_e32 v51, vcc, v17, v51, vcc
	global_store_short_d16_hi v[50:51], v3, off
	s_or_b64 exec, exec, s[38:39]
	s_and_saveexec_b64 s[38:39], s[20:21]
	s_cbranch_execz .LBB954_157
.LBB954_224:
	v_sub_u32_e32 v50, v36, v8
	v_mov_b32_e32 v51, 0
	v_lshlrev_b64 v[50:51], 1, v[50:51]
	v_add_co_u32_e32 v50, vcc, v7, v50
	v_addc_co_u32_e32 v51, vcc, v17, v51, vcc
	global_store_short v[50:51], v4, off
	s_or_b64 exec, exec, s[38:39]
	s_and_saveexec_b64 s[38:39], s[18:19]
	s_cbranch_execz .LBB954_158
.LBB954_225:
	v_sub_u32_e32 v50, v34, v8
	v_mov_b32_e32 v51, 0
	v_lshlrev_b64 v[50:51], 1, v[50:51]
	v_add_co_u32_e32 v50, vcc, v7, v50
	v_addc_co_u32_e32 v51, vcc, v17, v51, vcc
	global_store_short_d16_hi v[50:51], v4, off
	s_or_b64 exec, exec, s[38:39]
	s_and_saveexec_b64 s[38:39], s[16:17]
	s_cbranch_execz .LBB954_159
.LBB954_226:
	v_sub_u32_e32 v50, v32, v8
	v_mov_b32_e32 v51, 0
	v_lshlrev_b64 v[50:51], 1, v[50:51]
	v_add_co_u32_e32 v50, vcc, v7, v50
	v_addc_co_u32_e32 v51, vcc, v17, v51, vcc
	global_store_short v[50:51], v5, off
	s_or_b64 exec, exec, s[38:39]
	s_and_saveexec_b64 s[38:39], s[14:15]
	s_cbranch_execz .LBB954_160
.LBB954_227:
	v_sub_u32_e32 v50, v30, v8
	v_mov_b32_e32 v51, 0
	v_lshlrev_b64 v[50:51], 1, v[50:51]
	v_add_co_u32_e32 v50, vcc, v7, v50
	v_addc_co_u32_e32 v51, vcc, v17, v51, vcc
	global_store_short_d16_hi v[50:51], v5, off
	s_or_b64 exec, exec, s[38:39]
	s_and_saveexec_b64 s[38:39], s[12:13]
	s_cbranch_execz .LBB954_161
.LBB954_228:
	v_sub_u32_e32 v50, v28, v8
	v_mov_b32_e32 v51, 0
	v_lshlrev_b64 v[50:51], 1, v[50:51]
	v_add_co_u32_e32 v50, vcc, v7, v50
	v_addc_co_u32_e32 v51, vcc, v17, v51, vcc
	global_store_short v[50:51], v12, off
	s_or_b64 exec, exec, s[38:39]
	s_and_saveexec_b64 s[38:39], s[10:11]
	s_cbranch_execz .LBB954_162
.LBB954_229:
	v_sub_u32_e32 v50, v26, v8
	v_mov_b32_e32 v51, 0
	v_lshlrev_b64 v[50:51], 1, v[50:51]
	v_add_co_u32_e32 v50, vcc, v7, v50
	v_addc_co_u32_e32 v51, vcc, v17, v51, vcc
	global_store_short_d16_hi v[50:51], v12, off
	s_or_b64 exec, exec, s[38:39]
	s_and_saveexec_b64 s[38:39], s[8:9]
	s_cbranch_execz .LBB954_163
.LBB954_230:
	v_sub_u32_e32 v50, v24, v8
	v_mov_b32_e32 v51, 0
	v_lshlrev_b64 v[50:51], 1, v[50:51]
	v_add_co_u32_e32 v50, vcc, v7, v50
	v_addc_co_u32_e32 v51, vcc, v17, v51, vcc
	global_store_short v[50:51], v13, off
	s_or_b64 exec, exec, s[38:39]
	s_and_saveexec_b64 s[38:39], s[6:7]
	s_cbranch_execz .LBB954_164
.LBB954_231:
	v_sub_u32_e32 v50, v22, v8
	v_mov_b32_e32 v51, 0
	v_lshlrev_b64 v[50:51], 1, v[50:51]
	v_add_co_u32_e32 v50, vcc, v7, v50
	v_addc_co_u32_e32 v51, vcc, v17, v51, vcc
	global_store_short_d16_hi v[50:51], v13, off
	s_or_b64 exec, exec, s[38:39]
	s_and_saveexec_b64 s[38:39], s[4:5]
	s_cbranch_execnz .LBB954_165
	s_branch .LBB954_166
.LBB954_232:
	v_sub_u32_e32 v10, v46, v8
	v_lshlrev_b32_e32 v10, 1, v10
	ds_write_b16 v10, v1
	s_or_b64 exec, exec, s[38:39]
	s_and_saveexec_b64 s[30:31], s[28:29]
	s_cbranch_execz .LBB954_170
.LBB954_233:
	v_sub_u32_e32 v1, v44, v8
	v_lshlrev_b32_e32 v1, 1, v1
	ds_write_b16 v1, v2
	s_or_b64 exec, exec, s[30:31]
	s_and_saveexec_b64 s[28:29], s[26:27]
	s_cbranch_execz .LBB954_171
.LBB954_234:
	v_sub_u32_e32 v1, v42, v8
	v_lshlrev_b32_e32 v1, 1, v1
	ds_write_b16_d16_hi v1, v2
	s_or_b64 exec, exec, s[28:29]
	s_and_saveexec_b64 s[26:27], s[24:25]
	s_cbranch_execz .LBB954_172
.LBB954_235:
	v_sub_u32_e32 v1, v40, v8
	v_lshlrev_b32_e32 v1, 1, v1
	ds_write_b16 v1, v3
	s_or_b64 exec, exec, s[26:27]
	s_and_saveexec_b64 s[24:25], s[22:23]
	s_cbranch_execz .LBB954_173
.LBB954_236:
	v_sub_u32_e32 v1, v38, v8
	v_lshlrev_b32_e32 v1, 1, v1
	ds_write_b16_d16_hi v1, v3
	s_or_b64 exec, exec, s[24:25]
	s_and_saveexec_b64 s[22:23], s[20:21]
	s_cbranch_execz .LBB954_174
.LBB954_237:
	v_sub_u32_e32 v1, v36, v8
	v_lshlrev_b32_e32 v1, 1, v1
	ds_write_b16 v1, v4
	s_or_b64 exec, exec, s[22:23]
	s_and_saveexec_b64 s[20:21], s[18:19]
	s_cbranch_execz .LBB954_175
.LBB954_238:
	v_sub_u32_e32 v1, v34, v8
	v_lshlrev_b32_e32 v1, 1, v1
	ds_write_b16_d16_hi v1, v4
	s_or_b64 exec, exec, s[20:21]
	s_and_saveexec_b64 s[18:19], s[16:17]
	s_cbranch_execz .LBB954_176
.LBB954_239:
	v_sub_u32_e32 v1, v32, v8
	v_lshlrev_b32_e32 v1, 1, v1
	ds_write_b16 v1, v5
	s_or_b64 exec, exec, s[18:19]
	s_and_saveexec_b64 s[16:17], s[14:15]
	s_cbranch_execz .LBB954_177
.LBB954_240:
	v_sub_u32_e32 v1, v30, v8
	v_lshlrev_b32_e32 v1, 1, v1
	ds_write_b16_d16_hi v1, v5
	s_or_b64 exec, exec, s[16:17]
	s_and_saveexec_b64 s[14:15], s[12:13]
	s_cbranch_execz .LBB954_178
.LBB954_241:
	v_sub_u32_e32 v1, v28, v8
	v_lshlrev_b32_e32 v1, 1, v1
	ds_write_b16 v1, v12
	s_or_b64 exec, exec, s[14:15]
	s_and_saveexec_b64 s[12:13], s[10:11]
	s_cbranch_execz .LBB954_179
.LBB954_242:
	v_sub_u32_e32 v1, v26, v8
	v_lshlrev_b32_e32 v1, 1, v1
	ds_write_b16_d16_hi v1, v12
	s_or_b64 exec, exec, s[12:13]
	s_and_saveexec_b64 s[10:11], s[8:9]
	s_cbranch_execz .LBB954_180
.LBB954_243:
	v_sub_u32_e32 v1, v24, v8
	v_lshlrev_b32_e32 v1, 1, v1
	ds_write_b16 v1, v13
	s_or_b64 exec, exec, s[10:11]
	s_and_saveexec_b64 s[8:9], s[6:7]
	s_cbranch_execz .LBB954_181
.LBB954_244:
	v_sub_u32_e32 v1, v22, v8
	v_lshlrev_b32_e32 v1, 1, v1
	ds_write_b16_d16_hi v1, v13
	s_or_b64 exec, exec, s[8:9]
	s_and_saveexec_b64 s[6:7], s[4:5]
	s_cbranch_execnz .LBB954_182
	s_branch .LBB954_183
.LBB954_245:
	v_sub_u32_e32 v10, v46, v2
	v_mov_b32_e32 v11, 0
	v_lshlrev_b64 v[12:13], 3, v[10:11]
	v_add_co_u32_e32 v12, vcc, v7, v12
	v_addc_co_u32_e32 v13, vcc, v9, v13, vcc
	v_mov_b32_e32 v10, v47
	global_store_dwordx2 v[12:13], v[10:11], off
	s_or_b64 exec, exec, s[36:37]
	s_and_saveexec_b64 s[36:37], s[26:27]
	s_cbranch_execz .LBB954_187
.LBB954_246:
	v_sub_u32_e32 v10, v44, v2
	v_mov_b32_e32 v11, 0
	v_lshlrev_b64 v[12:13], 3, v[10:11]
	v_add_co_u32_e32 v12, vcc, v7, v12
	v_addc_co_u32_e32 v13, vcc, v9, v13, vcc
	v_mov_b32_e32 v10, v45
	global_store_dwordx2 v[12:13], v[10:11], off
	s_or_b64 exec, exec, s[36:37]
	s_and_saveexec_b64 s[36:37], s[24:25]
	s_cbranch_execz .LBB954_188
.LBB954_247:
	v_sub_u32_e32 v10, v42, v2
	v_mov_b32_e32 v11, 0
	v_lshlrev_b64 v[12:13], 3, v[10:11]
	v_add_co_u32_e32 v12, vcc, v7, v12
	v_addc_co_u32_e32 v13, vcc, v9, v13, vcc
	v_mov_b32_e32 v10, v43
	global_store_dwordx2 v[12:13], v[10:11], off
	s_or_b64 exec, exec, s[36:37]
	s_and_saveexec_b64 s[36:37], s[22:23]
	s_cbranch_execz .LBB954_189
.LBB954_248:
	v_sub_u32_e32 v10, v40, v2
	v_mov_b32_e32 v11, 0
	v_lshlrev_b64 v[12:13], 3, v[10:11]
	v_add_co_u32_e32 v12, vcc, v7, v12
	v_addc_co_u32_e32 v13, vcc, v9, v13, vcc
	v_mov_b32_e32 v10, v41
	global_store_dwordx2 v[12:13], v[10:11], off
	s_or_b64 exec, exec, s[36:37]
	s_and_saveexec_b64 s[36:37], s[20:21]
	s_cbranch_execz .LBB954_190
.LBB954_249:
	v_sub_u32_e32 v10, v38, v2
	v_mov_b32_e32 v11, 0
	v_lshlrev_b64 v[12:13], 3, v[10:11]
	v_add_co_u32_e32 v12, vcc, v7, v12
	v_addc_co_u32_e32 v13, vcc, v9, v13, vcc
	v_mov_b32_e32 v10, v39
	global_store_dwordx2 v[12:13], v[10:11], off
	s_or_b64 exec, exec, s[36:37]
	s_and_saveexec_b64 s[36:37], s[18:19]
	s_cbranch_execz .LBB954_191
.LBB954_250:
	v_sub_u32_e32 v10, v36, v2
	v_mov_b32_e32 v11, 0
	v_lshlrev_b64 v[12:13], 3, v[10:11]
	v_add_co_u32_e32 v12, vcc, v7, v12
	v_addc_co_u32_e32 v13, vcc, v9, v13, vcc
	v_mov_b32_e32 v10, v37
	global_store_dwordx2 v[12:13], v[10:11], off
	s_or_b64 exec, exec, s[36:37]
	s_and_saveexec_b64 s[36:37], s[16:17]
	s_cbranch_execz .LBB954_192
.LBB954_251:
	v_sub_u32_e32 v10, v34, v2
	v_mov_b32_e32 v11, 0
	v_lshlrev_b64 v[12:13], 3, v[10:11]
	v_add_co_u32_e32 v12, vcc, v7, v12
	v_addc_co_u32_e32 v13, vcc, v9, v13, vcc
	v_mov_b32_e32 v10, v35
	global_store_dwordx2 v[12:13], v[10:11], off
	s_or_b64 exec, exec, s[36:37]
	s_and_saveexec_b64 s[36:37], s[14:15]
	s_cbranch_execz .LBB954_193
.LBB954_252:
	v_sub_u32_e32 v10, v32, v2
	v_mov_b32_e32 v11, 0
	v_lshlrev_b64 v[12:13], 3, v[10:11]
	v_add_co_u32_e32 v12, vcc, v7, v12
	v_addc_co_u32_e32 v13, vcc, v9, v13, vcc
	v_mov_b32_e32 v10, v33
	global_store_dwordx2 v[12:13], v[10:11], off
	s_or_b64 exec, exec, s[36:37]
	s_and_saveexec_b64 s[36:37], s[12:13]
	s_cbranch_execz .LBB954_194
.LBB954_253:
	v_sub_u32_e32 v10, v30, v2
	v_mov_b32_e32 v11, 0
	v_lshlrev_b64 v[12:13], 3, v[10:11]
	v_add_co_u32_e32 v12, vcc, v7, v12
	v_addc_co_u32_e32 v13, vcc, v9, v13, vcc
	v_mov_b32_e32 v10, v31
	global_store_dwordx2 v[12:13], v[10:11], off
	s_or_b64 exec, exec, s[36:37]
	s_and_saveexec_b64 s[36:37], s[10:11]
	s_cbranch_execz .LBB954_195
.LBB954_254:
	v_sub_u32_e32 v10, v28, v2
	v_mov_b32_e32 v11, 0
	v_lshlrev_b64 v[12:13], 3, v[10:11]
	v_add_co_u32_e32 v12, vcc, v7, v12
	v_addc_co_u32_e32 v13, vcc, v9, v13, vcc
	v_mov_b32_e32 v10, v29
	global_store_dwordx2 v[12:13], v[10:11], off
	s_or_b64 exec, exec, s[36:37]
	s_and_saveexec_b64 s[36:37], s[8:9]
	s_cbranch_execz .LBB954_196
.LBB954_255:
	v_sub_u32_e32 v10, v26, v2
	v_mov_b32_e32 v11, 0
	v_lshlrev_b64 v[12:13], 3, v[10:11]
	v_add_co_u32_e32 v12, vcc, v7, v12
	v_addc_co_u32_e32 v13, vcc, v9, v13, vcc
	v_mov_b32_e32 v10, v27
	global_store_dwordx2 v[12:13], v[10:11], off
	s_or_b64 exec, exec, s[36:37]
	s_and_saveexec_b64 s[36:37], s[6:7]
	s_cbranch_execz .LBB954_197
.LBB954_256:
	v_sub_u32_e32 v10, v24, v2
	v_mov_b32_e32 v11, 0
	v_lshlrev_b64 v[12:13], 3, v[10:11]
	v_add_co_u32_e32 v12, vcc, v7, v12
	v_addc_co_u32_e32 v13, vcc, v9, v13, vcc
	v_mov_b32_e32 v10, v25
	global_store_dwordx2 v[12:13], v[10:11], off
	s_or_b64 exec, exec, s[36:37]
	s_and_saveexec_b64 s[36:37], s[4:5]
	s_cbranch_execz .LBB954_198
.LBB954_257:
	v_sub_u32_e32 v10, v22, v2
	v_mov_b32_e32 v11, 0
	v_lshlrev_b64 v[12:13], 3, v[10:11]
	v_add_co_u32_e32 v12, vcc, v7, v12
	v_addc_co_u32_e32 v13, vcc, v9, v13, vcc
	v_mov_b32_e32 v10, v23
	global_store_dwordx2 v[12:13], v[10:11], off
	s_or_b64 exec, exec, s[36:37]
	s_and_saveexec_b64 s[36:37], s[2:3]
	s_cbranch_execnz .LBB954_199
	s_branch .LBB954_200
.LBB954_258:
	v_sub_u32_e32 v3, v46, v2
	v_lshlrev_b32_e32 v3, 2, v3
	ds_write_b32 v3, v47
	s_or_b64 exec, exec, s[36:37]
	s_and_saveexec_b64 s[28:29], s[26:27]
	s_cbranch_execz .LBB954_204
.LBB954_259:
	v_sub_u32_e32 v3, v44, v2
	v_lshlrev_b32_e32 v3, 2, v3
	ds_write_b32 v3, v45
	s_or_b64 exec, exec, s[28:29]
	s_and_saveexec_b64 s[26:27], s[24:25]
	s_cbranch_execz .LBB954_205
.LBB954_260:
	v_sub_u32_e32 v3, v42, v2
	v_lshlrev_b32_e32 v3, 2, v3
	ds_write_b32 v3, v43
	s_or_b64 exec, exec, s[26:27]
	s_and_saveexec_b64 s[24:25], s[22:23]
	s_cbranch_execz .LBB954_206
.LBB954_261:
	v_sub_u32_e32 v3, v40, v2
	v_lshlrev_b32_e32 v3, 2, v3
	ds_write_b32 v3, v41
	s_or_b64 exec, exec, s[24:25]
	s_and_saveexec_b64 s[22:23], s[20:21]
	s_cbranch_execz .LBB954_207
.LBB954_262:
	v_sub_u32_e32 v3, v38, v2
	v_lshlrev_b32_e32 v3, 2, v3
	ds_write_b32 v3, v39
	s_or_b64 exec, exec, s[22:23]
	s_and_saveexec_b64 s[20:21], s[18:19]
	s_cbranch_execz .LBB954_208
.LBB954_263:
	v_sub_u32_e32 v3, v36, v2
	v_lshlrev_b32_e32 v3, 2, v3
	ds_write_b32 v3, v37
	s_or_b64 exec, exec, s[20:21]
	s_and_saveexec_b64 s[18:19], s[16:17]
	s_cbranch_execz .LBB954_209
.LBB954_264:
	v_sub_u32_e32 v3, v34, v2
	v_lshlrev_b32_e32 v3, 2, v3
	ds_write_b32 v3, v35
	s_or_b64 exec, exec, s[18:19]
	s_and_saveexec_b64 s[16:17], s[14:15]
	s_cbranch_execz .LBB954_210
.LBB954_265:
	v_sub_u32_e32 v3, v32, v2
	v_lshlrev_b32_e32 v3, 2, v3
	ds_write_b32 v3, v33
	s_or_b64 exec, exec, s[16:17]
	s_and_saveexec_b64 s[14:15], s[12:13]
	s_cbranch_execz .LBB954_211
.LBB954_266:
	v_sub_u32_e32 v3, v30, v2
	v_lshlrev_b32_e32 v3, 2, v3
	ds_write_b32 v3, v31
	s_or_b64 exec, exec, s[14:15]
	s_and_saveexec_b64 s[12:13], s[10:11]
	s_cbranch_execz .LBB954_212
.LBB954_267:
	v_sub_u32_e32 v3, v28, v2
	v_lshlrev_b32_e32 v3, 2, v3
	ds_write_b32 v3, v29
	s_or_b64 exec, exec, s[12:13]
	s_and_saveexec_b64 s[10:11], s[8:9]
	s_cbranch_execz .LBB954_213
.LBB954_268:
	v_sub_u32_e32 v3, v26, v2
	v_lshlrev_b32_e32 v3, 2, v3
	ds_write_b32 v3, v27
	s_or_b64 exec, exec, s[10:11]
	s_and_saveexec_b64 s[8:9], s[6:7]
	s_cbranch_execz .LBB954_214
.LBB954_269:
	v_sub_u32_e32 v3, v24, v2
	v_lshlrev_b32_e32 v3, 2, v3
	ds_write_b32 v3, v25
	s_or_b64 exec, exec, s[8:9]
	s_and_saveexec_b64 s[6:7], s[4:5]
	s_cbranch_execz .LBB954_215
.LBB954_270:
	v_sub_u32_e32 v3, v22, v2
	v_lshlrev_b32_e32 v3, 2, v3
	ds_write_b32 v3, v23
	s_or_b64 exec, exec, s[6:7]
	s_and_saveexec_b64 s[4:5], s[2:3]
	s_cbranch_execnz .LBB954_216
	s_branch .LBB954_217
	.section	.rodata,"a",@progbits
	.p2align	6, 0x0
	.amdhsa_kernel _ZN7rocprim17ROCPRIM_400000_NS6detail17trampoline_kernelINS0_14default_configENS1_33run_length_encode_config_selectorIN3c104HalfEjNS0_4plusIjEEEEZZNS1_33reduce_by_key_impl_wrapped_configILNS1_25lookback_scan_determinismE0ES3_S9_PKS6_NS0_17constant_iteratorIjlEEPS6_PlSH_S8_NS0_8equal_toIS6_EEEE10hipError_tPvRmT2_T3_mT4_T5_T6_T7_T8_P12ihipStream_tbENKUlT_T0_E_clISt17integral_constantIbLb0EES10_IbLb1EEEEDaSW_SX_EUlSW_E_NS1_11comp_targetILNS1_3genE4ELNS1_11target_archE910ELNS1_3gpuE8ELNS1_3repE0EEENS1_30default_config_static_selectorELNS0_4arch9wavefront6targetE1EEEvT1_
		.amdhsa_group_segment_fixed_size 15360
		.amdhsa_private_segment_fixed_size 0
		.amdhsa_kernarg_size 128
		.amdhsa_user_sgpr_count 6
		.amdhsa_user_sgpr_private_segment_buffer 1
		.amdhsa_user_sgpr_dispatch_ptr 0
		.amdhsa_user_sgpr_queue_ptr 0
		.amdhsa_user_sgpr_kernarg_segment_ptr 1
		.amdhsa_user_sgpr_dispatch_id 0
		.amdhsa_user_sgpr_flat_scratch_init 0
		.amdhsa_user_sgpr_kernarg_preload_length 0
		.amdhsa_user_sgpr_kernarg_preload_offset 0
		.amdhsa_user_sgpr_private_segment_size 0
		.amdhsa_uses_dynamic_stack 0
		.amdhsa_system_sgpr_private_segment_wavefront_offset 0
		.amdhsa_system_sgpr_workgroup_id_x 1
		.amdhsa_system_sgpr_workgroup_id_y 0
		.amdhsa_system_sgpr_workgroup_id_z 0
		.amdhsa_system_sgpr_workgroup_info 0
		.amdhsa_system_vgpr_workitem_id 0
		.amdhsa_next_free_vgpr 109
		.amdhsa_next_free_sgpr 66
		.amdhsa_accum_offset 112
		.amdhsa_reserve_vcc 1
		.amdhsa_reserve_flat_scratch 0
		.amdhsa_float_round_mode_32 0
		.amdhsa_float_round_mode_16_64 0
		.amdhsa_float_denorm_mode_32 3
		.amdhsa_float_denorm_mode_16_64 3
		.amdhsa_dx10_clamp 1
		.amdhsa_ieee_mode 1
		.amdhsa_fp16_overflow 0
		.amdhsa_tg_split 0
		.amdhsa_exception_fp_ieee_invalid_op 0
		.amdhsa_exception_fp_denorm_src 0
		.amdhsa_exception_fp_ieee_div_zero 0
		.amdhsa_exception_fp_ieee_overflow 0
		.amdhsa_exception_fp_ieee_underflow 0
		.amdhsa_exception_fp_ieee_inexact 0
		.amdhsa_exception_int_div_zero 0
	.end_amdhsa_kernel
	.section	.text._ZN7rocprim17ROCPRIM_400000_NS6detail17trampoline_kernelINS0_14default_configENS1_33run_length_encode_config_selectorIN3c104HalfEjNS0_4plusIjEEEEZZNS1_33reduce_by_key_impl_wrapped_configILNS1_25lookback_scan_determinismE0ES3_S9_PKS6_NS0_17constant_iteratorIjlEEPS6_PlSH_S8_NS0_8equal_toIS6_EEEE10hipError_tPvRmT2_T3_mT4_T5_T6_T7_T8_P12ihipStream_tbENKUlT_T0_E_clISt17integral_constantIbLb0EES10_IbLb1EEEEDaSW_SX_EUlSW_E_NS1_11comp_targetILNS1_3genE4ELNS1_11target_archE910ELNS1_3gpuE8ELNS1_3repE0EEENS1_30default_config_static_selectorELNS0_4arch9wavefront6targetE1EEEvT1_,"axG",@progbits,_ZN7rocprim17ROCPRIM_400000_NS6detail17trampoline_kernelINS0_14default_configENS1_33run_length_encode_config_selectorIN3c104HalfEjNS0_4plusIjEEEEZZNS1_33reduce_by_key_impl_wrapped_configILNS1_25lookback_scan_determinismE0ES3_S9_PKS6_NS0_17constant_iteratorIjlEEPS6_PlSH_S8_NS0_8equal_toIS6_EEEE10hipError_tPvRmT2_T3_mT4_T5_T6_T7_T8_P12ihipStream_tbENKUlT_T0_E_clISt17integral_constantIbLb0EES10_IbLb1EEEEDaSW_SX_EUlSW_E_NS1_11comp_targetILNS1_3genE4ELNS1_11target_archE910ELNS1_3gpuE8ELNS1_3repE0EEENS1_30default_config_static_selectorELNS0_4arch9wavefront6targetE1EEEvT1_,comdat
.Lfunc_end954:
	.size	_ZN7rocprim17ROCPRIM_400000_NS6detail17trampoline_kernelINS0_14default_configENS1_33run_length_encode_config_selectorIN3c104HalfEjNS0_4plusIjEEEEZZNS1_33reduce_by_key_impl_wrapped_configILNS1_25lookback_scan_determinismE0ES3_S9_PKS6_NS0_17constant_iteratorIjlEEPS6_PlSH_S8_NS0_8equal_toIS6_EEEE10hipError_tPvRmT2_T3_mT4_T5_T6_T7_T8_P12ihipStream_tbENKUlT_T0_E_clISt17integral_constantIbLb0EES10_IbLb1EEEEDaSW_SX_EUlSW_E_NS1_11comp_targetILNS1_3genE4ELNS1_11target_archE910ELNS1_3gpuE8ELNS1_3repE0EEENS1_30default_config_static_selectorELNS0_4arch9wavefront6targetE1EEEvT1_, .Lfunc_end954-_ZN7rocprim17ROCPRIM_400000_NS6detail17trampoline_kernelINS0_14default_configENS1_33run_length_encode_config_selectorIN3c104HalfEjNS0_4plusIjEEEEZZNS1_33reduce_by_key_impl_wrapped_configILNS1_25lookback_scan_determinismE0ES3_S9_PKS6_NS0_17constant_iteratorIjlEEPS6_PlSH_S8_NS0_8equal_toIS6_EEEE10hipError_tPvRmT2_T3_mT4_T5_T6_T7_T8_P12ihipStream_tbENKUlT_T0_E_clISt17integral_constantIbLb0EES10_IbLb1EEEEDaSW_SX_EUlSW_E_NS1_11comp_targetILNS1_3genE4ELNS1_11target_archE910ELNS1_3gpuE8ELNS1_3repE0EEENS1_30default_config_static_selectorELNS0_4arch9wavefront6targetE1EEEvT1_
                                        ; -- End function
	.section	.AMDGPU.csdata,"",@progbits
; Kernel info:
; codeLenInByte = 15872
; NumSgprs: 70
; NumVgprs: 109
; NumAgprs: 0
; TotalNumVgprs: 109
; ScratchSize: 0
; MemoryBound: 0
; FloatMode: 240
; IeeeMode: 1
; LDSByteSize: 15360 bytes/workgroup (compile time only)
; SGPRBlocks: 8
; VGPRBlocks: 13
; NumSGPRsForWavesPerEU: 70
; NumVGPRsForWavesPerEU: 109
; AccumOffset: 112
; Occupancy: 4
; WaveLimiterHint : 1
; COMPUTE_PGM_RSRC2:SCRATCH_EN: 0
; COMPUTE_PGM_RSRC2:USER_SGPR: 6
; COMPUTE_PGM_RSRC2:TRAP_HANDLER: 0
; COMPUTE_PGM_RSRC2:TGID_X_EN: 1
; COMPUTE_PGM_RSRC2:TGID_Y_EN: 0
; COMPUTE_PGM_RSRC2:TGID_Z_EN: 0
; COMPUTE_PGM_RSRC2:TIDIG_COMP_CNT: 0
; COMPUTE_PGM_RSRC3_GFX90A:ACCUM_OFFSET: 27
; COMPUTE_PGM_RSRC3_GFX90A:TG_SPLIT: 0
	.section	.text._ZN7rocprim17ROCPRIM_400000_NS6detail17trampoline_kernelINS0_14default_configENS1_33run_length_encode_config_selectorIN3c104HalfEjNS0_4plusIjEEEEZZNS1_33reduce_by_key_impl_wrapped_configILNS1_25lookback_scan_determinismE0ES3_S9_PKS6_NS0_17constant_iteratorIjlEEPS6_PlSH_S8_NS0_8equal_toIS6_EEEE10hipError_tPvRmT2_T3_mT4_T5_T6_T7_T8_P12ihipStream_tbENKUlT_T0_E_clISt17integral_constantIbLb0EES10_IbLb1EEEEDaSW_SX_EUlSW_E_NS1_11comp_targetILNS1_3genE3ELNS1_11target_archE908ELNS1_3gpuE7ELNS1_3repE0EEENS1_30default_config_static_selectorELNS0_4arch9wavefront6targetE1EEEvT1_,"axG",@progbits,_ZN7rocprim17ROCPRIM_400000_NS6detail17trampoline_kernelINS0_14default_configENS1_33run_length_encode_config_selectorIN3c104HalfEjNS0_4plusIjEEEEZZNS1_33reduce_by_key_impl_wrapped_configILNS1_25lookback_scan_determinismE0ES3_S9_PKS6_NS0_17constant_iteratorIjlEEPS6_PlSH_S8_NS0_8equal_toIS6_EEEE10hipError_tPvRmT2_T3_mT4_T5_T6_T7_T8_P12ihipStream_tbENKUlT_T0_E_clISt17integral_constantIbLb0EES10_IbLb1EEEEDaSW_SX_EUlSW_E_NS1_11comp_targetILNS1_3genE3ELNS1_11target_archE908ELNS1_3gpuE7ELNS1_3repE0EEENS1_30default_config_static_selectorELNS0_4arch9wavefront6targetE1EEEvT1_,comdat
	.protected	_ZN7rocprim17ROCPRIM_400000_NS6detail17trampoline_kernelINS0_14default_configENS1_33run_length_encode_config_selectorIN3c104HalfEjNS0_4plusIjEEEEZZNS1_33reduce_by_key_impl_wrapped_configILNS1_25lookback_scan_determinismE0ES3_S9_PKS6_NS0_17constant_iteratorIjlEEPS6_PlSH_S8_NS0_8equal_toIS6_EEEE10hipError_tPvRmT2_T3_mT4_T5_T6_T7_T8_P12ihipStream_tbENKUlT_T0_E_clISt17integral_constantIbLb0EES10_IbLb1EEEEDaSW_SX_EUlSW_E_NS1_11comp_targetILNS1_3genE3ELNS1_11target_archE908ELNS1_3gpuE7ELNS1_3repE0EEENS1_30default_config_static_selectorELNS0_4arch9wavefront6targetE1EEEvT1_ ; -- Begin function _ZN7rocprim17ROCPRIM_400000_NS6detail17trampoline_kernelINS0_14default_configENS1_33run_length_encode_config_selectorIN3c104HalfEjNS0_4plusIjEEEEZZNS1_33reduce_by_key_impl_wrapped_configILNS1_25lookback_scan_determinismE0ES3_S9_PKS6_NS0_17constant_iteratorIjlEEPS6_PlSH_S8_NS0_8equal_toIS6_EEEE10hipError_tPvRmT2_T3_mT4_T5_T6_T7_T8_P12ihipStream_tbENKUlT_T0_E_clISt17integral_constantIbLb0EES10_IbLb1EEEEDaSW_SX_EUlSW_E_NS1_11comp_targetILNS1_3genE3ELNS1_11target_archE908ELNS1_3gpuE7ELNS1_3repE0EEENS1_30default_config_static_selectorELNS0_4arch9wavefront6targetE1EEEvT1_
	.globl	_ZN7rocprim17ROCPRIM_400000_NS6detail17trampoline_kernelINS0_14default_configENS1_33run_length_encode_config_selectorIN3c104HalfEjNS0_4plusIjEEEEZZNS1_33reduce_by_key_impl_wrapped_configILNS1_25lookback_scan_determinismE0ES3_S9_PKS6_NS0_17constant_iteratorIjlEEPS6_PlSH_S8_NS0_8equal_toIS6_EEEE10hipError_tPvRmT2_T3_mT4_T5_T6_T7_T8_P12ihipStream_tbENKUlT_T0_E_clISt17integral_constantIbLb0EES10_IbLb1EEEEDaSW_SX_EUlSW_E_NS1_11comp_targetILNS1_3genE3ELNS1_11target_archE908ELNS1_3gpuE7ELNS1_3repE0EEENS1_30default_config_static_selectorELNS0_4arch9wavefront6targetE1EEEvT1_
	.p2align	8
	.type	_ZN7rocprim17ROCPRIM_400000_NS6detail17trampoline_kernelINS0_14default_configENS1_33run_length_encode_config_selectorIN3c104HalfEjNS0_4plusIjEEEEZZNS1_33reduce_by_key_impl_wrapped_configILNS1_25lookback_scan_determinismE0ES3_S9_PKS6_NS0_17constant_iteratorIjlEEPS6_PlSH_S8_NS0_8equal_toIS6_EEEE10hipError_tPvRmT2_T3_mT4_T5_T6_T7_T8_P12ihipStream_tbENKUlT_T0_E_clISt17integral_constantIbLb0EES10_IbLb1EEEEDaSW_SX_EUlSW_E_NS1_11comp_targetILNS1_3genE3ELNS1_11target_archE908ELNS1_3gpuE7ELNS1_3repE0EEENS1_30default_config_static_selectorELNS0_4arch9wavefront6targetE1EEEvT1_,@function
_ZN7rocprim17ROCPRIM_400000_NS6detail17trampoline_kernelINS0_14default_configENS1_33run_length_encode_config_selectorIN3c104HalfEjNS0_4plusIjEEEEZZNS1_33reduce_by_key_impl_wrapped_configILNS1_25lookback_scan_determinismE0ES3_S9_PKS6_NS0_17constant_iteratorIjlEEPS6_PlSH_S8_NS0_8equal_toIS6_EEEE10hipError_tPvRmT2_T3_mT4_T5_T6_T7_T8_P12ihipStream_tbENKUlT_T0_E_clISt17integral_constantIbLb0EES10_IbLb1EEEEDaSW_SX_EUlSW_E_NS1_11comp_targetILNS1_3genE3ELNS1_11target_archE908ELNS1_3gpuE7ELNS1_3repE0EEENS1_30default_config_static_selectorELNS0_4arch9wavefront6targetE1EEEvT1_: ; @_ZN7rocprim17ROCPRIM_400000_NS6detail17trampoline_kernelINS0_14default_configENS1_33run_length_encode_config_selectorIN3c104HalfEjNS0_4plusIjEEEEZZNS1_33reduce_by_key_impl_wrapped_configILNS1_25lookback_scan_determinismE0ES3_S9_PKS6_NS0_17constant_iteratorIjlEEPS6_PlSH_S8_NS0_8equal_toIS6_EEEE10hipError_tPvRmT2_T3_mT4_T5_T6_T7_T8_P12ihipStream_tbENKUlT_T0_E_clISt17integral_constantIbLb0EES10_IbLb1EEEEDaSW_SX_EUlSW_E_NS1_11comp_targetILNS1_3genE3ELNS1_11target_archE908ELNS1_3gpuE7ELNS1_3repE0EEENS1_30default_config_static_selectorELNS0_4arch9wavefront6targetE1EEEvT1_
; %bb.0:
	.section	.rodata,"a",@progbits
	.p2align	6, 0x0
	.amdhsa_kernel _ZN7rocprim17ROCPRIM_400000_NS6detail17trampoline_kernelINS0_14default_configENS1_33run_length_encode_config_selectorIN3c104HalfEjNS0_4plusIjEEEEZZNS1_33reduce_by_key_impl_wrapped_configILNS1_25lookback_scan_determinismE0ES3_S9_PKS6_NS0_17constant_iteratorIjlEEPS6_PlSH_S8_NS0_8equal_toIS6_EEEE10hipError_tPvRmT2_T3_mT4_T5_T6_T7_T8_P12ihipStream_tbENKUlT_T0_E_clISt17integral_constantIbLb0EES10_IbLb1EEEEDaSW_SX_EUlSW_E_NS1_11comp_targetILNS1_3genE3ELNS1_11target_archE908ELNS1_3gpuE7ELNS1_3repE0EEENS1_30default_config_static_selectorELNS0_4arch9wavefront6targetE1EEEvT1_
		.amdhsa_group_segment_fixed_size 0
		.amdhsa_private_segment_fixed_size 0
		.amdhsa_kernarg_size 128
		.amdhsa_user_sgpr_count 6
		.amdhsa_user_sgpr_private_segment_buffer 1
		.amdhsa_user_sgpr_dispatch_ptr 0
		.amdhsa_user_sgpr_queue_ptr 0
		.amdhsa_user_sgpr_kernarg_segment_ptr 1
		.amdhsa_user_sgpr_dispatch_id 0
		.amdhsa_user_sgpr_flat_scratch_init 0
		.amdhsa_user_sgpr_kernarg_preload_length 0
		.amdhsa_user_sgpr_kernarg_preload_offset 0
		.amdhsa_user_sgpr_private_segment_size 0
		.amdhsa_uses_dynamic_stack 0
		.amdhsa_system_sgpr_private_segment_wavefront_offset 0
		.amdhsa_system_sgpr_workgroup_id_x 1
		.amdhsa_system_sgpr_workgroup_id_y 0
		.amdhsa_system_sgpr_workgroup_id_z 0
		.amdhsa_system_sgpr_workgroup_info 0
		.amdhsa_system_vgpr_workitem_id 0
		.amdhsa_next_free_vgpr 1
		.amdhsa_next_free_sgpr 0
		.amdhsa_accum_offset 4
		.amdhsa_reserve_vcc 0
		.amdhsa_reserve_flat_scratch 0
		.amdhsa_float_round_mode_32 0
		.amdhsa_float_round_mode_16_64 0
		.amdhsa_float_denorm_mode_32 3
		.amdhsa_float_denorm_mode_16_64 3
		.amdhsa_dx10_clamp 1
		.amdhsa_ieee_mode 1
		.amdhsa_fp16_overflow 0
		.amdhsa_tg_split 0
		.amdhsa_exception_fp_ieee_invalid_op 0
		.amdhsa_exception_fp_denorm_src 0
		.amdhsa_exception_fp_ieee_div_zero 0
		.amdhsa_exception_fp_ieee_overflow 0
		.amdhsa_exception_fp_ieee_underflow 0
		.amdhsa_exception_fp_ieee_inexact 0
		.amdhsa_exception_int_div_zero 0
	.end_amdhsa_kernel
	.section	.text._ZN7rocprim17ROCPRIM_400000_NS6detail17trampoline_kernelINS0_14default_configENS1_33run_length_encode_config_selectorIN3c104HalfEjNS0_4plusIjEEEEZZNS1_33reduce_by_key_impl_wrapped_configILNS1_25lookback_scan_determinismE0ES3_S9_PKS6_NS0_17constant_iteratorIjlEEPS6_PlSH_S8_NS0_8equal_toIS6_EEEE10hipError_tPvRmT2_T3_mT4_T5_T6_T7_T8_P12ihipStream_tbENKUlT_T0_E_clISt17integral_constantIbLb0EES10_IbLb1EEEEDaSW_SX_EUlSW_E_NS1_11comp_targetILNS1_3genE3ELNS1_11target_archE908ELNS1_3gpuE7ELNS1_3repE0EEENS1_30default_config_static_selectorELNS0_4arch9wavefront6targetE1EEEvT1_,"axG",@progbits,_ZN7rocprim17ROCPRIM_400000_NS6detail17trampoline_kernelINS0_14default_configENS1_33run_length_encode_config_selectorIN3c104HalfEjNS0_4plusIjEEEEZZNS1_33reduce_by_key_impl_wrapped_configILNS1_25lookback_scan_determinismE0ES3_S9_PKS6_NS0_17constant_iteratorIjlEEPS6_PlSH_S8_NS0_8equal_toIS6_EEEE10hipError_tPvRmT2_T3_mT4_T5_T6_T7_T8_P12ihipStream_tbENKUlT_T0_E_clISt17integral_constantIbLb0EES10_IbLb1EEEEDaSW_SX_EUlSW_E_NS1_11comp_targetILNS1_3genE3ELNS1_11target_archE908ELNS1_3gpuE7ELNS1_3repE0EEENS1_30default_config_static_selectorELNS0_4arch9wavefront6targetE1EEEvT1_,comdat
.Lfunc_end955:
	.size	_ZN7rocprim17ROCPRIM_400000_NS6detail17trampoline_kernelINS0_14default_configENS1_33run_length_encode_config_selectorIN3c104HalfEjNS0_4plusIjEEEEZZNS1_33reduce_by_key_impl_wrapped_configILNS1_25lookback_scan_determinismE0ES3_S9_PKS6_NS0_17constant_iteratorIjlEEPS6_PlSH_S8_NS0_8equal_toIS6_EEEE10hipError_tPvRmT2_T3_mT4_T5_T6_T7_T8_P12ihipStream_tbENKUlT_T0_E_clISt17integral_constantIbLb0EES10_IbLb1EEEEDaSW_SX_EUlSW_E_NS1_11comp_targetILNS1_3genE3ELNS1_11target_archE908ELNS1_3gpuE7ELNS1_3repE0EEENS1_30default_config_static_selectorELNS0_4arch9wavefront6targetE1EEEvT1_, .Lfunc_end955-_ZN7rocprim17ROCPRIM_400000_NS6detail17trampoline_kernelINS0_14default_configENS1_33run_length_encode_config_selectorIN3c104HalfEjNS0_4plusIjEEEEZZNS1_33reduce_by_key_impl_wrapped_configILNS1_25lookback_scan_determinismE0ES3_S9_PKS6_NS0_17constant_iteratorIjlEEPS6_PlSH_S8_NS0_8equal_toIS6_EEEE10hipError_tPvRmT2_T3_mT4_T5_T6_T7_T8_P12ihipStream_tbENKUlT_T0_E_clISt17integral_constantIbLb0EES10_IbLb1EEEEDaSW_SX_EUlSW_E_NS1_11comp_targetILNS1_3genE3ELNS1_11target_archE908ELNS1_3gpuE7ELNS1_3repE0EEENS1_30default_config_static_selectorELNS0_4arch9wavefront6targetE1EEEvT1_
                                        ; -- End function
	.section	.AMDGPU.csdata,"",@progbits
; Kernel info:
; codeLenInByte = 0
; NumSgprs: 4
; NumVgprs: 0
; NumAgprs: 0
; TotalNumVgprs: 0
; ScratchSize: 0
; MemoryBound: 0
; FloatMode: 240
; IeeeMode: 1
; LDSByteSize: 0 bytes/workgroup (compile time only)
; SGPRBlocks: 0
; VGPRBlocks: 0
; NumSGPRsForWavesPerEU: 4
; NumVGPRsForWavesPerEU: 1
; AccumOffset: 4
; Occupancy: 8
; WaveLimiterHint : 0
; COMPUTE_PGM_RSRC2:SCRATCH_EN: 0
; COMPUTE_PGM_RSRC2:USER_SGPR: 6
; COMPUTE_PGM_RSRC2:TRAP_HANDLER: 0
; COMPUTE_PGM_RSRC2:TGID_X_EN: 1
; COMPUTE_PGM_RSRC2:TGID_Y_EN: 0
; COMPUTE_PGM_RSRC2:TGID_Z_EN: 0
; COMPUTE_PGM_RSRC2:TIDIG_COMP_CNT: 0
; COMPUTE_PGM_RSRC3_GFX90A:ACCUM_OFFSET: 0
; COMPUTE_PGM_RSRC3_GFX90A:TG_SPLIT: 0
	.section	.text._ZN7rocprim17ROCPRIM_400000_NS6detail17trampoline_kernelINS0_14default_configENS1_33run_length_encode_config_selectorIN3c104HalfEjNS0_4plusIjEEEEZZNS1_33reduce_by_key_impl_wrapped_configILNS1_25lookback_scan_determinismE0ES3_S9_PKS6_NS0_17constant_iteratorIjlEEPS6_PlSH_S8_NS0_8equal_toIS6_EEEE10hipError_tPvRmT2_T3_mT4_T5_T6_T7_T8_P12ihipStream_tbENKUlT_T0_E_clISt17integral_constantIbLb0EES10_IbLb1EEEEDaSW_SX_EUlSW_E_NS1_11comp_targetILNS1_3genE2ELNS1_11target_archE906ELNS1_3gpuE6ELNS1_3repE0EEENS1_30default_config_static_selectorELNS0_4arch9wavefront6targetE1EEEvT1_,"axG",@progbits,_ZN7rocprim17ROCPRIM_400000_NS6detail17trampoline_kernelINS0_14default_configENS1_33run_length_encode_config_selectorIN3c104HalfEjNS0_4plusIjEEEEZZNS1_33reduce_by_key_impl_wrapped_configILNS1_25lookback_scan_determinismE0ES3_S9_PKS6_NS0_17constant_iteratorIjlEEPS6_PlSH_S8_NS0_8equal_toIS6_EEEE10hipError_tPvRmT2_T3_mT4_T5_T6_T7_T8_P12ihipStream_tbENKUlT_T0_E_clISt17integral_constantIbLb0EES10_IbLb1EEEEDaSW_SX_EUlSW_E_NS1_11comp_targetILNS1_3genE2ELNS1_11target_archE906ELNS1_3gpuE6ELNS1_3repE0EEENS1_30default_config_static_selectorELNS0_4arch9wavefront6targetE1EEEvT1_,comdat
	.protected	_ZN7rocprim17ROCPRIM_400000_NS6detail17trampoline_kernelINS0_14default_configENS1_33run_length_encode_config_selectorIN3c104HalfEjNS0_4plusIjEEEEZZNS1_33reduce_by_key_impl_wrapped_configILNS1_25lookback_scan_determinismE0ES3_S9_PKS6_NS0_17constant_iteratorIjlEEPS6_PlSH_S8_NS0_8equal_toIS6_EEEE10hipError_tPvRmT2_T3_mT4_T5_T6_T7_T8_P12ihipStream_tbENKUlT_T0_E_clISt17integral_constantIbLb0EES10_IbLb1EEEEDaSW_SX_EUlSW_E_NS1_11comp_targetILNS1_3genE2ELNS1_11target_archE906ELNS1_3gpuE6ELNS1_3repE0EEENS1_30default_config_static_selectorELNS0_4arch9wavefront6targetE1EEEvT1_ ; -- Begin function _ZN7rocprim17ROCPRIM_400000_NS6detail17trampoline_kernelINS0_14default_configENS1_33run_length_encode_config_selectorIN3c104HalfEjNS0_4plusIjEEEEZZNS1_33reduce_by_key_impl_wrapped_configILNS1_25lookback_scan_determinismE0ES3_S9_PKS6_NS0_17constant_iteratorIjlEEPS6_PlSH_S8_NS0_8equal_toIS6_EEEE10hipError_tPvRmT2_T3_mT4_T5_T6_T7_T8_P12ihipStream_tbENKUlT_T0_E_clISt17integral_constantIbLb0EES10_IbLb1EEEEDaSW_SX_EUlSW_E_NS1_11comp_targetILNS1_3genE2ELNS1_11target_archE906ELNS1_3gpuE6ELNS1_3repE0EEENS1_30default_config_static_selectorELNS0_4arch9wavefront6targetE1EEEvT1_
	.globl	_ZN7rocprim17ROCPRIM_400000_NS6detail17trampoline_kernelINS0_14default_configENS1_33run_length_encode_config_selectorIN3c104HalfEjNS0_4plusIjEEEEZZNS1_33reduce_by_key_impl_wrapped_configILNS1_25lookback_scan_determinismE0ES3_S9_PKS6_NS0_17constant_iteratorIjlEEPS6_PlSH_S8_NS0_8equal_toIS6_EEEE10hipError_tPvRmT2_T3_mT4_T5_T6_T7_T8_P12ihipStream_tbENKUlT_T0_E_clISt17integral_constantIbLb0EES10_IbLb1EEEEDaSW_SX_EUlSW_E_NS1_11comp_targetILNS1_3genE2ELNS1_11target_archE906ELNS1_3gpuE6ELNS1_3repE0EEENS1_30default_config_static_selectorELNS0_4arch9wavefront6targetE1EEEvT1_
	.p2align	8
	.type	_ZN7rocprim17ROCPRIM_400000_NS6detail17trampoline_kernelINS0_14default_configENS1_33run_length_encode_config_selectorIN3c104HalfEjNS0_4plusIjEEEEZZNS1_33reduce_by_key_impl_wrapped_configILNS1_25lookback_scan_determinismE0ES3_S9_PKS6_NS0_17constant_iteratorIjlEEPS6_PlSH_S8_NS0_8equal_toIS6_EEEE10hipError_tPvRmT2_T3_mT4_T5_T6_T7_T8_P12ihipStream_tbENKUlT_T0_E_clISt17integral_constantIbLb0EES10_IbLb1EEEEDaSW_SX_EUlSW_E_NS1_11comp_targetILNS1_3genE2ELNS1_11target_archE906ELNS1_3gpuE6ELNS1_3repE0EEENS1_30default_config_static_selectorELNS0_4arch9wavefront6targetE1EEEvT1_,@function
_ZN7rocprim17ROCPRIM_400000_NS6detail17trampoline_kernelINS0_14default_configENS1_33run_length_encode_config_selectorIN3c104HalfEjNS0_4plusIjEEEEZZNS1_33reduce_by_key_impl_wrapped_configILNS1_25lookback_scan_determinismE0ES3_S9_PKS6_NS0_17constant_iteratorIjlEEPS6_PlSH_S8_NS0_8equal_toIS6_EEEE10hipError_tPvRmT2_T3_mT4_T5_T6_T7_T8_P12ihipStream_tbENKUlT_T0_E_clISt17integral_constantIbLb0EES10_IbLb1EEEEDaSW_SX_EUlSW_E_NS1_11comp_targetILNS1_3genE2ELNS1_11target_archE906ELNS1_3gpuE6ELNS1_3repE0EEENS1_30default_config_static_selectorELNS0_4arch9wavefront6targetE1EEEvT1_: ; @_ZN7rocprim17ROCPRIM_400000_NS6detail17trampoline_kernelINS0_14default_configENS1_33run_length_encode_config_selectorIN3c104HalfEjNS0_4plusIjEEEEZZNS1_33reduce_by_key_impl_wrapped_configILNS1_25lookback_scan_determinismE0ES3_S9_PKS6_NS0_17constant_iteratorIjlEEPS6_PlSH_S8_NS0_8equal_toIS6_EEEE10hipError_tPvRmT2_T3_mT4_T5_T6_T7_T8_P12ihipStream_tbENKUlT_T0_E_clISt17integral_constantIbLb0EES10_IbLb1EEEEDaSW_SX_EUlSW_E_NS1_11comp_targetILNS1_3genE2ELNS1_11target_archE906ELNS1_3gpuE6ELNS1_3repE0EEENS1_30default_config_static_selectorELNS0_4arch9wavefront6targetE1EEEvT1_
; %bb.0:
	.section	.rodata,"a",@progbits
	.p2align	6, 0x0
	.amdhsa_kernel _ZN7rocprim17ROCPRIM_400000_NS6detail17trampoline_kernelINS0_14default_configENS1_33run_length_encode_config_selectorIN3c104HalfEjNS0_4plusIjEEEEZZNS1_33reduce_by_key_impl_wrapped_configILNS1_25lookback_scan_determinismE0ES3_S9_PKS6_NS0_17constant_iteratorIjlEEPS6_PlSH_S8_NS0_8equal_toIS6_EEEE10hipError_tPvRmT2_T3_mT4_T5_T6_T7_T8_P12ihipStream_tbENKUlT_T0_E_clISt17integral_constantIbLb0EES10_IbLb1EEEEDaSW_SX_EUlSW_E_NS1_11comp_targetILNS1_3genE2ELNS1_11target_archE906ELNS1_3gpuE6ELNS1_3repE0EEENS1_30default_config_static_selectorELNS0_4arch9wavefront6targetE1EEEvT1_
		.amdhsa_group_segment_fixed_size 0
		.amdhsa_private_segment_fixed_size 0
		.amdhsa_kernarg_size 128
		.amdhsa_user_sgpr_count 6
		.amdhsa_user_sgpr_private_segment_buffer 1
		.amdhsa_user_sgpr_dispatch_ptr 0
		.amdhsa_user_sgpr_queue_ptr 0
		.amdhsa_user_sgpr_kernarg_segment_ptr 1
		.amdhsa_user_sgpr_dispatch_id 0
		.amdhsa_user_sgpr_flat_scratch_init 0
		.amdhsa_user_sgpr_kernarg_preload_length 0
		.amdhsa_user_sgpr_kernarg_preload_offset 0
		.amdhsa_user_sgpr_private_segment_size 0
		.amdhsa_uses_dynamic_stack 0
		.amdhsa_system_sgpr_private_segment_wavefront_offset 0
		.amdhsa_system_sgpr_workgroup_id_x 1
		.amdhsa_system_sgpr_workgroup_id_y 0
		.amdhsa_system_sgpr_workgroup_id_z 0
		.amdhsa_system_sgpr_workgroup_info 0
		.amdhsa_system_vgpr_workitem_id 0
		.amdhsa_next_free_vgpr 1
		.amdhsa_next_free_sgpr 0
		.amdhsa_accum_offset 4
		.amdhsa_reserve_vcc 0
		.amdhsa_reserve_flat_scratch 0
		.amdhsa_float_round_mode_32 0
		.amdhsa_float_round_mode_16_64 0
		.amdhsa_float_denorm_mode_32 3
		.amdhsa_float_denorm_mode_16_64 3
		.amdhsa_dx10_clamp 1
		.amdhsa_ieee_mode 1
		.amdhsa_fp16_overflow 0
		.amdhsa_tg_split 0
		.amdhsa_exception_fp_ieee_invalid_op 0
		.amdhsa_exception_fp_denorm_src 0
		.amdhsa_exception_fp_ieee_div_zero 0
		.amdhsa_exception_fp_ieee_overflow 0
		.amdhsa_exception_fp_ieee_underflow 0
		.amdhsa_exception_fp_ieee_inexact 0
		.amdhsa_exception_int_div_zero 0
	.end_amdhsa_kernel
	.section	.text._ZN7rocprim17ROCPRIM_400000_NS6detail17trampoline_kernelINS0_14default_configENS1_33run_length_encode_config_selectorIN3c104HalfEjNS0_4plusIjEEEEZZNS1_33reduce_by_key_impl_wrapped_configILNS1_25lookback_scan_determinismE0ES3_S9_PKS6_NS0_17constant_iteratorIjlEEPS6_PlSH_S8_NS0_8equal_toIS6_EEEE10hipError_tPvRmT2_T3_mT4_T5_T6_T7_T8_P12ihipStream_tbENKUlT_T0_E_clISt17integral_constantIbLb0EES10_IbLb1EEEEDaSW_SX_EUlSW_E_NS1_11comp_targetILNS1_3genE2ELNS1_11target_archE906ELNS1_3gpuE6ELNS1_3repE0EEENS1_30default_config_static_selectorELNS0_4arch9wavefront6targetE1EEEvT1_,"axG",@progbits,_ZN7rocprim17ROCPRIM_400000_NS6detail17trampoline_kernelINS0_14default_configENS1_33run_length_encode_config_selectorIN3c104HalfEjNS0_4plusIjEEEEZZNS1_33reduce_by_key_impl_wrapped_configILNS1_25lookback_scan_determinismE0ES3_S9_PKS6_NS0_17constant_iteratorIjlEEPS6_PlSH_S8_NS0_8equal_toIS6_EEEE10hipError_tPvRmT2_T3_mT4_T5_T6_T7_T8_P12ihipStream_tbENKUlT_T0_E_clISt17integral_constantIbLb0EES10_IbLb1EEEEDaSW_SX_EUlSW_E_NS1_11comp_targetILNS1_3genE2ELNS1_11target_archE906ELNS1_3gpuE6ELNS1_3repE0EEENS1_30default_config_static_selectorELNS0_4arch9wavefront6targetE1EEEvT1_,comdat
.Lfunc_end956:
	.size	_ZN7rocprim17ROCPRIM_400000_NS6detail17trampoline_kernelINS0_14default_configENS1_33run_length_encode_config_selectorIN3c104HalfEjNS0_4plusIjEEEEZZNS1_33reduce_by_key_impl_wrapped_configILNS1_25lookback_scan_determinismE0ES3_S9_PKS6_NS0_17constant_iteratorIjlEEPS6_PlSH_S8_NS0_8equal_toIS6_EEEE10hipError_tPvRmT2_T3_mT4_T5_T6_T7_T8_P12ihipStream_tbENKUlT_T0_E_clISt17integral_constantIbLb0EES10_IbLb1EEEEDaSW_SX_EUlSW_E_NS1_11comp_targetILNS1_3genE2ELNS1_11target_archE906ELNS1_3gpuE6ELNS1_3repE0EEENS1_30default_config_static_selectorELNS0_4arch9wavefront6targetE1EEEvT1_, .Lfunc_end956-_ZN7rocprim17ROCPRIM_400000_NS6detail17trampoline_kernelINS0_14default_configENS1_33run_length_encode_config_selectorIN3c104HalfEjNS0_4plusIjEEEEZZNS1_33reduce_by_key_impl_wrapped_configILNS1_25lookback_scan_determinismE0ES3_S9_PKS6_NS0_17constant_iteratorIjlEEPS6_PlSH_S8_NS0_8equal_toIS6_EEEE10hipError_tPvRmT2_T3_mT4_T5_T6_T7_T8_P12ihipStream_tbENKUlT_T0_E_clISt17integral_constantIbLb0EES10_IbLb1EEEEDaSW_SX_EUlSW_E_NS1_11comp_targetILNS1_3genE2ELNS1_11target_archE906ELNS1_3gpuE6ELNS1_3repE0EEENS1_30default_config_static_selectorELNS0_4arch9wavefront6targetE1EEEvT1_
                                        ; -- End function
	.section	.AMDGPU.csdata,"",@progbits
; Kernel info:
; codeLenInByte = 0
; NumSgprs: 4
; NumVgprs: 0
; NumAgprs: 0
; TotalNumVgprs: 0
; ScratchSize: 0
; MemoryBound: 0
; FloatMode: 240
; IeeeMode: 1
; LDSByteSize: 0 bytes/workgroup (compile time only)
; SGPRBlocks: 0
; VGPRBlocks: 0
; NumSGPRsForWavesPerEU: 4
; NumVGPRsForWavesPerEU: 1
; AccumOffset: 4
; Occupancy: 8
; WaveLimiterHint : 0
; COMPUTE_PGM_RSRC2:SCRATCH_EN: 0
; COMPUTE_PGM_RSRC2:USER_SGPR: 6
; COMPUTE_PGM_RSRC2:TRAP_HANDLER: 0
; COMPUTE_PGM_RSRC2:TGID_X_EN: 1
; COMPUTE_PGM_RSRC2:TGID_Y_EN: 0
; COMPUTE_PGM_RSRC2:TGID_Z_EN: 0
; COMPUTE_PGM_RSRC2:TIDIG_COMP_CNT: 0
; COMPUTE_PGM_RSRC3_GFX90A:ACCUM_OFFSET: 0
; COMPUTE_PGM_RSRC3_GFX90A:TG_SPLIT: 0
	.section	.text._ZN7rocprim17ROCPRIM_400000_NS6detail17trampoline_kernelINS0_14default_configENS1_33run_length_encode_config_selectorIN3c104HalfEjNS0_4plusIjEEEEZZNS1_33reduce_by_key_impl_wrapped_configILNS1_25lookback_scan_determinismE0ES3_S9_PKS6_NS0_17constant_iteratorIjlEEPS6_PlSH_S8_NS0_8equal_toIS6_EEEE10hipError_tPvRmT2_T3_mT4_T5_T6_T7_T8_P12ihipStream_tbENKUlT_T0_E_clISt17integral_constantIbLb0EES10_IbLb1EEEEDaSW_SX_EUlSW_E_NS1_11comp_targetILNS1_3genE10ELNS1_11target_archE1201ELNS1_3gpuE5ELNS1_3repE0EEENS1_30default_config_static_selectorELNS0_4arch9wavefront6targetE1EEEvT1_,"axG",@progbits,_ZN7rocprim17ROCPRIM_400000_NS6detail17trampoline_kernelINS0_14default_configENS1_33run_length_encode_config_selectorIN3c104HalfEjNS0_4plusIjEEEEZZNS1_33reduce_by_key_impl_wrapped_configILNS1_25lookback_scan_determinismE0ES3_S9_PKS6_NS0_17constant_iteratorIjlEEPS6_PlSH_S8_NS0_8equal_toIS6_EEEE10hipError_tPvRmT2_T3_mT4_T5_T6_T7_T8_P12ihipStream_tbENKUlT_T0_E_clISt17integral_constantIbLb0EES10_IbLb1EEEEDaSW_SX_EUlSW_E_NS1_11comp_targetILNS1_3genE10ELNS1_11target_archE1201ELNS1_3gpuE5ELNS1_3repE0EEENS1_30default_config_static_selectorELNS0_4arch9wavefront6targetE1EEEvT1_,comdat
	.protected	_ZN7rocprim17ROCPRIM_400000_NS6detail17trampoline_kernelINS0_14default_configENS1_33run_length_encode_config_selectorIN3c104HalfEjNS0_4plusIjEEEEZZNS1_33reduce_by_key_impl_wrapped_configILNS1_25lookback_scan_determinismE0ES3_S9_PKS6_NS0_17constant_iteratorIjlEEPS6_PlSH_S8_NS0_8equal_toIS6_EEEE10hipError_tPvRmT2_T3_mT4_T5_T6_T7_T8_P12ihipStream_tbENKUlT_T0_E_clISt17integral_constantIbLb0EES10_IbLb1EEEEDaSW_SX_EUlSW_E_NS1_11comp_targetILNS1_3genE10ELNS1_11target_archE1201ELNS1_3gpuE5ELNS1_3repE0EEENS1_30default_config_static_selectorELNS0_4arch9wavefront6targetE1EEEvT1_ ; -- Begin function _ZN7rocprim17ROCPRIM_400000_NS6detail17trampoline_kernelINS0_14default_configENS1_33run_length_encode_config_selectorIN3c104HalfEjNS0_4plusIjEEEEZZNS1_33reduce_by_key_impl_wrapped_configILNS1_25lookback_scan_determinismE0ES3_S9_PKS6_NS0_17constant_iteratorIjlEEPS6_PlSH_S8_NS0_8equal_toIS6_EEEE10hipError_tPvRmT2_T3_mT4_T5_T6_T7_T8_P12ihipStream_tbENKUlT_T0_E_clISt17integral_constantIbLb0EES10_IbLb1EEEEDaSW_SX_EUlSW_E_NS1_11comp_targetILNS1_3genE10ELNS1_11target_archE1201ELNS1_3gpuE5ELNS1_3repE0EEENS1_30default_config_static_selectorELNS0_4arch9wavefront6targetE1EEEvT1_
	.globl	_ZN7rocprim17ROCPRIM_400000_NS6detail17trampoline_kernelINS0_14default_configENS1_33run_length_encode_config_selectorIN3c104HalfEjNS0_4plusIjEEEEZZNS1_33reduce_by_key_impl_wrapped_configILNS1_25lookback_scan_determinismE0ES3_S9_PKS6_NS0_17constant_iteratorIjlEEPS6_PlSH_S8_NS0_8equal_toIS6_EEEE10hipError_tPvRmT2_T3_mT4_T5_T6_T7_T8_P12ihipStream_tbENKUlT_T0_E_clISt17integral_constantIbLb0EES10_IbLb1EEEEDaSW_SX_EUlSW_E_NS1_11comp_targetILNS1_3genE10ELNS1_11target_archE1201ELNS1_3gpuE5ELNS1_3repE0EEENS1_30default_config_static_selectorELNS0_4arch9wavefront6targetE1EEEvT1_
	.p2align	8
	.type	_ZN7rocprim17ROCPRIM_400000_NS6detail17trampoline_kernelINS0_14default_configENS1_33run_length_encode_config_selectorIN3c104HalfEjNS0_4plusIjEEEEZZNS1_33reduce_by_key_impl_wrapped_configILNS1_25lookback_scan_determinismE0ES3_S9_PKS6_NS0_17constant_iteratorIjlEEPS6_PlSH_S8_NS0_8equal_toIS6_EEEE10hipError_tPvRmT2_T3_mT4_T5_T6_T7_T8_P12ihipStream_tbENKUlT_T0_E_clISt17integral_constantIbLb0EES10_IbLb1EEEEDaSW_SX_EUlSW_E_NS1_11comp_targetILNS1_3genE10ELNS1_11target_archE1201ELNS1_3gpuE5ELNS1_3repE0EEENS1_30default_config_static_selectorELNS0_4arch9wavefront6targetE1EEEvT1_,@function
_ZN7rocprim17ROCPRIM_400000_NS6detail17trampoline_kernelINS0_14default_configENS1_33run_length_encode_config_selectorIN3c104HalfEjNS0_4plusIjEEEEZZNS1_33reduce_by_key_impl_wrapped_configILNS1_25lookback_scan_determinismE0ES3_S9_PKS6_NS0_17constant_iteratorIjlEEPS6_PlSH_S8_NS0_8equal_toIS6_EEEE10hipError_tPvRmT2_T3_mT4_T5_T6_T7_T8_P12ihipStream_tbENKUlT_T0_E_clISt17integral_constantIbLb0EES10_IbLb1EEEEDaSW_SX_EUlSW_E_NS1_11comp_targetILNS1_3genE10ELNS1_11target_archE1201ELNS1_3gpuE5ELNS1_3repE0EEENS1_30default_config_static_selectorELNS0_4arch9wavefront6targetE1EEEvT1_: ; @_ZN7rocprim17ROCPRIM_400000_NS6detail17trampoline_kernelINS0_14default_configENS1_33run_length_encode_config_selectorIN3c104HalfEjNS0_4plusIjEEEEZZNS1_33reduce_by_key_impl_wrapped_configILNS1_25lookback_scan_determinismE0ES3_S9_PKS6_NS0_17constant_iteratorIjlEEPS6_PlSH_S8_NS0_8equal_toIS6_EEEE10hipError_tPvRmT2_T3_mT4_T5_T6_T7_T8_P12ihipStream_tbENKUlT_T0_E_clISt17integral_constantIbLb0EES10_IbLb1EEEEDaSW_SX_EUlSW_E_NS1_11comp_targetILNS1_3genE10ELNS1_11target_archE1201ELNS1_3gpuE5ELNS1_3repE0EEENS1_30default_config_static_selectorELNS0_4arch9wavefront6targetE1EEEvT1_
; %bb.0:
	.section	.rodata,"a",@progbits
	.p2align	6, 0x0
	.amdhsa_kernel _ZN7rocprim17ROCPRIM_400000_NS6detail17trampoline_kernelINS0_14default_configENS1_33run_length_encode_config_selectorIN3c104HalfEjNS0_4plusIjEEEEZZNS1_33reduce_by_key_impl_wrapped_configILNS1_25lookback_scan_determinismE0ES3_S9_PKS6_NS0_17constant_iteratorIjlEEPS6_PlSH_S8_NS0_8equal_toIS6_EEEE10hipError_tPvRmT2_T3_mT4_T5_T6_T7_T8_P12ihipStream_tbENKUlT_T0_E_clISt17integral_constantIbLb0EES10_IbLb1EEEEDaSW_SX_EUlSW_E_NS1_11comp_targetILNS1_3genE10ELNS1_11target_archE1201ELNS1_3gpuE5ELNS1_3repE0EEENS1_30default_config_static_selectorELNS0_4arch9wavefront6targetE1EEEvT1_
		.amdhsa_group_segment_fixed_size 0
		.amdhsa_private_segment_fixed_size 0
		.amdhsa_kernarg_size 128
		.amdhsa_user_sgpr_count 6
		.amdhsa_user_sgpr_private_segment_buffer 1
		.amdhsa_user_sgpr_dispatch_ptr 0
		.amdhsa_user_sgpr_queue_ptr 0
		.amdhsa_user_sgpr_kernarg_segment_ptr 1
		.amdhsa_user_sgpr_dispatch_id 0
		.amdhsa_user_sgpr_flat_scratch_init 0
		.amdhsa_user_sgpr_kernarg_preload_length 0
		.amdhsa_user_sgpr_kernarg_preload_offset 0
		.amdhsa_user_sgpr_private_segment_size 0
		.amdhsa_uses_dynamic_stack 0
		.amdhsa_system_sgpr_private_segment_wavefront_offset 0
		.amdhsa_system_sgpr_workgroup_id_x 1
		.amdhsa_system_sgpr_workgroup_id_y 0
		.amdhsa_system_sgpr_workgroup_id_z 0
		.amdhsa_system_sgpr_workgroup_info 0
		.amdhsa_system_vgpr_workitem_id 0
		.amdhsa_next_free_vgpr 1
		.amdhsa_next_free_sgpr 0
		.amdhsa_accum_offset 4
		.amdhsa_reserve_vcc 0
		.amdhsa_reserve_flat_scratch 0
		.amdhsa_float_round_mode_32 0
		.amdhsa_float_round_mode_16_64 0
		.amdhsa_float_denorm_mode_32 3
		.amdhsa_float_denorm_mode_16_64 3
		.amdhsa_dx10_clamp 1
		.amdhsa_ieee_mode 1
		.amdhsa_fp16_overflow 0
		.amdhsa_tg_split 0
		.amdhsa_exception_fp_ieee_invalid_op 0
		.amdhsa_exception_fp_denorm_src 0
		.amdhsa_exception_fp_ieee_div_zero 0
		.amdhsa_exception_fp_ieee_overflow 0
		.amdhsa_exception_fp_ieee_underflow 0
		.amdhsa_exception_fp_ieee_inexact 0
		.amdhsa_exception_int_div_zero 0
	.end_amdhsa_kernel
	.section	.text._ZN7rocprim17ROCPRIM_400000_NS6detail17trampoline_kernelINS0_14default_configENS1_33run_length_encode_config_selectorIN3c104HalfEjNS0_4plusIjEEEEZZNS1_33reduce_by_key_impl_wrapped_configILNS1_25lookback_scan_determinismE0ES3_S9_PKS6_NS0_17constant_iteratorIjlEEPS6_PlSH_S8_NS0_8equal_toIS6_EEEE10hipError_tPvRmT2_T3_mT4_T5_T6_T7_T8_P12ihipStream_tbENKUlT_T0_E_clISt17integral_constantIbLb0EES10_IbLb1EEEEDaSW_SX_EUlSW_E_NS1_11comp_targetILNS1_3genE10ELNS1_11target_archE1201ELNS1_3gpuE5ELNS1_3repE0EEENS1_30default_config_static_selectorELNS0_4arch9wavefront6targetE1EEEvT1_,"axG",@progbits,_ZN7rocprim17ROCPRIM_400000_NS6detail17trampoline_kernelINS0_14default_configENS1_33run_length_encode_config_selectorIN3c104HalfEjNS0_4plusIjEEEEZZNS1_33reduce_by_key_impl_wrapped_configILNS1_25lookback_scan_determinismE0ES3_S9_PKS6_NS0_17constant_iteratorIjlEEPS6_PlSH_S8_NS0_8equal_toIS6_EEEE10hipError_tPvRmT2_T3_mT4_T5_T6_T7_T8_P12ihipStream_tbENKUlT_T0_E_clISt17integral_constantIbLb0EES10_IbLb1EEEEDaSW_SX_EUlSW_E_NS1_11comp_targetILNS1_3genE10ELNS1_11target_archE1201ELNS1_3gpuE5ELNS1_3repE0EEENS1_30default_config_static_selectorELNS0_4arch9wavefront6targetE1EEEvT1_,comdat
.Lfunc_end957:
	.size	_ZN7rocprim17ROCPRIM_400000_NS6detail17trampoline_kernelINS0_14default_configENS1_33run_length_encode_config_selectorIN3c104HalfEjNS0_4plusIjEEEEZZNS1_33reduce_by_key_impl_wrapped_configILNS1_25lookback_scan_determinismE0ES3_S9_PKS6_NS0_17constant_iteratorIjlEEPS6_PlSH_S8_NS0_8equal_toIS6_EEEE10hipError_tPvRmT2_T3_mT4_T5_T6_T7_T8_P12ihipStream_tbENKUlT_T0_E_clISt17integral_constantIbLb0EES10_IbLb1EEEEDaSW_SX_EUlSW_E_NS1_11comp_targetILNS1_3genE10ELNS1_11target_archE1201ELNS1_3gpuE5ELNS1_3repE0EEENS1_30default_config_static_selectorELNS0_4arch9wavefront6targetE1EEEvT1_, .Lfunc_end957-_ZN7rocprim17ROCPRIM_400000_NS6detail17trampoline_kernelINS0_14default_configENS1_33run_length_encode_config_selectorIN3c104HalfEjNS0_4plusIjEEEEZZNS1_33reduce_by_key_impl_wrapped_configILNS1_25lookback_scan_determinismE0ES3_S9_PKS6_NS0_17constant_iteratorIjlEEPS6_PlSH_S8_NS0_8equal_toIS6_EEEE10hipError_tPvRmT2_T3_mT4_T5_T6_T7_T8_P12ihipStream_tbENKUlT_T0_E_clISt17integral_constantIbLb0EES10_IbLb1EEEEDaSW_SX_EUlSW_E_NS1_11comp_targetILNS1_3genE10ELNS1_11target_archE1201ELNS1_3gpuE5ELNS1_3repE0EEENS1_30default_config_static_selectorELNS0_4arch9wavefront6targetE1EEEvT1_
                                        ; -- End function
	.section	.AMDGPU.csdata,"",@progbits
; Kernel info:
; codeLenInByte = 0
; NumSgprs: 4
; NumVgprs: 0
; NumAgprs: 0
; TotalNumVgprs: 0
; ScratchSize: 0
; MemoryBound: 0
; FloatMode: 240
; IeeeMode: 1
; LDSByteSize: 0 bytes/workgroup (compile time only)
; SGPRBlocks: 0
; VGPRBlocks: 0
; NumSGPRsForWavesPerEU: 4
; NumVGPRsForWavesPerEU: 1
; AccumOffset: 4
; Occupancy: 8
; WaveLimiterHint : 0
; COMPUTE_PGM_RSRC2:SCRATCH_EN: 0
; COMPUTE_PGM_RSRC2:USER_SGPR: 6
; COMPUTE_PGM_RSRC2:TRAP_HANDLER: 0
; COMPUTE_PGM_RSRC2:TGID_X_EN: 1
; COMPUTE_PGM_RSRC2:TGID_Y_EN: 0
; COMPUTE_PGM_RSRC2:TGID_Z_EN: 0
; COMPUTE_PGM_RSRC2:TIDIG_COMP_CNT: 0
; COMPUTE_PGM_RSRC3_GFX90A:ACCUM_OFFSET: 0
; COMPUTE_PGM_RSRC3_GFX90A:TG_SPLIT: 0
	.section	.text._ZN7rocprim17ROCPRIM_400000_NS6detail17trampoline_kernelINS0_14default_configENS1_33run_length_encode_config_selectorIN3c104HalfEjNS0_4plusIjEEEEZZNS1_33reduce_by_key_impl_wrapped_configILNS1_25lookback_scan_determinismE0ES3_S9_PKS6_NS0_17constant_iteratorIjlEEPS6_PlSH_S8_NS0_8equal_toIS6_EEEE10hipError_tPvRmT2_T3_mT4_T5_T6_T7_T8_P12ihipStream_tbENKUlT_T0_E_clISt17integral_constantIbLb0EES10_IbLb1EEEEDaSW_SX_EUlSW_E_NS1_11comp_targetILNS1_3genE10ELNS1_11target_archE1200ELNS1_3gpuE4ELNS1_3repE0EEENS1_30default_config_static_selectorELNS0_4arch9wavefront6targetE1EEEvT1_,"axG",@progbits,_ZN7rocprim17ROCPRIM_400000_NS6detail17trampoline_kernelINS0_14default_configENS1_33run_length_encode_config_selectorIN3c104HalfEjNS0_4plusIjEEEEZZNS1_33reduce_by_key_impl_wrapped_configILNS1_25lookback_scan_determinismE0ES3_S9_PKS6_NS0_17constant_iteratorIjlEEPS6_PlSH_S8_NS0_8equal_toIS6_EEEE10hipError_tPvRmT2_T3_mT4_T5_T6_T7_T8_P12ihipStream_tbENKUlT_T0_E_clISt17integral_constantIbLb0EES10_IbLb1EEEEDaSW_SX_EUlSW_E_NS1_11comp_targetILNS1_3genE10ELNS1_11target_archE1200ELNS1_3gpuE4ELNS1_3repE0EEENS1_30default_config_static_selectorELNS0_4arch9wavefront6targetE1EEEvT1_,comdat
	.protected	_ZN7rocprim17ROCPRIM_400000_NS6detail17trampoline_kernelINS0_14default_configENS1_33run_length_encode_config_selectorIN3c104HalfEjNS0_4plusIjEEEEZZNS1_33reduce_by_key_impl_wrapped_configILNS1_25lookback_scan_determinismE0ES3_S9_PKS6_NS0_17constant_iteratorIjlEEPS6_PlSH_S8_NS0_8equal_toIS6_EEEE10hipError_tPvRmT2_T3_mT4_T5_T6_T7_T8_P12ihipStream_tbENKUlT_T0_E_clISt17integral_constantIbLb0EES10_IbLb1EEEEDaSW_SX_EUlSW_E_NS1_11comp_targetILNS1_3genE10ELNS1_11target_archE1200ELNS1_3gpuE4ELNS1_3repE0EEENS1_30default_config_static_selectorELNS0_4arch9wavefront6targetE1EEEvT1_ ; -- Begin function _ZN7rocprim17ROCPRIM_400000_NS6detail17trampoline_kernelINS0_14default_configENS1_33run_length_encode_config_selectorIN3c104HalfEjNS0_4plusIjEEEEZZNS1_33reduce_by_key_impl_wrapped_configILNS1_25lookback_scan_determinismE0ES3_S9_PKS6_NS0_17constant_iteratorIjlEEPS6_PlSH_S8_NS0_8equal_toIS6_EEEE10hipError_tPvRmT2_T3_mT4_T5_T6_T7_T8_P12ihipStream_tbENKUlT_T0_E_clISt17integral_constantIbLb0EES10_IbLb1EEEEDaSW_SX_EUlSW_E_NS1_11comp_targetILNS1_3genE10ELNS1_11target_archE1200ELNS1_3gpuE4ELNS1_3repE0EEENS1_30default_config_static_selectorELNS0_4arch9wavefront6targetE1EEEvT1_
	.globl	_ZN7rocprim17ROCPRIM_400000_NS6detail17trampoline_kernelINS0_14default_configENS1_33run_length_encode_config_selectorIN3c104HalfEjNS0_4plusIjEEEEZZNS1_33reduce_by_key_impl_wrapped_configILNS1_25lookback_scan_determinismE0ES3_S9_PKS6_NS0_17constant_iteratorIjlEEPS6_PlSH_S8_NS0_8equal_toIS6_EEEE10hipError_tPvRmT2_T3_mT4_T5_T6_T7_T8_P12ihipStream_tbENKUlT_T0_E_clISt17integral_constantIbLb0EES10_IbLb1EEEEDaSW_SX_EUlSW_E_NS1_11comp_targetILNS1_3genE10ELNS1_11target_archE1200ELNS1_3gpuE4ELNS1_3repE0EEENS1_30default_config_static_selectorELNS0_4arch9wavefront6targetE1EEEvT1_
	.p2align	8
	.type	_ZN7rocprim17ROCPRIM_400000_NS6detail17trampoline_kernelINS0_14default_configENS1_33run_length_encode_config_selectorIN3c104HalfEjNS0_4plusIjEEEEZZNS1_33reduce_by_key_impl_wrapped_configILNS1_25lookback_scan_determinismE0ES3_S9_PKS6_NS0_17constant_iteratorIjlEEPS6_PlSH_S8_NS0_8equal_toIS6_EEEE10hipError_tPvRmT2_T3_mT4_T5_T6_T7_T8_P12ihipStream_tbENKUlT_T0_E_clISt17integral_constantIbLb0EES10_IbLb1EEEEDaSW_SX_EUlSW_E_NS1_11comp_targetILNS1_3genE10ELNS1_11target_archE1200ELNS1_3gpuE4ELNS1_3repE0EEENS1_30default_config_static_selectorELNS0_4arch9wavefront6targetE1EEEvT1_,@function
_ZN7rocprim17ROCPRIM_400000_NS6detail17trampoline_kernelINS0_14default_configENS1_33run_length_encode_config_selectorIN3c104HalfEjNS0_4plusIjEEEEZZNS1_33reduce_by_key_impl_wrapped_configILNS1_25lookback_scan_determinismE0ES3_S9_PKS6_NS0_17constant_iteratorIjlEEPS6_PlSH_S8_NS0_8equal_toIS6_EEEE10hipError_tPvRmT2_T3_mT4_T5_T6_T7_T8_P12ihipStream_tbENKUlT_T0_E_clISt17integral_constantIbLb0EES10_IbLb1EEEEDaSW_SX_EUlSW_E_NS1_11comp_targetILNS1_3genE10ELNS1_11target_archE1200ELNS1_3gpuE4ELNS1_3repE0EEENS1_30default_config_static_selectorELNS0_4arch9wavefront6targetE1EEEvT1_: ; @_ZN7rocprim17ROCPRIM_400000_NS6detail17trampoline_kernelINS0_14default_configENS1_33run_length_encode_config_selectorIN3c104HalfEjNS0_4plusIjEEEEZZNS1_33reduce_by_key_impl_wrapped_configILNS1_25lookback_scan_determinismE0ES3_S9_PKS6_NS0_17constant_iteratorIjlEEPS6_PlSH_S8_NS0_8equal_toIS6_EEEE10hipError_tPvRmT2_T3_mT4_T5_T6_T7_T8_P12ihipStream_tbENKUlT_T0_E_clISt17integral_constantIbLb0EES10_IbLb1EEEEDaSW_SX_EUlSW_E_NS1_11comp_targetILNS1_3genE10ELNS1_11target_archE1200ELNS1_3gpuE4ELNS1_3repE0EEENS1_30default_config_static_selectorELNS0_4arch9wavefront6targetE1EEEvT1_
; %bb.0:
	.section	.rodata,"a",@progbits
	.p2align	6, 0x0
	.amdhsa_kernel _ZN7rocprim17ROCPRIM_400000_NS6detail17trampoline_kernelINS0_14default_configENS1_33run_length_encode_config_selectorIN3c104HalfEjNS0_4plusIjEEEEZZNS1_33reduce_by_key_impl_wrapped_configILNS1_25lookback_scan_determinismE0ES3_S9_PKS6_NS0_17constant_iteratorIjlEEPS6_PlSH_S8_NS0_8equal_toIS6_EEEE10hipError_tPvRmT2_T3_mT4_T5_T6_T7_T8_P12ihipStream_tbENKUlT_T0_E_clISt17integral_constantIbLb0EES10_IbLb1EEEEDaSW_SX_EUlSW_E_NS1_11comp_targetILNS1_3genE10ELNS1_11target_archE1200ELNS1_3gpuE4ELNS1_3repE0EEENS1_30default_config_static_selectorELNS0_4arch9wavefront6targetE1EEEvT1_
		.amdhsa_group_segment_fixed_size 0
		.amdhsa_private_segment_fixed_size 0
		.amdhsa_kernarg_size 128
		.amdhsa_user_sgpr_count 6
		.amdhsa_user_sgpr_private_segment_buffer 1
		.amdhsa_user_sgpr_dispatch_ptr 0
		.amdhsa_user_sgpr_queue_ptr 0
		.amdhsa_user_sgpr_kernarg_segment_ptr 1
		.amdhsa_user_sgpr_dispatch_id 0
		.amdhsa_user_sgpr_flat_scratch_init 0
		.amdhsa_user_sgpr_kernarg_preload_length 0
		.amdhsa_user_sgpr_kernarg_preload_offset 0
		.amdhsa_user_sgpr_private_segment_size 0
		.amdhsa_uses_dynamic_stack 0
		.amdhsa_system_sgpr_private_segment_wavefront_offset 0
		.amdhsa_system_sgpr_workgroup_id_x 1
		.amdhsa_system_sgpr_workgroup_id_y 0
		.amdhsa_system_sgpr_workgroup_id_z 0
		.amdhsa_system_sgpr_workgroup_info 0
		.amdhsa_system_vgpr_workitem_id 0
		.amdhsa_next_free_vgpr 1
		.amdhsa_next_free_sgpr 0
		.amdhsa_accum_offset 4
		.amdhsa_reserve_vcc 0
		.amdhsa_reserve_flat_scratch 0
		.amdhsa_float_round_mode_32 0
		.amdhsa_float_round_mode_16_64 0
		.amdhsa_float_denorm_mode_32 3
		.amdhsa_float_denorm_mode_16_64 3
		.amdhsa_dx10_clamp 1
		.amdhsa_ieee_mode 1
		.amdhsa_fp16_overflow 0
		.amdhsa_tg_split 0
		.amdhsa_exception_fp_ieee_invalid_op 0
		.amdhsa_exception_fp_denorm_src 0
		.amdhsa_exception_fp_ieee_div_zero 0
		.amdhsa_exception_fp_ieee_overflow 0
		.amdhsa_exception_fp_ieee_underflow 0
		.amdhsa_exception_fp_ieee_inexact 0
		.amdhsa_exception_int_div_zero 0
	.end_amdhsa_kernel
	.section	.text._ZN7rocprim17ROCPRIM_400000_NS6detail17trampoline_kernelINS0_14default_configENS1_33run_length_encode_config_selectorIN3c104HalfEjNS0_4plusIjEEEEZZNS1_33reduce_by_key_impl_wrapped_configILNS1_25lookback_scan_determinismE0ES3_S9_PKS6_NS0_17constant_iteratorIjlEEPS6_PlSH_S8_NS0_8equal_toIS6_EEEE10hipError_tPvRmT2_T3_mT4_T5_T6_T7_T8_P12ihipStream_tbENKUlT_T0_E_clISt17integral_constantIbLb0EES10_IbLb1EEEEDaSW_SX_EUlSW_E_NS1_11comp_targetILNS1_3genE10ELNS1_11target_archE1200ELNS1_3gpuE4ELNS1_3repE0EEENS1_30default_config_static_selectorELNS0_4arch9wavefront6targetE1EEEvT1_,"axG",@progbits,_ZN7rocprim17ROCPRIM_400000_NS6detail17trampoline_kernelINS0_14default_configENS1_33run_length_encode_config_selectorIN3c104HalfEjNS0_4plusIjEEEEZZNS1_33reduce_by_key_impl_wrapped_configILNS1_25lookback_scan_determinismE0ES3_S9_PKS6_NS0_17constant_iteratorIjlEEPS6_PlSH_S8_NS0_8equal_toIS6_EEEE10hipError_tPvRmT2_T3_mT4_T5_T6_T7_T8_P12ihipStream_tbENKUlT_T0_E_clISt17integral_constantIbLb0EES10_IbLb1EEEEDaSW_SX_EUlSW_E_NS1_11comp_targetILNS1_3genE10ELNS1_11target_archE1200ELNS1_3gpuE4ELNS1_3repE0EEENS1_30default_config_static_selectorELNS0_4arch9wavefront6targetE1EEEvT1_,comdat
.Lfunc_end958:
	.size	_ZN7rocprim17ROCPRIM_400000_NS6detail17trampoline_kernelINS0_14default_configENS1_33run_length_encode_config_selectorIN3c104HalfEjNS0_4plusIjEEEEZZNS1_33reduce_by_key_impl_wrapped_configILNS1_25lookback_scan_determinismE0ES3_S9_PKS6_NS0_17constant_iteratorIjlEEPS6_PlSH_S8_NS0_8equal_toIS6_EEEE10hipError_tPvRmT2_T3_mT4_T5_T6_T7_T8_P12ihipStream_tbENKUlT_T0_E_clISt17integral_constantIbLb0EES10_IbLb1EEEEDaSW_SX_EUlSW_E_NS1_11comp_targetILNS1_3genE10ELNS1_11target_archE1200ELNS1_3gpuE4ELNS1_3repE0EEENS1_30default_config_static_selectorELNS0_4arch9wavefront6targetE1EEEvT1_, .Lfunc_end958-_ZN7rocprim17ROCPRIM_400000_NS6detail17trampoline_kernelINS0_14default_configENS1_33run_length_encode_config_selectorIN3c104HalfEjNS0_4plusIjEEEEZZNS1_33reduce_by_key_impl_wrapped_configILNS1_25lookback_scan_determinismE0ES3_S9_PKS6_NS0_17constant_iteratorIjlEEPS6_PlSH_S8_NS0_8equal_toIS6_EEEE10hipError_tPvRmT2_T3_mT4_T5_T6_T7_T8_P12ihipStream_tbENKUlT_T0_E_clISt17integral_constantIbLb0EES10_IbLb1EEEEDaSW_SX_EUlSW_E_NS1_11comp_targetILNS1_3genE10ELNS1_11target_archE1200ELNS1_3gpuE4ELNS1_3repE0EEENS1_30default_config_static_selectorELNS0_4arch9wavefront6targetE1EEEvT1_
                                        ; -- End function
	.section	.AMDGPU.csdata,"",@progbits
; Kernel info:
; codeLenInByte = 0
; NumSgprs: 4
; NumVgprs: 0
; NumAgprs: 0
; TotalNumVgprs: 0
; ScratchSize: 0
; MemoryBound: 0
; FloatMode: 240
; IeeeMode: 1
; LDSByteSize: 0 bytes/workgroup (compile time only)
; SGPRBlocks: 0
; VGPRBlocks: 0
; NumSGPRsForWavesPerEU: 4
; NumVGPRsForWavesPerEU: 1
; AccumOffset: 4
; Occupancy: 8
; WaveLimiterHint : 0
; COMPUTE_PGM_RSRC2:SCRATCH_EN: 0
; COMPUTE_PGM_RSRC2:USER_SGPR: 6
; COMPUTE_PGM_RSRC2:TRAP_HANDLER: 0
; COMPUTE_PGM_RSRC2:TGID_X_EN: 1
; COMPUTE_PGM_RSRC2:TGID_Y_EN: 0
; COMPUTE_PGM_RSRC2:TGID_Z_EN: 0
; COMPUTE_PGM_RSRC2:TIDIG_COMP_CNT: 0
; COMPUTE_PGM_RSRC3_GFX90A:ACCUM_OFFSET: 0
; COMPUTE_PGM_RSRC3_GFX90A:TG_SPLIT: 0
	.section	.text._ZN7rocprim17ROCPRIM_400000_NS6detail17trampoline_kernelINS0_14default_configENS1_33run_length_encode_config_selectorIN3c104HalfEjNS0_4plusIjEEEEZZNS1_33reduce_by_key_impl_wrapped_configILNS1_25lookback_scan_determinismE0ES3_S9_PKS6_NS0_17constant_iteratorIjlEEPS6_PlSH_S8_NS0_8equal_toIS6_EEEE10hipError_tPvRmT2_T3_mT4_T5_T6_T7_T8_P12ihipStream_tbENKUlT_T0_E_clISt17integral_constantIbLb0EES10_IbLb1EEEEDaSW_SX_EUlSW_E_NS1_11comp_targetILNS1_3genE9ELNS1_11target_archE1100ELNS1_3gpuE3ELNS1_3repE0EEENS1_30default_config_static_selectorELNS0_4arch9wavefront6targetE1EEEvT1_,"axG",@progbits,_ZN7rocprim17ROCPRIM_400000_NS6detail17trampoline_kernelINS0_14default_configENS1_33run_length_encode_config_selectorIN3c104HalfEjNS0_4plusIjEEEEZZNS1_33reduce_by_key_impl_wrapped_configILNS1_25lookback_scan_determinismE0ES3_S9_PKS6_NS0_17constant_iteratorIjlEEPS6_PlSH_S8_NS0_8equal_toIS6_EEEE10hipError_tPvRmT2_T3_mT4_T5_T6_T7_T8_P12ihipStream_tbENKUlT_T0_E_clISt17integral_constantIbLb0EES10_IbLb1EEEEDaSW_SX_EUlSW_E_NS1_11comp_targetILNS1_3genE9ELNS1_11target_archE1100ELNS1_3gpuE3ELNS1_3repE0EEENS1_30default_config_static_selectorELNS0_4arch9wavefront6targetE1EEEvT1_,comdat
	.protected	_ZN7rocprim17ROCPRIM_400000_NS6detail17trampoline_kernelINS0_14default_configENS1_33run_length_encode_config_selectorIN3c104HalfEjNS0_4plusIjEEEEZZNS1_33reduce_by_key_impl_wrapped_configILNS1_25lookback_scan_determinismE0ES3_S9_PKS6_NS0_17constant_iteratorIjlEEPS6_PlSH_S8_NS0_8equal_toIS6_EEEE10hipError_tPvRmT2_T3_mT4_T5_T6_T7_T8_P12ihipStream_tbENKUlT_T0_E_clISt17integral_constantIbLb0EES10_IbLb1EEEEDaSW_SX_EUlSW_E_NS1_11comp_targetILNS1_3genE9ELNS1_11target_archE1100ELNS1_3gpuE3ELNS1_3repE0EEENS1_30default_config_static_selectorELNS0_4arch9wavefront6targetE1EEEvT1_ ; -- Begin function _ZN7rocprim17ROCPRIM_400000_NS6detail17trampoline_kernelINS0_14default_configENS1_33run_length_encode_config_selectorIN3c104HalfEjNS0_4plusIjEEEEZZNS1_33reduce_by_key_impl_wrapped_configILNS1_25lookback_scan_determinismE0ES3_S9_PKS6_NS0_17constant_iteratorIjlEEPS6_PlSH_S8_NS0_8equal_toIS6_EEEE10hipError_tPvRmT2_T3_mT4_T5_T6_T7_T8_P12ihipStream_tbENKUlT_T0_E_clISt17integral_constantIbLb0EES10_IbLb1EEEEDaSW_SX_EUlSW_E_NS1_11comp_targetILNS1_3genE9ELNS1_11target_archE1100ELNS1_3gpuE3ELNS1_3repE0EEENS1_30default_config_static_selectorELNS0_4arch9wavefront6targetE1EEEvT1_
	.globl	_ZN7rocprim17ROCPRIM_400000_NS6detail17trampoline_kernelINS0_14default_configENS1_33run_length_encode_config_selectorIN3c104HalfEjNS0_4plusIjEEEEZZNS1_33reduce_by_key_impl_wrapped_configILNS1_25lookback_scan_determinismE0ES3_S9_PKS6_NS0_17constant_iteratorIjlEEPS6_PlSH_S8_NS0_8equal_toIS6_EEEE10hipError_tPvRmT2_T3_mT4_T5_T6_T7_T8_P12ihipStream_tbENKUlT_T0_E_clISt17integral_constantIbLb0EES10_IbLb1EEEEDaSW_SX_EUlSW_E_NS1_11comp_targetILNS1_3genE9ELNS1_11target_archE1100ELNS1_3gpuE3ELNS1_3repE0EEENS1_30default_config_static_selectorELNS0_4arch9wavefront6targetE1EEEvT1_
	.p2align	8
	.type	_ZN7rocprim17ROCPRIM_400000_NS6detail17trampoline_kernelINS0_14default_configENS1_33run_length_encode_config_selectorIN3c104HalfEjNS0_4plusIjEEEEZZNS1_33reduce_by_key_impl_wrapped_configILNS1_25lookback_scan_determinismE0ES3_S9_PKS6_NS0_17constant_iteratorIjlEEPS6_PlSH_S8_NS0_8equal_toIS6_EEEE10hipError_tPvRmT2_T3_mT4_T5_T6_T7_T8_P12ihipStream_tbENKUlT_T0_E_clISt17integral_constantIbLb0EES10_IbLb1EEEEDaSW_SX_EUlSW_E_NS1_11comp_targetILNS1_3genE9ELNS1_11target_archE1100ELNS1_3gpuE3ELNS1_3repE0EEENS1_30default_config_static_selectorELNS0_4arch9wavefront6targetE1EEEvT1_,@function
_ZN7rocprim17ROCPRIM_400000_NS6detail17trampoline_kernelINS0_14default_configENS1_33run_length_encode_config_selectorIN3c104HalfEjNS0_4plusIjEEEEZZNS1_33reduce_by_key_impl_wrapped_configILNS1_25lookback_scan_determinismE0ES3_S9_PKS6_NS0_17constant_iteratorIjlEEPS6_PlSH_S8_NS0_8equal_toIS6_EEEE10hipError_tPvRmT2_T3_mT4_T5_T6_T7_T8_P12ihipStream_tbENKUlT_T0_E_clISt17integral_constantIbLb0EES10_IbLb1EEEEDaSW_SX_EUlSW_E_NS1_11comp_targetILNS1_3genE9ELNS1_11target_archE1100ELNS1_3gpuE3ELNS1_3repE0EEENS1_30default_config_static_selectorELNS0_4arch9wavefront6targetE1EEEvT1_: ; @_ZN7rocprim17ROCPRIM_400000_NS6detail17trampoline_kernelINS0_14default_configENS1_33run_length_encode_config_selectorIN3c104HalfEjNS0_4plusIjEEEEZZNS1_33reduce_by_key_impl_wrapped_configILNS1_25lookback_scan_determinismE0ES3_S9_PKS6_NS0_17constant_iteratorIjlEEPS6_PlSH_S8_NS0_8equal_toIS6_EEEE10hipError_tPvRmT2_T3_mT4_T5_T6_T7_T8_P12ihipStream_tbENKUlT_T0_E_clISt17integral_constantIbLb0EES10_IbLb1EEEEDaSW_SX_EUlSW_E_NS1_11comp_targetILNS1_3genE9ELNS1_11target_archE1100ELNS1_3gpuE3ELNS1_3repE0EEENS1_30default_config_static_selectorELNS0_4arch9wavefront6targetE1EEEvT1_
; %bb.0:
	.section	.rodata,"a",@progbits
	.p2align	6, 0x0
	.amdhsa_kernel _ZN7rocprim17ROCPRIM_400000_NS6detail17trampoline_kernelINS0_14default_configENS1_33run_length_encode_config_selectorIN3c104HalfEjNS0_4plusIjEEEEZZNS1_33reduce_by_key_impl_wrapped_configILNS1_25lookback_scan_determinismE0ES3_S9_PKS6_NS0_17constant_iteratorIjlEEPS6_PlSH_S8_NS0_8equal_toIS6_EEEE10hipError_tPvRmT2_T3_mT4_T5_T6_T7_T8_P12ihipStream_tbENKUlT_T0_E_clISt17integral_constantIbLb0EES10_IbLb1EEEEDaSW_SX_EUlSW_E_NS1_11comp_targetILNS1_3genE9ELNS1_11target_archE1100ELNS1_3gpuE3ELNS1_3repE0EEENS1_30default_config_static_selectorELNS0_4arch9wavefront6targetE1EEEvT1_
		.amdhsa_group_segment_fixed_size 0
		.amdhsa_private_segment_fixed_size 0
		.amdhsa_kernarg_size 128
		.amdhsa_user_sgpr_count 6
		.amdhsa_user_sgpr_private_segment_buffer 1
		.amdhsa_user_sgpr_dispatch_ptr 0
		.amdhsa_user_sgpr_queue_ptr 0
		.amdhsa_user_sgpr_kernarg_segment_ptr 1
		.amdhsa_user_sgpr_dispatch_id 0
		.amdhsa_user_sgpr_flat_scratch_init 0
		.amdhsa_user_sgpr_kernarg_preload_length 0
		.amdhsa_user_sgpr_kernarg_preload_offset 0
		.amdhsa_user_sgpr_private_segment_size 0
		.amdhsa_uses_dynamic_stack 0
		.amdhsa_system_sgpr_private_segment_wavefront_offset 0
		.amdhsa_system_sgpr_workgroup_id_x 1
		.amdhsa_system_sgpr_workgroup_id_y 0
		.amdhsa_system_sgpr_workgroup_id_z 0
		.amdhsa_system_sgpr_workgroup_info 0
		.amdhsa_system_vgpr_workitem_id 0
		.amdhsa_next_free_vgpr 1
		.amdhsa_next_free_sgpr 0
		.amdhsa_accum_offset 4
		.amdhsa_reserve_vcc 0
		.amdhsa_reserve_flat_scratch 0
		.amdhsa_float_round_mode_32 0
		.amdhsa_float_round_mode_16_64 0
		.amdhsa_float_denorm_mode_32 3
		.amdhsa_float_denorm_mode_16_64 3
		.amdhsa_dx10_clamp 1
		.amdhsa_ieee_mode 1
		.amdhsa_fp16_overflow 0
		.amdhsa_tg_split 0
		.amdhsa_exception_fp_ieee_invalid_op 0
		.amdhsa_exception_fp_denorm_src 0
		.amdhsa_exception_fp_ieee_div_zero 0
		.amdhsa_exception_fp_ieee_overflow 0
		.amdhsa_exception_fp_ieee_underflow 0
		.amdhsa_exception_fp_ieee_inexact 0
		.amdhsa_exception_int_div_zero 0
	.end_amdhsa_kernel
	.section	.text._ZN7rocprim17ROCPRIM_400000_NS6detail17trampoline_kernelINS0_14default_configENS1_33run_length_encode_config_selectorIN3c104HalfEjNS0_4plusIjEEEEZZNS1_33reduce_by_key_impl_wrapped_configILNS1_25lookback_scan_determinismE0ES3_S9_PKS6_NS0_17constant_iteratorIjlEEPS6_PlSH_S8_NS0_8equal_toIS6_EEEE10hipError_tPvRmT2_T3_mT4_T5_T6_T7_T8_P12ihipStream_tbENKUlT_T0_E_clISt17integral_constantIbLb0EES10_IbLb1EEEEDaSW_SX_EUlSW_E_NS1_11comp_targetILNS1_3genE9ELNS1_11target_archE1100ELNS1_3gpuE3ELNS1_3repE0EEENS1_30default_config_static_selectorELNS0_4arch9wavefront6targetE1EEEvT1_,"axG",@progbits,_ZN7rocprim17ROCPRIM_400000_NS6detail17trampoline_kernelINS0_14default_configENS1_33run_length_encode_config_selectorIN3c104HalfEjNS0_4plusIjEEEEZZNS1_33reduce_by_key_impl_wrapped_configILNS1_25lookback_scan_determinismE0ES3_S9_PKS6_NS0_17constant_iteratorIjlEEPS6_PlSH_S8_NS0_8equal_toIS6_EEEE10hipError_tPvRmT2_T3_mT4_T5_T6_T7_T8_P12ihipStream_tbENKUlT_T0_E_clISt17integral_constantIbLb0EES10_IbLb1EEEEDaSW_SX_EUlSW_E_NS1_11comp_targetILNS1_3genE9ELNS1_11target_archE1100ELNS1_3gpuE3ELNS1_3repE0EEENS1_30default_config_static_selectorELNS0_4arch9wavefront6targetE1EEEvT1_,comdat
.Lfunc_end959:
	.size	_ZN7rocprim17ROCPRIM_400000_NS6detail17trampoline_kernelINS0_14default_configENS1_33run_length_encode_config_selectorIN3c104HalfEjNS0_4plusIjEEEEZZNS1_33reduce_by_key_impl_wrapped_configILNS1_25lookback_scan_determinismE0ES3_S9_PKS6_NS0_17constant_iteratorIjlEEPS6_PlSH_S8_NS0_8equal_toIS6_EEEE10hipError_tPvRmT2_T3_mT4_T5_T6_T7_T8_P12ihipStream_tbENKUlT_T0_E_clISt17integral_constantIbLb0EES10_IbLb1EEEEDaSW_SX_EUlSW_E_NS1_11comp_targetILNS1_3genE9ELNS1_11target_archE1100ELNS1_3gpuE3ELNS1_3repE0EEENS1_30default_config_static_selectorELNS0_4arch9wavefront6targetE1EEEvT1_, .Lfunc_end959-_ZN7rocprim17ROCPRIM_400000_NS6detail17trampoline_kernelINS0_14default_configENS1_33run_length_encode_config_selectorIN3c104HalfEjNS0_4plusIjEEEEZZNS1_33reduce_by_key_impl_wrapped_configILNS1_25lookback_scan_determinismE0ES3_S9_PKS6_NS0_17constant_iteratorIjlEEPS6_PlSH_S8_NS0_8equal_toIS6_EEEE10hipError_tPvRmT2_T3_mT4_T5_T6_T7_T8_P12ihipStream_tbENKUlT_T0_E_clISt17integral_constantIbLb0EES10_IbLb1EEEEDaSW_SX_EUlSW_E_NS1_11comp_targetILNS1_3genE9ELNS1_11target_archE1100ELNS1_3gpuE3ELNS1_3repE0EEENS1_30default_config_static_selectorELNS0_4arch9wavefront6targetE1EEEvT1_
                                        ; -- End function
	.section	.AMDGPU.csdata,"",@progbits
; Kernel info:
; codeLenInByte = 0
; NumSgprs: 4
; NumVgprs: 0
; NumAgprs: 0
; TotalNumVgprs: 0
; ScratchSize: 0
; MemoryBound: 0
; FloatMode: 240
; IeeeMode: 1
; LDSByteSize: 0 bytes/workgroup (compile time only)
; SGPRBlocks: 0
; VGPRBlocks: 0
; NumSGPRsForWavesPerEU: 4
; NumVGPRsForWavesPerEU: 1
; AccumOffset: 4
; Occupancy: 8
; WaveLimiterHint : 0
; COMPUTE_PGM_RSRC2:SCRATCH_EN: 0
; COMPUTE_PGM_RSRC2:USER_SGPR: 6
; COMPUTE_PGM_RSRC2:TRAP_HANDLER: 0
; COMPUTE_PGM_RSRC2:TGID_X_EN: 1
; COMPUTE_PGM_RSRC2:TGID_Y_EN: 0
; COMPUTE_PGM_RSRC2:TGID_Z_EN: 0
; COMPUTE_PGM_RSRC2:TIDIG_COMP_CNT: 0
; COMPUTE_PGM_RSRC3_GFX90A:ACCUM_OFFSET: 0
; COMPUTE_PGM_RSRC3_GFX90A:TG_SPLIT: 0
	.section	.text._ZN7rocprim17ROCPRIM_400000_NS6detail17trampoline_kernelINS0_14default_configENS1_33run_length_encode_config_selectorIN3c104HalfEjNS0_4plusIjEEEEZZNS1_33reduce_by_key_impl_wrapped_configILNS1_25lookback_scan_determinismE0ES3_S9_PKS6_NS0_17constant_iteratorIjlEEPS6_PlSH_S8_NS0_8equal_toIS6_EEEE10hipError_tPvRmT2_T3_mT4_T5_T6_T7_T8_P12ihipStream_tbENKUlT_T0_E_clISt17integral_constantIbLb0EES10_IbLb1EEEEDaSW_SX_EUlSW_E_NS1_11comp_targetILNS1_3genE8ELNS1_11target_archE1030ELNS1_3gpuE2ELNS1_3repE0EEENS1_30default_config_static_selectorELNS0_4arch9wavefront6targetE1EEEvT1_,"axG",@progbits,_ZN7rocprim17ROCPRIM_400000_NS6detail17trampoline_kernelINS0_14default_configENS1_33run_length_encode_config_selectorIN3c104HalfEjNS0_4plusIjEEEEZZNS1_33reduce_by_key_impl_wrapped_configILNS1_25lookback_scan_determinismE0ES3_S9_PKS6_NS0_17constant_iteratorIjlEEPS6_PlSH_S8_NS0_8equal_toIS6_EEEE10hipError_tPvRmT2_T3_mT4_T5_T6_T7_T8_P12ihipStream_tbENKUlT_T0_E_clISt17integral_constantIbLb0EES10_IbLb1EEEEDaSW_SX_EUlSW_E_NS1_11comp_targetILNS1_3genE8ELNS1_11target_archE1030ELNS1_3gpuE2ELNS1_3repE0EEENS1_30default_config_static_selectorELNS0_4arch9wavefront6targetE1EEEvT1_,comdat
	.protected	_ZN7rocprim17ROCPRIM_400000_NS6detail17trampoline_kernelINS0_14default_configENS1_33run_length_encode_config_selectorIN3c104HalfEjNS0_4plusIjEEEEZZNS1_33reduce_by_key_impl_wrapped_configILNS1_25lookback_scan_determinismE0ES3_S9_PKS6_NS0_17constant_iteratorIjlEEPS6_PlSH_S8_NS0_8equal_toIS6_EEEE10hipError_tPvRmT2_T3_mT4_T5_T6_T7_T8_P12ihipStream_tbENKUlT_T0_E_clISt17integral_constantIbLb0EES10_IbLb1EEEEDaSW_SX_EUlSW_E_NS1_11comp_targetILNS1_3genE8ELNS1_11target_archE1030ELNS1_3gpuE2ELNS1_3repE0EEENS1_30default_config_static_selectorELNS0_4arch9wavefront6targetE1EEEvT1_ ; -- Begin function _ZN7rocprim17ROCPRIM_400000_NS6detail17trampoline_kernelINS0_14default_configENS1_33run_length_encode_config_selectorIN3c104HalfEjNS0_4plusIjEEEEZZNS1_33reduce_by_key_impl_wrapped_configILNS1_25lookback_scan_determinismE0ES3_S9_PKS6_NS0_17constant_iteratorIjlEEPS6_PlSH_S8_NS0_8equal_toIS6_EEEE10hipError_tPvRmT2_T3_mT4_T5_T6_T7_T8_P12ihipStream_tbENKUlT_T0_E_clISt17integral_constantIbLb0EES10_IbLb1EEEEDaSW_SX_EUlSW_E_NS1_11comp_targetILNS1_3genE8ELNS1_11target_archE1030ELNS1_3gpuE2ELNS1_3repE0EEENS1_30default_config_static_selectorELNS0_4arch9wavefront6targetE1EEEvT1_
	.globl	_ZN7rocprim17ROCPRIM_400000_NS6detail17trampoline_kernelINS0_14default_configENS1_33run_length_encode_config_selectorIN3c104HalfEjNS0_4plusIjEEEEZZNS1_33reduce_by_key_impl_wrapped_configILNS1_25lookback_scan_determinismE0ES3_S9_PKS6_NS0_17constant_iteratorIjlEEPS6_PlSH_S8_NS0_8equal_toIS6_EEEE10hipError_tPvRmT2_T3_mT4_T5_T6_T7_T8_P12ihipStream_tbENKUlT_T0_E_clISt17integral_constantIbLb0EES10_IbLb1EEEEDaSW_SX_EUlSW_E_NS1_11comp_targetILNS1_3genE8ELNS1_11target_archE1030ELNS1_3gpuE2ELNS1_3repE0EEENS1_30default_config_static_selectorELNS0_4arch9wavefront6targetE1EEEvT1_
	.p2align	8
	.type	_ZN7rocprim17ROCPRIM_400000_NS6detail17trampoline_kernelINS0_14default_configENS1_33run_length_encode_config_selectorIN3c104HalfEjNS0_4plusIjEEEEZZNS1_33reduce_by_key_impl_wrapped_configILNS1_25lookback_scan_determinismE0ES3_S9_PKS6_NS0_17constant_iteratorIjlEEPS6_PlSH_S8_NS0_8equal_toIS6_EEEE10hipError_tPvRmT2_T3_mT4_T5_T6_T7_T8_P12ihipStream_tbENKUlT_T0_E_clISt17integral_constantIbLb0EES10_IbLb1EEEEDaSW_SX_EUlSW_E_NS1_11comp_targetILNS1_3genE8ELNS1_11target_archE1030ELNS1_3gpuE2ELNS1_3repE0EEENS1_30default_config_static_selectorELNS0_4arch9wavefront6targetE1EEEvT1_,@function
_ZN7rocprim17ROCPRIM_400000_NS6detail17trampoline_kernelINS0_14default_configENS1_33run_length_encode_config_selectorIN3c104HalfEjNS0_4plusIjEEEEZZNS1_33reduce_by_key_impl_wrapped_configILNS1_25lookback_scan_determinismE0ES3_S9_PKS6_NS0_17constant_iteratorIjlEEPS6_PlSH_S8_NS0_8equal_toIS6_EEEE10hipError_tPvRmT2_T3_mT4_T5_T6_T7_T8_P12ihipStream_tbENKUlT_T0_E_clISt17integral_constantIbLb0EES10_IbLb1EEEEDaSW_SX_EUlSW_E_NS1_11comp_targetILNS1_3genE8ELNS1_11target_archE1030ELNS1_3gpuE2ELNS1_3repE0EEENS1_30default_config_static_selectorELNS0_4arch9wavefront6targetE1EEEvT1_: ; @_ZN7rocprim17ROCPRIM_400000_NS6detail17trampoline_kernelINS0_14default_configENS1_33run_length_encode_config_selectorIN3c104HalfEjNS0_4plusIjEEEEZZNS1_33reduce_by_key_impl_wrapped_configILNS1_25lookback_scan_determinismE0ES3_S9_PKS6_NS0_17constant_iteratorIjlEEPS6_PlSH_S8_NS0_8equal_toIS6_EEEE10hipError_tPvRmT2_T3_mT4_T5_T6_T7_T8_P12ihipStream_tbENKUlT_T0_E_clISt17integral_constantIbLb0EES10_IbLb1EEEEDaSW_SX_EUlSW_E_NS1_11comp_targetILNS1_3genE8ELNS1_11target_archE1030ELNS1_3gpuE2ELNS1_3repE0EEENS1_30default_config_static_selectorELNS0_4arch9wavefront6targetE1EEEvT1_
; %bb.0:
	.section	.rodata,"a",@progbits
	.p2align	6, 0x0
	.amdhsa_kernel _ZN7rocprim17ROCPRIM_400000_NS6detail17trampoline_kernelINS0_14default_configENS1_33run_length_encode_config_selectorIN3c104HalfEjNS0_4plusIjEEEEZZNS1_33reduce_by_key_impl_wrapped_configILNS1_25lookback_scan_determinismE0ES3_S9_PKS6_NS0_17constant_iteratorIjlEEPS6_PlSH_S8_NS0_8equal_toIS6_EEEE10hipError_tPvRmT2_T3_mT4_T5_T6_T7_T8_P12ihipStream_tbENKUlT_T0_E_clISt17integral_constantIbLb0EES10_IbLb1EEEEDaSW_SX_EUlSW_E_NS1_11comp_targetILNS1_3genE8ELNS1_11target_archE1030ELNS1_3gpuE2ELNS1_3repE0EEENS1_30default_config_static_selectorELNS0_4arch9wavefront6targetE1EEEvT1_
		.amdhsa_group_segment_fixed_size 0
		.amdhsa_private_segment_fixed_size 0
		.amdhsa_kernarg_size 128
		.amdhsa_user_sgpr_count 6
		.amdhsa_user_sgpr_private_segment_buffer 1
		.amdhsa_user_sgpr_dispatch_ptr 0
		.amdhsa_user_sgpr_queue_ptr 0
		.amdhsa_user_sgpr_kernarg_segment_ptr 1
		.amdhsa_user_sgpr_dispatch_id 0
		.amdhsa_user_sgpr_flat_scratch_init 0
		.amdhsa_user_sgpr_kernarg_preload_length 0
		.amdhsa_user_sgpr_kernarg_preload_offset 0
		.amdhsa_user_sgpr_private_segment_size 0
		.amdhsa_uses_dynamic_stack 0
		.amdhsa_system_sgpr_private_segment_wavefront_offset 0
		.amdhsa_system_sgpr_workgroup_id_x 1
		.amdhsa_system_sgpr_workgroup_id_y 0
		.amdhsa_system_sgpr_workgroup_id_z 0
		.amdhsa_system_sgpr_workgroup_info 0
		.amdhsa_system_vgpr_workitem_id 0
		.amdhsa_next_free_vgpr 1
		.amdhsa_next_free_sgpr 0
		.amdhsa_accum_offset 4
		.amdhsa_reserve_vcc 0
		.amdhsa_reserve_flat_scratch 0
		.amdhsa_float_round_mode_32 0
		.amdhsa_float_round_mode_16_64 0
		.amdhsa_float_denorm_mode_32 3
		.amdhsa_float_denorm_mode_16_64 3
		.amdhsa_dx10_clamp 1
		.amdhsa_ieee_mode 1
		.amdhsa_fp16_overflow 0
		.amdhsa_tg_split 0
		.amdhsa_exception_fp_ieee_invalid_op 0
		.amdhsa_exception_fp_denorm_src 0
		.amdhsa_exception_fp_ieee_div_zero 0
		.amdhsa_exception_fp_ieee_overflow 0
		.amdhsa_exception_fp_ieee_underflow 0
		.amdhsa_exception_fp_ieee_inexact 0
		.amdhsa_exception_int_div_zero 0
	.end_amdhsa_kernel
	.section	.text._ZN7rocprim17ROCPRIM_400000_NS6detail17trampoline_kernelINS0_14default_configENS1_33run_length_encode_config_selectorIN3c104HalfEjNS0_4plusIjEEEEZZNS1_33reduce_by_key_impl_wrapped_configILNS1_25lookback_scan_determinismE0ES3_S9_PKS6_NS0_17constant_iteratorIjlEEPS6_PlSH_S8_NS0_8equal_toIS6_EEEE10hipError_tPvRmT2_T3_mT4_T5_T6_T7_T8_P12ihipStream_tbENKUlT_T0_E_clISt17integral_constantIbLb0EES10_IbLb1EEEEDaSW_SX_EUlSW_E_NS1_11comp_targetILNS1_3genE8ELNS1_11target_archE1030ELNS1_3gpuE2ELNS1_3repE0EEENS1_30default_config_static_selectorELNS0_4arch9wavefront6targetE1EEEvT1_,"axG",@progbits,_ZN7rocprim17ROCPRIM_400000_NS6detail17trampoline_kernelINS0_14default_configENS1_33run_length_encode_config_selectorIN3c104HalfEjNS0_4plusIjEEEEZZNS1_33reduce_by_key_impl_wrapped_configILNS1_25lookback_scan_determinismE0ES3_S9_PKS6_NS0_17constant_iteratorIjlEEPS6_PlSH_S8_NS0_8equal_toIS6_EEEE10hipError_tPvRmT2_T3_mT4_T5_T6_T7_T8_P12ihipStream_tbENKUlT_T0_E_clISt17integral_constantIbLb0EES10_IbLb1EEEEDaSW_SX_EUlSW_E_NS1_11comp_targetILNS1_3genE8ELNS1_11target_archE1030ELNS1_3gpuE2ELNS1_3repE0EEENS1_30default_config_static_selectorELNS0_4arch9wavefront6targetE1EEEvT1_,comdat
.Lfunc_end960:
	.size	_ZN7rocprim17ROCPRIM_400000_NS6detail17trampoline_kernelINS0_14default_configENS1_33run_length_encode_config_selectorIN3c104HalfEjNS0_4plusIjEEEEZZNS1_33reduce_by_key_impl_wrapped_configILNS1_25lookback_scan_determinismE0ES3_S9_PKS6_NS0_17constant_iteratorIjlEEPS6_PlSH_S8_NS0_8equal_toIS6_EEEE10hipError_tPvRmT2_T3_mT4_T5_T6_T7_T8_P12ihipStream_tbENKUlT_T0_E_clISt17integral_constantIbLb0EES10_IbLb1EEEEDaSW_SX_EUlSW_E_NS1_11comp_targetILNS1_3genE8ELNS1_11target_archE1030ELNS1_3gpuE2ELNS1_3repE0EEENS1_30default_config_static_selectorELNS0_4arch9wavefront6targetE1EEEvT1_, .Lfunc_end960-_ZN7rocprim17ROCPRIM_400000_NS6detail17trampoline_kernelINS0_14default_configENS1_33run_length_encode_config_selectorIN3c104HalfEjNS0_4plusIjEEEEZZNS1_33reduce_by_key_impl_wrapped_configILNS1_25lookback_scan_determinismE0ES3_S9_PKS6_NS0_17constant_iteratorIjlEEPS6_PlSH_S8_NS0_8equal_toIS6_EEEE10hipError_tPvRmT2_T3_mT4_T5_T6_T7_T8_P12ihipStream_tbENKUlT_T0_E_clISt17integral_constantIbLb0EES10_IbLb1EEEEDaSW_SX_EUlSW_E_NS1_11comp_targetILNS1_3genE8ELNS1_11target_archE1030ELNS1_3gpuE2ELNS1_3repE0EEENS1_30default_config_static_selectorELNS0_4arch9wavefront6targetE1EEEvT1_
                                        ; -- End function
	.section	.AMDGPU.csdata,"",@progbits
; Kernel info:
; codeLenInByte = 0
; NumSgprs: 4
; NumVgprs: 0
; NumAgprs: 0
; TotalNumVgprs: 0
; ScratchSize: 0
; MemoryBound: 0
; FloatMode: 240
; IeeeMode: 1
; LDSByteSize: 0 bytes/workgroup (compile time only)
; SGPRBlocks: 0
; VGPRBlocks: 0
; NumSGPRsForWavesPerEU: 4
; NumVGPRsForWavesPerEU: 1
; AccumOffset: 4
; Occupancy: 8
; WaveLimiterHint : 0
; COMPUTE_PGM_RSRC2:SCRATCH_EN: 0
; COMPUTE_PGM_RSRC2:USER_SGPR: 6
; COMPUTE_PGM_RSRC2:TRAP_HANDLER: 0
; COMPUTE_PGM_RSRC2:TGID_X_EN: 1
; COMPUTE_PGM_RSRC2:TGID_Y_EN: 0
; COMPUTE_PGM_RSRC2:TGID_Z_EN: 0
; COMPUTE_PGM_RSRC2:TIDIG_COMP_CNT: 0
; COMPUTE_PGM_RSRC3_GFX90A:ACCUM_OFFSET: 0
; COMPUTE_PGM_RSRC3_GFX90A:TG_SPLIT: 0
	.text
	.p2alignl 6, 3212836864
	.fill 256, 4, 3212836864
	.type	__hip_cuid_a9ccf633e818093c,@object ; @__hip_cuid_a9ccf633e818093c
	.section	.bss,"aw",@nobits
	.globl	__hip_cuid_a9ccf633e818093c
__hip_cuid_a9ccf633e818093c:
	.byte	0                               ; 0x0
	.size	__hip_cuid_a9ccf633e818093c, 1

	.ident	"AMD clang version 19.0.0git (https://github.com/RadeonOpenCompute/llvm-project roc-6.4.0 25133 c7fe45cf4b819c5991fe208aaa96edf142730f1d)"
	.section	".note.GNU-stack","",@progbits
	.addrsig
	.addrsig_sym __hip_cuid_a9ccf633e818093c
	.amdgpu_metadata
---
amdhsa.kernels:
  - .agpr_count:     0
    .args:
      - .offset:         0
        .size:           8
        .value_kind:     by_value
      - .address_space:  global
        .offset:         8
        .size:           8
        .value_kind:     global_buffer
      - .address_space:  global
        .offset:         16
        .size:           8
        .value_kind:     global_buffer
      - .address_space:  global
        .offset:         24
        .size:           8
        .value_kind:     global_buffer
      - .offset:         32
        .size:           4
        .value_kind:     hidden_block_count_x
      - .offset:         36
        .size:           4
        .value_kind:     hidden_block_count_y
      - .offset:         40
        .size:           4
        .value_kind:     hidden_block_count_z
      - .offset:         44
        .size:           2
        .value_kind:     hidden_group_size_x
      - .offset:         46
        .size:           2
        .value_kind:     hidden_group_size_y
      - .offset:         48
        .size:           2
        .value_kind:     hidden_group_size_z
      - .offset:         50
        .size:           2
        .value_kind:     hidden_remainder_x
      - .offset:         52
        .size:           2
        .value_kind:     hidden_remainder_y
      - .offset:         54
        .size:           2
        .value_kind:     hidden_remainder_z
      - .offset:         72
        .size:           8
        .value_kind:     hidden_global_offset_x
      - .offset:         80
        .size:           8
        .value_kind:     hidden_global_offset_y
      - .offset:         88
        .size:           8
        .value_kind:     hidden_global_offset_z
      - .offset:         96
        .size:           2
        .value_kind:     hidden_grid_dims
    .group_segment_fixed_size: 0
    .kernarg_segment_align: 8
    .kernarg_segment_size: 288
    .language:       OpenCL C
    .language_version:
      - 2
      - 0
    .max_flat_workgroup_size: 1024
    .name:           _ZN2at6native8internal12_GLOBAL__N_114scatter_kernelElPKlS4_Pl
    .private_segment_fixed_size: 0
    .sgpr_count:     20
    .sgpr_spill_count: 0
    .symbol:         _ZN2at6native8internal12_GLOBAL__N_114scatter_kernelElPKlS4_Pl.kd
    .uniform_work_group_size: 1
    .uses_dynamic_stack: false
    .vgpr_count:     14
    .vgpr_spill_count: 0
    .wavefront_size: 64
  - .agpr_count:     0
    .args:
      - .offset:         0
        .size:           4
        .value_kind:     by_value
      - .address_space:  global
        .offset:         8
        .size:           8
        .value_kind:     global_buffer
      - .address_space:  global
        .offset:         16
        .size:           8
        .value_kind:     global_buffer
      - .address_space:  global
        .offset:         24
        .size:           8
        .value_kind:     global_buffer
      - .offset:         32
        .size:           4
        .value_kind:     hidden_block_count_x
      - .offset:         36
        .size:           4
        .value_kind:     hidden_block_count_y
      - .offset:         40
        .size:           4
        .value_kind:     hidden_block_count_z
      - .offset:         44
        .size:           2
        .value_kind:     hidden_group_size_x
      - .offset:         46
        .size:           2
        .value_kind:     hidden_group_size_y
      - .offset:         48
        .size:           2
        .value_kind:     hidden_group_size_z
      - .offset:         50
        .size:           2
        .value_kind:     hidden_remainder_x
      - .offset:         52
        .size:           2
        .value_kind:     hidden_remainder_y
      - .offset:         54
        .size:           2
        .value_kind:     hidden_remainder_z
      - .offset:         72
        .size:           8
        .value_kind:     hidden_global_offset_x
      - .offset:         80
        .size:           8
        .value_kind:     hidden_global_offset_y
      - .offset:         88
        .size:           8
        .value_kind:     hidden_global_offset_z
      - .offset:         96
        .size:           2
        .value_kind:     hidden_grid_dims
    .group_segment_fixed_size: 0
    .kernarg_segment_align: 8
    .kernarg_segment_size: 288
    .language:       OpenCL C
    .language_version:
      - 2
      - 0
    .max_flat_workgroup_size: 1024
    .name:           _ZN2at6native8internal33unique_bool_write_inverse_indicesEiPKiPKbPl
    .private_segment_fixed_size: 0
    .sgpr_count:     19
    .sgpr_spill_count: 0
    .symbol:         _ZN2at6native8internal33unique_bool_write_inverse_indicesEiPKiPKbPl.kd
    .uniform_work_group_size: 1
    .uses_dynamic_stack: false
    .vgpr_count:     12
    .vgpr_spill_count: 0
    .wavefront_size: 64
  - .agpr_count:     0
    .args:
      - .offset:         0
        .size:           4
        .value_kind:     by_value
      - .address_space:  global
        .offset:         8
        .size:           8
        .value_kind:     global_buffer
      - .address_space:  global
        .offset:         16
        .size:           8
        .value_kind:     global_buffer
      - .address_space:  global
        .offset:         24
        .size:           8
        .value_kind:     global_buffer
    .group_segment_fixed_size: 0
    .kernarg_segment_align: 8
    .kernarg_segment_size: 32
    .language:       OpenCL C
    .language_version:
      - 2
      - 0
    .max_flat_workgroup_size: 1
    .name:           _ZN2at6native8internal24unique_bool_write_outputEiPKiPbPl
    .private_segment_fixed_size: 0
    .sgpr_count:     14
    .sgpr_spill_count: 0
    .symbol:         _ZN2at6native8internal24unique_bool_write_outputEiPKiPbPl.kd
    .uniform_work_group_size: 1
    .uses_dynamic_stack: false
    .vgpr_count:     4
    .vgpr_spill_count: 0
    .wavefront_size: 64
  - .agpr_count:     0
    .args:
      - .offset:         0
        .size:           8
        .value_kind:     by_value
      - .offset:         8
        .size:           16
        .value_kind:     by_value
      - .address_space:  global
        .offset:         24
        .size:           8
        .value_kind:     global_buffer
      - .offset:         32
        .size:           4
        .value_kind:     hidden_block_count_x
      - .offset:         36
        .size:           4
        .value_kind:     hidden_block_count_y
      - .offset:         40
        .size:           4
        .value_kind:     hidden_block_count_z
      - .offset:         44
        .size:           2
        .value_kind:     hidden_group_size_x
      - .offset:         46
        .size:           2
        .value_kind:     hidden_group_size_y
      - .offset:         48
        .size:           2
        .value_kind:     hidden_group_size_z
      - .offset:         50
        .size:           2
        .value_kind:     hidden_remainder_x
      - .offset:         52
        .size:           2
        .value_kind:     hidden_remainder_y
      - .offset:         54
        .size:           2
        .value_kind:     hidden_remainder_z
      - .offset:         72
        .size:           8
        .value_kind:     hidden_global_offset_x
      - .offset:         80
        .size:           8
        .value_kind:     hidden_global_offset_y
      - .offset:         88
        .size:           8
        .value_kind:     hidden_global_offset_z
      - .offset:         96
        .size:           2
        .value_kind:     hidden_grid_dims
    .group_segment_fixed_size: 0
    .kernarg_segment_align: 8
    .kernarg_segment_size: 288
    .language:       OpenCL C
    .language_version:
      - 2
      - 0
    .max_flat_workgroup_size: 1024
    .name:           _ZN2at6native8internal12_GLOBAL__N_126adjacent_difference_kernelIN6hipcub16HIPCUB_304000_NS22TransformInputIteratorIbNS2_10LoadBoolOpEPKhlEEEEvlT_Pi
    .private_segment_fixed_size: 0
    .sgpr_count:     18
    .sgpr_spill_count: 0
    .symbol:         _ZN2at6native8internal12_GLOBAL__N_126adjacent_difference_kernelIN6hipcub16HIPCUB_304000_NS22TransformInputIteratorIbNS2_10LoadBoolOpEPKhlEEEEvlT_Pi.kd
    .uniform_work_group_size: 1
    .uses_dynamic_stack: false
    .vgpr_count:     13
    .vgpr_spill_count: 0
    .wavefront_size: 64
  - .agpr_count:     0
    .args:
      - .address_space:  global
        .offset:         0
        .size:           8
        .value_kind:     global_buffer
      - .offset:         8
        .size:           4
        .value_kind:     by_value
      - .offset:         12
        .size:           1
        .value_kind:     by_value
      - .offset:         16
        .size:           4
        .value_kind:     by_value
      - .address_space:  global
        .offset:         24
        .size:           8
        .value_kind:     global_buffer
      - .offset:         32
        .size:           4
        .value_kind:     hidden_block_count_x
      - .offset:         36
        .size:           4
        .value_kind:     hidden_block_count_y
      - .offset:         40
        .size:           4
        .value_kind:     hidden_block_count_z
      - .offset:         44
        .size:           2
        .value_kind:     hidden_group_size_x
      - .offset:         46
        .size:           2
        .value_kind:     hidden_group_size_y
      - .offset:         48
        .size:           2
        .value_kind:     hidden_group_size_z
      - .offset:         50
        .size:           2
        .value_kind:     hidden_remainder_x
      - .offset:         52
        .size:           2
        .value_kind:     hidden_remainder_y
      - .offset:         54
        .size:           2
        .value_kind:     hidden_remainder_z
      - .offset:         72
        .size:           8
        .value_kind:     hidden_global_offset_x
      - .offset:         80
        .size:           8
        .value_kind:     hidden_global_offset_y
      - .offset:         88
        .size:           8
        .value_kind:     hidden_global_offset_z
      - .offset:         96
        .size:           2
        .value_kind:     hidden_grid_dims
    .group_segment_fixed_size: 0
    .kernarg_segment_align: 8
    .kernarg_segment_size: 288
    .language:       OpenCL C
    .language_version:
      - 2
      - 0
    .max_flat_workgroup_size: 256
    .name:           _ZN7rocprim17ROCPRIM_400000_NS6detail31init_lookback_scan_state_kernelINS1_19lookback_scan_stateIjLb0ELb1EEENS1_16block_id_wrapperIjLb0EEEEEvT_jT0_jPNS7_10value_typeE
    .private_segment_fixed_size: 0
    .sgpr_count:     13
    .sgpr_spill_count: 0
    .symbol:         _ZN7rocprim17ROCPRIM_400000_NS6detail31init_lookback_scan_state_kernelINS1_19lookback_scan_stateIjLb0ELb1EEENS1_16block_id_wrapperIjLb0EEEEEvT_jT0_jPNS7_10value_typeE.kd
    .uniform_work_group_size: 1
    .uses_dynamic_stack: false
    .vgpr_count:     6
    .vgpr_spill_count: 0
    .wavefront_size: 64
  - .agpr_count:     0
    .args:
      - .offset:         0
        .size:           120
        .value_kind:     by_value
    .group_segment_fixed_size: 0
    .kernarg_segment_align: 8
    .kernarg_segment_size: 120
    .language:       OpenCL C
    .language_version:
      - 2
      - 0
    .max_flat_workgroup_size: 256
    .name:           _ZN7rocprim17ROCPRIM_400000_NS6detail17trampoline_kernelINS0_14default_configENS1_25partition_config_selectorILNS1_17partition_subalgoE8EbNS0_10empty_typeEbEEZZNS1_14partition_implILS5_8ELb0ES3_jN6hipcub16HIPCUB_304000_NS22TransformInputIteratorIbN2at6native8internal12_GLOBAL__N_110LoadBoolOpEPKhlEEPS6_PKS6_NS0_5tupleIJPbS6_EEENSN_IJSK_SK_EEENS0_18inequality_wrapperINSA_8EqualityEEEPlJS6_EEE10hipError_tPvRmT3_T4_T5_T6_T7_T9_mT8_P12ihipStream_tbDpT10_ENKUlT_T0_E_clISt17integral_constantIbLb0EES1E_EEDaS19_S1A_EUlS19_E_NS1_11comp_targetILNS1_3genE0ELNS1_11target_archE4294967295ELNS1_3gpuE0ELNS1_3repE0EEENS1_30default_config_static_selectorELNS0_4arch9wavefront6targetE1EEEvT1_
    .private_segment_fixed_size: 0
    .sgpr_count:     4
    .sgpr_spill_count: 0
    .symbol:         _ZN7rocprim17ROCPRIM_400000_NS6detail17trampoline_kernelINS0_14default_configENS1_25partition_config_selectorILNS1_17partition_subalgoE8EbNS0_10empty_typeEbEEZZNS1_14partition_implILS5_8ELb0ES3_jN6hipcub16HIPCUB_304000_NS22TransformInputIteratorIbN2at6native8internal12_GLOBAL__N_110LoadBoolOpEPKhlEEPS6_PKS6_NS0_5tupleIJPbS6_EEENSN_IJSK_SK_EEENS0_18inequality_wrapperINSA_8EqualityEEEPlJS6_EEE10hipError_tPvRmT3_T4_T5_T6_T7_T9_mT8_P12ihipStream_tbDpT10_ENKUlT_T0_E_clISt17integral_constantIbLb0EES1E_EEDaS19_S1A_EUlS19_E_NS1_11comp_targetILNS1_3genE0ELNS1_11target_archE4294967295ELNS1_3gpuE0ELNS1_3repE0EEENS1_30default_config_static_selectorELNS0_4arch9wavefront6targetE1EEEvT1_.kd
    .uniform_work_group_size: 1
    .uses_dynamic_stack: false
    .vgpr_count:     0
    .vgpr_spill_count: 0
    .wavefront_size: 64
  - .agpr_count:     0
    .args:
      - .offset:         0
        .size:           120
        .value_kind:     by_value
    .group_segment_fixed_size: 0
    .kernarg_segment_align: 8
    .kernarg_segment_size: 120
    .language:       OpenCL C
    .language_version:
      - 2
      - 0
    .max_flat_workgroup_size: 512
    .name:           _ZN7rocprim17ROCPRIM_400000_NS6detail17trampoline_kernelINS0_14default_configENS1_25partition_config_selectorILNS1_17partition_subalgoE8EbNS0_10empty_typeEbEEZZNS1_14partition_implILS5_8ELb0ES3_jN6hipcub16HIPCUB_304000_NS22TransformInputIteratorIbN2at6native8internal12_GLOBAL__N_110LoadBoolOpEPKhlEEPS6_PKS6_NS0_5tupleIJPbS6_EEENSN_IJSK_SK_EEENS0_18inequality_wrapperINSA_8EqualityEEEPlJS6_EEE10hipError_tPvRmT3_T4_T5_T6_T7_T9_mT8_P12ihipStream_tbDpT10_ENKUlT_T0_E_clISt17integral_constantIbLb0EES1E_EEDaS19_S1A_EUlS19_E_NS1_11comp_targetILNS1_3genE5ELNS1_11target_archE942ELNS1_3gpuE9ELNS1_3repE0EEENS1_30default_config_static_selectorELNS0_4arch9wavefront6targetE1EEEvT1_
    .private_segment_fixed_size: 0
    .sgpr_count:     4
    .sgpr_spill_count: 0
    .symbol:         _ZN7rocprim17ROCPRIM_400000_NS6detail17trampoline_kernelINS0_14default_configENS1_25partition_config_selectorILNS1_17partition_subalgoE8EbNS0_10empty_typeEbEEZZNS1_14partition_implILS5_8ELb0ES3_jN6hipcub16HIPCUB_304000_NS22TransformInputIteratorIbN2at6native8internal12_GLOBAL__N_110LoadBoolOpEPKhlEEPS6_PKS6_NS0_5tupleIJPbS6_EEENSN_IJSK_SK_EEENS0_18inequality_wrapperINSA_8EqualityEEEPlJS6_EEE10hipError_tPvRmT3_T4_T5_T6_T7_T9_mT8_P12ihipStream_tbDpT10_ENKUlT_T0_E_clISt17integral_constantIbLb0EES1E_EEDaS19_S1A_EUlS19_E_NS1_11comp_targetILNS1_3genE5ELNS1_11target_archE942ELNS1_3gpuE9ELNS1_3repE0EEENS1_30default_config_static_selectorELNS0_4arch9wavefront6targetE1EEEvT1_.kd
    .uniform_work_group_size: 1
    .uses_dynamic_stack: false
    .vgpr_count:     0
    .vgpr_spill_count: 0
    .wavefront_size: 64
  - .agpr_count:     0
    .args:
      - .offset:         0
        .size:           120
        .value_kind:     by_value
    .group_segment_fixed_size: 4236
    .kernarg_segment_align: 8
    .kernarg_segment_size: 120
    .language:       OpenCL C
    .language_version:
      - 2
      - 0
    .max_flat_workgroup_size: 128
    .name:           _ZN7rocprim17ROCPRIM_400000_NS6detail17trampoline_kernelINS0_14default_configENS1_25partition_config_selectorILNS1_17partition_subalgoE8EbNS0_10empty_typeEbEEZZNS1_14partition_implILS5_8ELb0ES3_jN6hipcub16HIPCUB_304000_NS22TransformInputIteratorIbN2at6native8internal12_GLOBAL__N_110LoadBoolOpEPKhlEEPS6_PKS6_NS0_5tupleIJPbS6_EEENSN_IJSK_SK_EEENS0_18inequality_wrapperINSA_8EqualityEEEPlJS6_EEE10hipError_tPvRmT3_T4_T5_T6_T7_T9_mT8_P12ihipStream_tbDpT10_ENKUlT_T0_E_clISt17integral_constantIbLb0EES1E_EEDaS19_S1A_EUlS19_E_NS1_11comp_targetILNS1_3genE4ELNS1_11target_archE910ELNS1_3gpuE8ELNS1_3repE0EEENS1_30default_config_static_selectorELNS0_4arch9wavefront6targetE1EEEvT1_
    .private_segment_fixed_size: 0
    .sgpr_count:     86
    .sgpr_spill_count: 0
    .symbol:         _ZN7rocprim17ROCPRIM_400000_NS6detail17trampoline_kernelINS0_14default_configENS1_25partition_config_selectorILNS1_17partition_subalgoE8EbNS0_10empty_typeEbEEZZNS1_14partition_implILS5_8ELb0ES3_jN6hipcub16HIPCUB_304000_NS22TransformInputIteratorIbN2at6native8internal12_GLOBAL__N_110LoadBoolOpEPKhlEEPS6_PKS6_NS0_5tupleIJPbS6_EEENSN_IJSK_SK_EEENS0_18inequality_wrapperINSA_8EqualityEEEPlJS6_EEE10hipError_tPvRmT3_T4_T5_T6_T7_T9_mT8_P12ihipStream_tbDpT10_ENKUlT_T0_E_clISt17integral_constantIbLb0EES1E_EEDaS19_S1A_EUlS19_E_NS1_11comp_targetILNS1_3genE4ELNS1_11target_archE910ELNS1_3gpuE8ELNS1_3repE0EEENS1_30default_config_static_selectorELNS0_4arch9wavefront6targetE1EEEvT1_.kd
    .uniform_work_group_size: 1
    .uses_dynamic_stack: false
    .vgpr_count:     125
    .vgpr_spill_count: 0
    .wavefront_size: 64
  - .agpr_count:     0
    .args:
      - .offset:         0
        .size:           120
        .value_kind:     by_value
    .group_segment_fixed_size: 0
    .kernarg_segment_align: 8
    .kernarg_segment_size: 120
    .language:       OpenCL C
    .language_version:
      - 2
      - 0
    .max_flat_workgroup_size: 256
    .name:           _ZN7rocprim17ROCPRIM_400000_NS6detail17trampoline_kernelINS0_14default_configENS1_25partition_config_selectorILNS1_17partition_subalgoE8EbNS0_10empty_typeEbEEZZNS1_14partition_implILS5_8ELb0ES3_jN6hipcub16HIPCUB_304000_NS22TransformInputIteratorIbN2at6native8internal12_GLOBAL__N_110LoadBoolOpEPKhlEEPS6_PKS6_NS0_5tupleIJPbS6_EEENSN_IJSK_SK_EEENS0_18inequality_wrapperINSA_8EqualityEEEPlJS6_EEE10hipError_tPvRmT3_T4_T5_T6_T7_T9_mT8_P12ihipStream_tbDpT10_ENKUlT_T0_E_clISt17integral_constantIbLb0EES1E_EEDaS19_S1A_EUlS19_E_NS1_11comp_targetILNS1_3genE3ELNS1_11target_archE908ELNS1_3gpuE7ELNS1_3repE0EEENS1_30default_config_static_selectorELNS0_4arch9wavefront6targetE1EEEvT1_
    .private_segment_fixed_size: 0
    .sgpr_count:     4
    .sgpr_spill_count: 0
    .symbol:         _ZN7rocprim17ROCPRIM_400000_NS6detail17trampoline_kernelINS0_14default_configENS1_25partition_config_selectorILNS1_17partition_subalgoE8EbNS0_10empty_typeEbEEZZNS1_14partition_implILS5_8ELb0ES3_jN6hipcub16HIPCUB_304000_NS22TransformInputIteratorIbN2at6native8internal12_GLOBAL__N_110LoadBoolOpEPKhlEEPS6_PKS6_NS0_5tupleIJPbS6_EEENSN_IJSK_SK_EEENS0_18inequality_wrapperINSA_8EqualityEEEPlJS6_EEE10hipError_tPvRmT3_T4_T5_T6_T7_T9_mT8_P12ihipStream_tbDpT10_ENKUlT_T0_E_clISt17integral_constantIbLb0EES1E_EEDaS19_S1A_EUlS19_E_NS1_11comp_targetILNS1_3genE3ELNS1_11target_archE908ELNS1_3gpuE7ELNS1_3repE0EEENS1_30default_config_static_selectorELNS0_4arch9wavefront6targetE1EEEvT1_.kd
    .uniform_work_group_size: 1
    .uses_dynamic_stack: false
    .vgpr_count:     0
    .vgpr_spill_count: 0
    .wavefront_size: 64
  - .agpr_count:     0
    .args:
      - .offset:         0
        .size:           120
        .value_kind:     by_value
    .group_segment_fixed_size: 0
    .kernarg_segment_align: 8
    .kernarg_segment_size: 120
    .language:       OpenCL C
    .language_version:
      - 2
      - 0
    .max_flat_workgroup_size: 192
    .name:           _ZN7rocprim17ROCPRIM_400000_NS6detail17trampoline_kernelINS0_14default_configENS1_25partition_config_selectorILNS1_17partition_subalgoE8EbNS0_10empty_typeEbEEZZNS1_14partition_implILS5_8ELb0ES3_jN6hipcub16HIPCUB_304000_NS22TransformInputIteratorIbN2at6native8internal12_GLOBAL__N_110LoadBoolOpEPKhlEEPS6_PKS6_NS0_5tupleIJPbS6_EEENSN_IJSK_SK_EEENS0_18inequality_wrapperINSA_8EqualityEEEPlJS6_EEE10hipError_tPvRmT3_T4_T5_T6_T7_T9_mT8_P12ihipStream_tbDpT10_ENKUlT_T0_E_clISt17integral_constantIbLb0EES1E_EEDaS19_S1A_EUlS19_E_NS1_11comp_targetILNS1_3genE2ELNS1_11target_archE906ELNS1_3gpuE6ELNS1_3repE0EEENS1_30default_config_static_selectorELNS0_4arch9wavefront6targetE1EEEvT1_
    .private_segment_fixed_size: 0
    .sgpr_count:     4
    .sgpr_spill_count: 0
    .symbol:         _ZN7rocprim17ROCPRIM_400000_NS6detail17trampoline_kernelINS0_14default_configENS1_25partition_config_selectorILNS1_17partition_subalgoE8EbNS0_10empty_typeEbEEZZNS1_14partition_implILS5_8ELb0ES3_jN6hipcub16HIPCUB_304000_NS22TransformInputIteratorIbN2at6native8internal12_GLOBAL__N_110LoadBoolOpEPKhlEEPS6_PKS6_NS0_5tupleIJPbS6_EEENSN_IJSK_SK_EEENS0_18inequality_wrapperINSA_8EqualityEEEPlJS6_EEE10hipError_tPvRmT3_T4_T5_T6_T7_T9_mT8_P12ihipStream_tbDpT10_ENKUlT_T0_E_clISt17integral_constantIbLb0EES1E_EEDaS19_S1A_EUlS19_E_NS1_11comp_targetILNS1_3genE2ELNS1_11target_archE906ELNS1_3gpuE6ELNS1_3repE0EEENS1_30default_config_static_selectorELNS0_4arch9wavefront6targetE1EEEvT1_.kd
    .uniform_work_group_size: 1
    .uses_dynamic_stack: false
    .vgpr_count:     0
    .vgpr_spill_count: 0
    .wavefront_size: 64
  - .agpr_count:     0
    .args:
      - .offset:         0
        .size:           120
        .value_kind:     by_value
    .group_segment_fixed_size: 0
    .kernarg_segment_align: 8
    .kernarg_segment_size: 120
    .language:       OpenCL C
    .language_version:
      - 2
      - 0
    .max_flat_workgroup_size: 256
    .name:           _ZN7rocprim17ROCPRIM_400000_NS6detail17trampoline_kernelINS0_14default_configENS1_25partition_config_selectorILNS1_17partition_subalgoE8EbNS0_10empty_typeEbEEZZNS1_14partition_implILS5_8ELb0ES3_jN6hipcub16HIPCUB_304000_NS22TransformInputIteratorIbN2at6native8internal12_GLOBAL__N_110LoadBoolOpEPKhlEEPS6_PKS6_NS0_5tupleIJPbS6_EEENSN_IJSK_SK_EEENS0_18inequality_wrapperINSA_8EqualityEEEPlJS6_EEE10hipError_tPvRmT3_T4_T5_T6_T7_T9_mT8_P12ihipStream_tbDpT10_ENKUlT_T0_E_clISt17integral_constantIbLb0EES1E_EEDaS19_S1A_EUlS19_E_NS1_11comp_targetILNS1_3genE10ELNS1_11target_archE1200ELNS1_3gpuE4ELNS1_3repE0EEENS1_30default_config_static_selectorELNS0_4arch9wavefront6targetE1EEEvT1_
    .private_segment_fixed_size: 0
    .sgpr_count:     4
    .sgpr_spill_count: 0
    .symbol:         _ZN7rocprim17ROCPRIM_400000_NS6detail17trampoline_kernelINS0_14default_configENS1_25partition_config_selectorILNS1_17partition_subalgoE8EbNS0_10empty_typeEbEEZZNS1_14partition_implILS5_8ELb0ES3_jN6hipcub16HIPCUB_304000_NS22TransformInputIteratorIbN2at6native8internal12_GLOBAL__N_110LoadBoolOpEPKhlEEPS6_PKS6_NS0_5tupleIJPbS6_EEENSN_IJSK_SK_EEENS0_18inequality_wrapperINSA_8EqualityEEEPlJS6_EEE10hipError_tPvRmT3_T4_T5_T6_T7_T9_mT8_P12ihipStream_tbDpT10_ENKUlT_T0_E_clISt17integral_constantIbLb0EES1E_EEDaS19_S1A_EUlS19_E_NS1_11comp_targetILNS1_3genE10ELNS1_11target_archE1200ELNS1_3gpuE4ELNS1_3repE0EEENS1_30default_config_static_selectorELNS0_4arch9wavefront6targetE1EEEvT1_.kd
    .uniform_work_group_size: 1
    .uses_dynamic_stack: false
    .vgpr_count:     0
    .vgpr_spill_count: 0
    .wavefront_size: 64
  - .agpr_count:     0
    .args:
      - .offset:         0
        .size:           120
        .value_kind:     by_value
    .group_segment_fixed_size: 0
    .kernarg_segment_align: 8
    .kernarg_segment_size: 120
    .language:       OpenCL C
    .language_version:
      - 2
      - 0
    .max_flat_workgroup_size: 384
    .name:           _ZN7rocprim17ROCPRIM_400000_NS6detail17trampoline_kernelINS0_14default_configENS1_25partition_config_selectorILNS1_17partition_subalgoE8EbNS0_10empty_typeEbEEZZNS1_14partition_implILS5_8ELb0ES3_jN6hipcub16HIPCUB_304000_NS22TransformInputIteratorIbN2at6native8internal12_GLOBAL__N_110LoadBoolOpEPKhlEEPS6_PKS6_NS0_5tupleIJPbS6_EEENSN_IJSK_SK_EEENS0_18inequality_wrapperINSA_8EqualityEEEPlJS6_EEE10hipError_tPvRmT3_T4_T5_T6_T7_T9_mT8_P12ihipStream_tbDpT10_ENKUlT_T0_E_clISt17integral_constantIbLb0EES1E_EEDaS19_S1A_EUlS19_E_NS1_11comp_targetILNS1_3genE9ELNS1_11target_archE1100ELNS1_3gpuE3ELNS1_3repE0EEENS1_30default_config_static_selectorELNS0_4arch9wavefront6targetE1EEEvT1_
    .private_segment_fixed_size: 0
    .sgpr_count:     4
    .sgpr_spill_count: 0
    .symbol:         _ZN7rocprim17ROCPRIM_400000_NS6detail17trampoline_kernelINS0_14default_configENS1_25partition_config_selectorILNS1_17partition_subalgoE8EbNS0_10empty_typeEbEEZZNS1_14partition_implILS5_8ELb0ES3_jN6hipcub16HIPCUB_304000_NS22TransformInputIteratorIbN2at6native8internal12_GLOBAL__N_110LoadBoolOpEPKhlEEPS6_PKS6_NS0_5tupleIJPbS6_EEENSN_IJSK_SK_EEENS0_18inequality_wrapperINSA_8EqualityEEEPlJS6_EEE10hipError_tPvRmT3_T4_T5_T6_T7_T9_mT8_P12ihipStream_tbDpT10_ENKUlT_T0_E_clISt17integral_constantIbLb0EES1E_EEDaS19_S1A_EUlS19_E_NS1_11comp_targetILNS1_3genE9ELNS1_11target_archE1100ELNS1_3gpuE3ELNS1_3repE0EEENS1_30default_config_static_selectorELNS0_4arch9wavefront6targetE1EEEvT1_.kd
    .uniform_work_group_size: 1
    .uses_dynamic_stack: false
    .vgpr_count:     0
    .vgpr_spill_count: 0
    .wavefront_size: 64
  - .agpr_count:     0
    .args:
      - .offset:         0
        .size:           120
        .value_kind:     by_value
    .group_segment_fixed_size: 0
    .kernarg_segment_align: 8
    .kernarg_segment_size: 120
    .language:       OpenCL C
    .language_version:
      - 2
      - 0
    .max_flat_workgroup_size: 384
    .name:           _ZN7rocprim17ROCPRIM_400000_NS6detail17trampoline_kernelINS0_14default_configENS1_25partition_config_selectorILNS1_17partition_subalgoE8EbNS0_10empty_typeEbEEZZNS1_14partition_implILS5_8ELb0ES3_jN6hipcub16HIPCUB_304000_NS22TransformInputIteratorIbN2at6native8internal12_GLOBAL__N_110LoadBoolOpEPKhlEEPS6_PKS6_NS0_5tupleIJPbS6_EEENSN_IJSK_SK_EEENS0_18inequality_wrapperINSA_8EqualityEEEPlJS6_EEE10hipError_tPvRmT3_T4_T5_T6_T7_T9_mT8_P12ihipStream_tbDpT10_ENKUlT_T0_E_clISt17integral_constantIbLb0EES1E_EEDaS19_S1A_EUlS19_E_NS1_11comp_targetILNS1_3genE8ELNS1_11target_archE1030ELNS1_3gpuE2ELNS1_3repE0EEENS1_30default_config_static_selectorELNS0_4arch9wavefront6targetE1EEEvT1_
    .private_segment_fixed_size: 0
    .sgpr_count:     4
    .sgpr_spill_count: 0
    .symbol:         _ZN7rocprim17ROCPRIM_400000_NS6detail17trampoline_kernelINS0_14default_configENS1_25partition_config_selectorILNS1_17partition_subalgoE8EbNS0_10empty_typeEbEEZZNS1_14partition_implILS5_8ELb0ES3_jN6hipcub16HIPCUB_304000_NS22TransformInputIteratorIbN2at6native8internal12_GLOBAL__N_110LoadBoolOpEPKhlEEPS6_PKS6_NS0_5tupleIJPbS6_EEENSN_IJSK_SK_EEENS0_18inequality_wrapperINSA_8EqualityEEEPlJS6_EEE10hipError_tPvRmT3_T4_T5_T6_T7_T9_mT8_P12ihipStream_tbDpT10_ENKUlT_T0_E_clISt17integral_constantIbLb0EES1E_EEDaS19_S1A_EUlS19_E_NS1_11comp_targetILNS1_3genE8ELNS1_11target_archE1030ELNS1_3gpuE2ELNS1_3repE0EEENS1_30default_config_static_selectorELNS0_4arch9wavefront6targetE1EEEvT1_.kd
    .uniform_work_group_size: 1
    .uses_dynamic_stack: false
    .vgpr_count:     0
    .vgpr_spill_count: 0
    .wavefront_size: 64
  - .agpr_count:     0
    .args:
      - .offset:         0
        .size:           40
        .value_kind:     by_value
    .group_segment_fixed_size: 0
    .kernarg_segment_align: 8
    .kernarg_segment_size: 40
    .language:       OpenCL C
    .language_version:
      - 2
      - 0
    .max_flat_workgroup_size: 128
    .name:           _ZN7rocprim17ROCPRIM_400000_NS6detail17trampoline_kernelINS0_14default_configENS1_25transform_config_selectorImLb1EEEZNS1_14transform_implILb1ES3_S5_PmPlNS0_8identityIvEEEE10hipError_tT2_T3_mT4_P12ihipStream_tbEUlT_E_NS1_11comp_targetILNS1_3genE0ELNS1_11target_archE4294967295ELNS1_3gpuE0ELNS1_3repE0EEENS1_30default_config_static_selectorELNS0_4arch9wavefront6targetE1EEEvT1_
    .private_segment_fixed_size: 0
    .sgpr_count:     4
    .sgpr_spill_count: 0
    .symbol:         _ZN7rocprim17ROCPRIM_400000_NS6detail17trampoline_kernelINS0_14default_configENS1_25transform_config_selectorImLb1EEEZNS1_14transform_implILb1ES3_S5_PmPlNS0_8identityIvEEEE10hipError_tT2_T3_mT4_P12ihipStream_tbEUlT_E_NS1_11comp_targetILNS1_3genE0ELNS1_11target_archE4294967295ELNS1_3gpuE0ELNS1_3repE0EEENS1_30default_config_static_selectorELNS0_4arch9wavefront6targetE1EEEvT1_.kd
    .uniform_work_group_size: 1
    .uses_dynamic_stack: false
    .vgpr_count:     0
    .vgpr_spill_count: 0
    .wavefront_size: 64
  - .agpr_count:     0
    .args:
      - .offset:         0
        .size:           40
        .value_kind:     by_value
    .group_segment_fixed_size: 0
    .kernarg_segment_align: 8
    .kernarg_segment_size: 40
    .language:       OpenCL C
    .language_version:
      - 2
      - 0
    .max_flat_workgroup_size: 1024
    .name:           _ZN7rocprim17ROCPRIM_400000_NS6detail17trampoline_kernelINS0_14default_configENS1_25transform_config_selectorImLb1EEEZNS1_14transform_implILb1ES3_S5_PmPlNS0_8identityIvEEEE10hipError_tT2_T3_mT4_P12ihipStream_tbEUlT_E_NS1_11comp_targetILNS1_3genE10ELNS1_11target_archE1201ELNS1_3gpuE5ELNS1_3repE0EEENS1_30default_config_static_selectorELNS0_4arch9wavefront6targetE1EEEvT1_
    .private_segment_fixed_size: 0
    .sgpr_count:     4
    .sgpr_spill_count: 0
    .symbol:         _ZN7rocprim17ROCPRIM_400000_NS6detail17trampoline_kernelINS0_14default_configENS1_25transform_config_selectorImLb1EEEZNS1_14transform_implILb1ES3_S5_PmPlNS0_8identityIvEEEE10hipError_tT2_T3_mT4_P12ihipStream_tbEUlT_E_NS1_11comp_targetILNS1_3genE10ELNS1_11target_archE1201ELNS1_3gpuE5ELNS1_3repE0EEENS1_30default_config_static_selectorELNS0_4arch9wavefront6targetE1EEEvT1_.kd
    .uniform_work_group_size: 1
    .uses_dynamic_stack: false
    .vgpr_count:     0
    .vgpr_spill_count: 0
    .wavefront_size: 64
  - .agpr_count:     0
    .args:
      - .offset:         0
        .size:           40
        .value_kind:     by_value
    .group_segment_fixed_size: 0
    .kernarg_segment_align: 8
    .kernarg_segment_size: 40
    .language:       OpenCL C
    .language_version:
      - 2
      - 0
    .max_flat_workgroup_size: 512
    .name:           _ZN7rocprim17ROCPRIM_400000_NS6detail17trampoline_kernelINS0_14default_configENS1_25transform_config_selectorImLb1EEEZNS1_14transform_implILb1ES3_S5_PmPlNS0_8identityIvEEEE10hipError_tT2_T3_mT4_P12ihipStream_tbEUlT_E_NS1_11comp_targetILNS1_3genE5ELNS1_11target_archE942ELNS1_3gpuE9ELNS1_3repE0EEENS1_30default_config_static_selectorELNS0_4arch9wavefront6targetE1EEEvT1_
    .private_segment_fixed_size: 0
    .sgpr_count:     4
    .sgpr_spill_count: 0
    .symbol:         _ZN7rocprim17ROCPRIM_400000_NS6detail17trampoline_kernelINS0_14default_configENS1_25transform_config_selectorImLb1EEEZNS1_14transform_implILb1ES3_S5_PmPlNS0_8identityIvEEEE10hipError_tT2_T3_mT4_P12ihipStream_tbEUlT_E_NS1_11comp_targetILNS1_3genE5ELNS1_11target_archE942ELNS1_3gpuE9ELNS1_3repE0EEENS1_30default_config_static_selectorELNS0_4arch9wavefront6targetE1EEEvT1_.kd
    .uniform_work_group_size: 1
    .uses_dynamic_stack: false
    .vgpr_count:     0
    .vgpr_spill_count: 0
    .wavefront_size: 64
  - .agpr_count:     0
    .args:
      - .offset:         0
        .size:           40
        .value_kind:     by_value
      - .offset:         40
        .size:           4
        .value_kind:     hidden_block_count_x
      - .offset:         44
        .size:           4
        .value_kind:     hidden_block_count_y
      - .offset:         48
        .size:           4
        .value_kind:     hidden_block_count_z
      - .offset:         52
        .size:           2
        .value_kind:     hidden_group_size_x
      - .offset:         54
        .size:           2
        .value_kind:     hidden_group_size_y
      - .offset:         56
        .size:           2
        .value_kind:     hidden_group_size_z
      - .offset:         58
        .size:           2
        .value_kind:     hidden_remainder_x
      - .offset:         60
        .size:           2
        .value_kind:     hidden_remainder_y
      - .offset:         62
        .size:           2
        .value_kind:     hidden_remainder_z
      - .offset:         80
        .size:           8
        .value_kind:     hidden_global_offset_x
      - .offset:         88
        .size:           8
        .value_kind:     hidden_global_offset_y
      - .offset:         96
        .size:           8
        .value_kind:     hidden_global_offset_z
      - .offset:         104
        .size:           2
        .value_kind:     hidden_grid_dims
    .group_segment_fixed_size: 0
    .kernarg_segment_align: 8
    .kernarg_segment_size: 296
    .language:       OpenCL C
    .language_version:
      - 2
      - 0
    .max_flat_workgroup_size: 1024
    .name:           _ZN7rocprim17ROCPRIM_400000_NS6detail17trampoline_kernelINS0_14default_configENS1_25transform_config_selectorImLb1EEEZNS1_14transform_implILb1ES3_S5_PmPlNS0_8identityIvEEEE10hipError_tT2_T3_mT4_P12ihipStream_tbEUlT_E_NS1_11comp_targetILNS1_3genE4ELNS1_11target_archE910ELNS1_3gpuE8ELNS1_3repE0EEENS1_30default_config_static_selectorELNS0_4arch9wavefront6targetE1EEEvT1_
    .private_segment_fixed_size: 0
    .sgpr_count:     20
    .sgpr_spill_count: 0
    .symbol:         _ZN7rocprim17ROCPRIM_400000_NS6detail17trampoline_kernelINS0_14default_configENS1_25transform_config_selectorImLb1EEEZNS1_14transform_implILb1ES3_S5_PmPlNS0_8identityIvEEEE10hipError_tT2_T3_mT4_P12ihipStream_tbEUlT_E_NS1_11comp_targetILNS1_3genE4ELNS1_11target_archE910ELNS1_3gpuE8ELNS1_3repE0EEENS1_30default_config_static_selectorELNS0_4arch9wavefront6targetE1EEEvT1_.kd
    .uniform_work_group_size: 1
    .uses_dynamic_stack: false
    .vgpr_count:     7
    .vgpr_spill_count: 0
    .wavefront_size: 64
  - .agpr_count:     0
    .args:
      - .offset:         0
        .size:           40
        .value_kind:     by_value
    .group_segment_fixed_size: 0
    .kernarg_segment_align: 8
    .kernarg_segment_size: 40
    .language:       OpenCL C
    .language_version:
      - 2
      - 0
    .max_flat_workgroup_size: 128
    .name:           _ZN7rocprim17ROCPRIM_400000_NS6detail17trampoline_kernelINS0_14default_configENS1_25transform_config_selectorImLb1EEEZNS1_14transform_implILb1ES3_S5_PmPlNS0_8identityIvEEEE10hipError_tT2_T3_mT4_P12ihipStream_tbEUlT_E_NS1_11comp_targetILNS1_3genE3ELNS1_11target_archE908ELNS1_3gpuE7ELNS1_3repE0EEENS1_30default_config_static_selectorELNS0_4arch9wavefront6targetE1EEEvT1_
    .private_segment_fixed_size: 0
    .sgpr_count:     4
    .sgpr_spill_count: 0
    .symbol:         _ZN7rocprim17ROCPRIM_400000_NS6detail17trampoline_kernelINS0_14default_configENS1_25transform_config_selectorImLb1EEEZNS1_14transform_implILb1ES3_S5_PmPlNS0_8identityIvEEEE10hipError_tT2_T3_mT4_P12ihipStream_tbEUlT_E_NS1_11comp_targetILNS1_3genE3ELNS1_11target_archE908ELNS1_3gpuE7ELNS1_3repE0EEENS1_30default_config_static_selectorELNS0_4arch9wavefront6targetE1EEEvT1_.kd
    .uniform_work_group_size: 1
    .uses_dynamic_stack: false
    .vgpr_count:     0
    .vgpr_spill_count: 0
    .wavefront_size: 64
  - .agpr_count:     0
    .args:
      - .offset:         0
        .size:           40
        .value_kind:     by_value
    .group_segment_fixed_size: 0
    .kernarg_segment_align: 8
    .kernarg_segment_size: 40
    .language:       OpenCL C
    .language_version:
      - 2
      - 0
    .max_flat_workgroup_size: 512
    .name:           _ZN7rocprim17ROCPRIM_400000_NS6detail17trampoline_kernelINS0_14default_configENS1_25transform_config_selectorImLb1EEEZNS1_14transform_implILb1ES3_S5_PmPlNS0_8identityIvEEEE10hipError_tT2_T3_mT4_P12ihipStream_tbEUlT_E_NS1_11comp_targetILNS1_3genE2ELNS1_11target_archE906ELNS1_3gpuE6ELNS1_3repE0EEENS1_30default_config_static_selectorELNS0_4arch9wavefront6targetE1EEEvT1_
    .private_segment_fixed_size: 0
    .sgpr_count:     4
    .sgpr_spill_count: 0
    .symbol:         _ZN7rocprim17ROCPRIM_400000_NS6detail17trampoline_kernelINS0_14default_configENS1_25transform_config_selectorImLb1EEEZNS1_14transform_implILb1ES3_S5_PmPlNS0_8identityIvEEEE10hipError_tT2_T3_mT4_P12ihipStream_tbEUlT_E_NS1_11comp_targetILNS1_3genE2ELNS1_11target_archE906ELNS1_3gpuE6ELNS1_3repE0EEENS1_30default_config_static_selectorELNS0_4arch9wavefront6targetE1EEEvT1_.kd
    .uniform_work_group_size: 1
    .uses_dynamic_stack: false
    .vgpr_count:     0
    .vgpr_spill_count: 0
    .wavefront_size: 64
  - .agpr_count:     0
    .args:
      - .offset:         0
        .size:           40
        .value_kind:     by_value
    .group_segment_fixed_size: 0
    .kernarg_segment_align: 8
    .kernarg_segment_size: 40
    .language:       OpenCL C
    .language_version:
      - 2
      - 0
    .max_flat_workgroup_size: 1024
    .name:           _ZN7rocprim17ROCPRIM_400000_NS6detail17trampoline_kernelINS0_14default_configENS1_25transform_config_selectorImLb1EEEZNS1_14transform_implILb1ES3_S5_PmPlNS0_8identityIvEEEE10hipError_tT2_T3_mT4_P12ihipStream_tbEUlT_E_NS1_11comp_targetILNS1_3genE9ELNS1_11target_archE1100ELNS1_3gpuE3ELNS1_3repE0EEENS1_30default_config_static_selectorELNS0_4arch9wavefront6targetE1EEEvT1_
    .private_segment_fixed_size: 0
    .sgpr_count:     4
    .sgpr_spill_count: 0
    .symbol:         _ZN7rocprim17ROCPRIM_400000_NS6detail17trampoline_kernelINS0_14default_configENS1_25transform_config_selectorImLb1EEEZNS1_14transform_implILb1ES3_S5_PmPlNS0_8identityIvEEEE10hipError_tT2_T3_mT4_P12ihipStream_tbEUlT_E_NS1_11comp_targetILNS1_3genE9ELNS1_11target_archE1100ELNS1_3gpuE3ELNS1_3repE0EEENS1_30default_config_static_selectorELNS0_4arch9wavefront6targetE1EEEvT1_.kd
    .uniform_work_group_size: 1
    .uses_dynamic_stack: false
    .vgpr_count:     0
    .vgpr_spill_count: 0
    .wavefront_size: 64
  - .agpr_count:     0
    .args:
      - .offset:         0
        .size:           40
        .value_kind:     by_value
    .group_segment_fixed_size: 0
    .kernarg_segment_align: 8
    .kernarg_segment_size: 40
    .language:       OpenCL C
    .language_version:
      - 2
      - 0
    .max_flat_workgroup_size: 1024
    .name:           _ZN7rocprim17ROCPRIM_400000_NS6detail17trampoline_kernelINS0_14default_configENS1_25transform_config_selectorImLb1EEEZNS1_14transform_implILb1ES3_S5_PmPlNS0_8identityIvEEEE10hipError_tT2_T3_mT4_P12ihipStream_tbEUlT_E_NS1_11comp_targetILNS1_3genE8ELNS1_11target_archE1030ELNS1_3gpuE2ELNS1_3repE0EEENS1_30default_config_static_selectorELNS0_4arch9wavefront6targetE1EEEvT1_
    .private_segment_fixed_size: 0
    .sgpr_count:     4
    .sgpr_spill_count: 0
    .symbol:         _ZN7rocprim17ROCPRIM_400000_NS6detail17trampoline_kernelINS0_14default_configENS1_25transform_config_selectorImLb1EEEZNS1_14transform_implILb1ES3_S5_PmPlNS0_8identityIvEEEE10hipError_tT2_T3_mT4_P12ihipStream_tbEUlT_E_NS1_11comp_targetILNS1_3genE8ELNS1_11target_archE1030ELNS1_3gpuE2ELNS1_3repE0EEENS1_30default_config_static_selectorELNS0_4arch9wavefront6targetE1EEEvT1_.kd
    .uniform_work_group_size: 1
    .uses_dynamic_stack: false
    .vgpr_count:     0
    .vgpr_spill_count: 0
    .wavefront_size: 64
  - .agpr_count:     0
    .args:
      - .address_space:  global
        .offset:         0
        .size:           8
        .value_kind:     global_buffer
      - .offset:         8
        .size:           4
        .value_kind:     by_value
      - .address_space:  global
        .offset:         16
        .size:           8
        .value_kind:     global_buffer
      - .offset:         24
        .size:           4
        .value_kind:     by_value
      - .address_space:  global
        .offset:         32
        .size:           8
        .value_kind:     global_buffer
      - .offset:         40
        .size:           4
        .value_kind:     hidden_block_count_x
      - .offset:         44
        .size:           4
        .value_kind:     hidden_block_count_y
      - .offset:         48
        .size:           4
        .value_kind:     hidden_block_count_z
      - .offset:         52
        .size:           2
        .value_kind:     hidden_group_size_x
      - .offset:         54
        .size:           2
        .value_kind:     hidden_group_size_y
      - .offset:         56
        .size:           2
        .value_kind:     hidden_group_size_z
      - .offset:         58
        .size:           2
        .value_kind:     hidden_remainder_x
      - .offset:         60
        .size:           2
        .value_kind:     hidden_remainder_y
      - .offset:         62
        .size:           2
        .value_kind:     hidden_remainder_z
      - .offset:         80
        .size:           8
        .value_kind:     hidden_global_offset_x
      - .offset:         88
        .size:           8
        .value_kind:     hidden_global_offset_y
      - .offset:         96
        .size:           8
        .value_kind:     hidden_global_offset_z
      - .offset:         104
        .size:           2
        .value_kind:     hidden_grid_dims
    .group_segment_fixed_size: 0
    .kernarg_segment_align: 8
    .kernarg_segment_size: 296
    .language:       OpenCL C
    .language_version:
      - 2
      - 0
    .max_flat_workgroup_size: 256
    .name:           _ZN7rocprim17ROCPRIM_400000_NS6detail31init_lookback_scan_state_kernelINS1_19lookback_scan_stateIjLb1ELb1EEENS1_16block_id_wrapperIjLb1EEEEEvT_jT0_jPNS7_10value_typeE
    .private_segment_fixed_size: 0
    .sgpr_count:     18
    .sgpr_spill_count: 0
    .symbol:         _ZN7rocprim17ROCPRIM_400000_NS6detail31init_lookback_scan_state_kernelINS1_19lookback_scan_stateIjLb1ELb1EEENS1_16block_id_wrapperIjLb1EEEEEvT_jT0_jPNS7_10value_typeE.kd
    .uniform_work_group_size: 1
    .uses_dynamic_stack: false
    .vgpr_count:     6
    .vgpr_spill_count: 0
    .wavefront_size: 64
  - .agpr_count:     0
    .args:
      - .offset:         0
        .size:           136
        .value_kind:     by_value
    .group_segment_fixed_size: 0
    .kernarg_segment_align: 8
    .kernarg_segment_size: 136
    .language:       OpenCL C
    .language_version:
      - 2
      - 0
    .max_flat_workgroup_size: 256
    .name:           _ZN7rocprim17ROCPRIM_400000_NS6detail17trampoline_kernelINS0_14default_configENS1_25partition_config_selectorILNS1_17partition_subalgoE8EbNS0_10empty_typeEbEEZZNS1_14partition_implILS5_8ELb0ES3_jN6hipcub16HIPCUB_304000_NS22TransformInputIteratorIbN2at6native8internal12_GLOBAL__N_110LoadBoolOpEPKhlEEPS6_PKS6_NS0_5tupleIJPbS6_EEENSN_IJSK_SK_EEENS0_18inequality_wrapperINSA_8EqualityEEEPlJS6_EEE10hipError_tPvRmT3_T4_T5_T6_T7_T9_mT8_P12ihipStream_tbDpT10_ENKUlT_T0_E_clISt17integral_constantIbLb1EES1E_EEDaS19_S1A_EUlS19_E_NS1_11comp_targetILNS1_3genE0ELNS1_11target_archE4294967295ELNS1_3gpuE0ELNS1_3repE0EEENS1_30default_config_static_selectorELNS0_4arch9wavefront6targetE1EEEvT1_
    .private_segment_fixed_size: 0
    .sgpr_count:     4
    .sgpr_spill_count: 0
    .symbol:         _ZN7rocprim17ROCPRIM_400000_NS6detail17trampoline_kernelINS0_14default_configENS1_25partition_config_selectorILNS1_17partition_subalgoE8EbNS0_10empty_typeEbEEZZNS1_14partition_implILS5_8ELb0ES3_jN6hipcub16HIPCUB_304000_NS22TransformInputIteratorIbN2at6native8internal12_GLOBAL__N_110LoadBoolOpEPKhlEEPS6_PKS6_NS0_5tupleIJPbS6_EEENSN_IJSK_SK_EEENS0_18inequality_wrapperINSA_8EqualityEEEPlJS6_EEE10hipError_tPvRmT3_T4_T5_T6_T7_T9_mT8_P12ihipStream_tbDpT10_ENKUlT_T0_E_clISt17integral_constantIbLb1EES1E_EEDaS19_S1A_EUlS19_E_NS1_11comp_targetILNS1_3genE0ELNS1_11target_archE4294967295ELNS1_3gpuE0ELNS1_3repE0EEENS1_30default_config_static_selectorELNS0_4arch9wavefront6targetE1EEEvT1_.kd
    .uniform_work_group_size: 1
    .uses_dynamic_stack: false
    .vgpr_count:     0
    .vgpr_spill_count: 0
    .wavefront_size: 64
  - .agpr_count:     0
    .args:
      - .offset:         0
        .size:           136
        .value_kind:     by_value
    .group_segment_fixed_size: 0
    .kernarg_segment_align: 8
    .kernarg_segment_size: 136
    .language:       OpenCL C
    .language_version:
      - 2
      - 0
    .max_flat_workgroup_size: 512
    .name:           _ZN7rocprim17ROCPRIM_400000_NS6detail17trampoline_kernelINS0_14default_configENS1_25partition_config_selectorILNS1_17partition_subalgoE8EbNS0_10empty_typeEbEEZZNS1_14partition_implILS5_8ELb0ES3_jN6hipcub16HIPCUB_304000_NS22TransformInputIteratorIbN2at6native8internal12_GLOBAL__N_110LoadBoolOpEPKhlEEPS6_PKS6_NS0_5tupleIJPbS6_EEENSN_IJSK_SK_EEENS0_18inequality_wrapperINSA_8EqualityEEEPlJS6_EEE10hipError_tPvRmT3_T4_T5_T6_T7_T9_mT8_P12ihipStream_tbDpT10_ENKUlT_T0_E_clISt17integral_constantIbLb1EES1E_EEDaS19_S1A_EUlS19_E_NS1_11comp_targetILNS1_3genE5ELNS1_11target_archE942ELNS1_3gpuE9ELNS1_3repE0EEENS1_30default_config_static_selectorELNS0_4arch9wavefront6targetE1EEEvT1_
    .private_segment_fixed_size: 0
    .sgpr_count:     4
    .sgpr_spill_count: 0
    .symbol:         _ZN7rocprim17ROCPRIM_400000_NS6detail17trampoline_kernelINS0_14default_configENS1_25partition_config_selectorILNS1_17partition_subalgoE8EbNS0_10empty_typeEbEEZZNS1_14partition_implILS5_8ELb0ES3_jN6hipcub16HIPCUB_304000_NS22TransformInputIteratorIbN2at6native8internal12_GLOBAL__N_110LoadBoolOpEPKhlEEPS6_PKS6_NS0_5tupleIJPbS6_EEENSN_IJSK_SK_EEENS0_18inequality_wrapperINSA_8EqualityEEEPlJS6_EEE10hipError_tPvRmT3_T4_T5_T6_T7_T9_mT8_P12ihipStream_tbDpT10_ENKUlT_T0_E_clISt17integral_constantIbLb1EES1E_EEDaS19_S1A_EUlS19_E_NS1_11comp_targetILNS1_3genE5ELNS1_11target_archE942ELNS1_3gpuE9ELNS1_3repE0EEENS1_30default_config_static_selectorELNS0_4arch9wavefront6targetE1EEEvT1_.kd
    .uniform_work_group_size: 1
    .uses_dynamic_stack: false
    .vgpr_count:     0
    .vgpr_spill_count: 0
    .wavefront_size: 64
  - .agpr_count:     0
    .args:
      - .offset:         0
        .size:           136
        .value_kind:     by_value
    .group_segment_fixed_size: 4236
    .kernarg_segment_align: 8
    .kernarg_segment_size: 136
    .language:       OpenCL C
    .language_version:
      - 2
      - 0
    .max_flat_workgroup_size: 128
    .name:           _ZN7rocprim17ROCPRIM_400000_NS6detail17trampoline_kernelINS0_14default_configENS1_25partition_config_selectorILNS1_17partition_subalgoE8EbNS0_10empty_typeEbEEZZNS1_14partition_implILS5_8ELb0ES3_jN6hipcub16HIPCUB_304000_NS22TransformInputIteratorIbN2at6native8internal12_GLOBAL__N_110LoadBoolOpEPKhlEEPS6_PKS6_NS0_5tupleIJPbS6_EEENSN_IJSK_SK_EEENS0_18inequality_wrapperINSA_8EqualityEEEPlJS6_EEE10hipError_tPvRmT3_T4_T5_T6_T7_T9_mT8_P12ihipStream_tbDpT10_ENKUlT_T0_E_clISt17integral_constantIbLb1EES1E_EEDaS19_S1A_EUlS19_E_NS1_11comp_targetILNS1_3genE4ELNS1_11target_archE910ELNS1_3gpuE8ELNS1_3repE0EEENS1_30default_config_static_selectorELNS0_4arch9wavefront6targetE1EEEvT1_
    .private_segment_fixed_size: 0
    .sgpr_count:     89
    .sgpr_spill_count: 0
    .symbol:         _ZN7rocprim17ROCPRIM_400000_NS6detail17trampoline_kernelINS0_14default_configENS1_25partition_config_selectorILNS1_17partition_subalgoE8EbNS0_10empty_typeEbEEZZNS1_14partition_implILS5_8ELb0ES3_jN6hipcub16HIPCUB_304000_NS22TransformInputIteratorIbN2at6native8internal12_GLOBAL__N_110LoadBoolOpEPKhlEEPS6_PKS6_NS0_5tupleIJPbS6_EEENSN_IJSK_SK_EEENS0_18inequality_wrapperINSA_8EqualityEEEPlJS6_EEE10hipError_tPvRmT3_T4_T5_T6_T7_T9_mT8_P12ihipStream_tbDpT10_ENKUlT_T0_E_clISt17integral_constantIbLb1EES1E_EEDaS19_S1A_EUlS19_E_NS1_11comp_targetILNS1_3genE4ELNS1_11target_archE910ELNS1_3gpuE8ELNS1_3repE0EEENS1_30default_config_static_selectorELNS0_4arch9wavefront6targetE1EEEvT1_.kd
    .uniform_work_group_size: 1
    .uses_dynamic_stack: false
    .vgpr_count:     126
    .vgpr_spill_count: 0
    .wavefront_size: 64
  - .agpr_count:     0
    .args:
      - .offset:         0
        .size:           136
        .value_kind:     by_value
    .group_segment_fixed_size: 0
    .kernarg_segment_align: 8
    .kernarg_segment_size: 136
    .language:       OpenCL C
    .language_version:
      - 2
      - 0
    .max_flat_workgroup_size: 256
    .name:           _ZN7rocprim17ROCPRIM_400000_NS6detail17trampoline_kernelINS0_14default_configENS1_25partition_config_selectorILNS1_17partition_subalgoE8EbNS0_10empty_typeEbEEZZNS1_14partition_implILS5_8ELb0ES3_jN6hipcub16HIPCUB_304000_NS22TransformInputIteratorIbN2at6native8internal12_GLOBAL__N_110LoadBoolOpEPKhlEEPS6_PKS6_NS0_5tupleIJPbS6_EEENSN_IJSK_SK_EEENS0_18inequality_wrapperINSA_8EqualityEEEPlJS6_EEE10hipError_tPvRmT3_T4_T5_T6_T7_T9_mT8_P12ihipStream_tbDpT10_ENKUlT_T0_E_clISt17integral_constantIbLb1EES1E_EEDaS19_S1A_EUlS19_E_NS1_11comp_targetILNS1_3genE3ELNS1_11target_archE908ELNS1_3gpuE7ELNS1_3repE0EEENS1_30default_config_static_selectorELNS0_4arch9wavefront6targetE1EEEvT1_
    .private_segment_fixed_size: 0
    .sgpr_count:     4
    .sgpr_spill_count: 0
    .symbol:         _ZN7rocprim17ROCPRIM_400000_NS6detail17trampoline_kernelINS0_14default_configENS1_25partition_config_selectorILNS1_17partition_subalgoE8EbNS0_10empty_typeEbEEZZNS1_14partition_implILS5_8ELb0ES3_jN6hipcub16HIPCUB_304000_NS22TransformInputIteratorIbN2at6native8internal12_GLOBAL__N_110LoadBoolOpEPKhlEEPS6_PKS6_NS0_5tupleIJPbS6_EEENSN_IJSK_SK_EEENS0_18inequality_wrapperINSA_8EqualityEEEPlJS6_EEE10hipError_tPvRmT3_T4_T5_T6_T7_T9_mT8_P12ihipStream_tbDpT10_ENKUlT_T0_E_clISt17integral_constantIbLb1EES1E_EEDaS19_S1A_EUlS19_E_NS1_11comp_targetILNS1_3genE3ELNS1_11target_archE908ELNS1_3gpuE7ELNS1_3repE0EEENS1_30default_config_static_selectorELNS0_4arch9wavefront6targetE1EEEvT1_.kd
    .uniform_work_group_size: 1
    .uses_dynamic_stack: false
    .vgpr_count:     0
    .vgpr_spill_count: 0
    .wavefront_size: 64
  - .agpr_count:     0
    .args:
      - .offset:         0
        .size:           136
        .value_kind:     by_value
    .group_segment_fixed_size: 0
    .kernarg_segment_align: 8
    .kernarg_segment_size: 136
    .language:       OpenCL C
    .language_version:
      - 2
      - 0
    .max_flat_workgroup_size: 192
    .name:           _ZN7rocprim17ROCPRIM_400000_NS6detail17trampoline_kernelINS0_14default_configENS1_25partition_config_selectorILNS1_17partition_subalgoE8EbNS0_10empty_typeEbEEZZNS1_14partition_implILS5_8ELb0ES3_jN6hipcub16HIPCUB_304000_NS22TransformInputIteratorIbN2at6native8internal12_GLOBAL__N_110LoadBoolOpEPKhlEEPS6_PKS6_NS0_5tupleIJPbS6_EEENSN_IJSK_SK_EEENS0_18inequality_wrapperINSA_8EqualityEEEPlJS6_EEE10hipError_tPvRmT3_T4_T5_T6_T7_T9_mT8_P12ihipStream_tbDpT10_ENKUlT_T0_E_clISt17integral_constantIbLb1EES1E_EEDaS19_S1A_EUlS19_E_NS1_11comp_targetILNS1_3genE2ELNS1_11target_archE906ELNS1_3gpuE6ELNS1_3repE0EEENS1_30default_config_static_selectorELNS0_4arch9wavefront6targetE1EEEvT1_
    .private_segment_fixed_size: 0
    .sgpr_count:     4
    .sgpr_spill_count: 0
    .symbol:         _ZN7rocprim17ROCPRIM_400000_NS6detail17trampoline_kernelINS0_14default_configENS1_25partition_config_selectorILNS1_17partition_subalgoE8EbNS0_10empty_typeEbEEZZNS1_14partition_implILS5_8ELb0ES3_jN6hipcub16HIPCUB_304000_NS22TransformInputIteratorIbN2at6native8internal12_GLOBAL__N_110LoadBoolOpEPKhlEEPS6_PKS6_NS0_5tupleIJPbS6_EEENSN_IJSK_SK_EEENS0_18inequality_wrapperINSA_8EqualityEEEPlJS6_EEE10hipError_tPvRmT3_T4_T5_T6_T7_T9_mT8_P12ihipStream_tbDpT10_ENKUlT_T0_E_clISt17integral_constantIbLb1EES1E_EEDaS19_S1A_EUlS19_E_NS1_11comp_targetILNS1_3genE2ELNS1_11target_archE906ELNS1_3gpuE6ELNS1_3repE0EEENS1_30default_config_static_selectorELNS0_4arch9wavefront6targetE1EEEvT1_.kd
    .uniform_work_group_size: 1
    .uses_dynamic_stack: false
    .vgpr_count:     0
    .vgpr_spill_count: 0
    .wavefront_size: 64
  - .agpr_count:     0
    .args:
      - .offset:         0
        .size:           136
        .value_kind:     by_value
    .group_segment_fixed_size: 0
    .kernarg_segment_align: 8
    .kernarg_segment_size: 136
    .language:       OpenCL C
    .language_version:
      - 2
      - 0
    .max_flat_workgroup_size: 256
    .name:           _ZN7rocprim17ROCPRIM_400000_NS6detail17trampoline_kernelINS0_14default_configENS1_25partition_config_selectorILNS1_17partition_subalgoE8EbNS0_10empty_typeEbEEZZNS1_14partition_implILS5_8ELb0ES3_jN6hipcub16HIPCUB_304000_NS22TransformInputIteratorIbN2at6native8internal12_GLOBAL__N_110LoadBoolOpEPKhlEEPS6_PKS6_NS0_5tupleIJPbS6_EEENSN_IJSK_SK_EEENS0_18inequality_wrapperINSA_8EqualityEEEPlJS6_EEE10hipError_tPvRmT3_T4_T5_T6_T7_T9_mT8_P12ihipStream_tbDpT10_ENKUlT_T0_E_clISt17integral_constantIbLb1EES1E_EEDaS19_S1A_EUlS19_E_NS1_11comp_targetILNS1_3genE10ELNS1_11target_archE1200ELNS1_3gpuE4ELNS1_3repE0EEENS1_30default_config_static_selectorELNS0_4arch9wavefront6targetE1EEEvT1_
    .private_segment_fixed_size: 0
    .sgpr_count:     4
    .sgpr_spill_count: 0
    .symbol:         _ZN7rocprim17ROCPRIM_400000_NS6detail17trampoline_kernelINS0_14default_configENS1_25partition_config_selectorILNS1_17partition_subalgoE8EbNS0_10empty_typeEbEEZZNS1_14partition_implILS5_8ELb0ES3_jN6hipcub16HIPCUB_304000_NS22TransformInputIteratorIbN2at6native8internal12_GLOBAL__N_110LoadBoolOpEPKhlEEPS6_PKS6_NS0_5tupleIJPbS6_EEENSN_IJSK_SK_EEENS0_18inequality_wrapperINSA_8EqualityEEEPlJS6_EEE10hipError_tPvRmT3_T4_T5_T6_T7_T9_mT8_P12ihipStream_tbDpT10_ENKUlT_T0_E_clISt17integral_constantIbLb1EES1E_EEDaS19_S1A_EUlS19_E_NS1_11comp_targetILNS1_3genE10ELNS1_11target_archE1200ELNS1_3gpuE4ELNS1_3repE0EEENS1_30default_config_static_selectorELNS0_4arch9wavefront6targetE1EEEvT1_.kd
    .uniform_work_group_size: 1
    .uses_dynamic_stack: false
    .vgpr_count:     0
    .vgpr_spill_count: 0
    .wavefront_size: 64
  - .agpr_count:     0
    .args:
      - .offset:         0
        .size:           136
        .value_kind:     by_value
    .group_segment_fixed_size: 0
    .kernarg_segment_align: 8
    .kernarg_segment_size: 136
    .language:       OpenCL C
    .language_version:
      - 2
      - 0
    .max_flat_workgroup_size: 384
    .name:           _ZN7rocprim17ROCPRIM_400000_NS6detail17trampoline_kernelINS0_14default_configENS1_25partition_config_selectorILNS1_17partition_subalgoE8EbNS0_10empty_typeEbEEZZNS1_14partition_implILS5_8ELb0ES3_jN6hipcub16HIPCUB_304000_NS22TransformInputIteratorIbN2at6native8internal12_GLOBAL__N_110LoadBoolOpEPKhlEEPS6_PKS6_NS0_5tupleIJPbS6_EEENSN_IJSK_SK_EEENS0_18inequality_wrapperINSA_8EqualityEEEPlJS6_EEE10hipError_tPvRmT3_T4_T5_T6_T7_T9_mT8_P12ihipStream_tbDpT10_ENKUlT_T0_E_clISt17integral_constantIbLb1EES1E_EEDaS19_S1A_EUlS19_E_NS1_11comp_targetILNS1_3genE9ELNS1_11target_archE1100ELNS1_3gpuE3ELNS1_3repE0EEENS1_30default_config_static_selectorELNS0_4arch9wavefront6targetE1EEEvT1_
    .private_segment_fixed_size: 0
    .sgpr_count:     4
    .sgpr_spill_count: 0
    .symbol:         _ZN7rocprim17ROCPRIM_400000_NS6detail17trampoline_kernelINS0_14default_configENS1_25partition_config_selectorILNS1_17partition_subalgoE8EbNS0_10empty_typeEbEEZZNS1_14partition_implILS5_8ELb0ES3_jN6hipcub16HIPCUB_304000_NS22TransformInputIteratorIbN2at6native8internal12_GLOBAL__N_110LoadBoolOpEPKhlEEPS6_PKS6_NS0_5tupleIJPbS6_EEENSN_IJSK_SK_EEENS0_18inequality_wrapperINSA_8EqualityEEEPlJS6_EEE10hipError_tPvRmT3_T4_T5_T6_T7_T9_mT8_P12ihipStream_tbDpT10_ENKUlT_T0_E_clISt17integral_constantIbLb1EES1E_EEDaS19_S1A_EUlS19_E_NS1_11comp_targetILNS1_3genE9ELNS1_11target_archE1100ELNS1_3gpuE3ELNS1_3repE0EEENS1_30default_config_static_selectorELNS0_4arch9wavefront6targetE1EEEvT1_.kd
    .uniform_work_group_size: 1
    .uses_dynamic_stack: false
    .vgpr_count:     0
    .vgpr_spill_count: 0
    .wavefront_size: 64
  - .agpr_count:     0
    .args:
      - .offset:         0
        .size:           136
        .value_kind:     by_value
    .group_segment_fixed_size: 0
    .kernarg_segment_align: 8
    .kernarg_segment_size: 136
    .language:       OpenCL C
    .language_version:
      - 2
      - 0
    .max_flat_workgroup_size: 384
    .name:           _ZN7rocprim17ROCPRIM_400000_NS6detail17trampoline_kernelINS0_14default_configENS1_25partition_config_selectorILNS1_17partition_subalgoE8EbNS0_10empty_typeEbEEZZNS1_14partition_implILS5_8ELb0ES3_jN6hipcub16HIPCUB_304000_NS22TransformInputIteratorIbN2at6native8internal12_GLOBAL__N_110LoadBoolOpEPKhlEEPS6_PKS6_NS0_5tupleIJPbS6_EEENSN_IJSK_SK_EEENS0_18inequality_wrapperINSA_8EqualityEEEPlJS6_EEE10hipError_tPvRmT3_T4_T5_T6_T7_T9_mT8_P12ihipStream_tbDpT10_ENKUlT_T0_E_clISt17integral_constantIbLb1EES1E_EEDaS19_S1A_EUlS19_E_NS1_11comp_targetILNS1_3genE8ELNS1_11target_archE1030ELNS1_3gpuE2ELNS1_3repE0EEENS1_30default_config_static_selectorELNS0_4arch9wavefront6targetE1EEEvT1_
    .private_segment_fixed_size: 0
    .sgpr_count:     4
    .sgpr_spill_count: 0
    .symbol:         _ZN7rocprim17ROCPRIM_400000_NS6detail17trampoline_kernelINS0_14default_configENS1_25partition_config_selectorILNS1_17partition_subalgoE8EbNS0_10empty_typeEbEEZZNS1_14partition_implILS5_8ELb0ES3_jN6hipcub16HIPCUB_304000_NS22TransformInputIteratorIbN2at6native8internal12_GLOBAL__N_110LoadBoolOpEPKhlEEPS6_PKS6_NS0_5tupleIJPbS6_EEENSN_IJSK_SK_EEENS0_18inequality_wrapperINSA_8EqualityEEEPlJS6_EEE10hipError_tPvRmT3_T4_T5_T6_T7_T9_mT8_P12ihipStream_tbDpT10_ENKUlT_T0_E_clISt17integral_constantIbLb1EES1E_EEDaS19_S1A_EUlS19_E_NS1_11comp_targetILNS1_3genE8ELNS1_11target_archE1030ELNS1_3gpuE2ELNS1_3repE0EEENS1_30default_config_static_selectorELNS0_4arch9wavefront6targetE1EEEvT1_.kd
    .uniform_work_group_size: 1
    .uses_dynamic_stack: false
    .vgpr_count:     0
    .vgpr_spill_count: 0
    .wavefront_size: 64
  - .agpr_count:     0
    .args:
      - .address_space:  global
        .offset:         0
        .size:           8
        .value_kind:     global_buffer
      - .offset:         8
        .size:           4
        .value_kind:     by_value
      - .offset:         12
        .size:           1
        .value_kind:     by_value
      - .offset:         16
        .size:           4
        .value_kind:     by_value
      - .address_space:  global
        .offset:         24
        .size:           8
        .value_kind:     global_buffer
      - .offset:         32
        .size:           4
        .value_kind:     hidden_block_count_x
      - .offset:         36
        .size:           4
        .value_kind:     hidden_block_count_y
      - .offset:         40
        .size:           4
        .value_kind:     hidden_block_count_z
      - .offset:         44
        .size:           2
        .value_kind:     hidden_group_size_x
      - .offset:         46
        .size:           2
        .value_kind:     hidden_group_size_y
      - .offset:         48
        .size:           2
        .value_kind:     hidden_group_size_z
      - .offset:         50
        .size:           2
        .value_kind:     hidden_remainder_x
      - .offset:         52
        .size:           2
        .value_kind:     hidden_remainder_y
      - .offset:         54
        .size:           2
        .value_kind:     hidden_remainder_z
      - .offset:         72
        .size:           8
        .value_kind:     hidden_global_offset_x
      - .offset:         80
        .size:           8
        .value_kind:     hidden_global_offset_y
      - .offset:         88
        .size:           8
        .value_kind:     hidden_global_offset_z
      - .offset:         96
        .size:           2
        .value_kind:     hidden_grid_dims
    .group_segment_fixed_size: 0
    .kernarg_segment_align: 8
    .kernarg_segment_size: 288
    .language:       OpenCL C
    .language_version:
      - 2
      - 0
    .max_flat_workgroup_size: 256
    .name:           _ZN7rocprim17ROCPRIM_400000_NS6detail31init_lookback_scan_state_kernelINS1_19lookback_scan_stateIjLb1ELb1EEENS1_16block_id_wrapperIjLb0EEEEEvT_jT0_jPNS7_10value_typeE
    .private_segment_fixed_size: 0
    .sgpr_count:     16
    .sgpr_spill_count: 0
    .symbol:         _ZN7rocprim17ROCPRIM_400000_NS6detail31init_lookback_scan_state_kernelINS1_19lookback_scan_stateIjLb1ELb1EEENS1_16block_id_wrapperIjLb0EEEEEvT_jT0_jPNS7_10value_typeE.kd
    .uniform_work_group_size: 1
    .uses_dynamic_stack: false
    .vgpr_count:     6
    .vgpr_spill_count: 0
    .wavefront_size: 64
  - .agpr_count:     0
    .args:
      - .offset:         0
        .size:           120
        .value_kind:     by_value
    .group_segment_fixed_size: 0
    .kernarg_segment_align: 8
    .kernarg_segment_size: 120
    .language:       OpenCL C
    .language_version:
      - 2
      - 0
    .max_flat_workgroup_size: 256
    .name:           _ZN7rocprim17ROCPRIM_400000_NS6detail17trampoline_kernelINS0_14default_configENS1_25partition_config_selectorILNS1_17partition_subalgoE8EbNS0_10empty_typeEbEEZZNS1_14partition_implILS5_8ELb0ES3_jN6hipcub16HIPCUB_304000_NS22TransformInputIteratorIbN2at6native8internal12_GLOBAL__N_110LoadBoolOpEPKhlEEPS6_PKS6_NS0_5tupleIJPbS6_EEENSN_IJSK_SK_EEENS0_18inequality_wrapperINSA_8EqualityEEEPlJS6_EEE10hipError_tPvRmT3_T4_T5_T6_T7_T9_mT8_P12ihipStream_tbDpT10_ENKUlT_T0_E_clISt17integral_constantIbLb1EES1D_IbLb0EEEEDaS19_S1A_EUlS19_E_NS1_11comp_targetILNS1_3genE0ELNS1_11target_archE4294967295ELNS1_3gpuE0ELNS1_3repE0EEENS1_30default_config_static_selectorELNS0_4arch9wavefront6targetE1EEEvT1_
    .private_segment_fixed_size: 0
    .sgpr_count:     4
    .sgpr_spill_count: 0
    .symbol:         _ZN7rocprim17ROCPRIM_400000_NS6detail17trampoline_kernelINS0_14default_configENS1_25partition_config_selectorILNS1_17partition_subalgoE8EbNS0_10empty_typeEbEEZZNS1_14partition_implILS5_8ELb0ES3_jN6hipcub16HIPCUB_304000_NS22TransformInputIteratorIbN2at6native8internal12_GLOBAL__N_110LoadBoolOpEPKhlEEPS6_PKS6_NS0_5tupleIJPbS6_EEENSN_IJSK_SK_EEENS0_18inequality_wrapperINSA_8EqualityEEEPlJS6_EEE10hipError_tPvRmT3_T4_T5_T6_T7_T9_mT8_P12ihipStream_tbDpT10_ENKUlT_T0_E_clISt17integral_constantIbLb1EES1D_IbLb0EEEEDaS19_S1A_EUlS19_E_NS1_11comp_targetILNS1_3genE0ELNS1_11target_archE4294967295ELNS1_3gpuE0ELNS1_3repE0EEENS1_30default_config_static_selectorELNS0_4arch9wavefront6targetE1EEEvT1_.kd
    .uniform_work_group_size: 1
    .uses_dynamic_stack: false
    .vgpr_count:     0
    .vgpr_spill_count: 0
    .wavefront_size: 64
  - .agpr_count:     0
    .args:
      - .offset:         0
        .size:           120
        .value_kind:     by_value
    .group_segment_fixed_size: 0
    .kernarg_segment_align: 8
    .kernarg_segment_size: 120
    .language:       OpenCL C
    .language_version:
      - 2
      - 0
    .max_flat_workgroup_size: 512
    .name:           _ZN7rocprim17ROCPRIM_400000_NS6detail17trampoline_kernelINS0_14default_configENS1_25partition_config_selectorILNS1_17partition_subalgoE8EbNS0_10empty_typeEbEEZZNS1_14partition_implILS5_8ELb0ES3_jN6hipcub16HIPCUB_304000_NS22TransformInputIteratorIbN2at6native8internal12_GLOBAL__N_110LoadBoolOpEPKhlEEPS6_PKS6_NS0_5tupleIJPbS6_EEENSN_IJSK_SK_EEENS0_18inequality_wrapperINSA_8EqualityEEEPlJS6_EEE10hipError_tPvRmT3_T4_T5_T6_T7_T9_mT8_P12ihipStream_tbDpT10_ENKUlT_T0_E_clISt17integral_constantIbLb1EES1D_IbLb0EEEEDaS19_S1A_EUlS19_E_NS1_11comp_targetILNS1_3genE5ELNS1_11target_archE942ELNS1_3gpuE9ELNS1_3repE0EEENS1_30default_config_static_selectorELNS0_4arch9wavefront6targetE1EEEvT1_
    .private_segment_fixed_size: 0
    .sgpr_count:     4
    .sgpr_spill_count: 0
    .symbol:         _ZN7rocprim17ROCPRIM_400000_NS6detail17trampoline_kernelINS0_14default_configENS1_25partition_config_selectorILNS1_17partition_subalgoE8EbNS0_10empty_typeEbEEZZNS1_14partition_implILS5_8ELb0ES3_jN6hipcub16HIPCUB_304000_NS22TransformInputIteratorIbN2at6native8internal12_GLOBAL__N_110LoadBoolOpEPKhlEEPS6_PKS6_NS0_5tupleIJPbS6_EEENSN_IJSK_SK_EEENS0_18inequality_wrapperINSA_8EqualityEEEPlJS6_EEE10hipError_tPvRmT3_T4_T5_T6_T7_T9_mT8_P12ihipStream_tbDpT10_ENKUlT_T0_E_clISt17integral_constantIbLb1EES1D_IbLb0EEEEDaS19_S1A_EUlS19_E_NS1_11comp_targetILNS1_3genE5ELNS1_11target_archE942ELNS1_3gpuE9ELNS1_3repE0EEENS1_30default_config_static_selectorELNS0_4arch9wavefront6targetE1EEEvT1_.kd
    .uniform_work_group_size: 1
    .uses_dynamic_stack: false
    .vgpr_count:     0
    .vgpr_spill_count: 0
    .wavefront_size: 64
  - .agpr_count:     0
    .args:
      - .offset:         0
        .size:           120
        .value_kind:     by_value
    .group_segment_fixed_size: 4236
    .kernarg_segment_align: 8
    .kernarg_segment_size: 120
    .language:       OpenCL C
    .language_version:
      - 2
      - 0
    .max_flat_workgroup_size: 128
    .name:           _ZN7rocprim17ROCPRIM_400000_NS6detail17trampoline_kernelINS0_14default_configENS1_25partition_config_selectorILNS1_17partition_subalgoE8EbNS0_10empty_typeEbEEZZNS1_14partition_implILS5_8ELb0ES3_jN6hipcub16HIPCUB_304000_NS22TransformInputIteratorIbN2at6native8internal12_GLOBAL__N_110LoadBoolOpEPKhlEEPS6_PKS6_NS0_5tupleIJPbS6_EEENSN_IJSK_SK_EEENS0_18inequality_wrapperINSA_8EqualityEEEPlJS6_EEE10hipError_tPvRmT3_T4_T5_T6_T7_T9_mT8_P12ihipStream_tbDpT10_ENKUlT_T0_E_clISt17integral_constantIbLb1EES1D_IbLb0EEEEDaS19_S1A_EUlS19_E_NS1_11comp_targetILNS1_3genE4ELNS1_11target_archE910ELNS1_3gpuE8ELNS1_3repE0EEENS1_30default_config_static_selectorELNS0_4arch9wavefront6targetE1EEEvT1_
    .private_segment_fixed_size: 0
    .sgpr_count:     86
    .sgpr_spill_count: 0
    .symbol:         _ZN7rocprim17ROCPRIM_400000_NS6detail17trampoline_kernelINS0_14default_configENS1_25partition_config_selectorILNS1_17partition_subalgoE8EbNS0_10empty_typeEbEEZZNS1_14partition_implILS5_8ELb0ES3_jN6hipcub16HIPCUB_304000_NS22TransformInputIteratorIbN2at6native8internal12_GLOBAL__N_110LoadBoolOpEPKhlEEPS6_PKS6_NS0_5tupleIJPbS6_EEENSN_IJSK_SK_EEENS0_18inequality_wrapperINSA_8EqualityEEEPlJS6_EEE10hipError_tPvRmT3_T4_T5_T6_T7_T9_mT8_P12ihipStream_tbDpT10_ENKUlT_T0_E_clISt17integral_constantIbLb1EES1D_IbLb0EEEEDaS19_S1A_EUlS19_E_NS1_11comp_targetILNS1_3genE4ELNS1_11target_archE910ELNS1_3gpuE8ELNS1_3repE0EEENS1_30default_config_static_selectorELNS0_4arch9wavefront6targetE1EEEvT1_.kd
    .uniform_work_group_size: 1
    .uses_dynamic_stack: false
    .vgpr_count:     125
    .vgpr_spill_count: 0
    .wavefront_size: 64
  - .agpr_count:     0
    .args:
      - .offset:         0
        .size:           120
        .value_kind:     by_value
    .group_segment_fixed_size: 0
    .kernarg_segment_align: 8
    .kernarg_segment_size: 120
    .language:       OpenCL C
    .language_version:
      - 2
      - 0
    .max_flat_workgroup_size: 256
    .name:           _ZN7rocprim17ROCPRIM_400000_NS6detail17trampoline_kernelINS0_14default_configENS1_25partition_config_selectorILNS1_17partition_subalgoE8EbNS0_10empty_typeEbEEZZNS1_14partition_implILS5_8ELb0ES3_jN6hipcub16HIPCUB_304000_NS22TransformInputIteratorIbN2at6native8internal12_GLOBAL__N_110LoadBoolOpEPKhlEEPS6_PKS6_NS0_5tupleIJPbS6_EEENSN_IJSK_SK_EEENS0_18inequality_wrapperINSA_8EqualityEEEPlJS6_EEE10hipError_tPvRmT3_T4_T5_T6_T7_T9_mT8_P12ihipStream_tbDpT10_ENKUlT_T0_E_clISt17integral_constantIbLb1EES1D_IbLb0EEEEDaS19_S1A_EUlS19_E_NS1_11comp_targetILNS1_3genE3ELNS1_11target_archE908ELNS1_3gpuE7ELNS1_3repE0EEENS1_30default_config_static_selectorELNS0_4arch9wavefront6targetE1EEEvT1_
    .private_segment_fixed_size: 0
    .sgpr_count:     4
    .sgpr_spill_count: 0
    .symbol:         _ZN7rocprim17ROCPRIM_400000_NS6detail17trampoline_kernelINS0_14default_configENS1_25partition_config_selectorILNS1_17partition_subalgoE8EbNS0_10empty_typeEbEEZZNS1_14partition_implILS5_8ELb0ES3_jN6hipcub16HIPCUB_304000_NS22TransformInputIteratorIbN2at6native8internal12_GLOBAL__N_110LoadBoolOpEPKhlEEPS6_PKS6_NS0_5tupleIJPbS6_EEENSN_IJSK_SK_EEENS0_18inequality_wrapperINSA_8EqualityEEEPlJS6_EEE10hipError_tPvRmT3_T4_T5_T6_T7_T9_mT8_P12ihipStream_tbDpT10_ENKUlT_T0_E_clISt17integral_constantIbLb1EES1D_IbLb0EEEEDaS19_S1A_EUlS19_E_NS1_11comp_targetILNS1_3genE3ELNS1_11target_archE908ELNS1_3gpuE7ELNS1_3repE0EEENS1_30default_config_static_selectorELNS0_4arch9wavefront6targetE1EEEvT1_.kd
    .uniform_work_group_size: 1
    .uses_dynamic_stack: false
    .vgpr_count:     0
    .vgpr_spill_count: 0
    .wavefront_size: 64
  - .agpr_count:     0
    .args:
      - .offset:         0
        .size:           120
        .value_kind:     by_value
    .group_segment_fixed_size: 0
    .kernarg_segment_align: 8
    .kernarg_segment_size: 120
    .language:       OpenCL C
    .language_version:
      - 2
      - 0
    .max_flat_workgroup_size: 192
    .name:           _ZN7rocprim17ROCPRIM_400000_NS6detail17trampoline_kernelINS0_14default_configENS1_25partition_config_selectorILNS1_17partition_subalgoE8EbNS0_10empty_typeEbEEZZNS1_14partition_implILS5_8ELb0ES3_jN6hipcub16HIPCUB_304000_NS22TransformInputIteratorIbN2at6native8internal12_GLOBAL__N_110LoadBoolOpEPKhlEEPS6_PKS6_NS0_5tupleIJPbS6_EEENSN_IJSK_SK_EEENS0_18inequality_wrapperINSA_8EqualityEEEPlJS6_EEE10hipError_tPvRmT3_T4_T5_T6_T7_T9_mT8_P12ihipStream_tbDpT10_ENKUlT_T0_E_clISt17integral_constantIbLb1EES1D_IbLb0EEEEDaS19_S1A_EUlS19_E_NS1_11comp_targetILNS1_3genE2ELNS1_11target_archE906ELNS1_3gpuE6ELNS1_3repE0EEENS1_30default_config_static_selectorELNS0_4arch9wavefront6targetE1EEEvT1_
    .private_segment_fixed_size: 0
    .sgpr_count:     4
    .sgpr_spill_count: 0
    .symbol:         _ZN7rocprim17ROCPRIM_400000_NS6detail17trampoline_kernelINS0_14default_configENS1_25partition_config_selectorILNS1_17partition_subalgoE8EbNS0_10empty_typeEbEEZZNS1_14partition_implILS5_8ELb0ES3_jN6hipcub16HIPCUB_304000_NS22TransformInputIteratorIbN2at6native8internal12_GLOBAL__N_110LoadBoolOpEPKhlEEPS6_PKS6_NS0_5tupleIJPbS6_EEENSN_IJSK_SK_EEENS0_18inequality_wrapperINSA_8EqualityEEEPlJS6_EEE10hipError_tPvRmT3_T4_T5_T6_T7_T9_mT8_P12ihipStream_tbDpT10_ENKUlT_T0_E_clISt17integral_constantIbLb1EES1D_IbLb0EEEEDaS19_S1A_EUlS19_E_NS1_11comp_targetILNS1_3genE2ELNS1_11target_archE906ELNS1_3gpuE6ELNS1_3repE0EEENS1_30default_config_static_selectorELNS0_4arch9wavefront6targetE1EEEvT1_.kd
    .uniform_work_group_size: 1
    .uses_dynamic_stack: false
    .vgpr_count:     0
    .vgpr_spill_count: 0
    .wavefront_size: 64
  - .agpr_count:     0
    .args:
      - .offset:         0
        .size:           120
        .value_kind:     by_value
    .group_segment_fixed_size: 0
    .kernarg_segment_align: 8
    .kernarg_segment_size: 120
    .language:       OpenCL C
    .language_version:
      - 2
      - 0
    .max_flat_workgroup_size: 256
    .name:           _ZN7rocprim17ROCPRIM_400000_NS6detail17trampoline_kernelINS0_14default_configENS1_25partition_config_selectorILNS1_17partition_subalgoE8EbNS0_10empty_typeEbEEZZNS1_14partition_implILS5_8ELb0ES3_jN6hipcub16HIPCUB_304000_NS22TransformInputIteratorIbN2at6native8internal12_GLOBAL__N_110LoadBoolOpEPKhlEEPS6_PKS6_NS0_5tupleIJPbS6_EEENSN_IJSK_SK_EEENS0_18inequality_wrapperINSA_8EqualityEEEPlJS6_EEE10hipError_tPvRmT3_T4_T5_T6_T7_T9_mT8_P12ihipStream_tbDpT10_ENKUlT_T0_E_clISt17integral_constantIbLb1EES1D_IbLb0EEEEDaS19_S1A_EUlS19_E_NS1_11comp_targetILNS1_3genE10ELNS1_11target_archE1200ELNS1_3gpuE4ELNS1_3repE0EEENS1_30default_config_static_selectorELNS0_4arch9wavefront6targetE1EEEvT1_
    .private_segment_fixed_size: 0
    .sgpr_count:     4
    .sgpr_spill_count: 0
    .symbol:         _ZN7rocprim17ROCPRIM_400000_NS6detail17trampoline_kernelINS0_14default_configENS1_25partition_config_selectorILNS1_17partition_subalgoE8EbNS0_10empty_typeEbEEZZNS1_14partition_implILS5_8ELb0ES3_jN6hipcub16HIPCUB_304000_NS22TransformInputIteratorIbN2at6native8internal12_GLOBAL__N_110LoadBoolOpEPKhlEEPS6_PKS6_NS0_5tupleIJPbS6_EEENSN_IJSK_SK_EEENS0_18inequality_wrapperINSA_8EqualityEEEPlJS6_EEE10hipError_tPvRmT3_T4_T5_T6_T7_T9_mT8_P12ihipStream_tbDpT10_ENKUlT_T0_E_clISt17integral_constantIbLb1EES1D_IbLb0EEEEDaS19_S1A_EUlS19_E_NS1_11comp_targetILNS1_3genE10ELNS1_11target_archE1200ELNS1_3gpuE4ELNS1_3repE0EEENS1_30default_config_static_selectorELNS0_4arch9wavefront6targetE1EEEvT1_.kd
    .uniform_work_group_size: 1
    .uses_dynamic_stack: false
    .vgpr_count:     0
    .vgpr_spill_count: 0
    .wavefront_size: 64
  - .agpr_count:     0
    .args:
      - .offset:         0
        .size:           120
        .value_kind:     by_value
    .group_segment_fixed_size: 0
    .kernarg_segment_align: 8
    .kernarg_segment_size: 120
    .language:       OpenCL C
    .language_version:
      - 2
      - 0
    .max_flat_workgroup_size: 384
    .name:           _ZN7rocprim17ROCPRIM_400000_NS6detail17trampoline_kernelINS0_14default_configENS1_25partition_config_selectorILNS1_17partition_subalgoE8EbNS0_10empty_typeEbEEZZNS1_14partition_implILS5_8ELb0ES3_jN6hipcub16HIPCUB_304000_NS22TransformInputIteratorIbN2at6native8internal12_GLOBAL__N_110LoadBoolOpEPKhlEEPS6_PKS6_NS0_5tupleIJPbS6_EEENSN_IJSK_SK_EEENS0_18inequality_wrapperINSA_8EqualityEEEPlJS6_EEE10hipError_tPvRmT3_T4_T5_T6_T7_T9_mT8_P12ihipStream_tbDpT10_ENKUlT_T0_E_clISt17integral_constantIbLb1EES1D_IbLb0EEEEDaS19_S1A_EUlS19_E_NS1_11comp_targetILNS1_3genE9ELNS1_11target_archE1100ELNS1_3gpuE3ELNS1_3repE0EEENS1_30default_config_static_selectorELNS0_4arch9wavefront6targetE1EEEvT1_
    .private_segment_fixed_size: 0
    .sgpr_count:     4
    .sgpr_spill_count: 0
    .symbol:         _ZN7rocprim17ROCPRIM_400000_NS6detail17trampoline_kernelINS0_14default_configENS1_25partition_config_selectorILNS1_17partition_subalgoE8EbNS0_10empty_typeEbEEZZNS1_14partition_implILS5_8ELb0ES3_jN6hipcub16HIPCUB_304000_NS22TransformInputIteratorIbN2at6native8internal12_GLOBAL__N_110LoadBoolOpEPKhlEEPS6_PKS6_NS0_5tupleIJPbS6_EEENSN_IJSK_SK_EEENS0_18inequality_wrapperINSA_8EqualityEEEPlJS6_EEE10hipError_tPvRmT3_T4_T5_T6_T7_T9_mT8_P12ihipStream_tbDpT10_ENKUlT_T0_E_clISt17integral_constantIbLb1EES1D_IbLb0EEEEDaS19_S1A_EUlS19_E_NS1_11comp_targetILNS1_3genE9ELNS1_11target_archE1100ELNS1_3gpuE3ELNS1_3repE0EEENS1_30default_config_static_selectorELNS0_4arch9wavefront6targetE1EEEvT1_.kd
    .uniform_work_group_size: 1
    .uses_dynamic_stack: false
    .vgpr_count:     0
    .vgpr_spill_count: 0
    .wavefront_size: 64
  - .agpr_count:     0
    .args:
      - .offset:         0
        .size:           120
        .value_kind:     by_value
    .group_segment_fixed_size: 0
    .kernarg_segment_align: 8
    .kernarg_segment_size: 120
    .language:       OpenCL C
    .language_version:
      - 2
      - 0
    .max_flat_workgroup_size: 384
    .name:           _ZN7rocprim17ROCPRIM_400000_NS6detail17trampoline_kernelINS0_14default_configENS1_25partition_config_selectorILNS1_17partition_subalgoE8EbNS0_10empty_typeEbEEZZNS1_14partition_implILS5_8ELb0ES3_jN6hipcub16HIPCUB_304000_NS22TransformInputIteratorIbN2at6native8internal12_GLOBAL__N_110LoadBoolOpEPKhlEEPS6_PKS6_NS0_5tupleIJPbS6_EEENSN_IJSK_SK_EEENS0_18inequality_wrapperINSA_8EqualityEEEPlJS6_EEE10hipError_tPvRmT3_T4_T5_T6_T7_T9_mT8_P12ihipStream_tbDpT10_ENKUlT_T0_E_clISt17integral_constantIbLb1EES1D_IbLb0EEEEDaS19_S1A_EUlS19_E_NS1_11comp_targetILNS1_3genE8ELNS1_11target_archE1030ELNS1_3gpuE2ELNS1_3repE0EEENS1_30default_config_static_selectorELNS0_4arch9wavefront6targetE1EEEvT1_
    .private_segment_fixed_size: 0
    .sgpr_count:     4
    .sgpr_spill_count: 0
    .symbol:         _ZN7rocprim17ROCPRIM_400000_NS6detail17trampoline_kernelINS0_14default_configENS1_25partition_config_selectorILNS1_17partition_subalgoE8EbNS0_10empty_typeEbEEZZNS1_14partition_implILS5_8ELb0ES3_jN6hipcub16HIPCUB_304000_NS22TransformInputIteratorIbN2at6native8internal12_GLOBAL__N_110LoadBoolOpEPKhlEEPS6_PKS6_NS0_5tupleIJPbS6_EEENSN_IJSK_SK_EEENS0_18inequality_wrapperINSA_8EqualityEEEPlJS6_EEE10hipError_tPvRmT3_T4_T5_T6_T7_T9_mT8_P12ihipStream_tbDpT10_ENKUlT_T0_E_clISt17integral_constantIbLb1EES1D_IbLb0EEEEDaS19_S1A_EUlS19_E_NS1_11comp_targetILNS1_3genE8ELNS1_11target_archE1030ELNS1_3gpuE2ELNS1_3repE0EEENS1_30default_config_static_selectorELNS0_4arch9wavefront6targetE1EEEvT1_.kd
    .uniform_work_group_size: 1
    .uses_dynamic_stack: false
    .vgpr_count:     0
    .vgpr_spill_count: 0
    .wavefront_size: 64
  - .agpr_count:     0
    .args:
      - .address_space:  global
        .offset:         0
        .size:           8
        .value_kind:     global_buffer
      - .offset:         8
        .size:           4
        .value_kind:     by_value
      - .address_space:  global
        .offset:         16
        .size:           8
        .value_kind:     global_buffer
      - .offset:         24
        .size:           4
        .value_kind:     by_value
      - .address_space:  global
        .offset:         32
        .size:           8
        .value_kind:     global_buffer
      - .offset:         40
        .size:           4
        .value_kind:     hidden_block_count_x
      - .offset:         44
        .size:           4
        .value_kind:     hidden_block_count_y
      - .offset:         48
        .size:           4
        .value_kind:     hidden_block_count_z
      - .offset:         52
        .size:           2
        .value_kind:     hidden_group_size_x
      - .offset:         54
        .size:           2
        .value_kind:     hidden_group_size_y
      - .offset:         56
        .size:           2
        .value_kind:     hidden_group_size_z
      - .offset:         58
        .size:           2
        .value_kind:     hidden_remainder_x
      - .offset:         60
        .size:           2
        .value_kind:     hidden_remainder_y
      - .offset:         62
        .size:           2
        .value_kind:     hidden_remainder_z
      - .offset:         80
        .size:           8
        .value_kind:     hidden_global_offset_x
      - .offset:         88
        .size:           8
        .value_kind:     hidden_global_offset_y
      - .offset:         96
        .size:           8
        .value_kind:     hidden_global_offset_z
      - .offset:         104
        .size:           2
        .value_kind:     hidden_grid_dims
    .group_segment_fixed_size: 0
    .kernarg_segment_align: 8
    .kernarg_segment_size: 296
    .language:       OpenCL C
    .language_version:
      - 2
      - 0
    .max_flat_workgroup_size: 256
    .name:           _ZN7rocprim17ROCPRIM_400000_NS6detail31init_lookback_scan_state_kernelINS1_19lookback_scan_stateIjLb0ELb1EEENS1_16block_id_wrapperIjLb1EEEEEvT_jT0_jPNS7_10value_typeE
    .private_segment_fixed_size: 0
    .sgpr_count:     15
    .sgpr_spill_count: 0
    .symbol:         _ZN7rocprim17ROCPRIM_400000_NS6detail31init_lookback_scan_state_kernelINS1_19lookback_scan_stateIjLb0ELb1EEENS1_16block_id_wrapperIjLb1EEEEEvT_jT0_jPNS7_10value_typeE.kd
    .uniform_work_group_size: 1
    .uses_dynamic_stack: false
    .vgpr_count:     6
    .vgpr_spill_count: 0
    .wavefront_size: 64
  - .agpr_count:     0
    .args:
      - .offset:         0
        .size:           136
        .value_kind:     by_value
    .group_segment_fixed_size: 0
    .kernarg_segment_align: 8
    .kernarg_segment_size: 136
    .language:       OpenCL C
    .language_version:
      - 2
      - 0
    .max_flat_workgroup_size: 256
    .name:           _ZN7rocprim17ROCPRIM_400000_NS6detail17trampoline_kernelINS0_14default_configENS1_25partition_config_selectorILNS1_17partition_subalgoE8EbNS0_10empty_typeEbEEZZNS1_14partition_implILS5_8ELb0ES3_jN6hipcub16HIPCUB_304000_NS22TransformInputIteratorIbN2at6native8internal12_GLOBAL__N_110LoadBoolOpEPKhlEEPS6_PKS6_NS0_5tupleIJPbS6_EEENSN_IJSK_SK_EEENS0_18inequality_wrapperINSA_8EqualityEEEPlJS6_EEE10hipError_tPvRmT3_T4_T5_T6_T7_T9_mT8_P12ihipStream_tbDpT10_ENKUlT_T0_E_clISt17integral_constantIbLb0EES1D_IbLb1EEEEDaS19_S1A_EUlS19_E_NS1_11comp_targetILNS1_3genE0ELNS1_11target_archE4294967295ELNS1_3gpuE0ELNS1_3repE0EEENS1_30default_config_static_selectorELNS0_4arch9wavefront6targetE1EEEvT1_
    .private_segment_fixed_size: 0
    .sgpr_count:     4
    .sgpr_spill_count: 0
    .symbol:         _ZN7rocprim17ROCPRIM_400000_NS6detail17trampoline_kernelINS0_14default_configENS1_25partition_config_selectorILNS1_17partition_subalgoE8EbNS0_10empty_typeEbEEZZNS1_14partition_implILS5_8ELb0ES3_jN6hipcub16HIPCUB_304000_NS22TransformInputIteratorIbN2at6native8internal12_GLOBAL__N_110LoadBoolOpEPKhlEEPS6_PKS6_NS0_5tupleIJPbS6_EEENSN_IJSK_SK_EEENS0_18inequality_wrapperINSA_8EqualityEEEPlJS6_EEE10hipError_tPvRmT3_T4_T5_T6_T7_T9_mT8_P12ihipStream_tbDpT10_ENKUlT_T0_E_clISt17integral_constantIbLb0EES1D_IbLb1EEEEDaS19_S1A_EUlS19_E_NS1_11comp_targetILNS1_3genE0ELNS1_11target_archE4294967295ELNS1_3gpuE0ELNS1_3repE0EEENS1_30default_config_static_selectorELNS0_4arch9wavefront6targetE1EEEvT1_.kd
    .uniform_work_group_size: 1
    .uses_dynamic_stack: false
    .vgpr_count:     0
    .vgpr_spill_count: 0
    .wavefront_size: 64
  - .agpr_count:     0
    .args:
      - .offset:         0
        .size:           136
        .value_kind:     by_value
    .group_segment_fixed_size: 0
    .kernarg_segment_align: 8
    .kernarg_segment_size: 136
    .language:       OpenCL C
    .language_version:
      - 2
      - 0
    .max_flat_workgroup_size: 512
    .name:           _ZN7rocprim17ROCPRIM_400000_NS6detail17trampoline_kernelINS0_14default_configENS1_25partition_config_selectorILNS1_17partition_subalgoE8EbNS0_10empty_typeEbEEZZNS1_14partition_implILS5_8ELb0ES3_jN6hipcub16HIPCUB_304000_NS22TransformInputIteratorIbN2at6native8internal12_GLOBAL__N_110LoadBoolOpEPKhlEEPS6_PKS6_NS0_5tupleIJPbS6_EEENSN_IJSK_SK_EEENS0_18inequality_wrapperINSA_8EqualityEEEPlJS6_EEE10hipError_tPvRmT3_T4_T5_T6_T7_T9_mT8_P12ihipStream_tbDpT10_ENKUlT_T0_E_clISt17integral_constantIbLb0EES1D_IbLb1EEEEDaS19_S1A_EUlS19_E_NS1_11comp_targetILNS1_3genE5ELNS1_11target_archE942ELNS1_3gpuE9ELNS1_3repE0EEENS1_30default_config_static_selectorELNS0_4arch9wavefront6targetE1EEEvT1_
    .private_segment_fixed_size: 0
    .sgpr_count:     4
    .sgpr_spill_count: 0
    .symbol:         _ZN7rocprim17ROCPRIM_400000_NS6detail17trampoline_kernelINS0_14default_configENS1_25partition_config_selectorILNS1_17partition_subalgoE8EbNS0_10empty_typeEbEEZZNS1_14partition_implILS5_8ELb0ES3_jN6hipcub16HIPCUB_304000_NS22TransformInputIteratorIbN2at6native8internal12_GLOBAL__N_110LoadBoolOpEPKhlEEPS6_PKS6_NS0_5tupleIJPbS6_EEENSN_IJSK_SK_EEENS0_18inequality_wrapperINSA_8EqualityEEEPlJS6_EEE10hipError_tPvRmT3_T4_T5_T6_T7_T9_mT8_P12ihipStream_tbDpT10_ENKUlT_T0_E_clISt17integral_constantIbLb0EES1D_IbLb1EEEEDaS19_S1A_EUlS19_E_NS1_11comp_targetILNS1_3genE5ELNS1_11target_archE942ELNS1_3gpuE9ELNS1_3repE0EEENS1_30default_config_static_selectorELNS0_4arch9wavefront6targetE1EEEvT1_.kd
    .uniform_work_group_size: 1
    .uses_dynamic_stack: false
    .vgpr_count:     0
    .vgpr_spill_count: 0
    .wavefront_size: 64
  - .agpr_count:     0
    .args:
      - .offset:         0
        .size:           136
        .value_kind:     by_value
    .group_segment_fixed_size: 4236
    .kernarg_segment_align: 8
    .kernarg_segment_size: 136
    .language:       OpenCL C
    .language_version:
      - 2
      - 0
    .max_flat_workgroup_size: 128
    .name:           _ZN7rocprim17ROCPRIM_400000_NS6detail17trampoline_kernelINS0_14default_configENS1_25partition_config_selectorILNS1_17partition_subalgoE8EbNS0_10empty_typeEbEEZZNS1_14partition_implILS5_8ELb0ES3_jN6hipcub16HIPCUB_304000_NS22TransformInputIteratorIbN2at6native8internal12_GLOBAL__N_110LoadBoolOpEPKhlEEPS6_PKS6_NS0_5tupleIJPbS6_EEENSN_IJSK_SK_EEENS0_18inequality_wrapperINSA_8EqualityEEEPlJS6_EEE10hipError_tPvRmT3_T4_T5_T6_T7_T9_mT8_P12ihipStream_tbDpT10_ENKUlT_T0_E_clISt17integral_constantIbLb0EES1D_IbLb1EEEEDaS19_S1A_EUlS19_E_NS1_11comp_targetILNS1_3genE4ELNS1_11target_archE910ELNS1_3gpuE8ELNS1_3repE0EEENS1_30default_config_static_selectorELNS0_4arch9wavefront6targetE1EEEvT1_
    .private_segment_fixed_size: 0
    .sgpr_count:     89
    .sgpr_spill_count: 0
    .symbol:         _ZN7rocprim17ROCPRIM_400000_NS6detail17trampoline_kernelINS0_14default_configENS1_25partition_config_selectorILNS1_17partition_subalgoE8EbNS0_10empty_typeEbEEZZNS1_14partition_implILS5_8ELb0ES3_jN6hipcub16HIPCUB_304000_NS22TransformInputIteratorIbN2at6native8internal12_GLOBAL__N_110LoadBoolOpEPKhlEEPS6_PKS6_NS0_5tupleIJPbS6_EEENSN_IJSK_SK_EEENS0_18inequality_wrapperINSA_8EqualityEEEPlJS6_EEE10hipError_tPvRmT3_T4_T5_T6_T7_T9_mT8_P12ihipStream_tbDpT10_ENKUlT_T0_E_clISt17integral_constantIbLb0EES1D_IbLb1EEEEDaS19_S1A_EUlS19_E_NS1_11comp_targetILNS1_3genE4ELNS1_11target_archE910ELNS1_3gpuE8ELNS1_3repE0EEENS1_30default_config_static_selectorELNS0_4arch9wavefront6targetE1EEEvT1_.kd
    .uniform_work_group_size: 1
    .uses_dynamic_stack: false
    .vgpr_count:     126
    .vgpr_spill_count: 0
    .wavefront_size: 64
  - .agpr_count:     0
    .args:
      - .offset:         0
        .size:           136
        .value_kind:     by_value
    .group_segment_fixed_size: 0
    .kernarg_segment_align: 8
    .kernarg_segment_size: 136
    .language:       OpenCL C
    .language_version:
      - 2
      - 0
    .max_flat_workgroup_size: 256
    .name:           _ZN7rocprim17ROCPRIM_400000_NS6detail17trampoline_kernelINS0_14default_configENS1_25partition_config_selectorILNS1_17partition_subalgoE8EbNS0_10empty_typeEbEEZZNS1_14partition_implILS5_8ELb0ES3_jN6hipcub16HIPCUB_304000_NS22TransformInputIteratorIbN2at6native8internal12_GLOBAL__N_110LoadBoolOpEPKhlEEPS6_PKS6_NS0_5tupleIJPbS6_EEENSN_IJSK_SK_EEENS0_18inequality_wrapperINSA_8EqualityEEEPlJS6_EEE10hipError_tPvRmT3_T4_T5_T6_T7_T9_mT8_P12ihipStream_tbDpT10_ENKUlT_T0_E_clISt17integral_constantIbLb0EES1D_IbLb1EEEEDaS19_S1A_EUlS19_E_NS1_11comp_targetILNS1_3genE3ELNS1_11target_archE908ELNS1_3gpuE7ELNS1_3repE0EEENS1_30default_config_static_selectorELNS0_4arch9wavefront6targetE1EEEvT1_
    .private_segment_fixed_size: 0
    .sgpr_count:     4
    .sgpr_spill_count: 0
    .symbol:         _ZN7rocprim17ROCPRIM_400000_NS6detail17trampoline_kernelINS0_14default_configENS1_25partition_config_selectorILNS1_17partition_subalgoE8EbNS0_10empty_typeEbEEZZNS1_14partition_implILS5_8ELb0ES3_jN6hipcub16HIPCUB_304000_NS22TransformInputIteratorIbN2at6native8internal12_GLOBAL__N_110LoadBoolOpEPKhlEEPS6_PKS6_NS0_5tupleIJPbS6_EEENSN_IJSK_SK_EEENS0_18inequality_wrapperINSA_8EqualityEEEPlJS6_EEE10hipError_tPvRmT3_T4_T5_T6_T7_T9_mT8_P12ihipStream_tbDpT10_ENKUlT_T0_E_clISt17integral_constantIbLb0EES1D_IbLb1EEEEDaS19_S1A_EUlS19_E_NS1_11comp_targetILNS1_3genE3ELNS1_11target_archE908ELNS1_3gpuE7ELNS1_3repE0EEENS1_30default_config_static_selectorELNS0_4arch9wavefront6targetE1EEEvT1_.kd
    .uniform_work_group_size: 1
    .uses_dynamic_stack: false
    .vgpr_count:     0
    .vgpr_spill_count: 0
    .wavefront_size: 64
  - .agpr_count:     0
    .args:
      - .offset:         0
        .size:           136
        .value_kind:     by_value
    .group_segment_fixed_size: 0
    .kernarg_segment_align: 8
    .kernarg_segment_size: 136
    .language:       OpenCL C
    .language_version:
      - 2
      - 0
    .max_flat_workgroup_size: 192
    .name:           _ZN7rocprim17ROCPRIM_400000_NS6detail17trampoline_kernelINS0_14default_configENS1_25partition_config_selectorILNS1_17partition_subalgoE8EbNS0_10empty_typeEbEEZZNS1_14partition_implILS5_8ELb0ES3_jN6hipcub16HIPCUB_304000_NS22TransformInputIteratorIbN2at6native8internal12_GLOBAL__N_110LoadBoolOpEPKhlEEPS6_PKS6_NS0_5tupleIJPbS6_EEENSN_IJSK_SK_EEENS0_18inequality_wrapperINSA_8EqualityEEEPlJS6_EEE10hipError_tPvRmT3_T4_T5_T6_T7_T9_mT8_P12ihipStream_tbDpT10_ENKUlT_T0_E_clISt17integral_constantIbLb0EES1D_IbLb1EEEEDaS19_S1A_EUlS19_E_NS1_11comp_targetILNS1_3genE2ELNS1_11target_archE906ELNS1_3gpuE6ELNS1_3repE0EEENS1_30default_config_static_selectorELNS0_4arch9wavefront6targetE1EEEvT1_
    .private_segment_fixed_size: 0
    .sgpr_count:     4
    .sgpr_spill_count: 0
    .symbol:         _ZN7rocprim17ROCPRIM_400000_NS6detail17trampoline_kernelINS0_14default_configENS1_25partition_config_selectorILNS1_17partition_subalgoE8EbNS0_10empty_typeEbEEZZNS1_14partition_implILS5_8ELb0ES3_jN6hipcub16HIPCUB_304000_NS22TransformInputIteratorIbN2at6native8internal12_GLOBAL__N_110LoadBoolOpEPKhlEEPS6_PKS6_NS0_5tupleIJPbS6_EEENSN_IJSK_SK_EEENS0_18inequality_wrapperINSA_8EqualityEEEPlJS6_EEE10hipError_tPvRmT3_T4_T5_T6_T7_T9_mT8_P12ihipStream_tbDpT10_ENKUlT_T0_E_clISt17integral_constantIbLb0EES1D_IbLb1EEEEDaS19_S1A_EUlS19_E_NS1_11comp_targetILNS1_3genE2ELNS1_11target_archE906ELNS1_3gpuE6ELNS1_3repE0EEENS1_30default_config_static_selectorELNS0_4arch9wavefront6targetE1EEEvT1_.kd
    .uniform_work_group_size: 1
    .uses_dynamic_stack: false
    .vgpr_count:     0
    .vgpr_spill_count: 0
    .wavefront_size: 64
  - .agpr_count:     0
    .args:
      - .offset:         0
        .size:           136
        .value_kind:     by_value
    .group_segment_fixed_size: 0
    .kernarg_segment_align: 8
    .kernarg_segment_size: 136
    .language:       OpenCL C
    .language_version:
      - 2
      - 0
    .max_flat_workgroup_size: 256
    .name:           _ZN7rocprim17ROCPRIM_400000_NS6detail17trampoline_kernelINS0_14default_configENS1_25partition_config_selectorILNS1_17partition_subalgoE8EbNS0_10empty_typeEbEEZZNS1_14partition_implILS5_8ELb0ES3_jN6hipcub16HIPCUB_304000_NS22TransformInputIteratorIbN2at6native8internal12_GLOBAL__N_110LoadBoolOpEPKhlEEPS6_PKS6_NS0_5tupleIJPbS6_EEENSN_IJSK_SK_EEENS0_18inequality_wrapperINSA_8EqualityEEEPlJS6_EEE10hipError_tPvRmT3_T4_T5_T6_T7_T9_mT8_P12ihipStream_tbDpT10_ENKUlT_T0_E_clISt17integral_constantIbLb0EES1D_IbLb1EEEEDaS19_S1A_EUlS19_E_NS1_11comp_targetILNS1_3genE10ELNS1_11target_archE1200ELNS1_3gpuE4ELNS1_3repE0EEENS1_30default_config_static_selectorELNS0_4arch9wavefront6targetE1EEEvT1_
    .private_segment_fixed_size: 0
    .sgpr_count:     4
    .sgpr_spill_count: 0
    .symbol:         _ZN7rocprim17ROCPRIM_400000_NS6detail17trampoline_kernelINS0_14default_configENS1_25partition_config_selectorILNS1_17partition_subalgoE8EbNS0_10empty_typeEbEEZZNS1_14partition_implILS5_8ELb0ES3_jN6hipcub16HIPCUB_304000_NS22TransformInputIteratorIbN2at6native8internal12_GLOBAL__N_110LoadBoolOpEPKhlEEPS6_PKS6_NS0_5tupleIJPbS6_EEENSN_IJSK_SK_EEENS0_18inequality_wrapperINSA_8EqualityEEEPlJS6_EEE10hipError_tPvRmT3_T4_T5_T6_T7_T9_mT8_P12ihipStream_tbDpT10_ENKUlT_T0_E_clISt17integral_constantIbLb0EES1D_IbLb1EEEEDaS19_S1A_EUlS19_E_NS1_11comp_targetILNS1_3genE10ELNS1_11target_archE1200ELNS1_3gpuE4ELNS1_3repE0EEENS1_30default_config_static_selectorELNS0_4arch9wavefront6targetE1EEEvT1_.kd
    .uniform_work_group_size: 1
    .uses_dynamic_stack: false
    .vgpr_count:     0
    .vgpr_spill_count: 0
    .wavefront_size: 64
  - .agpr_count:     0
    .args:
      - .offset:         0
        .size:           136
        .value_kind:     by_value
    .group_segment_fixed_size: 0
    .kernarg_segment_align: 8
    .kernarg_segment_size: 136
    .language:       OpenCL C
    .language_version:
      - 2
      - 0
    .max_flat_workgroup_size: 384
    .name:           _ZN7rocprim17ROCPRIM_400000_NS6detail17trampoline_kernelINS0_14default_configENS1_25partition_config_selectorILNS1_17partition_subalgoE8EbNS0_10empty_typeEbEEZZNS1_14partition_implILS5_8ELb0ES3_jN6hipcub16HIPCUB_304000_NS22TransformInputIteratorIbN2at6native8internal12_GLOBAL__N_110LoadBoolOpEPKhlEEPS6_PKS6_NS0_5tupleIJPbS6_EEENSN_IJSK_SK_EEENS0_18inequality_wrapperINSA_8EqualityEEEPlJS6_EEE10hipError_tPvRmT3_T4_T5_T6_T7_T9_mT8_P12ihipStream_tbDpT10_ENKUlT_T0_E_clISt17integral_constantIbLb0EES1D_IbLb1EEEEDaS19_S1A_EUlS19_E_NS1_11comp_targetILNS1_3genE9ELNS1_11target_archE1100ELNS1_3gpuE3ELNS1_3repE0EEENS1_30default_config_static_selectorELNS0_4arch9wavefront6targetE1EEEvT1_
    .private_segment_fixed_size: 0
    .sgpr_count:     4
    .sgpr_spill_count: 0
    .symbol:         _ZN7rocprim17ROCPRIM_400000_NS6detail17trampoline_kernelINS0_14default_configENS1_25partition_config_selectorILNS1_17partition_subalgoE8EbNS0_10empty_typeEbEEZZNS1_14partition_implILS5_8ELb0ES3_jN6hipcub16HIPCUB_304000_NS22TransformInputIteratorIbN2at6native8internal12_GLOBAL__N_110LoadBoolOpEPKhlEEPS6_PKS6_NS0_5tupleIJPbS6_EEENSN_IJSK_SK_EEENS0_18inequality_wrapperINSA_8EqualityEEEPlJS6_EEE10hipError_tPvRmT3_T4_T5_T6_T7_T9_mT8_P12ihipStream_tbDpT10_ENKUlT_T0_E_clISt17integral_constantIbLb0EES1D_IbLb1EEEEDaS19_S1A_EUlS19_E_NS1_11comp_targetILNS1_3genE9ELNS1_11target_archE1100ELNS1_3gpuE3ELNS1_3repE0EEENS1_30default_config_static_selectorELNS0_4arch9wavefront6targetE1EEEvT1_.kd
    .uniform_work_group_size: 1
    .uses_dynamic_stack: false
    .vgpr_count:     0
    .vgpr_spill_count: 0
    .wavefront_size: 64
  - .agpr_count:     0
    .args:
      - .offset:         0
        .size:           136
        .value_kind:     by_value
    .group_segment_fixed_size: 0
    .kernarg_segment_align: 8
    .kernarg_segment_size: 136
    .language:       OpenCL C
    .language_version:
      - 2
      - 0
    .max_flat_workgroup_size: 384
    .name:           _ZN7rocprim17ROCPRIM_400000_NS6detail17trampoline_kernelINS0_14default_configENS1_25partition_config_selectorILNS1_17partition_subalgoE8EbNS0_10empty_typeEbEEZZNS1_14partition_implILS5_8ELb0ES3_jN6hipcub16HIPCUB_304000_NS22TransformInputIteratorIbN2at6native8internal12_GLOBAL__N_110LoadBoolOpEPKhlEEPS6_PKS6_NS0_5tupleIJPbS6_EEENSN_IJSK_SK_EEENS0_18inequality_wrapperINSA_8EqualityEEEPlJS6_EEE10hipError_tPvRmT3_T4_T5_T6_T7_T9_mT8_P12ihipStream_tbDpT10_ENKUlT_T0_E_clISt17integral_constantIbLb0EES1D_IbLb1EEEEDaS19_S1A_EUlS19_E_NS1_11comp_targetILNS1_3genE8ELNS1_11target_archE1030ELNS1_3gpuE2ELNS1_3repE0EEENS1_30default_config_static_selectorELNS0_4arch9wavefront6targetE1EEEvT1_
    .private_segment_fixed_size: 0
    .sgpr_count:     4
    .sgpr_spill_count: 0
    .symbol:         _ZN7rocprim17ROCPRIM_400000_NS6detail17trampoline_kernelINS0_14default_configENS1_25partition_config_selectorILNS1_17partition_subalgoE8EbNS0_10empty_typeEbEEZZNS1_14partition_implILS5_8ELb0ES3_jN6hipcub16HIPCUB_304000_NS22TransformInputIteratorIbN2at6native8internal12_GLOBAL__N_110LoadBoolOpEPKhlEEPS6_PKS6_NS0_5tupleIJPbS6_EEENSN_IJSK_SK_EEENS0_18inequality_wrapperINSA_8EqualityEEEPlJS6_EEE10hipError_tPvRmT3_T4_T5_T6_T7_T9_mT8_P12ihipStream_tbDpT10_ENKUlT_T0_E_clISt17integral_constantIbLb0EES1D_IbLb1EEEEDaS19_S1A_EUlS19_E_NS1_11comp_targetILNS1_3genE8ELNS1_11target_archE1030ELNS1_3gpuE2ELNS1_3repE0EEENS1_30default_config_static_selectorELNS0_4arch9wavefront6targetE1EEEvT1_.kd
    .uniform_work_group_size: 1
    .uses_dynamic_stack: false
    .vgpr_count:     0
    .vgpr_spill_count: 0
    .wavefront_size: 64
  - .agpr_count:     0
    .args:
      - .offset:         0
        .size:           48
        .value_kind:     by_value
    .group_segment_fixed_size: 0
    .kernarg_segment_align: 8
    .kernarg_segment_size: 48
    .language:       OpenCL C
    .language_version:
      - 2
      - 0
    .max_flat_workgroup_size: 128
    .name:           _ZN7rocprim17ROCPRIM_400000_NS6detail17trampoline_kernelINS0_14default_configENS1_25transform_config_selectorImLb0EEEZNS1_14transform_implILb0ES3_S5_NS0_17constant_iteratorImlEEPlNS0_8identityImEEEE10hipError_tT2_T3_mT4_P12ihipStream_tbEUlT_E_NS1_11comp_targetILNS1_3genE0ELNS1_11target_archE4294967295ELNS1_3gpuE0ELNS1_3repE0EEENS1_30default_config_static_selectorELNS0_4arch9wavefront6targetE1EEEvT1_
    .private_segment_fixed_size: 0
    .sgpr_count:     4
    .sgpr_spill_count: 0
    .symbol:         _ZN7rocprim17ROCPRIM_400000_NS6detail17trampoline_kernelINS0_14default_configENS1_25transform_config_selectorImLb0EEEZNS1_14transform_implILb0ES3_S5_NS0_17constant_iteratorImlEEPlNS0_8identityImEEEE10hipError_tT2_T3_mT4_P12ihipStream_tbEUlT_E_NS1_11comp_targetILNS1_3genE0ELNS1_11target_archE4294967295ELNS1_3gpuE0ELNS1_3repE0EEENS1_30default_config_static_selectorELNS0_4arch9wavefront6targetE1EEEvT1_.kd
    .uniform_work_group_size: 1
    .uses_dynamic_stack: false
    .vgpr_count:     0
    .vgpr_spill_count: 0
    .wavefront_size: 64
  - .agpr_count:     0
    .args:
      - .offset:         0
        .size:           48
        .value_kind:     by_value
    .group_segment_fixed_size: 0
    .kernarg_segment_align: 8
    .kernarg_segment_size: 48
    .language:       OpenCL C
    .language_version:
      - 2
      - 0
    .max_flat_workgroup_size: 512
    .name:           _ZN7rocprim17ROCPRIM_400000_NS6detail17trampoline_kernelINS0_14default_configENS1_25transform_config_selectorImLb0EEEZNS1_14transform_implILb0ES3_S5_NS0_17constant_iteratorImlEEPlNS0_8identityImEEEE10hipError_tT2_T3_mT4_P12ihipStream_tbEUlT_E_NS1_11comp_targetILNS1_3genE5ELNS1_11target_archE942ELNS1_3gpuE9ELNS1_3repE0EEENS1_30default_config_static_selectorELNS0_4arch9wavefront6targetE1EEEvT1_
    .private_segment_fixed_size: 0
    .sgpr_count:     4
    .sgpr_spill_count: 0
    .symbol:         _ZN7rocprim17ROCPRIM_400000_NS6detail17trampoline_kernelINS0_14default_configENS1_25transform_config_selectorImLb0EEEZNS1_14transform_implILb0ES3_S5_NS0_17constant_iteratorImlEEPlNS0_8identityImEEEE10hipError_tT2_T3_mT4_P12ihipStream_tbEUlT_E_NS1_11comp_targetILNS1_3genE5ELNS1_11target_archE942ELNS1_3gpuE9ELNS1_3repE0EEENS1_30default_config_static_selectorELNS0_4arch9wavefront6targetE1EEEvT1_.kd
    .uniform_work_group_size: 1
    .uses_dynamic_stack: false
    .vgpr_count:     0
    .vgpr_spill_count: 0
    .wavefront_size: 64
  - .agpr_count:     0
    .args:
      - .offset:         0
        .size:           48
        .value_kind:     by_value
      - .offset:         48
        .size:           4
        .value_kind:     hidden_block_count_x
      - .offset:         52
        .size:           4
        .value_kind:     hidden_block_count_y
      - .offset:         56
        .size:           4
        .value_kind:     hidden_block_count_z
      - .offset:         60
        .size:           2
        .value_kind:     hidden_group_size_x
      - .offset:         62
        .size:           2
        .value_kind:     hidden_group_size_y
      - .offset:         64
        .size:           2
        .value_kind:     hidden_group_size_z
      - .offset:         66
        .size:           2
        .value_kind:     hidden_remainder_x
      - .offset:         68
        .size:           2
        .value_kind:     hidden_remainder_y
      - .offset:         70
        .size:           2
        .value_kind:     hidden_remainder_z
      - .offset:         88
        .size:           8
        .value_kind:     hidden_global_offset_x
      - .offset:         96
        .size:           8
        .value_kind:     hidden_global_offset_y
      - .offset:         104
        .size:           8
        .value_kind:     hidden_global_offset_z
      - .offset:         112
        .size:           2
        .value_kind:     hidden_grid_dims
    .group_segment_fixed_size: 0
    .kernarg_segment_align: 8
    .kernarg_segment_size: 304
    .language:       OpenCL C
    .language_version:
      - 2
      - 0
    .max_flat_workgroup_size: 256
    .name:           _ZN7rocprim17ROCPRIM_400000_NS6detail17trampoline_kernelINS0_14default_configENS1_25transform_config_selectorImLb0EEEZNS1_14transform_implILb0ES3_S5_NS0_17constant_iteratorImlEEPlNS0_8identityImEEEE10hipError_tT2_T3_mT4_P12ihipStream_tbEUlT_E_NS1_11comp_targetILNS1_3genE4ELNS1_11target_archE910ELNS1_3gpuE8ELNS1_3repE0EEENS1_30default_config_static_selectorELNS0_4arch9wavefront6targetE1EEEvT1_
    .private_segment_fixed_size: 0
    .sgpr_count:     18
    .sgpr_spill_count: 0
    .symbol:         _ZN7rocprim17ROCPRIM_400000_NS6detail17trampoline_kernelINS0_14default_configENS1_25transform_config_selectorImLb0EEEZNS1_14transform_implILb0ES3_S5_NS0_17constant_iteratorImlEEPlNS0_8identityImEEEE10hipError_tT2_T3_mT4_P12ihipStream_tbEUlT_E_NS1_11comp_targetILNS1_3genE4ELNS1_11target_archE910ELNS1_3gpuE8ELNS1_3repE0EEENS1_30default_config_static_selectorELNS0_4arch9wavefront6targetE1EEEvT1_.kd
    .uniform_work_group_size: 1
    .uses_dynamic_stack: false
    .vgpr_count:     9
    .vgpr_spill_count: 0
    .wavefront_size: 64
  - .agpr_count:     0
    .args:
      - .offset:         0
        .size:           48
        .value_kind:     by_value
    .group_segment_fixed_size: 0
    .kernarg_segment_align: 8
    .kernarg_segment_size: 48
    .language:       OpenCL C
    .language_version:
      - 2
      - 0
    .max_flat_workgroup_size: 128
    .name:           _ZN7rocprim17ROCPRIM_400000_NS6detail17trampoline_kernelINS0_14default_configENS1_25transform_config_selectorImLb0EEEZNS1_14transform_implILb0ES3_S5_NS0_17constant_iteratorImlEEPlNS0_8identityImEEEE10hipError_tT2_T3_mT4_P12ihipStream_tbEUlT_E_NS1_11comp_targetILNS1_3genE3ELNS1_11target_archE908ELNS1_3gpuE7ELNS1_3repE0EEENS1_30default_config_static_selectorELNS0_4arch9wavefront6targetE1EEEvT1_
    .private_segment_fixed_size: 0
    .sgpr_count:     4
    .sgpr_spill_count: 0
    .symbol:         _ZN7rocprim17ROCPRIM_400000_NS6detail17trampoline_kernelINS0_14default_configENS1_25transform_config_selectorImLb0EEEZNS1_14transform_implILb0ES3_S5_NS0_17constant_iteratorImlEEPlNS0_8identityImEEEE10hipError_tT2_T3_mT4_P12ihipStream_tbEUlT_E_NS1_11comp_targetILNS1_3genE3ELNS1_11target_archE908ELNS1_3gpuE7ELNS1_3repE0EEENS1_30default_config_static_selectorELNS0_4arch9wavefront6targetE1EEEvT1_.kd
    .uniform_work_group_size: 1
    .uses_dynamic_stack: false
    .vgpr_count:     0
    .vgpr_spill_count: 0
    .wavefront_size: 64
  - .agpr_count:     0
    .args:
      - .offset:         0
        .size:           48
        .value_kind:     by_value
    .group_segment_fixed_size: 0
    .kernarg_segment_align: 8
    .kernarg_segment_size: 48
    .language:       OpenCL C
    .language_version:
      - 2
      - 0
    .max_flat_workgroup_size: 512
    .name:           _ZN7rocprim17ROCPRIM_400000_NS6detail17trampoline_kernelINS0_14default_configENS1_25transform_config_selectorImLb0EEEZNS1_14transform_implILb0ES3_S5_NS0_17constant_iteratorImlEEPlNS0_8identityImEEEE10hipError_tT2_T3_mT4_P12ihipStream_tbEUlT_E_NS1_11comp_targetILNS1_3genE2ELNS1_11target_archE906ELNS1_3gpuE6ELNS1_3repE0EEENS1_30default_config_static_selectorELNS0_4arch9wavefront6targetE1EEEvT1_
    .private_segment_fixed_size: 0
    .sgpr_count:     4
    .sgpr_spill_count: 0
    .symbol:         _ZN7rocprim17ROCPRIM_400000_NS6detail17trampoline_kernelINS0_14default_configENS1_25transform_config_selectorImLb0EEEZNS1_14transform_implILb0ES3_S5_NS0_17constant_iteratorImlEEPlNS0_8identityImEEEE10hipError_tT2_T3_mT4_P12ihipStream_tbEUlT_E_NS1_11comp_targetILNS1_3genE2ELNS1_11target_archE906ELNS1_3gpuE6ELNS1_3repE0EEENS1_30default_config_static_selectorELNS0_4arch9wavefront6targetE1EEEvT1_.kd
    .uniform_work_group_size: 1
    .uses_dynamic_stack: false
    .vgpr_count:     0
    .vgpr_spill_count: 0
    .wavefront_size: 64
  - .agpr_count:     0
    .args:
      - .offset:         0
        .size:           48
        .value_kind:     by_value
    .group_segment_fixed_size: 0
    .kernarg_segment_align: 8
    .kernarg_segment_size: 48
    .language:       OpenCL C
    .language_version:
      - 2
      - 0
    .max_flat_workgroup_size: 1024
    .name:           _ZN7rocprim17ROCPRIM_400000_NS6detail17trampoline_kernelINS0_14default_configENS1_25transform_config_selectorImLb0EEEZNS1_14transform_implILb0ES3_S5_NS0_17constant_iteratorImlEEPlNS0_8identityImEEEE10hipError_tT2_T3_mT4_P12ihipStream_tbEUlT_E_NS1_11comp_targetILNS1_3genE10ELNS1_11target_archE1201ELNS1_3gpuE5ELNS1_3repE0EEENS1_30default_config_static_selectorELNS0_4arch9wavefront6targetE1EEEvT1_
    .private_segment_fixed_size: 0
    .sgpr_count:     4
    .sgpr_spill_count: 0
    .symbol:         _ZN7rocprim17ROCPRIM_400000_NS6detail17trampoline_kernelINS0_14default_configENS1_25transform_config_selectorImLb0EEEZNS1_14transform_implILb0ES3_S5_NS0_17constant_iteratorImlEEPlNS0_8identityImEEEE10hipError_tT2_T3_mT4_P12ihipStream_tbEUlT_E_NS1_11comp_targetILNS1_3genE10ELNS1_11target_archE1201ELNS1_3gpuE5ELNS1_3repE0EEENS1_30default_config_static_selectorELNS0_4arch9wavefront6targetE1EEEvT1_.kd
    .uniform_work_group_size: 1
    .uses_dynamic_stack: false
    .vgpr_count:     0
    .vgpr_spill_count: 0
    .wavefront_size: 64
  - .agpr_count:     0
    .args:
      - .offset:         0
        .size:           48
        .value_kind:     by_value
    .group_segment_fixed_size: 0
    .kernarg_segment_align: 8
    .kernarg_segment_size: 48
    .language:       OpenCL C
    .language_version:
      - 2
      - 0
    .max_flat_workgroup_size: 512
    .name:           _ZN7rocprim17ROCPRIM_400000_NS6detail17trampoline_kernelINS0_14default_configENS1_25transform_config_selectorImLb0EEEZNS1_14transform_implILb0ES3_S5_NS0_17constant_iteratorImlEEPlNS0_8identityImEEEE10hipError_tT2_T3_mT4_P12ihipStream_tbEUlT_E_NS1_11comp_targetILNS1_3genE10ELNS1_11target_archE1200ELNS1_3gpuE4ELNS1_3repE0EEENS1_30default_config_static_selectorELNS0_4arch9wavefront6targetE1EEEvT1_
    .private_segment_fixed_size: 0
    .sgpr_count:     4
    .sgpr_spill_count: 0
    .symbol:         _ZN7rocprim17ROCPRIM_400000_NS6detail17trampoline_kernelINS0_14default_configENS1_25transform_config_selectorImLb0EEEZNS1_14transform_implILb0ES3_S5_NS0_17constant_iteratorImlEEPlNS0_8identityImEEEE10hipError_tT2_T3_mT4_P12ihipStream_tbEUlT_E_NS1_11comp_targetILNS1_3genE10ELNS1_11target_archE1200ELNS1_3gpuE4ELNS1_3repE0EEENS1_30default_config_static_selectorELNS0_4arch9wavefront6targetE1EEEvT1_.kd
    .uniform_work_group_size: 1
    .uses_dynamic_stack: false
    .vgpr_count:     0
    .vgpr_spill_count: 0
    .wavefront_size: 64
  - .agpr_count:     0
    .args:
      - .offset:         0
        .size:           48
        .value_kind:     by_value
    .group_segment_fixed_size: 0
    .kernarg_segment_align: 8
    .kernarg_segment_size: 48
    .language:       OpenCL C
    .language_version:
      - 2
      - 0
    .max_flat_workgroup_size: 512
    .name:           _ZN7rocprim17ROCPRIM_400000_NS6detail17trampoline_kernelINS0_14default_configENS1_25transform_config_selectorImLb0EEEZNS1_14transform_implILb0ES3_S5_NS0_17constant_iteratorImlEEPlNS0_8identityImEEEE10hipError_tT2_T3_mT4_P12ihipStream_tbEUlT_E_NS1_11comp_targetILNS1_3genE9ELNS1_11target_archE1100ELNS1_3gpuE3ELNS1_3repE0EEENS1_30default_config_static_selectorELNS0_4arch9wavefront6targetE1EEEvT1_
    .private_segment_fixed_size: 0
    .sgpr_count:     4
    .sgpr_spill_count: 0
    .symbol:         _ZN7rocprim17ROCPRIM_400000_NS6detail17trampoline_kernelINS0_14default_configENS1_25transform_config_selectorImLb0EEEZNS1_14transform_implILb0ES3_S5_NS0_17constant_iteratorImlEEPlNS0_8identityImEEEE10hipError_tT2_T3_mT4_P12ihipStream_tbEUlT_E_NS1_11comp_targetILNS1_3genE9ELNS1_11target_archE1100ELNS1_3gpuE3ELNS1_3repE0EEENS1_30default_config_static_selectorELNS0_4arch9wavefront6targetE1EEEvT1_.kd
    .uniform_work_group_size: 1
    .uses_dynamic_stack: false
    .vgpr_count:     0
    .vgpr_spill_count: 0
    .wavefront_size: 64
  - .agpr_count:     0
    .args:
      - .offset:         0
        .size:           48
        .value_kind:     by_value
    .group_segment_fixed_size: 0
    .kernarg_segment_align: 8
    .kernarg_segment_size: 48
    .language:       OpenCL C
    .language_version:
      - 2
      - 0
    .max_flat_workgroup_size: 512
    .name:           _ZN7rocprim17ROCPRIM_400000_NS6detail17trampoline_kernelINS0_14default_configENS1_25transform_config_selectorImLb0EEEZNS1_14transform_implILb0ES3_S5_NS0_17constant_iteratorImlEEPlNS0_8identityImEEEE10hipError_tT2_T3_mT4_P12ihipStream_tbEUlT_E_NS1_11comp_targetILNS1_3genE8ELNS1_11target_archE1030ELNS1_3gpuE2ELNS1_3repE0EEENS1_30default_config_static_selectorELNS0_4arch9wavefront6targetE1EEEvT1_
    .private_segment_fixed_size: 0
    .sgpr_count:     4
    .sgpr_spill_count: 0
    .symbol:         _ZN7rocprim17ROCPRIM_400000_NS6detail17trampoline_kernelINS0_14default_configENS1_25transform_config_selectorImLb0EEEZNS1_14transform_implILb0ES3_S5_NS0_17constant_iteratorImlEEPlNS0_8identityImEEEE10hipError_tT2_T3_mT4_P12ihipStream_tbEUlT_E_NS1_11comp_targetILNS1_3genE8ELNS1_11target_archE1030ELNS1_3gpuE2ELNS1_3repE0EEENS1_30default_config_static_selectorELNS0_4arch9wavefront6targetE1EEEvT1_.kd
    .uniform_work_group_size: 1
    .uses_dynamic_stack: false
    .vgpr_count:     0
    .vgpr_spill_count: 0
    .wavefront_size: 64
  - .agpr_count:     0
    .args:
      - .address_space:  global
        .offset:         0
        .size:           8
        .value_kind:     global_buffer
      - .offset:         8
        .size:           4
        .value_kind:     by_value
      - .offset:         12
        .size:           1
        .value_kind:     by_value
      - .offset:         16
        .size:           4
        .value_kind:     by_value
      - .address_space:  global
        .offset:         24
        .size:           8
        .value_kind:     global_buffer
      - .address_space:  global
        .offset:         32
        .size:           8
        .value_kind:     global_buffer
      - .offset:         40
        .size:           1
        .value_kind:     by_value
      - .offset:         48
        .size:           4
        .value_kind:     hidden_block_count_x
      - .offset:         52
        .size:           4
        .value_kind:     hidden_block_count_y
      - .offset:         56
        .size:           4
        .value_kind:     hidden_block_count_z
      - .offset:         60
        .size:           2
        .value_kind:     hidden_group_size_x
      - .offset:         62
        .size:           2
        .value_kind:     hidden_group_size_y
      - .offset:         64
        .size:           2
        .value_kind:     hidden_group_size_z
      - .offset:         66
        .size:           2
        .value_kind:     hidden_remainder_x
      - .offset:         68
        .size:           2
        .value_kind:     hidden_remainder_y
      - .offset:         70
        .size:           2
        .value_kind:     hidden_remainder_z
      - .offset:         88
        .size:           8
        .value_kind:     hidden_global_offset_x
      - .offset:         96
        .size:           8
        .value_kind:     hidden_global_offset_y
      - .offset:         104
        .size:           8
        .value_kind:     hidden_global_offset_z
      - .offset:         112
        .size:           2
        .value_kind:     hidden_grid_dims
    .group_segment_fixed_size: 0
    .kernarg_segment_align: 8
    .kernarg_segment_size: 304
    .language:       OpenCL C
    .language_version:
      - 2
      - 0
    .max_flat_workgroup_size: 256
    .name:           _ZN7rocprim17ROCPRIM_400000_NS6detail25reduce_by_key_init_kernelINS1_19lookback_scan_stateINS0_5tupleIJjjEEELb0ELb1EEEjNS1_16block_id_wrapperIjLb0EEEEEvT_jbjPmPT0_T1_
    .private_segment_fixed_size: 0
    .sgpr_count:     20
    .sgpr_spill_count: 0
    .symbol:         _ZN7rocprim17ROCPRIM_400000_NS6detail25reduce_by_key_init_kernelINS1_19lookback_scan_stateINS0_5tupleIJjjEEELb0ELb1EEEjNS1_16block_id_wrapperIjLb0EEEEEvT_jbjPmPT0_T1_.kd
    .uniform_work_group_size: 1
    .uses_dynamic_stack: false
    .vgpr_count:     10
    .vgpr_spill_count: 0
    .wavefront_size: 64
  - .agpr_count:     0
    .args:
      - .offset:         0
        .size:           136
        .value_kind:     by_value
    .group_segment_fixed_size: 0
    .kernarg_segment_align: 8
    .kernarg_segment_size: 136
    .language:       OpenCL C
    .language_version:
      - 2
      - 0
    .max_flat_workgroup_size: 256
    .name:           _ZN7rocprim17ROCPRIM_400000_NS6detail17trampoline_kernelINS0_14default_configENS1_33run_length_encode_config_selectorIbjNS0_4plusIjEEEEZZNS1_33reduce_by_key_impl_wrapped_configILNS1_25lookback_scan_determinismE0ES3_S7_N6hipcub16HIPCUB_304000_NS22TransformInputIteratorIbN2at6native8internal12_GLOBAL__N_110LoadBoolOpEPKhlEENS0_17constant_iteratorIjlEEPbPlSO_S6_NS0_8equal_toIbEEEE10hipError_tPvRmT2_T3_mT4_T5_T6_T7_T8_P12ihipStream_tbENKUlT_T0_E_clISt17integral_constantIbLb0EES18_EEDaS13_S14_EUlS13_E_NS1_11comp_targetILNS1_3genE0ELNS1_11target_archE4294967295ELNS1_3gpuE0ELNS1_3repE0EEENS1_30default_config_static_selectorELNS0_4arch9wavefront6targetE1EEEvT1_
    .private_segment_fixed_size: 0
    .sgpr_count:     4
    .sgpr_spill_count: 0
    .symbol:         _ZN7rocprim17ROCPRIM_400000_NS6detail17trampoline_kernelINS0_14default_configENS1_33run_length_encode_config_selectorIbjNS0_4plusIjEEEEZZNS1_33reduce_by_key_impl_wrapped_configILNS1_25lookback_scan_determinismE0ES3_S7_N6hipcub16HIPCUB_304000_NS22TransformInputIteratorIbN2at6native8internal12_GLOBAL__N_110LoadBoolOpEPKhlEENS0_17constant_iteratorIjlEEPbPlSO_S6_NS0_8equal_toIbEEEE10hipError_tPvRmT2_T3_mT4_T5_T6_T7_T8_P12ihipStream_tbENKUlT_T0_E_clISt17integral_constantIbLb0EES18_EEDaS13_S14_EUlS13_E_NS1_11comp_targetILNS1_3genE0ELNS1_11target_archE4294967295ELNS1_3gpuE0ELNS1_3repE0EEENS1_30default_config_static_selectorELNS0_4arch9wavefront6targetE1EEEvT1_.kd
    .uniform_work_group_size: 1
    .uses_dynamic_stack: false
    .vgpr_count:     0
    .vgpr_spill_count: 0
    .wavefront_size: 64
  - .agpr_count:     0
    .args:
      - .offset:         0
        .size:           136
        .value_kind:     by_value
    .group_segment_fixed_size: 0
    .kernarg_segment_align: 8
    .kernarg_segment_size: 136
    .language:       OpenCL C
    .language_version:
      - 2
      - 0
    .max_flat_workgroup_size: 512
    .name:           _ZN7rocprim17ROCPRIM_400000_NS6detail17trampoline_kernelINS0_14default_configENS1_33run_length_encode_config_selectorIbjNS0_4plusIjEEEEZZNS1_33reduce_by_key_impl_wrapped_configILNS1_25lookback_scan_determinismE0ES3_S7_N6hipcub16HIPCUB_304000_NS22TransformInputIteratorIbN2at6native8internal12_GLOBAL__N_110LoadBoolOpEPKhlEENS0_17constant_iteratorIjlEEPbPlSO_S6_NS0_8equal_toIbEEEE10hipError_tPvRmT2_T3_mT4_T5_T6_T7_T8_P12ihipStream_tbENKUlT_T0_E_clISt17integral_constantIbLb0EES18_EEDaS13_S14_EUlS13_E_NS1_11comp_targetILNS1_3genE5ELNS1_11target_archE942ELNS1_3gpuE9ELNS1_3repE0EEENS1_30default_config_static_selectorELNS0_4arch9wavefront6targetE1EEEvT1_
    .private_segment_fixed_size: 0
    .sgpr_count:     4
    .sgpr_spill_count: 0
    .symbol:         _ZN7rocprim17ROCPRIM_400000_NS6detail17trampoline_kernelINS0_14default_configENS1_33run_length_encode_config_selectorIbjNS0_4plusIjEEEEZZNS1_33reduce_by_key_impl_wrapped_configILNS1_25lookback_scan_determinismE0ES3_S7_N6hipcub16HIPCUB_304000_NS22TransformInputIteratorIbN2at6native8internal12_GLOBAL__N_110LoadBoolOpEPKhlEENS0_17constant_iteratorIjlEEPbPlSO_S6_NS0_8equal_toIbEEEE10hipError_tPvRmT2_T3_mT4_T5_T6_T7_T8_P12ihipStream_tbENKUlT_T0_E_clISt17integral_constantIbLb0EES18_EEDaS13_S14_EUlS13_E_NS1_11comp_targetILNS1_3genE5ELNS1_11target_archE942ELNS1_3gpuE9ELNS1_3repE0EEENS1_30default_config_static_selectorELNS0_4arch9wavefront6targetE1EEEvT1_.kd
    .uniform_work_group_size: 1
    .uses_dynamic_stack: false
    .vgpr_count:     0
    .vgpr_spill_count: 0
    .wavefront_size: 64
  - .agpr_count:     0
    .args:
      - .offset:         0
        .size:           136
        .value_kind:     by_value
    .group_segment_fixed_size: 15360
    .kernarg_segment_align: 8
    .kernarg_segment_size: 136
    .language:       OpenCL C
    .language_version:
      - 2
      - 0
    .max_flat_workgroup_size: 256
    .name:           _ZN7rocprim17ROCPRIM_400000_NS6detail17trampoline_kernelINS0_14default_configENS1_33run_length_encode_config_selectorIbjNS0_4plusIjEEEEZZNS1_33reduce_by_key_impl_wrapped_configILNS1_25lookback_scan_determinismE0ES3_S7_N6hipcub16HIPCUB_304000_NS22TransformInputIteratorIbN2at6native8internal12_GLOBAL__N_110LoadBoolOpEPKhlEENS0_17constant_iteratorIjlEEPbPlSO_S6_NS0_8equal_toIbEEEE10hipError_tPvRmT2_T3_mT4_T5_T6_T7_T8_P12ihipStream_tbENKUlT_T0_E_clISt17integral_constantIbLb0EES18_EEDaS13_S14_EUlS13_E_NS1_11comp_targetILNS1_3genE4ELNS1_11target_archE910ELNS1_3gpuE8ELNS1_3repE0EEENS1_30default_config_static_selectorELNS0_4arch9wavefront6targetE1EEEvT1_
    .private_segment_fixed_size: 0
    .sgpr_count:     78
    .sgpr_spill_count: 0
    .symbol:         _ZN7rocprim17ROCPRIM_400000_NS6detail17trampoline_kernelINS0_14default_configENS1_33run_length_encode_config_selectorIbjNS0_4plusIjEEEEZZNS1_33reduce_by_key_impl_wrapped_configILNS1_25lookback_scan_determinismE0ES3_S7_N6hipcub16HIPCUB_304000_NS22TransformInputIteratorIbN2at6native8internal12_GLOBAL__N_110LoadBoolOpEPKhlEENS0_17constant_iteratorIjlEEPbPlSO_S6_NS0_8equal_toIbEEEE10hipError_tPvRmT2_T3_mT4_T5_T6_T7_T8_P12ihipStream_tbENKUlT_T0_E_clISt17integral_constantIbLb0EES18_EEDaS13_S14_EUlS13_E_NS1_11comp_targetILNS1_3genE4ELNS1_11target_archE910ELNS1_3gpuE8ELNS1_3repE0EEENS1_30default_config_static_selectorELNS0_4arch9wavefront6targetE1EEEvT1_.kd
    .uniform_work_group_size: 1
    .uses_dynamic_stack: false
    .vgpr_count:     115
    .vgpr_spill_count: 0
    .wavefront_size: 64
  - .agpr_count:     0
    .args:
      - .offset:         0
        .size:           136
        .value_kind:     by_value
    .group_segment_fixed_size: 0
    .kernarg_segment_align: 8
    .kernarg_segment_size: 136
    .language:       OpenCL C
    .language_version:
      - 2
      - 0
    .max_flat_workgroup_size: 256
    .name:           _ZN7rocprim17ROCPRIM_400000_NS6detail17trampoline_kernelINS0_14default_configENS1_33run_length_encode_config_selectorIbjNS0_4plusIjEEEEZZNS1_33reduce_by_key_impl_wrapped_configILNS1_25lookback_scan_determinismE0ES3_S7_N6hipcub16HIPCUB_304000_NS22TransformInputIteratorIbN2at6native8internal12_GLOBAL__N_110LoadBoolOpEPKhlEENS0_17constant_iteratorIjlEEPbPlSO_S6_NS0_8equal_toIbEEEE10hipError_tPvRmT2_T3_mT4_T5_T6_T7_T8_P12ihipStream_tbENKUlT_T0_E_clISt17integral_constantIbLb0EES18_EEDaS13_S14_EUlS13_E_NS1_11comp_targetILNS1_3genE3ELNS1_11target_archE908ELNS1_3gpuE7ELNS1_3repE0EEENS1_30default_config_static_selectorELNS0_4arch9wavefront6targetE1EEEvT1_
    .private_segment_fixed_size: 0
    .sgpr_count:     4
    .sgpr_spill_count: 0
    .symbol:         _ZN7rocprim17ROCPRIM_400000_NS6detail17trampoline_kernelINS0_14default_configENS1_33run_length_encode_config_selectorIbjNS0_4plusIjEEEEZZNS1_33reduce_by_key_impl_wrapped_configILNS1_25lookback_scan_determinismE0ES3_S7_N6hipcub16HIPCUB_304000_NS22TransformInputIteratorIbN2at6native8internal12_GLOBAL__N_110LoadBoolOpEPKhlEENS0_17constant_iteratorIjlEEPbPlSO_S6_NS0_8equal_toIbEEEE10hipError_tPvRmT2_T3_mT4_T5_T6_T7_T8_P12ihipStream_tbENKUlT_T0_E_clISt17integral_constantIbLb0EES18_EEDaS13_S14_EUlS13_E_NS1_11comp_targetILNS1_3genE3ELNS1_11target_archE908ELNS1_3gpuE7ELNS1_3repE0EEENS1_30default_config_static_selectorELNS0_4arch9wavefront6targetE1EEEvT1_.kd
    .uniform_work_group_size: 1
    .uses_dynamic_stack: false
    .vgpr_count:     0
    .vgpr_spill_count: 0
    .wavefront_size: 64
  - .agpr_count:     0
    .args:
      - .offset:         0
        .size:           136
        .value_kind:     by_value
    .group_segment_fixed_size: 0
    .kernarg_segment_align: 8
    .kernarg_segment_size: 136
    .language:       OpenCL C
    .language_version:
      - 2
      - 0
    .max_flat_workgroup_size: 256
    .name:           _ZN7rocprim17ROCPRIM_400000_NS6detail17trampoline_kernelINS0_14default_configENS1_33run_length_encode_config_selectorIbjNS0_4plusIjEEEEZZNS1_33reduce_by_key_impl_wrapped_configILNS1_25lookback_scan_determinismE0ES3_S7_N6hipcub16HIPCUB_304000_NS22TransformInputIteratorIbN2at6native8internal12_GLOBAL__N_110LoadBoolOpEPKhlEENS0_17constant_iteratorIjlEEPbPlSO_S6_NS0_8equal_toIbEEEE10hipError_tPvRmT2_T3_mT4_T5_T6_T7_T8_P12ihipStream_tbENKUlT_T0_E_clISt17integral_constantIbLb0EES18_EEDaS13_S14_EUlS13_E_NS1_11comp_targetILNS1_3genE2ELNS1_11target_archE906ELNS1_3gpuE6ELNS1_3repE0EEENS1_30default_config_static_selectorELNS0_4arch9wavefront6targetE1EEEvT1_
    .private_segment_fixed_size: 0
    .sgpr_count:     4
    .sgpr_spill_count: 0
    .symbol:         _ZN7rocprim17ROCPRIM_400000_NS6detail17trampoline_kernelINS0_14default_configENS1_33run_length_encode_config_selectorIbjNS0_4plusIjEEEEZZNS1_33reduce_by_key_impl_wrapped_configILNS1_25lookback_scan_determinismE0ES3_S7_N6hipcub16HIPCUB_304000_NS22TransformInputIteratorIbN2at6native8internal12_GLOBAL__N_110LoadBoolOpEPKhlEENS0_17constant_iteratorIjlEEPbPlSO_S6_NS0_8equal_toIbEEEE10hipError_tPvRmT2_T3_mT4_T5_T6_T7_T8_P12ihipStream_tbENKUlT_T0_E_clISt17integral_constantIbLb0EES18_EEDaS13_S14_EUlS13_E_NS1_11comp_targetILNS1_3genE2ELNS1_11target_archE906ELNS1_3gpuE6ELNS1_3repE0EEENS1_30default_config_static_selectorELNS0_4arch9wavefront6targetE1EEEvT1_.kd
    .uniform_work_group_size: 1
    .uses_dynamic_stack: false
    .vgpr_count:     0
    .vgpr_spill_count: 0
    .wavefront_size: 64
  - .agpr_count:     0
    .args:
      - .offset:         0
        .size:           136
        .value_kind:     by_value
    .group_segment_fixed_size: 0
    .kernarg_segment_align: 8
    .kernarg_segment_size: 136
    .language:       OpenCL C
    .language_version:
      - 2
      - 0
    .max_flat_workgroup_size: 384
    .name:           _ZN7rocprim17ROCPRIM_400000_NS6detail17trampoline_kernelINS0_14default_configENS1_33run_length_encode_config_selectorIbjNS0_4plusIjEEEEZZNS1_33reduce_by_key_impl_wrapped_configILNS1_25lookback_scan_determinismE0ES3_S7_N6hipcub16HIPCUB_304000_NS22TransformInputIteratorIbN2at6native8internal12_GLOBAL__N_110LoadBoolOpEPKhlEENS0_17constant_iteratorIjlEEPbPlSO_S6_NS0_8equal_toIbEEEE10hipError_tPvRmT2_T3_mT4_T5_T6_T7_T8_P12ihipStream_tbENKUlT_T0_E_clISt17integral_constantIbLb0EES18_EEDaS13_S14_EUlS13_E_NS1_11comp_targetILNS1_3genE10ELNS1_11target_archE1201ELNS1_3gpuE5ELNS1_3repE0EEENS1_30default_config_static_selectorELNS0_4arch9wavefront6targetE1EEEvT1_
    .private_segment_fixed_size: 0
    .sgpr_count:     4
    .sgpr_spill_count: 0
    .symbol:         _ZN7rocprim17ROCPRIM_400000_NS6detail17trampoline_kernelINS0_14default_configENS1_33run_length_encode_config_selectorIbjNS0_4plusIjEEEEZZNS1_33reduce_by_key_impl_wrapped_configILNS1_25lookback_scan_determinismE0ES3_S7_N6hipcub16HIPCUB_304000_NS22TransformInputIteratorIbN2at6native8internal12_GLOBAL__N_110LoadBoolOpEPKhlEENS0_17constant_iteratorIjlEEPbPlSO_S6_NS0_8equal_toIbEEEE10hipError_tPvRmT2_T3_mT4_T5_T6_T7_T8_P12ihipStream_tbENKUlT_T0_E_clISt17integral_constantIbLb0EES18_EEDaS13_S14_EUlS13_E_NS1_11comp_targetILNS1_3genE10ELNS1_11target_archE1201ELNS1_3gpuE5ELNS1_3repE0EEENS1_30default_config_static_selectorELNS0_4arch9wavefront6targetE1EEEvT1_.kd
    .uniform_work_group_size: 1
    .uses_dynamic_stack: false
    .vgpr_count:     0
    .vgpr_spill_count: 0
    .wavefront_size: 64
  - .agpr_count:     0
    .args:
      - .offset:         0
        .size:           136
        .value_kind:     by_value
    .group_segment_fixed_size: 0
    .kernarg_segment_align: 8
    .kernarg_segment_size: 136
    .language:       OpenCL C
    .language_version:
      - 2
      - 0
    .max_flat_workgroup_size: 384
    .name:           _ZN7rocprim17ROCPRIM_400000_NS6detail17trampoline_kernelINS0_14default_configENS1_33run_length_encode_config_selectorIbjNS0_4plusIjEEEEZZNS1_33reduce_by_key_impl_wrapped_configILNS1_25lookback_scan_determinismE0ES3_S7_N6hipcub16HIPCUB_304000_NS22TransformInputIteratorIbN2at6native8internal12_GLOBAL__N_110LoadBoolOpEPKhlEENS0_17constant_iteratorIjlEEPbPlSO_S6_NS0_8equal_toIbEEEE10hipError_tPvRmT2_T3_mT4_T5_T6_T7_T8_P12ihipStream_tbENKUlT_T0_E_clISt17integral_constantIbLb0EES18_EEDaS13_S14_EUlS13_E_NS1_11comp_targetILNS1_3genE10ELNS1_11target_archE1200ELNS1_3gpuE4ELNS1_3repE0EEENS1_30default_config_static_selectorELNS0_4arch9wavefront6targetE1EEEvT1_
    .private_segment_fixed_size: 0
    .sgpr_count:     4
    .sgpr_spill_count: 0
    .symbol:         _ZN7rocprim17ROCPRIM_400000_NS6detail17trampoline_kernelINS0_14default_configENS1_33run_length_encode_config_selectorIbjNS0_4plusIjEEEEZZNS1_33reduce_by_key_impl_wrapped_configILNS1_25lookback_scan_determinismE0ES3_S7_N6hipcub16HIPCUB_304000_NS22TransformInputIteratorIbN2at6native8internal12_GLOBAL__N_110LoadBoolOpEPKhlEENS0_17constant_iteratorIjlEEPbPlSO_S6_NS0_8equal_toIbEEEE10hipError_tPvRmT2_T3_mT4_T5_T6_T7_T8_P12ihipStream_tbENKUlT_T0_E_clISt17integral_constantIbLb0EES18_EEDaS13_S14_EUlS13_E_NS1_11comp_targetILNS1_3genE10ELNS1_11target_archE1200ELNS1_3gpuE4ELNS1_3repE0EEENS1_30default_config_static_selectorELNS0_4arch9wavefront6targetE1EEEvT1_.kd
    .uniform_work_group_size: 1
    .uses_dynamic_stack: false
    .vgpr_count:     0
    .vgpr_spill_count: 0
    .wavefront_size: 64
  - .agpr_count:     0
    .args:
      - .offset:         0
        .size:           136
        .value_kind:     by_value
    .group_segment_fixed_size: 0
    .kernarg_segment_align: 8
    .kernarg_segment_size: 136
    .language:       OpenCL C
    .language_version:
      - 2
      - 0
    .max_flat_workgroup_size: 384
    .name:           _ZN7rocprim17ROCPRIM_400000_NS6detail17trampoline_kernelINS0_14default_configENS1_33run_length_encode_config_selectorIbjNS0_4plusIjEEEEZZNS1_33reduce_by_key_impl_wrapped_configILNS1_25lookback_scan_determinismE0ES3_S7_N6hipcub16HIPCUB_304000_NS22TransformInputIteratorIbN2at6native8internal12_GLOBAL__N_110LoadBoolOpEPKhlEENS0_17constant_iteratorIjlEEPbPlSO_S6_NS0_8equal_toIbEEEE10hipError_tPvRmT2_T3_mT4_T5_T6_T7_T8_P12ihipStream_tbENKUlT_T0_E_clISt17integral_constantIbLb0EES18_EEDaS13_S14_EUlS13_E_NS1_11comp_targetILNS1_3genE9ELNS1_11target_archE1100ELNS1_3gpuE3ELNS1_3repE0EEENS1_30default_config_static_selectorELNS0_4arch9wavefront6targetE1EEEvT1_
    .private_segment_fixed_size: 0
    .sgpr_count:     4
    .sgpr_spill_count: 0
    .symbol:         _ZN7rocprim17ROCPRIM_400000_NS6detail17trampoline_kernelINS0_14default_configENS1_33run_length_encode_config_selectorIbjNS0_4plusIjEEEEZZNS1_33reduce_by_key_impl_wrapped_configILNS1_25lookback_scan_determinismE0ES3_S7_N6hipcub16HIPCUB_304000_NS22TransformInputIteratorIbN2at6native8internal12_GLOBAL__N_110LoadBoolOpEPKhlEENS0_17constant_iteratorIjlEEPbPlSO_S6_NS0_8equal_toIbEEEE10hipError_tPvRmT2_T3_mT4_T5_T6_T7_T8_P12ihipStream_tbENKUlT_T0_E_clISt17integral_constantIbLb0EES18_EEDaS13_S14_EUlS13_E_NS1_11comp_targetILNS1_3genE9ELNS1_11target_archE1100ELNS1_3gpuE3ELNS1_3repE0EEENS1_30default_config_static_selectorELNS0_4arch9wavefront6targetE1EEEvT1_.kd
    .uniform_work_group_size: 1
    .uses_dynamic_stack: false
    .vgpr_count:     0
    .vgpr_spill_count: 0
    .wavefront_size: 64
  - .agpr_count:     0
    .args:
      - .offset:         0
        .size:           136
        .value_kind:     by_value
    .group_segment_fixed_size: 0
    .kernarg_segment_align: 8
    .kernarg_segment_size: 136
    .language:       OpenCL C
    .language_version:
      - 2
      - 0
    .max_flat_workgroup_size: 384
    .name:           _ZN7rocprim17ROCPRIM_400000_NS6detail17trampoline_kernelINS0_14default_configENS1_33run_length_encode_config_selectorIbjNS0_4plusIjEEEEZZNS1_33reduce_by_key_impl_wrapped_configILNS1_25lookback_scan_determinismE0ES3_S7_N6hipcub16HIPCUB_304000_NS22TransformInputIteratorIbN2at6native8internal12_GLOBAL__N_110LoadBoolOpEPKhlEENS0_17constant_iteratorIjlEEPbPlSO_S6_NS0_8equal_toIbEEEE10hipError_tPvRmT2_T3_mT4_T5_T6_T7_T8_P12ihipStream_tbENKUlT_T0_E_clISt17integral_constantIbLb0EES18_EEDaS13_S14_EUlS13_E_NS1_11comp_targetILNS1_3genE8ELNS1_11target_archE1030ELNS1_3gpuE2ELNS1_3repE0EEENS1_30default_config_static_selectorELNS0_4arch9wavefront6targetE1EEEvT1_
    .private_segment_fixed_size: 0
    .sgpr_count:     4
    .sgpr_spill_count: 0
    .symbol:         _ZN7rocprim17ROCPRIM_400000_NS6detail17trampoline_kernelINS0_14default_configENS1_33run_length_encode_config_selectorIbjNS0_4plusIjEEEEZZNS1_33reduce_by_key_impl_wrapped_configILNS1_25lookback_scan_determinismE0ES3_S7_N6hipcub16HIPCUB_304000_NS22TransformInputIteratorIbN2at6native8internal12_GLOBAL__N_110LoadBoolOpEPKhlEENS0_17constant_iteratorIjlEEPbPlSO_S6_NS0_8equal_toIbEEEE10hipError_tPvRmT2_T3_mT4_T5_T6_T7_T8_P12ihipStream_tbENKUlT_T0_E_clISt17integral_constantIbLb0EES18_EEDaS13_S14_EUlS13_E_NS1_11comp_targetILNS1_3genE8ELNS1_11target_archE1030ELNS1_3gpuE2ELNS1_3repE0EEENS1_30default_config_static_selectorELNS0_4arch9wavefront6targetE1EEEvT1_.kd
    .uniform_work_group_size: 1
    .uses_dynamic_stack: false
    .vgpr_count:     0
    .vgpr_spill_count: 0
    .wavefront_size: 64
  - .agpr_count:     0
    .args:
      - .address_space:  global
        .offset:         0
        .size:           8
        .value_kind:     global_buffer
      - .offset:         8
        .size:           4
        .value_kind:     by_value
      - .offset:         12
        .size:           1
        .value_kind:     by_value
      - .offset:         16
        .size:           4
        .value_kind:     by_value
      - .address_space:  global
        .offset:         24
        .size:           8
        .value_kind:     global_buffer
      - .address_space:  global
        .offset:         32
        .size:           8
        .value_kind:     global_buffer
      - .address_space:  global
        .offset:         40
        .size:           8
        .value_kind:     global_buffer
      - .offset:         48
        .size:           4
        .value_kind:     hidden_block_count_x
      - .offset:         52
        .size:           4
        .value_kind:     hidden_block_count_y
      - .offset:         56
        .size:           4
        .value_kind:     hidden_block_count_z
      - .offset:         60
        .size:           2
        .value_kind:     hidden_group_size_x
      - .offset:         62
        .size:           2
        .value_kind:     hidden_group_size_y
      - .offset:         64
        .size:           2
        .value_kind:     hidden_group_size_z
      - .offset:         66
        .size:           2
        .value_kind:     hidden_remainder_x
      - .offset:         68
        .size:           2
        .value_kind:     hidden_remainder_y
      - .offset:         70
        .size:           2
        .value_kind:     hidden_remainder_z
      - .offset:         88
        .size:           8
        .value_kind:     hidden_global_offset_x
      - .offset:         96
        .size:           8
        .value_kind:     hidden_global_offset_y
      - .offset:         104
        .size:           8
        .value_kind:     hidden_global_offset_z
      - .offset:         112
        .size:           2
        .value_kind:     hidden_grid_dims
    .group_segment_fixed_size: 0
    .kernarg_segment_align: 8
    .kernarg_segment_size: 304
    .language:       OpenCL C
    .language_version:
      - 2
      - 0
    .max_flat_workgroup_size: 256
    .name:           _ZN7rocprim17ROCPRIM_400000_NS6detail25reduce_by_key_init_kernelINS1_19lookback_scan_stateINS0_5tupleIJjjEEELb1ELb1EEEjNS1_16block_id_wrapperIjLb1EEEEEvT_jbjPmPT0_T1_
    .private_segment_fixed_size: 0
    .sgpr_count:     22
    .sgpr_spill_count: 0
    .symbol:         _ZN7rocprim17ROCPRIM_400000_NS6detail25reduce_by_key_init_kernelINS1_19lookback_scan_stateINS0_5tupleIJjjEEELb1ELb1EEEjNS1_16block_id_wrapperIjLb1EEEEEvT_jbjPmPT0_T1_.kd
    .uniform_work_group_size: 1
    .uses_dynamic_stack: false
    .vgpr_count:     10
    .vgpr_spill_count: 0
    .wavefront_size: 64
  - .agpr_count:     0
    .args:
      - .offset:         0
        .size:           136
        .value_kind:     by_value
    .group_segment_fixed_size: 0
    .kernarg_segment_align: 8
    .kernarg_segment_size: 136
    .language:       OpenCL C
    .language_version:
      - 2
      - 0
    .max_flat_workgroup_size: 256
    .name:           _ZN7rocprim17ROCPRIM_400000_NS6detail17trampoline_kernelINS0_14default_configENS1_33run_length_encode_config_selectorIbjNS0_4plusIjEEEEZZNS1_33reduce_by_key_impl_wrapped_configILNS1_25lookback_scan_determinismE0ES3_S7_N6hipcub16HIPCUB_304000_NS22TransformInputIteratorIbN2at6native8internal12_GLOBAL__N_110LoadBoolOpEPKhlEENS0_17constant_iteratorIjlEEPbPlSO_S6_NS0_8equal_toIbEEEE10hipError_tPvRmT2_T3_mT4_T5_T6_T7_T8_P12ihipStream_tbENKUlT_T0_E_clISt17integral_constantIbLb1EES18_EEDaS13_S14_EUlS13_E_NS1_11comp_targetILNS1_3genE0ELNS1_11target_archE4294967295ELNS1_3gpuE0ELNS1_3repE0EEENS1_30default_config_static_selectorELNS0_4arch9wavefront6targetE1EEEvT1_
    .private_segment_fixed_size: 0
    .sgpr_count:     4
    .sgpr_spill_count: 0
    .symbol:         _ZN7rocprim17ROCPRIM_400000_NS6detail17trampoline_kernelINS0_14default_configENS1_33run_length_encode_config_selectorIbjNS0_4plusIjEEEEZZNS1_33reduce_by_key_impl_wrapped_configILNS1_25lookback_scan_determinismE0ES3_S7_N6hipcub16HIPCUB_304000_NS22TransformInputIteratorIbN2at6native8internal12_GLOBAL__N_110LoadBoolOpEPKhlEENS0_17constant_iteratorIjlEEPbPlSO_S6_NS0_8equal_toIbEEEE10hipError_tPvRmT2_T3_mT4_T5_T6_T7_T8_P12ihipStream_tbENKUlT_T0_E_clISt17integral_constantIbLb1EES18_EEDaS13_S14_EUlS13_E_NS1_11comp_targetILNS1_3genE0ELNS1_11target_archE4294967295ELNS1_3gpuE0ELNS1_3repE0EEENS1_30default_config_static_selectorELNS0_4arch9wavefront6targetE1EEEvT1_.kd
    .uniform_work_group_size: 1
    .uses_dynamic_stack: false
    .vgpr_count:     0
    .vgpr_spill_count: 0
    .wavefront_size: 64
  - .agpr_count:     0
    .args:
      - .offset:         0
        .size:           136
        .value_kind:     by_value
    .group_segment_fixed_size: 0
    .kernarg_segment_align: 8
    .kernarg_segment_size: 136
    .language:       OpenCL C
    .language_version:
      - 2
      - 0
    .max_flat_workgroup_size: 512
    .name:           _ZN7rocprim17ROCPRIM_400000_NS6detail17trampoline_kernelINS0_14default_configENS1_33run_length_encode_config_selectorIbjNS0_4plusIjEEEEZZNS1_33reduce_by_key_impl_wrapped_configILNS1_25lookback_scan_determinismE0ES3_S7_N6hipcub16HIPCUB_304000_NS22TransformInputIteratorIbN2at6native8internal12_GLOBAL__N_110LoadBoolOpEPKhlEENS0_17constant_iteratorIjlEEPbPlSO_S6_NS0_8equal_toIbEEEE10hipError_tPvRmT2_T3_mT4_T5_T6_T7_T8_P12ihipStream_tbENKUlT_T0_E_clISt17integral_constantIbLb1EES18_EEDaS13_S14_EUlS13_E_NS1_11comp_targetILNS1_3genE5ELNS1_11target_archE942ELNS1_3gpuE9ELNS1_3repE0EEENS1_30default_config_static_selectorELNS0_4arch9wavefront6targetE1EEEvT1_
    .private_segment_fixed_size: 0
    .sgpr_count:     4
    .sgpr_spill_count: 0
    .symbol:         _ZN7rocprim17ROCPRIM_400000_NS6detail17trampoline_kernelINS0_14default_configENS1_33run_length_encode_config_selectorIbjNS0_4plusIjEEEEZZNS1_33reduce_by_key_impl_wrapped_configILNS1_25lookback_scan_determinismE0ES3_S7_N6hipcub16HIPCUB_304000_NS22TransformInputIteratorIbN2at6native8internal12_GLOBAL__N_110LoadBoolOpEPKhlEENS0_17constant_iteratorIjlEEPbPlSO_S6_NS0_8equal_toIbEEEE10hipError_tPvRmT2_T3_mT4_T5_T6_T7_T8_P12ihipStream_tbENKUlT_T0_E_clISt17integral_constantIbLb1EES18_EEDaS13_S14_EUlS13_E_NS1_11comp_targetILNS1_3genE5ELNS1_11target_archE942ELNS1_3gpuE9ELNS1_3repE0EEENS1_30default_config_static_selectorELNS0_4arch9wavefront6targetE1EEEvT1_.kd
    .uniform_work_group_size: 1
    .uses_dynamic_stack: false
    .vgpr_count:     0
    .vgpr_spill_count: 0
    .wavefront_size: 64
  - .agpr_count:     0
    .args:
      - .offset:         0
        .size:           136
        .value_kind:     by_value
    .group_segment_fixed_size: 15360
    .kernarg_segment_align: 8
    .kernarg_segment_size: 136
    .language:       OpenCL C
    .language_version:
      - 2
      - 0
    .max_flat_workgroup_size: 256
    .name:           _ZN7rocprim17ROCPRIM_400000_NS6detail17trampoline_kernelINS0_14default_configENS1_33run_length_encode_config_selectorIbjNS0_4plusIjEEEEZZNS1_33reduce_by_key_impl_wrapped_configILNS1_25lookback_scan_determinismE0ES3_S7_N6hipcub16HIPCUB_304000_NS22TransformInputIteratorIbN2at6native8internal12_GLOBAL__N_110LoadBoolOpEPKhlEENS0_17constant_iteratorIjlEEPbPlSO_S6_NS0_8equal_toIbEEEE10hipError_tPvRmT2_T3_mT4_T5_T6_T7_T8_P12ihipStream_tbENKUlT_T0_E_clISt17integral_constantIbLb1EES18_EEDaS13_S14_EUlS13_E_NS1_11comp_targetILNS1_3genE4ELNS1_11target_archE910ELNS1_3gpuE8ELNS1_3repE0EEENS1_30default_config_static_selectorELNS0_4arch9wavefront6targetE1EEEvT1_
    .private_segment_fixed_size: 0
    .sgpr_count:     70
    .sgpr_spill_count: 0
    .symbol:         _ZN7rocprim17ROCPRIM_400000_NS6detail17trampoline_kernelINS0_14default_configENS1_33run_length_encode_config_selectorIbjNS0_4plusIjEEEEZZNS1_33reduce_by_key_impl_wrapped_configILNS1_25lookback_scan_determinismE0ES3_S7_N6hipcub16HIPCUB_304000_NS22TransformInputIteratorIbN2at6native8internal12_GLOBAL__N_110LoadBoolOpEPKhlEENS0_17constant_iteratorIjlEEPbPlSO_S6_NS0_8equal_toIbEEEE10hipError_tPvRmT2_T3_mT4_T5_T6_T7_T8_P12ihipStream_tbENKUlT_T0_E_clISt17integral_constantIbLb1EES18_EEDaS13_S14_EUlS13_E_NS1_11comp_targetILNS1_3genE4ELNS1_11target_archE910ELNS1_3gpuE8ELNS1_3repE0EEENS1_30default_config_static_selectorELNS0_4arch9wavefront6targetE1EEEvT1_.kd
    .uniform_work_group_size: 1
    .uses_dynamic_stack: false
    .vgpr_count:     115
    .vgpr_spill_count: 0
    .wavefront_size: 64
  - .agpr_count:     0
    .args:
      - .offset:         0
        .size:           136
        .value_kind:     by_value
    .group_segment_fixed_size: 0
    .kernarg_segment_align: 8
    .kernarg_segment_size: 136
    .language:       OpenCL C
    .language_version:
      - 2
      - 0
    .max_flat_workgroup_size: 256
    .name:           _ZN7rocprim17ROCPRIM_400000_NS6detail17trampoline_kernelINS0_14default_configENS1_33run_length_encode_config_selectorIbjNS0_4plusIjEEEEZZNS1_33reduce_by_key_impl_wrapped_configILNS1_25lookback_scan_determinismE0ES3_S7_N6hipcub16HIPCUB_304000_NS22TransformInputIteratorIbN2at6native8internal12_GLOBAL__N_110LoadBoolOpEPKhlEENS0_17constant_iteratorIjlEEPbPlSO_S6_NS0_8equal_toIbEEEE10hipError_tPvRmT2_T3_mT4_T5_T6_T7_T8_P12ihipStream_tbENKUlT_T0_E_clISt17integral_constantIbLb1EES18_EEDaS13_S14_EUlS13_E_NS1_11comp_targetILNS1_3genE3ELNS1_11target_archE908ELNS1_3gpuE7ELNS1_3repE0EEENS1_30default_config_static_selectorELNS0_4arch9wavefront6targetE1EEEvT1_
    .private_segment_fixed_size: 0
    .sgpr_count:     4
    .sgpr_spill_count: 0
    .symbol:         _ZN7rocprim17ROCPRIM_400000_NS6detail17trampoline_kernelINS0_14default_configENS1_33run_length_encode_config_selectorIbjNS0_4plusIjEEEEZZNS1_33reduce_by_key_impl_wrapped_configILNS1_25lookback_scan_determinismE0ES3_S7_N6hipcub16HIPCUB_304000_NS22TransformInputIteratorIbN2at6native8internal12_GLOBAL__N_110LoadBoolOpEPKhlEENS0_17constant_iteratorIjlEEPbPlSO_S6_NS0_8equal_toIbEEEE10hipError_tPvRmT2_T3_mT4_T5_T6_T7_T8_P12ihipStream_tbENKUlT_T0_E_clISt17integral_constantIbLb1EES18_EEDaS13_S14_EUlS13_E_NS1_11comp_targetILNS1_3genE3ELNS1_11target_archE908ELNS1_3gpuE7ELNS1_3repE0EEENS1_30default_config_static_selectorELNS0_4arch9wavefront6targetE1EEEvT1_.kd
    .uniform_work_group_size: 1
    .uses_dynamic_stack: false
    .vgpr_count:     0
    .vgpr_spill_count: 0
    .wavefront_size: 64
  - .agpr_count:     0
    .args:
      - .offset:         0
        .size:           136
        .value_kind:     by_value
    .group_segment_fixed_size: 0
    .kernarg_segment_align: 8
    .kernarg_segment_size: 136
    .language:       OpenCL C
    .language_version:
      - 2
      - 0
    .max_flat_workgroup_size: 256
    .name:           _ZN7rocprim17ROCPRIM_400000_NS6detail17trampoline_kernelINS0_14default_configENS1_33run_length_encode_config_selectorIbjNS0_4plusIjEEEEZZNS1_33reduce_by_key_impl_wrapped_configILNS1_25lookback_scan_determinismE0ES3_S7_N6hipcub16HIPCUB_304000_NS22TransformInputIteratorIbN2at6native8internal12_GLOBAL__N_110LoadBoolOpEPKhlEENS0_17constant_iteratorIjlEEPbPlSO_S6_NS0_8equal_toIbEEEE10hipError_tPvRmT2_T3_mT4_T5_T6_T7_T8_P12ihipStream_tbENKUlT_T0_E_clISt17integral_constantIbLb1EES18_EEDaS13_S14_EUlS13_E_NS1_11comp_targetILNS1_3genE2ELNS1_11target_archE906ELNS1_3gpuE6ELNS1_3repE0EEENS1_30default_config_static_selectorELNS0_4arch9wavefront6targetE1EEEvT1_
    .private_segment_fixed_size: 0
    .sgpr_count:     4
    .sgpr_spill_count: 0
    .symbol:         _ZN7rocprim17ROCPRIM_400000_NS6detail17trampoline_kernelINS0_14default_configENS1_33run_length_encode_config_selectorIbjNS0_4plusIjEEEEZZNS1_33reduce_by_key_impl_wrapped_configILNS1_25lookback_scan_determinismE0ES3_S7_N6hipcub16HIPCUB_304000_NS22TransformInputIteratorIbN2at6native8internal12_GLOBAL__N_110LoadBoolOpEPKhlEENS0_17constant_iteratorIjlEEPbPlSO_S6_NS0_8equal_toIbEEEE10hipError_tPvRmT2_T3_mT4_T5_T6_T7_T8_P12ihipStream_tbENKUlT_T0_E_clISt17integral_constantIbLb1EES18_EEDaS13_S14_EUlS13_E_NS1_11comp_targetILNS1_3genE2ELNS1_11target_archE906ELNS1_3gpuE6ELNS1_3repE0EEENS1_30default_config_static_selectorELNS0_4arch9wavefront6targetE1EEEvT1_.kd
    .uniform_work_group_size: 1
    .uses_dynamic_stack: false
    .vgpr_count:     0
    .vgpr_spill_count: 0
    .wavefront_size: 64
  - .agpr_count:     0
    .args:
      - .offset:         0
        .size:           136
        .value_kind:     by_value
    .group_segment_fixed_size: 0
    .kernarg_segment_align: 8
    .kernarg_segment_size: 136
    .language:       OpenCL C
    .language_version:
      - 2
      - 0
    .max_flat_workgroup_size: 384
    .name:           _ZN7rocprim17ROCPRIM_400000_NS6detail17trampoline_kernelINS0_14default_configENS1_33run_length_encode_config_selectorIbjNS0_4plusIjEEEEZZNS1_33reduce_by_key_impl_wrapped_configILNS1_25lookback_scan_determinismE0ES3_S7_N6hipcub16HIPCUB_304000_NS22TransformInputIteratorIbN2at6native8internal12_GLOBAL__N_110LoadBoolOpEPKhlEENS0_17constant_iteratorIjlEEPbPlSO_S6_NS0_8equal_toIbEEEE10hipError_tPvRmT2_T3_mT4_T5_T6_T7_T8_P12ihipStream_tbENKUlT_T0_E_clISt17integral_constantIbLb1EES18_EEDaS13_S14_EUlS13_E_NS1_11comp_targetILNS1_3genE10ELNS1_11target_archE1201ELNS1_3gpuE5ELNS1_3repE0EEENS1_30default_config_static_selectorELNS0_4arch9wavefront6targetE1EEEvT1_
    .private_segment_fixed_size: 0
    .sgpr_count:     4
    .sgpr_spill_count: 0
    .symbol:         _ZN7rocprim17ROCPRIM_400000_NS6detail17trampoline_kernelINS0_14default_configENS1_33run_length_encode_config_selectorIbjNS0_4plusIjEEEEZZNS1_33reduce_by_key_impl_wrapped_configILNS1_25lookback_scan_determinismE0ES3_S7_N6hipcub16HIPCUB_304000_NS22TransformInputIteratorIbN2at6native8internal12_GLOBAL__N_110LoadBoolOpEPKhlEENS0_17constant_iteratorIjlEEPbPlSO_S6_NS0_8equal_toIbEEEE10hipError_tPvRmT2_T3_mT4_T5_T6_T7_T8_P12ihipStream_tbENKUlT_T0_E_clISt17integral_constantIbLb1EES18_EEDaS13_S14_EUlS13_E_NS1_11comp_targetILNS1_3genE10ELNS1_11target_archE1201ELNS1_3gpuE5ELNS1_3repE0EEENS1_30default_config_static_selectorELNS0_4arch9wavefront6targetE1EEEvT1_.kd
    .uniform_work_group_size: 1
    .uses_dynamic_stack: false
    .vgpr_count:     0
    .vgpr_spill_count: 0
    .wavefront_size: 64
  - .agpr_count:     0
    .args:
      - .offset:         0
        .size:           136
        .value_kind:     by_value
    .group_segment_fixed_size: 0
    .kernarg_segment_align: 8
    .kernarg_segment_size: 136
    .language:       OpenCL C
    .language_version:
      - 2
      - 0
    .max_flat_workgroup_size: 384
    .name:           _ZN7rocprim17ROCPRIM_400000_NS6detail17trampoline_kernelINS0_14default_configENS1_33run_length_encode_config_selectorIbjNS0_4plusIjEEEEZZNS1_33reduce_by_key_impl_wrapped_configILNS1_25lookback_scan_determinismE0ES3_S7_N6hipcub16HIPCUB_304000_NS22TransformInputIteratorIbN2at6native8internal12_GLOBAL__N_110LoadBoolOpEPKhlEENS0_17constant_iteratorIjlEEPbPlSO_S6_NS0_8equal_toIbEEEE10hipError_tPvRmT2_T3_mT4_T5_T6_T7_T8_P12ihipStream_tbENKUlT_T0_E_clISt17integral_constantIbLb1EES18_EEDaS13_S14_EUlS13_E_NS1_11comp_targetILNS1_3genE10ELNS1_11target_archE1200ELNS1_3gpuE4ELNS1_3repE0EEENS1_30default_config_static_selectorELNS0_4arch9wavefront6targetE1EEEvT1_
    .private_segment_fixed_size: 0
    .sgpr_count:     4
    .sgpr_spill_count: 0
    .symbol:         _ZN7rocprim17ROCPRIM_400000_NS6detail17trampoline_kernelINS0_14default_configENS1_33run_length_encode_config_selectorIbjNS0_4plusIjEEEEZZNS1_33reduce_by_key_impl_wrapped_configILNS1_25lookback_scan_determinismE0ES3_S7_N6hipcub16HIPCUB_304000_NS22TransformInputIteratorIbN2at6native8internal12_GLOBAL__N_110LoadBoolOpEPKhlEENS0_17constant_iteratorIjlEEPbPlSO_S6_NS0_8equal_toIbEEEE10hipError_tPvRmT2_T3_mT4_T5_T6_T7_T8_P12ihipStream_tbENKUlT_T0_E_clISt17integral_constantIbLb1EES18_EEDaS13_S14_EUlS13_E_NS1_11comp_targetILNS1_3genE10ELNS1_11target_archE1200ELNS1_3gpuE4ELNS1_3repE0EEENS1_30default_config_static_selectorELNS0_4arch9wavefront6targetE1EEEvT1_.kd
    .uniform_work_group_size: 1
    .uses_dynamic_stack: false
    .vgpr_count:     0
    .vgpr_spill_count: 0
    .wavefront_size: 64
  - .agpr_count:     0
    .args:
      - .offset:         0
        .size:           136
        .value_kind:     by_value
    .group_segment_fixed_size: 0
    .kernarg_segment_align: 8
    .kernarg_segment_size: 136
    .language:       OpenCL C
    .language_version:
      - 2
      - 0
    .max_flat_workgroup_size: 384
    .name:           _ZN7rocprim17ROCPRIM_400000_NS6detail17trampoline_kernelINS0_14default_configENS1_33run_length_encode_config_selectorIbjNS0_4plusIjEEEEZZNS1_33reduce_by_key_impl_wrapped_configILNS1_25lookback_scan_determinismE0ES3_S7_N6hipcub16HIPCUB_304000_NS22TransformInputIteratorIbN2at6native8internal12_GLOBAL__N_110LoadBoolOpEPKhlEENS0_17constant_iteratorIjlEEPbPlSO_S6_NS0_8equal_toIbEEEE10hipError_tPvRmT2_T3_mT4_T5_T6_T7_T8_P12ihipStream_tbENKUlT_T0_E_clISt17integral_constantIbLb1EES18_EEDaS13_S14_EUlS13_E_NS1_11comp_targetILNS1_3genE9ELNS1_11target_archE1100ELNS1_3gpuE3ELNS1_3repE0EEENS1_30default_config_static_selectorELNS0_4arch9wavefront6targetE1EEEvT1_
    .private_segment_fixed_size: 0
    .sgpr_count:     4
    .sgpr_spill_count: 0
    .symbol:         _ZN7rocprim17ROCPRIM_400000_NS6detail17trampoline_kernelINS0_14default_configENS1_33run_length_encode_config_selectorIbjNS0_4plusIjEEEEZZNS1_33reduce_by_key_impl_wrapped_configILNS1_25lookback_scan_determinismE0ES3_S7_N6hipcub16HIPCUB_304000_NS22TransformInputIteratorIbN2at6native8internal12_GLOBAL__N_110LoadBoolOpEPKhlEENS0_17constant_iteratorIjlEEPbPlSO_S6_NS0_8equal_toIbEEEE10hipError_tPvRmT2_T3_mT4_T5_T6_T7_T8_P12ihipStream_tbENKUlT_T0_E_clISt17integral_constantIbLb1EES18_EEDaS13_S14_EUlS13_E_NS1_11comp_targetILNS1_3genE9ELNS1_11target_archE1100ELNS1_3gpuE3ELNS1_3repE0EEENS1_30default_config_static_selectorELNS0_4arch9wavefront6targetE1EEEvT1_.kd
    .uniform_work_group_size: 1
    .uses_dynamic_stack: false
    .vgpr_count:     0
    .vgpr_spill_count: 0
    .wavefront_size: 64
  - .agpr_count:     0
    .args:
      - .offset:         0
        .size:           136
        .value_kind:     by_value
    .group_segment_fixed_size: 0
    .kernarg_segment_align: 8
    .kernarg_segment_size: 136
    .language:       OpenCL C
    .language_version:
      - 2
      - 0
    .max_flat_workgroup_size: 384
    .name:           _ZN7rocprim17ROCPRIM_400000_NS6detail17trampoline_kernelINS0_14default_configENS1_33run_length_encode_config_selectorIbjNS0_4plusIjEEEEZZNS1_33reduce_by_key_impl_wrapped_configILNS1_25lookback_scan_determinismE0ES3_S7_N6hipcub16HIPCUB_304000_NS22TransformInputIteratorIbN2at6native8internal12_GLOBAL__N_110LoadBoolOpEPKhlEENS0_17constant_iteratorIjlEEPbPlSO_S6_NS0_8equal_toIbEEEE10hipError_tPvRmT2_T3_mT4_T5_T6_T7_T8_P12ihipStream_tbENKUlT_T0_E_clISt17integral_constantIbLb1EES18_EEDaS13_S14_EUlS13_E_NS1_11comp_targetILNS1_3genE8ELNS1_11target_archE1030ELNS1_3gpuE2ELNS1_3repE0EEENS1_30default_config_static_selectorELNS0_4arch9wavefront6targetE1EEEvT1_
    .private_segment_fixed_size: 0
    .sgpr_count:     4
    .sgpr_spill_count: 0
    .symbol:         _ZN7rocprim17ROCPRIM_400000_NS6detail17trampoline_kernelINS0_14default_configENS1_33run_length_encode_config_selectorIbjNS0_4plusIjEEEEZZNS1_33reduce_by_key_impl_wrapped_configILNS1_25lookback_scan_determinismE0ES3_S7_N6hipcub16HIPCUB_304000_NS22TransformInputIteratorIbN2at6native8internal12_GLOBAL__N_110LoadBoolOpEPKhlEENS0_17constant_iteratorIjlEEPbPlSO_S6_NS0_8equal_toIbEEEE10hipError_tPvRmT2_T3_mT4_T5_T6_T7_T8_P12ihipStream_tbENKUlT_T0_E_clISt17integral_constantIbLb1EES18_EEDaS13_S14_EUlS13_E_NS1_11comp_targetILNS1_3genE8ELNS1_11target_archE1030ELNS1_3gpuE2ELNS1_3repE0EEENS1_30default_config_static_selectorELNS0_4arch9wavefront6targetE1EEEvT1_.kd
    .uniform_work_group_size: 1
    .uses_dynamic_stack: false
    .vgpr_count:     0
    .vgpr_spill_count: 0
    .wavefront_size: 64
  - .agpr_count:     0
    .args:
      - .address_space:  global
        .offset:         0
        .size:           8
        .value_kind:     global_buffer
      - .offset:         8
        .size:           4
        .value_kind:     by_value
      - .offset:         12
        .size:           1
        .value_kind:     by_value
      - .offset:         16
        .size:           4
        .value_kind:     by_value
      - .address_space:  global
        .offset:         24
        .size:           8
        .value_kind:     global_buffer
      - .address_space:  global
        .offset:         32
        .size:           8
        .value_kind:     global_buffer
      - .offset:         40
        .size:           1
        .value_kind:     by_value
      - .offset:         48
        .size:           4
        .value_kind:     hidden_block_count_x
      - .offset:         52
        .size:           4
        .value_kind:     hidden_block_count_y
      - .offset:         56
        .size:           4
        .value_kind:     hidden_block_count_z
      - .offset:         60
        .size:           2
        .value_kind:     hidden_group_size_x
      - .offset:         62
        .size:           2
        .value_kind:     hidden_group_size_y
      - .offset:         64
        .size:           2
        .value_kind:     hidden_group_size_z
      - .offset:         66
        .size:           2
        .value_kind:     hidden_remainder_x
      - .offset:         68
        .size:           2
        .value_kind:     hidden_remainder_y
      - .offset:         70
        .size:           2
        .value_kind:     hidden_remainder_z
      - .offset:         88
        .size:           8
        .value_kind:     hidden_global_offset_x
      - .offset:         96
        .size:           8
        .value_kind:     hidden_global_offset_y
      - .offset:         104
        .size:           8
        .value_kind:     hidden_global_offset_z
      - .offset:         112
        .size:           2
        .value_kind:     hidden_grid_dims
    .group_segment_fixed_size: 0
    .kernarg_segment_align: 8
    .kernarg_segment_size: 304
    .language:       OpenCL C
    .language_version:
      - 2
      - 0
    .max_flat_workgroup_size: 256
    .name:           _ZN7rocprim17ROCPRIM_400000_NS6detail25reduce_by_key_init_kernelINS1_19lookback_scan_stateINS0_5tupleIJjjEEELb1ELb1EEEjNS1_16block_id_wrapperIjLb0EEEEEvT_jbjPmPT0_T1_
    .private_segment_fixed_size: 0
    .sgpr_count:     20
    .sgpr_spill_count: 0
    .symbol:         _ZN7rocprim17ROCPRIM_400000_NS6detail25reduce_by_key_init_kernelINS1_19lookback_scan_stateINS0_5tupleIJjjEEELb1ELb1EEEjNS1_16block_id_wrapperIjLb0EEEEEvT_jbjPmPT0_T1_.kd
    .uniform_work_group_size: 1
    .uses_dynamic_stack: false
    .vgpr_count:     10
    .vgpr_spill_count: 0
    .wavefront_size: 64
  - .agpr_count:     0
    .args:
      - .offset:         0
        .size:           136
        .value_kind:     by_value
    .group_segment_fixed_size: 0
    .kernarg_segment_align: 8
    .kernarg_segment_size: 136
    .language:       OpenCL C
    .language_version:
      - 2
      - 0
    .max_flat_workgroup_size: 256
    .name:           _ZN7rocprim17ROCPRIM_400000_NS6detail17trampoline_kernelINS0_14default_configENS1_33run_length_encode_config_selectorIbjNS0_4plusIjEEEEZZNS1_33reduce_by_key_impl_wrapped_configILNS1_25lookback_scan_determinismE0ES3_S7_N6hipcub16HIPCUB_304000_NS22TransformInputIteratorIbN2at6native8internal12_GLOBAL__N_110LoadBoolOpEPKhlEENS0_17constant_iteratorIjlEEPbPlSO_S6_NS0_8equal_toIbEEEE10hipError_tPvRmT2_T3_mT4_T5_T6_T7_T8_P12ihipStream_tbENKUlT_T0_E_clISt17integral_constantIbLb1EES17_IbLb0EEEEDaS13_S14_EUlS13_E_NS1_11comp_targetILNS1_3genE0ELNS1_11target_archE4294967295ELNS1_3gpuE0ELNS1_3repE0EEENS1_30default_config_static_selectorELNS0_4arch9wavefront6targetE1EEEvT1_
    .private_segment_fixed_size: 0
    .sgpr_count:     4
    .sgpr_spill_count: 0
    .symbol:         _ZN7rocprim17ROCPRIM_400000_NS6detail17trampoline_kernelINS0_14default_configENS1_33run_length_encode_config_selectorIbjNS0_4plusIjEEEEZZNS1_33reduce_by_key_impl_wrapped_configILNS1_25lookback_scan_determinismE0ES3_S7_N6hipcub16HIPCUB_304000_NS22TransformInputIteratorIbN2at6native8internal12_GLOBAL__N_110LoadBoolOpEPKhlEENS0_17constant_iteratorIjlEEPbPlSO_S6_NS0_8equal_toIbEEEE10hipError_tPvRmT2_T3_mT4_T5_T6_T7_T8_P12ihipStream_tbENKUlT_T0_E_clISt17integral_constantIbLb1EES17_IbLb0EEEEDaS13_S14_EUlS13_E_NS1_11comp_targetILNS1_3genE0ELNS1_11target_archE4294967295ELNS1_3gpuE0ELNS1_3repE0EEENS1_30default_config_static_selectorELNS0_4arch9wavefront6targetE1EEEvT1_.kd
    .uniform_work_group_size: 1
    .uses_dynamic_stack: false
    .vgpr_count:     0
    .vgpr_spill_count: 0
    .wavefront_size: 64
  - .agpr_count:     0
    .args:
      - .offset:         0
        .size:           136
        .value_kind:     by_value
    .group_segment_fixed_size: 0
    .kernarg_segment_align: 8
    .kernarg_segment_size: 136
    .language:       OpenCL C
    .language_version:
      - 2
      - 0
    .max_flat_workgroup_size: 512
    .name:           _ZN7rocprim17ROCPRIM_400000_NS6detail17trampoline_kernelINS0_14default_configENS1_33run_length_encode_config_selectorIbjNS0_4plusIjEEEEZZNS1_33reduce_by_key_impl_wrapped_configILNS1_25lookback_scan_determinismE0ES3_S7_N6hipcub16HIPCUB_304000_NS22TransformInputIteratorIbN2at6native8internal12_GLOBAL__N_110LoadBoolOpEPKhlEENS0_17constant_iteratorIjlEEPbPlSO_S6_NS0_8equal_toIbEEEE10hipError_tPvRmT2_T3_mT4_T5_T6_T7_T8_P12ihipStream_tbENKUlT_T0_E_clISt17integral_constantIbLb1EES17_IbLb0EEEEDaS13_S14_EUlS13_E_NS1_11comp_targetILNS1_3genE5ELNS1_11target_archE942ELNS1_3gpuE9ELNS1_3repE0EEENS1_30default_config_static_selectorELNS0_4arch9wavefront6targetE1EEEvT1_
    .private_segment_fixed_size: 0
    .sgpr_count:     4
    .sgpr_spill_count: 0
    .symbol:         _ZN7rocprim17ROCPRIM_400000_NS6detail17trampoline_kernelINS0_14default_configENS1_33run_length_encode_config_selectorIbjNS0_4plusIjEEEEZZNS1_33reduce_by_key_impl_wrapped_configILNS1_25lookback_scan_determinismE0ES3_S7_N6hipcub16HIPCUB_304000_NS22TransformInputIteratorIbN2at6native8internal12_GLOBAL__N_110LoadBoolOpEPKhlEENS0_17constant_iteratorIjlEEPbPlSO_S6_NS0_8equal_toIbEEEE10hipError_tPvRmT2_T3_mT4_T5_T6_T7_T8_P12ihipStream_tbENKUlT_T0_E_clISt17integral_constantIbLb1EES17_IbLb0EEEEDaS13_S14_EUlS13_E_NS1_11comp_targetILNS1_3genE5ELNS1_11target_archE942ELNS1_3gpuE9ELNS1_3repE0EEENS1_30default_config_static_selectorELNS0_4arch9wavefront6targetE1EEEvT1_.kd
    .uniform_work_group_size: 1
    .uses_dynamic_stack: false
    .vgpr_count:     0
    .vgpr_spill_count: 0
    .wavefront_size: 64
  - .agpr_count:     0
    .args:
      - .offset:         0
        .size:           136
        .value_kind:     by_value
    .group_segment_fixed_size: 15360
    .kernarg_segment_align: 8
    .kernarg_segment_size: 136
    .language:       OpenCL C
    .language_version:
      - 2
      - 0
    .max_flat_workgroup_size: 256
    .name:           _ZN7rocprim17ROCPRIM_400000_NS6detail17trampoline_kernelINS0_14default_configENS1_33run_length_encode_config_selectorIbjNS0_4plusIjEEEEZZNS1_33reduce_by_key_impl_wrapped_configILNS1_25lookback_scan_determinismE0ES3_S7_N6hipcub16HIPCUB_304000_NS22TransformInputIteratorIbN2at6native8internal12_GLOBAL__N_110LoadBoolOpEPKhlEENS0_17constant_iteratorIjlEEPbPlSO_S6_NS0_8equal_toIbEEEE10hipError_tPvRmT2_T3_mT4_T5_T6_T7_T8_P12ihipStream_tbENKUlT_T0_E_clISt17integral_constantIbLb1EES17_IbLb0EEEEDaS13_S14_EUlS13_E_NS1_11comp_targetILNS1_3genE4ELNS1_11target_archE910ELNS1_3gpuE8ELNS1_3repE0EEENS1_30default_config_static_selectorELNS0_4arch9wavefront6targetE1EEEvT1_
    .private_segment_fixed_size: 0
    .sgpr_count:     68
    .sgpr_spill_count: 0
    .symbol:         _ZN7rocprim17ROCPRIM_400000_NS6detail17trampoline_kernelINS0_14default_configENS1_33run_length_encode_config_selectorIbjNS0_4plusIjEEEEZZNS1_33reduce_by_key_impl_wrapped_configILNS1_25lookback_scan_determinismE0ES3_S7_N6hipcub16HIPCUB_304000_NS22TransformInputIteratorIbN2at6native8internal12_GLOBAL__N_110LoadBoolOpEPKhlEENS0_17constant_iteratorIjlEEPbPlSO_S6_NS0_8equal_toIbEEEE10hipError_tPvRmT2_T3_mT4_T5_T6_T7_T8_P12ihipStream_tbENKUlT_T0_E_clISt17integral_constantIbLb1EES17_IbLb0EEEEDaS13_S14_EUlS13_E_NS1_11comp_targetILNS1_3genE4ELNS1_11target_archE910ELNS1_3gpuE8ELNS1_3repE0EEENS1_30default_config_static_selectorELNS0_4arch9wavefront6targetE1EEEvT1_.kd
    .uniform_work_group_size: 1
    .uses_dynamic_stack: false
    .vgpr_count:     115
    .vgpr_spill_count: 0
    .wavefront_size: 64
  - .agpr_count:     0
    .args:
      - .offset:         0
        .size:           136
        .value_kind:     by_value
    .group_segment_fixed_size: 0
    .kernarg_segment_align: 8
    .kernarg_segment_size: 136
    .language:       OpenCL C
    .language_version:
      - 2
      - 0
    .max_flat_workgroup_size: 256
    .name:           _ZN7rocprim17ROCPRIM_400000_NS6detail17trampoline_kernelINS0_14default_configENS1_33run_length_encode_config_selectorIbjNS0_4plusIjEEEEZZNS1_33reduce_by_key_impl_wrapped_configILNS1_25lookback_scan_determinismE0ES3_S7_N6hipcub16HIPCUB_304000_NS22TransformInputIteratorIbN2at6native8internal12_GLOBAL__N_110LoadBoolOpEPKhlEENS0_17constant_iteratorIjlEEPbPlSO_S6_NS0_8equal_toIbEEEE10hipError_tPvRmT2_T3_mT4_T5_T6_T7_T8_P12ihipStream_tbENKUlT_T0_E_clISt17integral_constantIbLb1EES17_IbLb0EEEEDaS13_S14_EUlS13_E_NS1_11comp_targetILNS1_3genE3ELNS1_11target_archE908ELNS1_3gpuE7ELNS1_3repE0EEENS1_30default_config_static_selectorELNS0_4arch9wavefront6targetE1EEEvT1_
    .private_segment_fixed_size: 0
    .sgpr_count:     4
    .sgpr_spill_count: 0
    .symbol:         _ZN7rocprim17ROCPRIM_400000_NS6detail17trampoline_kernelINS0_14default_configENS1_33run_length_encode_config_selectorIbjNS0_4plusIjEEEEZZNS1_33reduce_by_key_impl_wrapped_configILNS1_25lookback_scan_determinismE0ES3_S7_N6hipcub16HIPCUB_304000_NS22TransformInputIteratorIbN2at6native8internal12_GLOBAL__N_110LoadBoolOpEPKhlEENS0_17constant_iteratorIjlEEPbPlSO_S6_NS0_8equal_toIbEEEE10hipError_tPvRmT2_T3_mT4_T5_T6_T7_T8_P12ihipStream_tbENKUlT_T0_E_clISt17integral_constantIbLb1EES17_IbLb0EEEEDaS13_S14_EUlS13_E_NS1_11comp_targetILNS1_3genE3ELNS1_11target_archE908ELNS1_3gpuE7ELNS1_3repE0EEENS1_30default_config_static_selectorELNS0_4arch9wavefront6targetE1EEEvT1_.kd
    .uniform_work_group_size: 1
    .uses_dynamic_stack: false
    .vgpr_count:     0
    .vgpr_spill_count: 0
    .wavefront_size: 64
  - .agpr_count:     0
    .args:
      - .offset:         0
        .size:           136
        .value_kind:     by_value
    .group_segment_fixed_size: 0
    .kernarg_segment_align: 8
    .kernarg_segment_size: 136
    .language:       OpenCL C
    .language_version:
      - 2
      - 0
    .max_flat_workgroup_size: 256
    .name:           _ZN7rocprim17ROCPRIM_400000_NS6detail17trampoline_kernelINS0_14default_configENS1_33run_length_encode_config_selectorIbjNS0_4plusIjEEEEZZNS1_33reduce_by_key_impl_wrapped_configILNS1_25lookback_scan_determinismE0ES3_S7_N6hipcub16HIPCUB_304000_NS22TransformInputIteratorIbN2at6native8internal12_GLOBAL__N_110LoadBoolOpEPKhlEENS0_17constant_iteratorIjlEEPbPlSO_S6_NS0_8equal_toIbEEEE10hipError_tPvRmT2_T3_mT4_T5_T6_T7_T8_P12ihipStream_tbENKUlT_T0_E_clISt17integral_constantIbLb1EES17_IbLb0EEEEDaS13_S14_EUlS13_E_NS1_11comp_targetILNS1_3genE2ELNS1_11target_archE906ELNS1_3gpuE6ELNS1_3repE0EEENS1_30default_config_static_selectorELNS0_4arch9wavefront6targetE1EEEvT1_
    .private_segment_fixed_size: 0
    .sgpr_count:     4
    .sgpr_spill_count: 0
    .symbol:         _ZN7rocprim17ROCPRIM_400000_NS6detail17trampoline_kernelINS0_14default_configENS1_33run_length_encode_config_selectorIbjNS0_4plusIjEEEEZZNS1_33reduce_by_key_impl_wrapped_configILNS1_25lookback_scan_determinismE0ES3_S7_N6hipcub16HIPCUB_304000_NS22TransformInputIteratorIbN2at6native8internal12_GLOBAL__N_110LoadBoolOpEPKhlEENS0_17constant_iteratorIjlEEPbPlSO_S6_NS0_8equal_toIbEEEE10hipError_tPvRmT2_T3_mT4_T5_T6_T7_T8_P12ihipStream_tbENKUlT_T0_E_clISt17integral_constantIbLb1EES17_IbLb0EEEEDaS13_S14_EUlS13_E_NS1_11comp_targetILNS1_3genE2ELNS1_11target_archE906ELNS1_3gpuE6ELNS1_3repE0EEENS1_30default_config_static_selectorELNS0_4arch9wavefront6targetE1EEEvT1_.kd
    .uniform_work_group_size: 1
    .uses_dynamic_stack: false
    .vgpr_count:     0
    .vgpr_spill_count: 0
    .wavefront_size: 64
  - .agpr_count:     0
    .args:
      - .offset:         0
        .size:           136
        .value_kind:     by_value
    .group_segment_fixed_size: 0
    .kernarg_segment_align: 8
    .kernarg_segment_size: 136
    .language:       OpenCL C
    .language_version:
      - 2
      - 0
    .max_flat_workgroup_size: 384
    .name:           _ZN7rocprim17ROCPRIM_400000_NS6detail17trampoline_kernelINS0_14default_configENS1_33run_length_encode_config_selectorIbjNS0_4plusIjEEEEZZNS1_33reduce_by_key_impl_wrapped_configILNS1_25lookback_scan_determinismE0ES3_S7_N6hipcub16HIPCUB_304000_NS22TransformInputIteratorIbN2at6native8internal12_GLOBAL__N_110LoadBoolOpEPKhlEENS0_17constant_iteratorIjlEEPbPlSO_S6_NS0_8equal_toIbEEEE10hipError_tPvRmT2_T3_mT4_T5_T6_T7_T8_P12ihipStream_tbENKUlT_T0_E_clISt17integral_constantIbLb1EES17_IbLb0EEEEDaS13_S14_EUlS13_E_NS1_11comp_targetILNS1_3genE10ELNS1_11target_archE1201ELNS1_3gpuE5ELNS1_3repE0EEENS1_30default_config_static_selectorELNS0_4arch9wavefront6targetE1EEEvT1_
    .private_segment_fixed_size: 0
    .sgpr_count:     4
    .sgpr_spill_count: 0
    .symbol:         _ZN7rocprim17ROCPRIM_400000_NS6detail17trampoline_kernelINS0_14default_configENS1_33run_length_encode_config_selectorIbjNS0_4plusIjEEEEZZNS1_33reduce_by_key_impl_wrapped_configILNS1_25lookback_scan_determinismE0ES3_S7_N6hipcub16HIPCUB_304000_NS22TransformInputIteratorIbN2at6native8internal12_GLOBAL__N_110LoadBoolOpEPKhlEENS0_17constant_iteratorIjlEEPbPlSO_S6_NS0_8equal_toIbEEEE10hipError_tPvRmT2_T3_mT4_T5_T6_T7_T8_P12ihipStream_tbENKUlT_T0_E_clISt17integral_constantIbLb1EES17_IbLb0EEEEDaS13_S14_EUlS13_E_NS1_11comp_targetILNS1_3genE10ELNS1_11target_archE1201ELNS1_3gpuE5ELNS1_3repE0EEENS1_30default_config_static_selectorELNS0_4arch9wavefront6targetE1EEEvT1_.kd
    .uniform_work_group_size: 1
    .uses_dynamic_stack: false
    .vgpr_count:     0
    .vgpr_spill_count: 0
    .wavefront_size: 64
  - .agpr_count:     0
    .args:
      - .offset:         0
        .size:           136
        .value_kind:     by_value
    .group_segment_fixed_size: 0
    .kernarg_segment_align: 8
    .kernarg_segment_size: 136
    .language:       OpenCL C
    .language_version:
      - 2
      - 0
    .max_flat_workgroup_size: 384
    .name:           _ZN7rocprim17ROCPRIM_400000_NS6detail17trampoline_kernelINS0_14default_configENS1_33run_length_encode_config_selectorIbjNS0_4plusIjEEEEZZNS1_33reduce_by_key_impl_wrapped_configILNS1_25lookback_scan_determinismE0ES3_S7_N6hipcub16HIPCUB_304000_NS22TransformInputIteratorIbN2at6native8internal12_GLOBAL__N_110LoadBoolOpEPKhlEENS0_17constant_iteratorIjlEEPbPlSO_S6_NS0_8equal_toIbEEEE10hipError_tPvRmT2_T3_mT4_T5_T6_T7_T8_P12ihipStream_tbENKUlT_T0_E_clISt17integral_constantIbLb1EES17_IbLb0EEEEDaS13_S14_EUlS13_E_NS1_11comp_targetILNS1_3genE10ELNS1_11target_archE1200ELNS1_3gpuE4ELNS1_3repE0EEENS1_30default_config_static_selectorELNS0_4arch9wavefront6targetE1EEEvT1_
    .private_segment_fixed_size: 0
    .sgpr_count:     4
    .sgpr_spill_count: 0
    .symbol:         _ZN7rocprim17ROCPRIM_400000_NS6detail17trampoline_kernelINS0_14default_configENS1_33run_length_encode_config_selectorIbjNS0_4plusIjEEEEZZNS1_33reduce_by_key_impl_wrapped_configILNS1_25lookback_scan_determinismE0ES3_S7_N6hipcub16HIPCUB_304000_NS22TransformInputIteratorIbN2at6native8internal12_GLOBAL__N_110LoadBoolOpEPKhlEENS0_17constant_iteratorIjlEEPbPlSO_S6_NS0_8equal_toIbEEEE10hipError_tPvRmT2_T3_mT4_T5_T6_T7_T8_P12ihipStream_tbENKUlT_T0_E_clISt17integral_constantIbLb1EES17_IbLb0EEEEDaS13_S14_EUlS13_E_NS1_11comp_targetILNS1_3genE10ELNS1_11target_archE1200ELNS1_3gpuE4ELNS1_3repE0EEENS1_30default_config_static_selectorELNS0_4arch9wavefront6targetE1EEEvT1_.kd
    .uniform_work_group_size: 1
    .uses_dynamic_stack: false
    .vgpr_count:     0
    .vgpr_spill_count: 0
    .wavefront_size: 64
  - .agpr_count:     0
    .args:
      - .offset:         0
        .size:           136
        .value_kind:     by_value
    .group_segment_fixed_size: 0
    .kernarg_segment_align: 8
    .kernarg_segment_size: 136
    .language:       OpenCL C
    .language_version:
      - 2
      - 0
    .max_flat_workgroup_size: 384
    .name:           _ZN7rocprim17ROCPRIM_400000_NS6detail17trampoline_kernelINS0_14default_configENS1_33run_length_encode_config_selectorIbjNS0_4plusIjEEEEZZNS1_33reduce_by_key_impl_wrapped_configILNS1_25lookback_scan_determinismE0ES3_S7_N6hipcub16HIPCUB_304000_NS22TransformInputIteratorIbN2at6native8internal12_GLOBAL__N_110LoadBoolOpEPKhlEENS0_17constant_iteratorIjlEEPbPlSO_S6_NS0_8equal_toIbEEEE10hipError_tPvRmT2_T3_mT4_T5_T6_T7_T8_P12ihipStream_tbENKUlT_T0_E_clISt17integral_constantIbLb1EES17_IbLb0EEEEDaS13_S14_EUlS13_E_NS1_11comp_targetILNS1_3genE9ELNS1_11target_archE1100ELNS1_3gpuE3ELNS1_3repE0EEENS1_30default_config_static_selectorELNS0_4arch9wavefront6targetE1EEEvT1_
    .private_segment_fixed_size: 0
    .sgpr_count:     4
    .sgpr_spill_count: 0
    .symbol:         _ZN7rocprim17ROCPRIM_400000_NS6detail17trampoline_kernelINS0_14default_configENS1_33run_length_encode_config_selectorIbjNS0_4plusIjEEEEZZNS1_33reduce_by_key_impl_wrapped_configILNS1_25lookback_scan_determinismE0ES3_S7_N6hipcub16HIPCUB_304000_NS22TransformInputIteratorIbN2at6native8internal12_GLOBAL__N_110LoadBoolOpEPKhlEENS0_17constant_iteratorIjlEEPbPlSO_S6_NS0_8equal_toIbEEEE10hipError_tPvRmT2_T3_mT4_T5_T6_T7_T8_P12ihipStream_tbENKUlT_T0_E_clISt17integral_constantIbLb1EES17_IbLb0EEEEDaS13_S14_EUlS13_E_NS1_11comp_targetILNS1_3genE9ELNS1_11target_archE1100ELNS1_3gpuE3ELNS1_3repE0EEENS1_30default_config_static_selectorELNS0_4arch9wavefront6targetE1EEEvT1_.kd
    .uniform_work_group_size: 1
    .uses_dynamic_stack: false
    .vgpr_count:     0
    .vgpr_spill_count: 0
    .wavefront_size: 64
  - .agpr_count:     0
    .args:
      - .offset:         0
        .size:           136
        .value_kind:     by_value
    .group_segment_fixed_size: 0
    .kernarg_segment_align: 8
    .kernarg_segment_size: 136
    .language:       OpenCL C
    .language_version:
      - 2
      - 0
    .max_flat_workgroup_size: 384
    .name:           _ZN7rocprim17ROCPRIM_400000_NS6detail17trampoline_kernelINS0_14default_configENS1_33run_length_encode_config_selectorIbjNS0_4plusIjEEEEZZNS1_33reduce_by_key_impl_wrapped_configILNS1_25lookback_scan_determinismE0ES3_S7_N6hipcub16HIPCUB_304000_NS22TransformInputIteratorIbN2at6native8internal12_GLOBAL__N_110LoadBoolOpEPKhlEENS0_17constant_iteratorIjlEEPbPlSO_S6_NS0_8equal_toIbEEEE10hipError_tPvRmT2_T3_mT4_T5_T6_T7_T8_P12ihipStream_tbENKUlT_T0_E_clISt17integral_constantIbLb1EES17_IbLb0EEEEDaS13_S14_EUlS13_E_NS1_11comp_targetILNS1_3genE8ELNS1_11target_archE1030ELNS1_3gpuE2ELNS1_3repE0EEENS1_30default_config_static_selectorELNS0_4arch9wavefront6targetE1EEEvT1_
    .private_segment_fixed_size: 0
    .sgpr_count:     4
    .sgpr_spill_count: 0
    .symbol:         _ZN7rocprim17ROCPRIM_400000_NS6detail17trampoline_kernelINS0_14default_configENS1_33run_length_encode_config_selectorIbjNS0_4plusIjEEEEZZNS1_33reduce_by_key_impl_wrapped_configILNS1_25lookback_scan_determinismE0ES3_S7_N6hipcub16HIPCUB_304000_NS22TransformInputIteratorIbN2at6native8internal12_GLOBAL__N_110LoadBoolOpEPKhlEENS0_17constant_iteratorIjlEEPbPlSO_S6_NS0_8equal_toIbEEEE10hipError_tPvRmT2_T3_mT4_T5_T6_T7_T8_P12ihipStream_tbENKUlT_T0_E_clISt17integral_constantIbLb1EES17_IbLb0EEEEDaS13_S14_EUlS13_E_NS1_11comp_targetILNS1_3genE8ELNS1_11target_archE1030ELNS1_3gpuE2ELNS1_3repE0EEENS1_30default_config_static_selectorELNS0_4arch9wavefront6targetE1EEEvT1_.kd
    .uniform_work_group_size: 1
    .uses_dynamic_stack: false
    .vgpr_count:     0
    .vgpr_spill_count: 0
    .wavefront_size: 64
  - .agpr_count:     0
    .args:
      - .address_space:  global
        .offset:         0
        .size:           8
        .value_kind:     global_buffer
      - .offset:         8
        .size:           4
        .value_kind:     by_value
      - .offset:         12
        .size:           1
        .value_kind:     by_value
      - .offset:         16
        .size:           4
        .value_kind:     by_value
      - .address_space:  global
        .offset:         24
        .size:           8
        .value_kind:     global_buffer
      - .address_space:  global
        .offset:         32
        .size:           8
        .value_kind:     global_buffer
      - .address_space:  global
        .offset:         40
        .size:           8
        .value_kind:     global_buffer
      - .offset:         48
        .size:           4
        .value_kind:     hidden_block_count_x
      - .offset:         52
        .size:           4
        .value_kind:     hidden_block_count_y
      - .offset:         56
        .size:           4
        .value_kind:     hidden_block_count_z
      - .offset:         60
        .size:           2
        .value_kind:     hidden_group_size_x
      - .offset:         62
        .size:           2
        .value_kind:     hidden_group_size_y
      - .offset:         64
        .size:           2
        .value_kind:     hidden_group_size_z
      - .offset:         66
        .size:           2
        .value_kind:     hidden_remainder_x
      - .offset:         68
        .size:           2
        .value_kind:     hidden_remainder_y
      - .offset:         70
        .size:           2
        .value_kind:     hidden_remainder_z
      - .offset:         88
        .size:           8
        .value_kind:     hidden_global_offset_x
      - .offset:         96
        .size:           8
        .value_kind:     hidden_global_offset_y
      - .offset:         104
        .size:           8
        .value_kind:     hidden_global_offset_z
      - .offset:         112
        .size:           2
        .value_kind:     hidden_grid_dims
    .group_segment_fixed_size: 0
    .kernarg_segment_align: 8
    .kernarg_segment_size: 304
    .language:       OpenCL C
    .language_version:
      - 2
      - 0
    .max_flat_workgroup_size: 256
    .name:           _ZN7rocprim17ROCPRIM_400000_NS6detail25reduce_by_key_init_kernelINS1_19lookback_scan_stateINS0_5tupleIJjjEEELb0ELb1EEEjNS1_16block_id_wrapperIjLb1EEEEEvT_jbjPmPT0_T1_
    .private_segment_fixed_size: 0
    .sgpr_count:     22
    .sgpr_spill_count: 0
    .symbol:         _ZN7rocprim17ROCPRIM_400000_NS6detail25reduce_by_key_init_kernelINS1_19lookback_scan_stateINS0_5tupleIJjjEEELb0ELb1EEEjNS1_16block_id_wrapperIjLb1EEEEEvT_jbjPmPT0_T1_.kd
    .uniform_work_group_size: 1
    .uses_dynamic_stack: false
    .vgpr_count:     10
    .vgpr_spill_count: 0
    .wavefront_size: 64
  - .agpr_count:     0
    .args:
      - .offset:         0
        .size:           136
        .value_kind:     by_value
    .group_segment_fixed_size: 0
    .kernarg_segment_align: 8
    .kernarg_segment_size: 136
    .language:       OpenCL C
    .language_version:
      - 2
      - 0
    .max_flat_workgroup_size: 256
    .name:           _ZN7rocprim17ROCPRIM_400000_NS6detail17trampoline_kernelINS0_14default_configENS1_33run_length_encode_config_selectorIbjNS0_4plusIjEEEEZZNS1_33reduce_by_key_impl_wrapped_configILNS1_25lookback_scan_determinismE0ES3_S7_N6hipcub16HIPCUB_304000_NS22TransformInputIteratorIbN2at6native8internal12_GLOBAL__N_110LoadBoolOpEPKhlEENS0_17constant_iteratorIjlEEPbPlSO_S6_NS0_8equal_toIbEEEE10hipError_tPvRmT2_T3_mT4_T5_T6_T7_T8_P12ihipStream_tbENKUlT_T0_E_clISt17integral_constantIbLb0EES17_IbLb1EEEEDaS13_S14_EUlS13_E_NS1_11comp_targetILNS1_3genE0ELNS1_11target_archE4294967295ELNS1_3gpuE0ELNS1_3repE0EEENS1_30default_config_static_selectorELNS0_4arch9wavefront6targetE1EEEvT1_
    .private_segment_fixed_size: 0
    .sgpr_count:     4
    .sgpr_spill_count: 0
    .symbol:         _ZN7rocprim17ROCPRIM_400000_NS6detail17trampoline_kernelINS0_14default_configENS1_33run_length_encode_config_selectorIbjNS0_4plusIjEEEEZZNS1_33reduce_by_key_impl_wrapped_configILNS1_25lookback_scan_determinismE0ES3_S7_N6hipcub16HIPCUB_304000_NS22TransformInputIteratorIbN2at6native8internal12_GLOBAL__N_110LoadBoolOpEPKhlEENS0_17constant_iteratorIjlEEPbPlSO_S6_NS0_8equal_toIbEEEE10hipError_tPvRmT2_T3_mT4_T5_T6_T7_T8_P12ihipStream_tbENKUlT_T0_E_clISt17integral_constantIbLb0EES17_IbLb1EEEEDaS13_S14_EUlS13_E_NS1_11comp_targetILNS1_3genE0ELNS1_11target_archE4294967295ELNS1_3gpuE0ELNS1_3repE0EEENS1_30default_config_static_selectorELNS0_4arch9wavefront6targetE1EEEvT1_.kd
    .uniform_work_group_size: 1
    .uses_dynamic_stack: false
    .vgpr_count:     0
    .vgpr_spill_count: 0
    .wavefront_size: 64
  - .agpr_count:     0
    .args:
      - .offset:         0
        .size:           136
        .value_kind:     by_value
    .group_segment_fixed_size: 0
    .kernarg_segment_align: 8
    .kernarg_segment_size: 136
    .language:       OpenCL C
    .language_version:
      - 2
      - 0
    .max_flat_workgroup_size: 512
    .name:           _ZN7rocprim17ROCPRIM_400000_NS6detail17trampoline_kernelINS0_14default_configENS1_33run_length_encode_config_selectorIbjNS0_4plusIjEEEEZZNS1_33reduce_by_key_impl_wrapped_configILNS1_25lookback_scan_determinismE0ES3_S7_N6hipcub16HIPCUB_304000_NS22TransformInputIteratorIbN2at6native8internal12_GLOBAL__N_110LoadBoolOpEPKhlEENS0_17constant_iteratorIjlEEPbPlSO_S6_NS0_8equal_toIbEEEE10hipError_tPvRmT2_T3_mT4_T5_T6_T7_T8_P12ihipStream_tbENKUlT_T0_E_clISt17integral_constantIbLb0EES17_IbLb1EEEEDaS13_S14_EUlS13_E_NS1_11comp_targetILNS1_3genE5ELNS1_11target_archE942ELNS1_3gpuE9ELNS1_3repE0EEENS1_30default_config_static_selectorELNS0_4arch9wavefront6targetE1EEEvT1_
    .private_segment_fixed_size: 0
    .sgpr_count:     4
    .sgpr_spill_count: 0
    .symbol:         _ZN7rocprim17ROCPRIM_400000_NS6detail17trampoline_kernelINS0_14default_configENS1_33run_length_encode_config_selectorIbjNS0_4plusIjEEEEZZNS1_33reduce_by_key_impl_wrapped_configILNS1_25lookback_scan_determinismE0ES3_S7_N6hipcub16HIPCUB_304000_NS22TransformInputIteratorIbN2at6native8internal12_GLOBAL__N_110LoadBoolOpEPKhlEENS0_17constant_iteratorIjlEEPbPlSO_S6_NS0_8equal_toIbEEEE10hipError_tPvRmT2_T3_mT4_T5_T6_T7_T8_P12ihipStream_tbENKUlT_T0_E_clISt17integral_constantIbLb0EES17_IbLb1EEEEDaS13_S14_EUlS13_E_NS1_11comp_targetILNS1_3genE5ELNS1_11target_archE942ELNS1_3gpuE9ELNS1_3repE0EEENS1_30default_config_static_selectorELNS0_4arch9wavefront6targetE1EEEvT1_.kd
    .uniform_work_group_size: 1
    .uses_dynamic_stack: false
    .vgpr_count:     0
    .vgpr_spill_count: 0
    .wavefront_size: 64
  - .agpr_count:     0
    .args:
      - .offset:         0
        .size:           136
        .value_kind:     by_value
    .group_segment_fixed_size: 15360
    .kernarg_segment_align: 8
    .kernarg_segment_size: 136
    .language:       OpenCL C
    .language_version:
      - 2
      - 0
    .max_flat_workgroup_size: 256
    .name:           _ZN7rocprim17ROCPRIM_400000_NS6detail17trampoline_kernelINS0_14default_configENS1_33run_length_encode_config_selectorIbjNS0_4plusIjEEEEZZNS1_33reduce_by_key_impl_wrapped_configILNS1_25lookback_scan_determinismE0ES3_S7_N6hipcub16HIPCUB_304000_NS22TransformInputIteratorIbN2at6native8internal12_GLOBAL__N_110LoadBoolOpEPKhlEENS0_17constant_iteratorIjlEEPbPlSO_S6_NS0_8equal_toIbEEEE10hipError_tPvRmT2_T3_mT4_T5_T6_T7_T8_P12ihipStream_tbENKUlT_T0_E_clISt17integral_constantIbLb0EES17_IbLb1EEEEDaS13_S14_EUlS13_E_NS1_11comp_targetILNS1_3genE4ELNS1_11target_archE910ELNS1_3gpuE8ELNS1_3repE0EEENS1_30default_config_static_selectorELNS0_4arch9wavefront6targetE1EEEvT1_
    .private_segment_fixed_size: 0
    .sgpr_count:     83
    .sgpr_spill_count: 0
    .symbol:         _ZN7rocprim17ROCPRIM_400000_NS6detail17trampoline_kernelINS0_14default_configENS1_33run_length_encode_config_selectorIbjNS0_4plusIjEEEEZZNS1_33reduce_by_key_impl_wrapped_configILNS1_25lookback_scan_determinismE0ES3_S7_N6hipcub16HIPCUB_304000_NS22TransformInputIteratorIbN2at6native8internal12_GLOBAL__N_110LoadBoolOpEPKhlEENS0_17constant_iteratorIjlEEPbPlSO_S6_NS0_8equal_toIbEEEE10hipError_tPvRmT2_T3_mT4_T5_T6_T7_T8_P12ihipStream_tbENKUlT_T0_E_clISt17integral_constantIbLb0EES17_IbLb1EEEEDaS13_S14_EUlS13_E_NS1_11comp_targetILNS1_3genE4ELNS1_11target_archE910ELNS1_3gpuE8ELNS1_3repE0EEENS1_30default_config_static_selectorELNS0_4arch9wavefront6targetE1EEEvT1_.kd
    .uniform_work_group_size: 1
    .uses_dynamic_stack: false
    .vgpr_count:     115
    .vgpr_spill_count: 0
    .wavefront_size: 64
  - .agpr_count:     0
    .args:
      - .offset:         0
        .size:           136
        .value_kind:     by_value
    .group_segment_fixed_size: 0
    .kernarg_segment_align: 8
    .kernarg_segment_size: 136
    .language:       OpenCL C
    .language_version:
      - 2
      - 0
    .max_flat_workgroup_size: 256
    .name:           _ZN7rocprim17ROCPRIM_400000_NS6detail17trampoline_kernelINS0_14default_configENS1_33run_length_encode_config_selectorIbjNS0_4plusIjEEEEZZNS1_33reduce_by_key_impl_wrapped_configILNS1_25lookback_scan_determinismE0ES3_S7_N6hipcub16HIPCUB_304000_NS22TransformInputIteratorIbN2at6native8internal12_GLOBAL__N_110LoadBoolOpEPKhlEENS0_17constant_iteratorIjlEEPbPlSO_S6_NS0_8equal_toIbEEEE10hipError_tPvRmT2_T3_mT4_T5_T6_T7_T8_P12ihipStream_tbENKUlT_T0_E_clISt17integral_constantIbLb0EES17_IbLb1EEEEDaS13_S14_EUlS13_E_NS1_11comp_targetILNS1_3genE3ELNS1_11target_archE908ELNS1_3gpuE7ELNS1_3repE0EEENS1_30default_config_static_selectorELNS0_4arch9wavefront6targetE1EEEvT1_
    .private_segment_fixed_size: 0
    .sgpr_count:     4
    .sgpr_spill_count: 0
    .symbol:         _ZN7rocprim17ROCPRIM_400000_NS6detail17trampoline_kernelINS0_14default_configENS1_33run_length_encode_config_selectorIbjNS0_4plusIjEEEEZZNS1_33reduce_by_key_impl_wrapped_configILNS1_25lookback_scan_determinismE0ES3_S7_N6hipcub16HIPCUB_304000_NS22TransformInputIteratorIbN2at6native8internal12_GLOBAL__N_110LoadBoolOpEPKhlEENS0_17constant_iteratorIjlEEPbPlSO_S6_NS0_8equal_toIbEEEE10hipError_tPvRmT2_T3_mT4_T5_T6_T7_T8_P12ihipStream_tbENKUlT_T0_E_clISt17integral_constantIbLb0EES17_IbLb1EEEEDaS13_S14_EUlS13_E_NS1_11comp_targetILNS1_3genE3ELNS1_11target_archE908ELNS1_3gpuE7ELNS1_3repE0EEENS1_30default_config_static_selectorELNS0_4arch9wavefront6targetE1EEEvT1_.kd
    .uniform_work_group_size: 1
    .uses_dynamic_stack: false
    .vgpr_count:     0
    .vgpr_spill_count: 0
    .wavefront_size: 64
  - .agpr_count:     0
    .args:
      - .offset:         0
        .size:           136
        .value_kind:     by_value
    .group_segment_fixed_size: 0
    .kernarg_segment_align: 8
    .kernarg_segment_size: 136
    .language:       OpenCL C
    .language_version:
      - 2
      - 0
    .max_flat_workgroup_size: 256
    .name:           _ZN7rocprim17ROCPRIM_400000_NS6detail17trampoline_kernelINS0_14default_configENS1_33run_length_encode_config_selectorIbjNS0_4plusIjEEEEZZNS1_33reduce_by_key_impl_wrapped_configILNS1_25lookback_scan_determinismE0ES3_S7_N6hipcub16HIPCUB_304000_NS22TransformInputIteratorIbN2at6native8internal12_GLOBAL__N_110LoadBoolOpEPKhlEENS0_17constant_iteratorIjlEEPbPlSO_S6_NS0_8equal_toIbEEEE10hipError_tPvRmT2_T3_mT4_T5_T6_T7_T8_P12ihipStream_tbENKUlT_T0_E_clISt17integral_constantIbLb0EES17_IbLb1EEEEDaS13_S14_EUlS13_E_NS1_11comp_targetILNS1_3genE2ELNS1_11target_archE906ELNS1_3gpuE6ELNS1_3repE0EEENS1_30default_config_static_selectorELNS0_4arch9wavefront6targetE1EEEvT1_
    .private_segment_fixed_size: 0
    .sgpr_count:     4
    .sgpr_spill_count: 0
    .symbol:         _ZN7rocprim17ROCPRIM_400000_NS6detail17trampoline_kernelINS0_14default_configENS1_33run_length_encode_config_selectorIbjNS0_4plusIjEEEEZZNS1_33reduce_by_key_impl_wrapped_configILNS1_25lookback_scan_determinismE0ES3_S7_N6hipcub16HIPCUB_304000_NS22TransformInputIteratorIbN2at6native8internal12_GLOBAL__N_110LoadBoolOpEPKhlEENS0_17constant_iteratorIjlEEPbPlSO_S6_NS0_8equal_toIbEEEE10hipError_tPvRmT2_T3_mT4_T5_T6_T7_T8_P12ihipStream_tbENKUlT_T0_E_clISt17integral_constantIbLb0EES17_IbLb1EEEEDaS13_S14_EUlS13_E_NS1_11comp_targetILNS1_3genE2ELNS1_11target_archE906ELNS1_3gpuE6ELNS1_3repE0EEENS1_30default_config_static_selectorELNS0_4arch9wavefront6targetE1EEEvT1_.kd
    .uniform_work_group_size: 1
    .uses_dynamic_stack: false
    .vgpr_count:     0
    .vgpr_spill_count: 0
    .wavefront_size: 64
  - .agpr_count:     0
    .args:
      - .offset:         0
        .size:           136
        .value_kind:     by_value
    .group_segment_fixed_size: 0
    .kernarg_segment_align: 8
    .kernarg_segment_size: 136
    .language:       OpenCL C
    .language_version:
      - 2
      - 0
    .max_flat_workgroup_size: 384
    .name:           _ZN7rocprim17ROCPRIM_400000_NS6detail17trampoline_kernelINS0_14default_configENS1_33run_length_encode_config_selectorIbjNS0_4plusIjEEEEZZNS1_33reduce_by_key_impl_wrapped_configILNS1_25lookback_scan_determinismE0ES3_S7_N6hipcub16HIPCUB_304000_NS22TransformInputIteratorIbN2at6native8internal12_GLOBAL__N_110LoadBoolOpEPKhlEENS0_17constant_iteratorIjlEEPbPlSO_S6_NS0_8equal_toIbEEEE10hipError_tPvRmT2_T3_mT4_T5_T6_T7_T8_P12ihipStream_tbENKUlT_T0_E_clISt17integral_constantIbLb0EES17_IbLb1EEEEDaS13_S14_EUlS13_E_NS1_11comp_targetILNS1_3genE10ELNS1_11target_archE1201ELNS1_3gpuE5ELNS1_3repE0EEENS1_30default_config_static_selectorELNS0_4arch9wavefront6targetE1EEEvT1_
    .private_segment_fixed_size: 0
    .sgpr_count:     4
    .sgpr_spill_count: 0
    .symbol:         _ZN7rocprim17ROCPRIM_400000_NS6detail17trampoline_kernelINS0_14default_configENS1_33run_length_encode_config_selectorIbjNS0_4plusIjEEEEZZNS1_33reduce_by_key_impl_wrapped_configILNS1_25lookback_scan_determinismE0ES3_S7_N6hipcub16HIPCUB_304000_NS22TransformInputIteratorIbN2at6native8internal12_GLOBAL__N_110LoadBoolOpEPKhlEENS0_17constant_iteratorIjlEEPbPlSO_S6_NS0_8equal_toIbEEEE10hipError_tPvRmT2_T3_mT4_T5_T6_T7_T8_P12ihipStream_tbENKUlT_T0_E_clISt17integral_constantIbLb0EES17_IbLb1EEEEDaS13_S14_EUlS13_E_NS1_11comp_targetILNS1_3genE10ELNS1_11target_archE1201ELNS1_3gpuE5ELNS1_3repE0EEENS1_30default_config_static_selectorELNS0_4arch9wavefront6targetE1EEEvT1_.kd
    .uniform_work_group_size: 1
    .uses_dynamic_stack: false
    .vgpr_count:     0
    .vgpr_spill_count: 0
    .wavefront_size: 64
  - .agpr_count:     0
    .args:
      - .offset:         0
        .size:           136
        .value_kind:     by_value
    .group_segment_fixed_size: 0
    .kernarg_segment_align: 8
    .kernarg_segment_size: 136
    .language:       OpenCL C
    .language_version:
      - 2
      - 0
    .max_flat_workgroup_size: 384
    .name:           _ZN7rocprim17ROCPRIM_400000_NS6detail17trampoline_kernelINS0_14default_configENS1_33run_length_encode_config_selectorIbjNS0_4plusIjEEEEZZNS1_33reduce_by_key_impl_wrapped_configILNS1_25lookback_scan_determinismE0ES3_S7_N6hipcub16HIPCUB_304000_NS22TransformInputIteratorIbN2at6native8internal12_GLOBAL__N_110LoadBoolOpEPKhlEENS0_17constant_iteratorIjlEEPbPlSO_S6_NS0_8equal_toIbEEEE10hipError_tPvRmT2_T3_mT4_T5_T6_T7_T8_P12ihipStream_tbENKUlT_T0_E_clISt17integral_constantIbLb0EES17_IbLb1EEEEDaS13_S14_EUlS13_E_NS1_11comp_targetILNS1_3genE10ELNS1_11target_archE1200ELNS1_3gpuE4ELNS1_3repE0EEENS1_30default_config_static_selectorELNS0_4arch9wavefront6targetE1EEEvT1_
    .private_segment_fixed_size: 0
    .sgpr_count:     4
    .sgpr_spill_count: 0
    .symbol:         _ZN7rocprim17ROCPRIM_400000_NS6detail17trampoline_kernelINS0_14default_configENS1_33run_length_encode_config_selectorIbjNS0_4plusIjEEEEZZNS1_33reduce_by_key_impl_wrapped_configILNS1_25lookback_scan_determinismE0ES3_S7_N6hipcub16HIPCUB_304000_NS22TransformInputIteratorIbN2at6native8internal12_GLOBAL__N_110LoadBoolOpEPKhlEENS0_17constant_iteratorIjlEEPbPlSO_S6_NS0_8equal_toIbEEEE10hipError_tPvRmT2_T3_mT4_T5_T6_T7_T8_P12ihipStream_tbENKUlT_T0_E_clISt17integral_constantIbLb0EES17_IbLb1EEEEDaS13_S14_EUlS13_E_NS1_11comp_targetILNS1_3genE10ELNS1_11target_archE1200ELNS1_3gpuE4ELNS1_3repE0EEENS1_30default_config_static_selectorELNS0_4arch9wavefront6targetE1EEEvT1_.kd
    .uniform_work_group_size: 1
    .uses_dynamic_stack: false
    .vgpr_count:     0
    .vgpr_spill_count: 0
    .wavefront_size: 64
  - .agpr_count:     0
    .args:
      - .offset:         0
        .size:           136
        .value_kind:     by_value
    .group_segment_fixed_size: 0
    .kernarg_segment_align: 8
    .kernarg_segment_size: 136
    .language:       OpenCL C
    .language_version:
      - 2
      - 0
    .max_flat_workgroup_size: 384
    .name:           _ZN7rocprim17ROCPRIM_400000_NS6detail17trampoline_kernelINS0_14default_configENS1_33run_length_encode_config_selectorIbjNS0_4plusIjEEEEZZNS1_33reduce_by_key_impl_wrapped_configILNS1_25lookback_scan_determinismE0ES3_S7_N6hipcub16HIPCUB_304000_NS22TransformInputIteratorIbN2at6native8internal12_GLOBAL__N_110LoadBoolOpEPKhlEENS0_17constant_iteratorIjlEEPbPlSO_S6_NS0_8equal_toIbEEEE10hipError_tPvRmT2_T3_mT4_T5_T6_T7_T8_P12ihipStream_tbENKUlT_T0_E_clISt17integral_constantIbLb0EES17_IbLb1EEEEDaS13_S14_EUlS13_E_NS1_11comp_targetILNS1_3genE9ELNS1_11target_archE1100ELNS1_3gpuE3ELNS1_3repE0EEENS1_30default_config_static_selectorELNS0_4arch9wavefront6targetE1EEEvT1_
    .private_segment_fixed_size: 0
    .sgpr_count:     4
    .sgpr_spill_count: 0
    .symbol:         _ZN7rocprim17ROCPRIM_400000_NS6detail17trampoline_kernelINS0_14default_configENS1_33run_length_encode_config_selectorIbjNS0_4plusIjEEEEZZNS1_33reduce_by_key_impl_wrapped_configILNS1_25lookback_scan_determinismE0ES3_S7_N6hipcub16HIPCUB_304000_NS22TransformInputIteratorIbN2at6native8internal12_GLOBAL__N_110LoadBoolOpEPKhlEENS0_17constant_iteratorIjlEEPbPlSO_S6_NS0_8equal_toIbEEEE10hipError_tPvRmT2_T3_mT4_T5_T6_T7_T8_P12ihipStream_tbENKUlT_T0_E_clISt17integral_constantIbLb0EES17_IbLb1EEEEDaS13_S14_EUlS13_E_NS1_11comp_targetILNS1_3genE9ELNS1_11target_archE1100ELNS1_3gpuE3ELNS1_3repE0EEENS1_30default_config_static_selectorELNS0_4arch9wavefront6targetE1EEEvT1_.kd
    .uniform_work_group_size: 1
    .uses_dynamic_stack: false
    .vgpr_count:     0
    .vgpr_spill_count: 0
    .wavefront_size: 64
  - .agpr_count:     0
    .args:
      - .offset:         0
        .size:           136
        .value_kind:     by_value
    .group_segment_fixed_size: 0
    .kernarg_segment_align: 8
    .kernarg_segment_size: 136
    .language:       OpenCL C
    .language_version:
      - 2
      - 0
    .max_flat_workgroup_size: 384
    .name:           _ZN7rocprim17ROCPRIM_400000_NS6detail17trampoline_kernelINS0_14default_configENS1_33run_length_encode_config_selectorIbjNS0_4plusIjEEEEZZNS1_33reduce_by_key_impl_wrapped_configILNS1_25lookback_scan_determinismE0ES3_S7_N6hipcub16HIPCUB_304000_NS22TransformInputIteratorIbN2at6native8internal12_GLOBAL__N_110LoadBoolOpEPKhlEENS0_17constant_iteratorIjlEEPbPlSO_S6_NS0_8equal_toIbEEEE10hipError_tPvRmT2_T3_mT4_T5_T6_T7_T8_P12ihipStream_tbENKUlT_T0_E_clISt17integral_constantIbLb0EES17_IbLb1EEEEDaS13_S14_EUlS13_E_NS1_11comp_targetILNS1_3genE8ELNS1_11target_archE1030ELNS1_3gpuE2ELNS1_3repE0EEENS1_30default_config_static_selectorELNS0_4arch9wavefront6targetE1EEEvT1_
    .private_segment_fixed_size: 0
    .sgpr_count:     4
    .sgpr_spill_count: 0
    .symbol:         _ZN7rocprim17ROCPRIM_400000_NS6detail17trampoline_kernelINS0_14default_configENS1_33run_length_encode_config_selectorIbjNS0_4plusIjEEEEZZNS1_33reduce_by_key_impl_wrapped_configILNS1_25lookback_scan_determinismE0ES3_S7_N6hipcub16HIPCUB_304000_NS22TransformInputIteratorIbN2at6native8internal12_GLOBAL__N_110LoadBoolOpEPKhlEENS0_17constant_iteratorIjlEEPbPlSO_S6_NS0_8equal_toIbEEEE10hipError_tPvRmT2_T3_mT4_T5_T6_T7_T8_P12ihipStream_tbENKUlT_T0_E_clISt17integral_constantIbLb0EES17_IbLb1EEEEDaS13_S14_EUlS13_E_NS1_11comp_targetILNS1_3genE8ELNS1_11target_archE1030ELNS1_3gpuE2ELNS1_3repE0EEENS1_30default_config_static_selectorELNS0_4arch9wavefront6targetE1EEEvT1_.kd
    .uniform_work_group_size: 1
    .uses_dynamic_stack: false
    .vgpr_count:     0
    .vgpr_spill_count: 0
    .wavefront_size: 64
  - .agpr_count:     0
    .args:
      - .offset:         0
        .size:           56
        .value_kind:     by_value
    .group_segment_fixed_size: 0
    .kernarg_segment_align: 8
    .kernarg_segment_size: 56
    .language:       OpenCL C
    .language_version:
      - 2
      - 0
    .max_flat_workgroup_size: 256
    .name:           _ZN7rocprim17ROCPRIM_400000_NS6detail17trampoline_kernelINS0_14default_configENS1_22reduce_config_selectorIiEEZNS1_11reduce_implILb1ES3_PiS7_iN6hipcub16HIPCUB_304000_NS6detail34convert_binary_result_type_wrapperISt4plusIvENS9_22TransformInputIteratorIiN2at6native8internal21MapNumberOfTrueValuesEPKhlEEiEEEE10hipError_tPvRmT1_T2_T3_mT4_P12ihipStream_tbEUlT_E0_NS1_11comp_targetILNS1_3genE0ELNS1_11target_archE4294967295ELNS1_3gpuE0ELNS1_3repE0EEENS1_30default_config_static_selectorELNS0_4arch9wavefront6targetE1EEEvSQ_
    .private_segment_fixed_size: 0
    .sgpr_count:     4
    .sgpr_spill_count: 0
    .symbol:         _ZN7rocprim17ROCPRIM_400000_NS6detail17trampoline_kernelINS0_14default_configENS1_22reduce_config_selectorIiEEZNS1_11reduce_implILb1ES3_PiS7_iN6hipcub16HIPCUB_304000_NS6detail34convert_binary_result_type_wrapperISt4plusIvENS9_22TransformInputIteratorIiN2at6native8internal21MapNumberOfTrueValuesEPKhlEEiEEEE10hipError_tPvRmT1_T2_T3_mT4_P12ihipStream_tbEUlT_E0_NS1_11comp_targetILNS1_3genE0ELNS1_11target_archE4294967295ELNS1_3gpuE0ELNS1_3repE0EEENS1_30default_config_static_selectorELNS0_4arch9wavefront6targetE1EEEvSQ_.kd
    .uniform_work_group_size: 1
    .uses_dynamic_stack: false
    .vgpr_count:     0
    .vgpr_spill_count: 0
    .wavefront_size: 64
  - .agpr_count:     0
    .args:
      - .offset:         0
        .size:           56
        .value_kind:     by_value
    .group_segment_fixed_size: 0
    .kernarg_segment_align: 8
    .kernarg_segment_size: 56
    .language:       OpenCL C
    .language_version:
      - 2
      - 0
    .max_flat_workgroup_size: 256
    .name:           _ZN7rocprim17ROCPRIM_400000_NS6detail17trampoline_kernelINS0_14default_configENS1_22reduce_config_selectorIiEEZNS1_11reduce_implILb1ES3_PiS7_iN6hipcub16HIPCUB_304000_NS6detail34convert_binary_result_type_wrapperISt4plusIvENS9_22TransformInputIteratorIiN2at6native8internal21MapNumberOfTrueValuesEPKhlEEiEEEE10hipError_tPvRmT1_T2_T3_mT4_P12ihipStream_tbEUlT_E0_NS1_11comp_targetILNS1_3genE5ELNS1_11target_archE942ELNS1_3gpuE9ELNS1_3repE0EEENS1_30default_config_static_selectorELNS0_4arch9wavefront6targetE1EEEvSQ_
    .private_segment_fixed_size: 0
    .sgpr_count:     4
    .sgpr_spill_count: 0
    .symbol:         _ZN7rocprim17ROCPRIM_400000_NS6detail17trampoline_kernelINS0_14default_configENS1_22reduce_config_selectorIiEEZNS1_11reduce_implILb1ES3_PiS7_iN6hipcub16HIPCUB_304000_NS6detail34convert_binary_result_type_wrapperISt4plusIvENS9_22TransformInputIteratorIiN2at6native8internal21MapNumberOfTrueValuesEPKhlEEiEEEE10hipError_tPvRmT1_T2_T3_mT4_P12ihipStream_tbEUlT_E0_NS1_11comp_targetILNS1_3genE5ELNS1_11target_archE942ELNS1_3gpuE9ELNS1_3repE0EEENS1_30default_config_static_selectorELNS0_4arch9wavefront6targetE1EEEvSQ_.kd
    .uniform_work_group_size: 1
    .uses_dynamic_stack: false
    .vgpr_count:     0
    .vgpr_spill_count: 0
    .wavefront_size: 64
  - .agpr_count:     0
    .args:
      - .offset:         0
        .size:           56
        .value_kind:     by_value
    .group_segment_fixed_size: 16
    .kernarg_segment_align: 8
    .kernarg_segment_size: 56
    .language:       OpenCL C
    .language_version:
      - 2
      - 0
    .max_flat_workgroup_size: 128
    .name:           _ZN7rocprim17ROCPRIM_400000_NS6detail17trampoline_kernelINS0_14default_configENS1_22reduce_config_selectorIiEEZNS1_11reduce_implILb1ES3_PiS7_iN6hipcub16HIPCUB_304000_NS6detail34convert_binary_result_type_wrapperISt4plusIvENS9_22TransformInputIteratorIiN2at6native8internal21MapNumberOfTrueValuesEPKhlEEiEEEE10hipError_tPvRmT1_T2_T3_mT4_P12ihipStream_tbEUlT_E0_NS1_11comp_targetILNS1_3genE4ELNS1_11target_archE910ELNS1_3gpuE8ELNS1_3repE0EEENS1_30default_config_static_selectorELNS0_4arch9wavefront6targetE1EEEvSQ_
    .private_segment_fixed_size: 0
    .sgpr_count:     32
    .sgpr_spill_count: 0
    .symbol:         _ZN7rocprim17ROCPRIM_400000_NS6detail17trampoline_kernelINS0_14default_configENS1_22reduce_config_selectorIiEEZNS1_11reduce_implILb1ES3_PiS7_iN6hipcub16HIPCUB_304000_NS6detail34convert_binary_result_type_wrapperISt4plusIvENS9_22TransformInputIteratorIiN2at6native8internal21MapNumberOfTrueValuesEPKhlEEiEEEE10hipError_tPvRmT1_T2_T3_mT4_P12ihipStream_tbEUlT_E0_NS1_11comp_targetILNS1_3genE4ELNS1_11target_archE910ELNS1_3gpuE8ELNS1_3repE0EEENS1_30default_config_static_selectorELNS0_4arch9wavefront6targetE1EEEvSQ_.kd
    .uniform_work_group_size: 1
    .uses_dynamic_stack: false
    .vgpr_count:     13
    .vgpr_spill_count: 0
    .wavefront_size: 64
  - .agpr_count:     0
    .args:
      - .offset:         0
        .size:           56
        .value_kind:     by_value
    .group_segment_fixed_size: 0
    .kernarg_segment_align: 8
    .kernarg_segment_size: 56
    .language:       OpenCL C
    .language_version:
      - 2
      - 0
    .max_flat_workgroup_size: 256
    .name:           _ZN7rocprim17ROCPRIM_400000_NS6detail17trampoline_kernelINS0_14default_configENS1_22reduce_config_selectorIiEEZNS1_11reduce_implILb1ES3_PiS7_iN6hipcub16HIPCUB_304000_NS6detail34convert_binary_result_type_wrapperISt4plusIvENS9_22TransformInputIteratorIiN2at6native8internal21MapNumberOfTrueValuesEPKhlEEiEEEE10hipError_tPvRmT1_T2_T3_mT4_P12ihipStream_tbEUlT_E0_NS1_11comp_targetILNS1_3genE3ELNS1_11target_archE908ELNS1_3gpuE7ELNS1_3repE0EEENS1_30default_config_static_selectorELNS0_4arch9wavefront6targetE1EEEvSQ_
    .private_segment_fixed_size: 0
    .sgpr_count:     4
    .sgpr_spill_count: 0
    .symbol:         _ZN7rocprim17ROCPRIM_400000_NS6detail17trampoline_kernelINS0_14default_configENS1_22reduce_config_selectorIiEEZNS1_11reduce_implILb1ES3_PiS7_iN6hipcub16HIPCUB_304000_NS6detail34convert_binary_result_type_wrapperISt4plusIvENS9_22TransformInputIteratorIiN2at6native8internal21MapNumberOfTrueValuesEPKhlEEiEEEE10hipError_tPvRmT1_T2_T3_mT4_P12ihipStream_tbEUlT_E0_NS1_11comp_targetILNS1_3genE3ELNS1_11target_archE908ELNS1_3gpuE7ELNS1_3repE0EEENS1_30default_config_static_selectorELNS0_4arch9wavefront6targetE1EEEvSQ_.kd
    .uniform_work_group_size: 1
    .uses_dynamic_stack: false
    .vgpr_count:     0
    .vgpr_spill_count: 0
    .wavefront_size: 64
  - .agpr_count:     0
    .args:
      - .offset:         0
        .size:           56
        .value_kind:     by_value
    .group_segment_fixed_size: 0
    .kernarg_segment_align: 8
    .kernarg_segment_size: 56
    .language:       OpenCL C
    .language_version:
      - 2
      - 0
    .max_flat_workgroup_size: 256
    .name:           _ZN7rocprim17ROCPRIM_400000_NS6detail17trampoline_kernelINS0_14default_configENS1_22reduce_config_selectorIiEEZNS1_11reduce_implILb1ES3_PiS7_iN6hipcub16HIPCUB_304000_NS6detail34convert_binary_result_type_wrapperISt4plusIvENS9_22TransformInputIteratorIiN2at6native8internal21MapNumberOfTrueValuesEPKhlEEiEEEE10hipError_tPvRmT1_T2_T3_mT4_P12ihipStream_tbEUlT_E0_NS1_11comp_targetILNS1_3genE2ELNS1_11target_archE906ELNS1_3gpuE6ELNS1_3repE0EEENS1_30default_config_static_selectorELNS0_4arch9wavefront6targetE1EEEvSQ_
    .private_segment_fixed_size: 0
    .sgpr_count:     4
    .sgpr_spill_count: 0
    .symbol:         _ZN7rocprim17ROCPRIM_400000_NS6detail17trampoline_kernelINS0_14default_configENS1_22reduce_config_selectorIiEEZNS1_11reduce_implILb1ES3_PiS7_iN6hipcub16HIPCUB_304000_NS6detail34convert_binary_result_type_wrapperISt4plusIvENS9_22TransformInputIteratorIiN2at6native8internal21MapNumberOfTrueValuesEPKhlEEiEEEE10hipError_tPvRmT1_T2_T3_mT4_P12ihipStream_tbEUlT_E0_NS1_11comp_targetILNS1_3genE2ELNS1_11target_archE906ELNS1_3gpuE6ELNS1_3repE0EEENS1_30default_config_static_selectorELNS0_4arch9wavefront6targetE1EEEvSQ_.kd
    .uniform_work_group_size: 1
    .uses_dynamic_stack: false
    .vgpr_count:     0
    .vgpr_spill_count: 0
    .wavefront_size: 64
  - .agpr_count:     0
    .args:
      - .offset:         0
        .size:           56
        .value_kind:     by_value
    .group_segment_fixed_size: 0
    .kernarg_segment_align: 8
    .kernarg_segment_size: 56
    .language:       OpenCL C
    .language_version:
      - 2
      - 0
    .max_flat_workgroup_size: 256
    .name:           _ZN7rocprim17ROCPRIM_400000_NS6detail17trampoline_kernelINS0_14default_configENS1_22reduce_config_selectorIiEEZNS1_11reduce_implILb1ES3_PiS7_iN6hipcub16HIPCUB_304000_NS6detail34convert_binary_result_type_wrapperISt4plusIvENS9_22TransformInputIteratorIiN2at6native8internal21MapNumberOfTrueValuesEPKhlEEiEEEE10hipError_tPvRmT1_T2_T3_mT4_P12ihipStream_tbEUlT_E0_NS1_11comp_targetILNS1_3genE10ELNS1_11target_archE1201ELNS1_3gpuE5ELNS1_3repE0EEENS1_30default_config_static_selectorELNS0_4arch9wavefront6targetE1EEEvSQ_
    .private_segment_fixed_size: 0
    .sgpr_count:     4
    .sgpr_spill_count: 0
    .symbol:         _ZN7rocprim17ROCPRIM_400000_NS6detail17trampoline_kernelINS0_14default_configENS1_22reduce_config_selectorIiEEZNS1_11reduce_implILb1ES3_PiS7_iN6hipcub16HIPCUB_304000_NS6detail34convert_binary_result_type_wrapperISt4plusIvENS9_22TransformInputIteratorIiN2at6native8internal21MapNumberOfTrueValuesEPKhlEEiEEEE10hipError_tPvRmT1_T2_T3_mT4_P12ihipStream_tbEUlT_E0_NS1_11comp_targetILNS1_3genE10ELNS1_11target_archE1201ELNS1_3gpuE5ELNS1_3repE0EEENS1_30default_config_static_selectorELNS0_4arch9wavefront6targetE1EEEvSQ_.kd
    .uniform_work_group_size: 1
    .uses_dynamic_stack: false
    .vgpr_count:     0
    .vgpr_spill_count: 0
    .wavefront_size: 64
  - .agpr_count:     0
    .args:
      - .offset:         0
        .size:           56
        .value_kind:     by_value
    .group_segment_fixed_size: 0
    .kernarg_segment_align: 8
    .kernarg_segment_size: 56
    .language:       OpenCL C
    .language_version:
      - 2
      - 0
    .max_flat_workgroup_size: 256
    .name:           _ZN7rocprim17ROCPRIM_400000_NS6detail17trampoline_kernelINS0_14default_configENS1_22reduce_config_selectorIiEEZNS1_11reduce_implILb1ES3_PiS7_iN6hipcub16HIPCUB_304000_NS6detail34convert_binary_result_type_wrapperISt4plusIvENS9_22TransformInputIteratorIiN2at6native8internal21MapNumberOfTrueValuesEPKhlEEiEEEE10hipError_tPvRmT1_T2_T3_mT4_P12ihipStream_tbEUlT_E0_NS1_11comp_targetILNS1_3genE10ELNS1_11target_archE1200ELNS1_3gpuE4ELNS1_3repE0EEENS1_30default_config_static_selectorELNS0_4arch9wavefront6targetE1EEEvSQ_
    .private_segment_fixed_size: 0
    .sgpr_count:     4
    .sgpr_spill_count: 0
    .symbol:         _ZN7rocprim17ROCPRIM_400000_NS6detail17trampoline_kernelINS0_14default_configENS1_22reduce_config_selectorIiEEZNS1_11reduce_implILb1ES3_PiS7_iN6hipcub16HIPCUB_304000_NS6detail34convert_binary_result_type_wrapperISt4plusIvENS9_22TransformInputIteratorIiN2at6native8internal21MapNumberOfTrueValuesEPKhlEEiEEEE10hipError_tPvRmT1_T2_T3_mT4_P12ihipStream_tbEUlT_E0_NS1_11comp_targetILNS1_3genE10ELNS1_11target_archE1200ELNS1_3gpuE4ELNS1_3repE0EEENS1_30default_config_static_selectorELNS0_4arch9wavefront6targetE1EEEvSQ_.kd
    .uniform_work_group_size: 1
    .uses_dynamic_stack: false
    .vgpr_count:     0
    .vgpr_spill_count: 0
    .wavefront_size: 64
  - .agpr_count:     0
    .args:
      - .offset:         0
        .size:           56
        .value_kind:     by_value
    .group_segment_fixed_size: 0
    .kernarg_segment_align: 8
    .kernarg_segment_size: 56
    .language:       OpenCL C
    .language_version:
      - 2
      - 0
    .max_flat_workgroup_size: 256
    .name:           _ZN7rocprim17ROCPRIM_400000_NS6detail17trampoline_kernelINS0_14default_configENS1_22reduce_config_selectorIiEEZNS1_11reduce_implILb1ES3_PiS7_iN6hipcub16HIPCUB_304000_NS6detail34convert_binary_result_type_wrapperISt4plusIvENS9_22TransformInputIteratorIiN2at6native8internal21MapNumberOfTrueValuesEPKhlEEiEEEE10hipError_tPvRmT1_T2_T3_mT4_P12ihipStream_tbEUlT_E0_NS1_11comp_targetILNS1_3genE9ELNS1_11target_archE1100ELNS1_3gpuE3ELNS1_3repE0EEENS1_30default_config_static_selectorELNS0_4arch9wavefront6targetE1EEEvSQ_
    .private_segment_fixed_size: 0
    .sgpr_count:     4
    .sgpr_spill_count: 0
    .symbol:         _ZN7rocprim17ROCPRIM_400000_NS6detail17trampoline_kernelINS0_14default_configENS1_22reduce_config_selectorIiEEZNS1_11reduce_implILb1ES3_PiS7_iN6hipcub16HIPCUB_304000_NS6detail34convert_binary_result_type_wrapperISt4plusIvENS9_22TransformInputIteratorIiN2at6native8internal21MapNumberOfTrueValuesEPKhlEEiEEEE10hipError_tPvRmT1_T2_T3_mT4_P12ihipStream_tbEUlT_E0_NS1_11comp_targetILNS1_3genE9ELNS1_11target_archE1100ELNS1_3gpuE3ELNS1_3repE0EEENS1_30default_config_static_selectorELNS0_4arch9wavefront6targetE1EEEvSQ_.kd
    .uniform_work_group_size: 1
    .uses_dynamic_stack: false
    .vgpr_count:     0
    .vgpr_spill_count: 0
    .wavefront_size: 64
  - .agpr_count:     0
    .args:
      - .offset:         0
        .size:           56
        .value_kind:     by_value
    .group_segment_fixed_size: 0
    .kernarg_segment_align: 8
    .kernarg_segment_size: 56
    .language:       OpenCL C
    .language_version:
      - 2
      - 0
    .max_flat_workgroup_size: 256
    .name:           _ZN7rocprim17ROCPRIM_400000_NS6detail17trampoline_kernelINS0_14default_configENS1_22reduce_config_selectorIiEEZNS1_11reduce_implILb1ES3_PiS7_iN6hipcub16HIPCUB_304000_NS6detail34convert_binary_result_type_wrapperISt4plusIvENS9_22TransformInputIteratorIiN2at6native8internal21MapNumberOfTrueValuesEPKhlEEiEEEE10hipError_tPvRmT1_T2_T3_mT4_P12ihipStream_tbEUlT_E0_NS1_11comp_targetILNS1_3genE8ELNS1_11target_archE1030ELNS1_3gpuE2ELNS1_3repE0EEENS1_30default_config_static_selectorELNS0_4arch9wavefront6targetE1EEEvSQ_
    .private_segment_fixed_size: 0
    .sgpr_count:     4
    .sgpr_spill_count: 0
    .symbol:         _ZN7rocprim17ROCPRIM_400000_NS6detail17trampoline_kernelINS0_14default_configENS1_22reduce_config_selectorIiEEZNS1_11reduce_implILb1ES3_PiS7_iN6hipcub16HIPCUB_304000_NS6detail34convert_binary_result_type_wrapperISt4plusIvENS9_22TransformInputIteratorIiN2at6native8internal21MapNumberOfTrueValuesEPKhlEEiEEEE10hipError_tPvRmT1_T2_T3_mT4_P12ihipStream_tbEUlT_E0_NS1_11comp_targetILNS1_3genE8ELNS1_11target_archE1030ELNS1_3gpuE2ELNS1_3repE0EEENS1_30default_config_static_selectorELNS0_4arch9wavefront6targetE1EEEvSQ_.kd
    .uniform_work_group_size: 1
    .uses_dynamic_stack: false
    .vgpr_count:     0
    .vgpr_spill_count: 0
    .wavefront_size: 64
  - .agpr_count:     0
    .args:
      - .offset:         0
        .size:           40
        .value_kind:     by_value
    .group_segment_fixed_size: 0
    .kernarg_segment_align: 8
    .kernarg_segment_size: 40
    .language:       OpenCL C
    .language_version:
      - 2
      - 0
    .max_flat_workgroup_size: 256
    .name:           _ZN7rocprim17ROCPRIM_400000_NS6detail17trampoline_kernelINS0_14default_configENS1_22reduce_config_selectorIiEEZNS1_11reduce_implILb1ES3_PiS7_iN6hipcub16HIPCUB_304000_NS6detail34convert_binary_result_type_wrapperISt4plusIvENS9_22TransformInputIteratorIiN2at6native8internal21MapNumberOfTrueValuesEPKhlEEiEEEE10hipError_tPvRmT1_T2_T3_mT4_P12ihipStream_tbEUlT_E1_NS1_11comp_targetILNS1_3genE0ELNS1_11target_archE4294967295ELNS1_3gpuE0ELNS1_3repE0EEENS1_30default_config_static_selectorELNS0_4arch9wavefront6targetE1EEEvSQ_
    .private_segment_fixed_size: 0
    .sgpr_count:     4
    .sgpr_spill_count: 0
    .symbol:         _ZN7rocprim17ROCPRIM_400000_NS6detail17trampoline_kernelINS0_14default_configENS1_22reduce_config_selectorIiEEZNS1_11reduce_implILb1ES3_PiS7_iN6hipcub16HIPCUB_304000_NS6detail34convert_binary_result_type_wrapperISt4plusIvENS9_22TransformInputIteratorIiN2at6native8internal21MapNumberOfTrueValuesEPKhlEEiEEEE10hipError_tPvRmT1_T2_T3_mT4_P12ihipStream_tbEUlT_E1_NS1_11comp_targetILNS1_3genE0ELNS1_11target_archE4294967295ELNS1_3gpuE0ELNS1_3repE0EEENS1_30default_config_static_selectorELNS0_4arch9wavefront6targetE1EEEvSQ_.kd
    .uniform_work_group_size: 1
    .uses_dynamic_stack: false
    .vgpr_count:     0
    .vgpr_spill_count: 0
    .wavefront_size: 64
  - .agpr_count:     0
    .args:
      - .offset:         0
        .size:           40
        .value_kind:     by_value
    .group_segment_fixed_size: 0
    .kernarg_segment_align: 8
    .kernarg_segment_size: 40
    .language:       OpenCL C
    .language_version:
      - 2
      - 0
    .max_flat_workgroup_size: 256
    .name:           _ZN7rocprim17ROCPRIM_400000_NS6detail17trampoline_kernelINS0_14default_configENS1_22reduce_config_selectorIiEEZNS1_11reduce_implILb1ES3_PiS7_iN6hipcub16HIPCUB_304000_NS6detail34convert_binary_result_type_wrapperISt4plusIvENS9_22TransformInputIteratorIiN2at6native8internal21MapNumberOfTrueValuesEPKhlEEiEEEE10hipError_tPvRmT1_T2_T3_mT4_P12ihipStream_tbEUlT_E1_NS1_11comp_targetILNS1_3genE5ELNS1_11target_archE942ELNS1_3gpuE9ELNS1_3repE0EEENS1_30default_config_static_selectorELNS0_4arch9wavefront6targetE1EEEvSQ_
    .private_segment_fixed_size: 0
    .sgpr_count:     4
    .sgpr_spill_count: 0
    .symbol:         _ZN7rocprim17ROCPRIM_400000_NS6detail17trampoline_kernelINS0_14default_configENS1_22reduce_config_selectorIiEEZNS1_11reduce_implILb1ES3_PiS7_iN6hipcub16HIPCUB_304000_NS6detail34convert_binary_result_type_wrapperISt4plusIvENS9_22TransformInputIteratorIiN2at6native8internal21MapNumberOfTrueValuesEPKhlEEiEEEE10hipError_tPvRmT1_T2_T3_mT4_P12ihipStream_tbEUlT_E1_NS1_11comp_targetILNS1_3genE5ELNS1_11target_archE942ELNS1_3gpuE9ELNS1_3repE0EEENS1_30default_config_static_selectorELNS0_4arch9wavefront6targetE1EEEvSQ_.kd
    .uniform_work_group_size: 1
    .uses_dynamic_stack: false
    .vgpr_count:     0
    .vgpr_spill_count: 0
    .wavefront_size: 64
  - .agpr_count:     0
    .args:
      - .offset:         0
        .size:           40
        .value_kind:     by_value
    .group_segment_fixed_size: 56
    .kernarg_segment_align: 8
    .kernarg_segment_size: 40
    .language:       OpenCL C
    .language_version:
      - 2
      - 0
    .max_flat_workgroup_size: 128
    .name:           _ZN7rocprim17ROCPRIM_400000_NS6detail17trampoline_kernelINS0_14default_configENS1_22reduce_config_selectorIiEEZNS1_11reduce_implILb1ES3_PiS7_iN6hipcub16HIPCUB_304000_NS6detail34convert_binary_result_type_wrapperISt4plusIvENS9_22TransformInputIteratorIiN2at6native8internal21MapNumberOfTrueValuesEPKhlEEiEEEE10hipError_tPvRmT1_T2_T3_mT4_P12ihipStream_tbEUlT_E1_NS1_11comp_targetILNS1_3genE4ELNS1_11target_archE910ELNS1_3gpuE8ELNS1_3repE0EEENS1_30default_config_static_selectorELNS0_4arch9wavefront6targetE1EEEvSQ_
    .private_segment_fixed_size: 0
    .sgpr_count:     47
    .sgpr_spill_count: 0
    .symbol:         _ZN7rocprim17ROCPRIM_400000_NS6detail17trampoline_kernelINS0_14default_configENS1_22reduce_config_selectorIiEEZNS1_11reduce_implILb1ES3_PiS7_iN6hipcub16HIPCUB_304000_NS6detail34convert_binary_result_type_wrapperISt4plusIvENS9_22TransformInputIteratorIiN2at6native8internal21MapNumberOfTrueValuesEPKhlEEiEEEE10hipError_tPvRmT1_T2_T3_mT4_P12ihipStream_tbEUlT_E1_NS1_11comp_targetILNS1_3genE4ELNS1_11target_archE910ELNS1_3gpuE8ELNS1_3repE0EEENS1_30default_config_static_selectorELNS0_4arch9wavefront6targetE1EEEvSQ_.kd
    .uniform_work_group_size: 1
    .uses_dynamic_stack: false
    .vgpr_count:     35
    .vgpr_spill_count: 0
    .wavefront_size: 64
  - .agpr_count:     0
    .args:
      - .offset:         0
        .size:           40
        .value_kind:     by_value
    .group_segment_fixed_size: 0
    .kernarg_segment_align: 8
    .kernarg_segment_size: 40
    .language:       OpenCL C
    .language_version:
      - 2
      - 0
    .max_flat_workgroup_size: 256
    .name:           _ZN7rocprim17ROCPRIM_400000_NS6detail17trampoline_kernelINS0_14default_configENS1_22reduce_config_selectorIiEEZNS1_11reduce_implILb1ES3_PiS7_iN6hipcub16HIPCUB_304000_NS6detail34convert_binary_result_type_wrapperISt4plusIvENS9_22TransformInputIteratorIiN2at6native8internal21MapNumberOfTrueValuesEPKhlEEiEEEE10hipError_tPvRmT1_T2_T3_mT4_P12ihipStream_tbEUlT_E1_NS1_11comp_targetILNS1_3genE3ELNS1_11target_archE908ELNS1_3gpuE7ELNS1_3repE0EEENS1_30default_config_static_selectorELNS0_4arch9wavefront6targetE1EEEvSQ_
    .private_segment_fixed_size: 0
    .sgpr_count:     4
    .sgpr_spill_count: 0
    .symbol:         _ZN7rocprim17ROCPRIM_400000_NS6detail17trampoline_kernelINS0_14default_configENS1_22reduce_config_selectorIiEEZNS1_11reduce_implILb1ES3_PiS7_iN6hipcub16HIPCUB_304000_NS6detail34convert_binary_result_type_wrapperISt4plusIvENS9_22TransformInputIteratorIiN2at6native8internal21MapNumberOfTrueValuesEPKhlEEiEEEE10hipError_tPvRmT1_T2_T3_mT4_P12ihipStream_tbEUlT_E1_NS1_11comp_targetILNS1_3genE3ELNS1_11target_archE908ELNS1_3gpuE7ELNS1_3repE0EEENS1_30default_config_static_selectorELNS0_4arch9wavefront6targetE1EEEvSQ_.kd
    .uniform_work_group_size: 1
    .uses_dynamic_stack: false
    .vgpr_count:     0
    .vgpr_spill_count: 0
    .wavefront_size: 64
  - .agpr_count:     0
    .args:
      - .offset:         0
        .size:           40
        .value_kind:     by_value
    .group_segment_fixed_size: 0
    .kernarg_segment_align: 8
    .kernarg_segment_size: 40
    .language:       OpenCL C
    .language_version:
      - 2
      - 0
    .max_flat_workgroup_size: 256
    .name:           _ZN7rocprim17ROCPRIM_400000_NS6detail17trampoline_kernelINS0_14default_configENS1_22reduce_config_selectorIiEEZNS1_11reduce_implILb1ES3_PiS7_iN6hipcub16HIPCUB_304000_NS6detail34convert_binary_result_type_wrapperISt4plusIvENS9_22TransformInputIteratorIiN2at6native8internal21MapNumberOfTrueValuesEPKhlEEiEEEE10hipError_tPvRmT1_T2_T3_mT4_P12ihipStream_tbEUlT_E1_NS1_11comp_targetILNS1_3genE2ELNS1_11target_archE906ELNS1_3gpuE6ELNS1_3repE0EEENS1_30default_config_static_selectorELNS0_4arch9wavefront6targetE1EEEvSQ_
    .private_segment_fixed_size: 0
    .sgpr_count:     4
    .sgpr_spill_count: 0
    .symbol:         _ZN7rocprim17ROCPRIM_400000_NS6detail17trampoline_kernelINS0_14default_configENS1_22reduce_config_selectorIiEEZNS1_11reduce_implILb1ES3_PiS7_iN6hipcub16HIPCUB_304000_NS6detail34convert_binary_result_type_wrapperISt4plusIvENS9_22TransformInputIteratorIiN2at6native8internal21MapNumberOfTrueValuesEPKhlEEiEEEE10hipError_tPvRmT1_T2_T3_mT4_P12ihipStream_tbEUlT_E1_NS1_11comp_targetILNS1_3genE2ELNS1_11target_archE906ELNS1_3gpuE6ELNS1_3repE0EEENS1_30default_config_static_selectorELNS0_4arch9wavefront6targetE1EEEvSQ_.kd
    .uniform_work_group_size: 1
    .uses_dynamic_stack: false
    .vgpr_count:     0
    .vgpr_spill_count: 0
    .wavefront_size: 64
  - .agpr_count:     0
    .args:
      - .offset:         0
        .size:           40
        .value_kind:     by_value
    .group_segment_fixed_size: 0
    .kernarg_segment_align: 8
    .kernarg_segment_size: 40
    .language:       OpenCL C
    .language_version:
      - 2
      - 0
    .max_flat_workgroup_size: 256
    .name:           _ZN7rocprim17ROCPRIM_400000_NS6detail17trampoline_kernelINS0_14default_configENS1_22reduce_config_selectorIiEEZNS1_11reduce_implILb1ES3_PiS7_iN6hipcub16HIPCUB_304000_NS6detail34convert_binary_result_type_wrapperISt4plusIvENS9_22TransformInputIteratorIiN2at6native8internal21MapNumberOfTrueValuesEPKhlEEiEEEE10hipError_tPvRmT1_T2_T3_mT4_P12ihipStream_tbEUlT_E1_NS1_11comp_targetILNS1_3genE10ELNS1_11target_archE1201ELNS1_3gpuE5ELNS1_3repE0EEENS1_30default_config_static_selectorELNS0_4arch9wavefront6targetE1EEEvSQ_
    .private_segment_fixed_size: 0
    .sgpr_count:     4
    .sgpr_spill_count: 0
    .symbol:         _ZN7rocprim17ROCPRIM_400000_NS6detail17trampoline_kernelINS0_14default_configENS1_22reduce_config_selectorIiEEZNS1_11reduce_implILb1ES3_PiS7_iN6hipcub16HIPCUB_304000_NS6detail34convert_binary_result_type_wrapperISt4plusIvENS9_22TransformInputIteratorIiN2at6native8internal21MapNumberOfTrueValuesEPKhlEEiEEEE10hipError_tPvRmT1_T2_T3_mT4_P12ihipStream_tbEUlT_E1_NS1_11comp_targetILNS1_3genE10ELNS1_11target_archE1201ELNS1_3gpuE5ELNS1_3repE0EEENS1_30default_config_static_selectorELNS0_4arch9wavefront6targetE1EEEvSQ_.kd
    .uniform_work_group_size: 1
    .uses_dynamic_stack: false
    .vgpr_count:     0
    .vgpr_spill_count: 0
    .wavefront_size: 64
  - .agpr_count:     0
    .args:
      - .offset:         0
        .size:           40
        .value_kind:     by_value
    .group_segment_fixed_size: 0
    .kernarg_segment_align: 8
    .kernarg_segment_size: 40
    .language:       OpenCL C
    .language_version:
      - 2
      - 0
    .max_flat_workgroup_size: 256
    .name:           _ZN7rocprim17ROCPRIM_400000_NS6detail17trampoline_kernelINS0_14default_configENS1_22reduce_config_selectorIiEEZNS1_11reduce_implILb1ES3_PiS7_iN6hipcub16HIPCUB_304000_NS6detail34convert_binary_result_type_wrapperISt4plusIvENS9_22TransformInputIteratorIiN2at6native8internal21MapNumberOfTrueValuesEPKhlEEiEEEE10hipError_tPvRmT1_T2_T3_mT4_P12ihipStream_tbEUlT_E1_NS1_11comp_targetILNS1_3genE10ELNS1_11target_archE1200ELNS1_3gpuE4ELNS1_3repE0EEENS1_30default_config_static_selectorELNS0_4arch9wavefront6targetE1EEEvSQ_
    .private_segment_fixed_size: 0
    .sgpr_count:     4
    .sgpr_spill_count: 0
    .symbol:         _ZN7rocprim17ROCPRIM_400000_NS6detail17trampoline_kernelINS0_14default_configENS1_22reduce_config_selectorIiEEZNS1_11reduce_implILb1ES3_PiS7_iN6hipcub16HIPCUB_304000_NS6detail34convert_binary_result_type_wrapperISt4plusIvENS9_22TransformInputIteratorIiN2at6native8internal21MapNumberOfTrueValuesEPKhlEEiEEEE10hipError_tPvRmT1_T2_T3_mT4_P12ihipStream_tbEUlT_E1_NS1_11comp_targetILNS1_3genE10ELNS1_11target_archE1200ELNS1_3gpuE4ELNS1_3repE0EEENS1_30default_config_static_selectorELNS0_4arch9wavefront6targetE1EEEvSQ_.kd
    .uniform_work_group_size: 1
    .uses_dynamic_stack: false
    .vgpr_count:     0
    .vgpr_spill_count: 0
    .wavefront_size: 64
  - .agpr_count:     0
    .args:
      - .offset:         0
        .size:           40
        .value_kind:     by_value
    .group_segment_fixed_size: 0
    .kernarg_segment_align: 8
    .kernarg_segment_size: 40
    .language:       OpenCL C
    .language_version:
      - 2
      - 0
    .max_flat_workgroup_size: 256
    .name:           _ZN7rocprim17ROCPRIM_400000_NS6detail17trampoline_kernelINS0_14default_configENS1_22reduce_config_selectorIiEEZNS1_11reduce_implILb1ES3_PiS7_iN6hipcub16HIPCUB_304000_NS6detail34convert_binary_result_type_wrapperISt4plusIvENS9_22TransformInputIteratorIiN2at6native8internal21MapNumberOfTrueValuesEPKhlEEiEEEE10hipError_tPvRmT1_T2_T3_mT4_P12ihipStream_tbEUlT_E1_NS1_11comp_targetILNS1_3genE9ELNS1_11target_archE1100ELNS1_3gpuE3ELNS1_3repE0EEENS1_30default_config_static_selectorELNS0_4arch9wavefront6targetE1EEEvSQ_
    .private_segment_fixed_size: 0
    .sgpr_count:     4
    .sgpr_spill_count: 0
    .symbol:         _ZN7rocprim17ROCPRIM_400000_NS6detail17trampoline_kernelINS0_14default_configENS1_22reduce_config_selectorIiEEZNS1_11reduce_implILb1ES3_PiS7_iN6hipcub16HIPCUB_304000_NS6detail34convert_binary_result_type_wrapperISt4plusIvENS9_22TransformInputIteratorIiN2at6native8internal21MapNumberOfTrueValuesEPKhlEEiEEEE10hipError_tPvRmT1_T2_T3_mT4_P12ihipStream_tbEUlT_E1_NS1_11comp_targetILNS1_3genE9ELNS1_11target_archE1100ELNS1_3gpuE3ELNS1_3repE0EEENS1_30default_config_static_selectorELNS0_4arch9wavefront6targetE1EEEvSQ_.kd
    .uniform_work_group_size: 1
    .uses_dynamic_stack: false
    .vgpr_count:     0
    .vgpr_spill_count: 0
    .wavefront_size: 64
  - .agpr_count:     0
    .args:
      - .offset:         0
        .size:           40
        .value_kind:     by_value
    .group_segment_fixed_size: 0
    .kernarg_segment_align: 8
    .kernarg_segment_size: 40
    .language:       OpenCL C
    .language_version:
      - 2
      - 0
    .max_flat_workgroup_size: 256
    .name:           _ZN7rocprim17ROCPRIM_400000_NS6detail17trampoline_kernelINS0_14default_configENS1_22reduce_config_selectorIiEEZNS1_11reduce_implILb1ES3_PiS7_iN6hipcub16HIPCUB_304000_NS6detail34convert_binary_result_type_wrapperISt4plusIvENS9_22TransformInputIteratorIiN2at6native8internal21MapNumberOfTrueValuesEPKhlEEiEEEE10hipError_tPvRmT1_T2_T3_mT4_P12ihipStream_tbEUlT_E1_NS1_11comp_targetILNS1_3genE8ELNS1_11target_archE1030ELNS1_3gpuE2ELNS1_3repE0EEENS1_30default_config_static_selectorELNS0_4arch9wavefront6targetE1EEEvSQ_
    .private_segment_fixed_size: 0
    .sgpr_count:     4
    .sgpr_spill_count: 0
    .symbol:         _ZN7rocprim17ROCPRIM_400000_NS6detail17trampoline_kernelINS0_14default_configENS1_22reduce_config_selectorIiEEZNS1_11reduce_implILb1ES3_PiS7_iN6hipcub16HIPCUB_304000_NS6detail34convert_binary_result_type_wrapperISt4plusIvENS9_22TransformInputIteratorIiN2at6native8internal21MapNumberOfTrueValuesEPKhlEEiEEEE10hipError_tPvRmT1_T2_T3_mT4_P12ihipStream_tbEUlT_E1_NS1_11comp_targetILNS1_3genE8ELNS1_11target_archE1030ELNS1_3gpuE2ELNS1_3repE0EEENS1_30default_config_static_selectorELNS0_4arch9wavefront6targetE1EEEvSQ_.kd
    .uniform_work_group_size: 1
    .uses_dynamic_stack: false
    .vgpr_count:     0
    .vgpr_spill_count: 0
    .wavefront_size: 64
  - .agpr_count:     0
    .args:
      - .offset:         0
        .size:           64
        .value_kind:     by_value
    .group_segment_fixed_size: 0
    .kernarg_segment_align: 8
    .kernarg_segment_size: 64
    .language:       OpenCL C
    .language_version:
      - 2
      - 0
    .max_flat_workgroup_size: 256
    .name:           _ZN7rocprim17ROCPRIM_400000_NS6detail17trampoline_kernelINS0_14default_configENS1_22reduce_config_selectorIiEEZNS1_11reduce_implILb1ES3_N6hipcub16HIPCUB_304000_NS22TransformInputIteratorIiN2at6native8internal21MapNumberOfTrueValuesEPKhlEEPiiNS8_6detail34convert_binary_result_type_wrapperISt4plusIvESG_iEEEE10hipError_tPvRmT1_T2_T3_mT4_P12ihipStream_tbEUlT_E0_NS1_11comp_targetILNS1_3genE0ELNS1_11target_archE4294967295ELNS1_3gpuE0ELNS1_3repE0EEENS1_30default_config_static_selectorELNS0_4arch9wavefront6targetE1EEEvSQ_
    .private_segment_fixed_size: 0
    .sgpr_count:     4
    .sgpr_spill_count: 0
    .symbol:         _ZN7rocprim17ROCPRIM_400000_NS6detail17trampoline_kernelINS0_14default_configENS1_22reduce_config_selectorIiEEZNS1_11reduce_implILb1ES3_N6hipcub16HIPCUB_304000_NS22TransformInputIteratorIiN2at6native8internal21MapNumberOfTrueValuesEPKhlEEPiiNS8_6detail34convert_binary_result_type_wrapperISt4plusIvESG_iEEEE10hipError_tPvRmT1_T2_T3_mT4_P12ihipStream_tbEUlT_E0_NS1_11comp_targetILNS1_3genE0ELNS1_11target_archE4294967295ELNS1_3gpuE0ELNS1_3repE0EEENS1_30default_config_static_selectorELNS0_4arch9wavefront6targetE1EEEvSQ_.kd
    .uniform_work_group_size: 1
    .uses_dynamic_stack: false
    .vgpr_count:     0
    .vgpr_spill_count: 0
    .wavefront_size: 64
  - .agpr_count:     0
    .args:
      - .offset:         0
        .size:           64
        .value_kind:     by_value
    .group_segment_fixed_size: 0
    .kernarg_segment_align: 8
    .kernarg_segment_size: 64
    .language:       OpenCL C
    .language_version:
      - 2
      - 0
    .max_flat_workgroup_size: 256
    .name:           _ZN7rocprim17ROCPRIM_400000_NS6detail17trampoline_kernelINS0_14default_configENS1_22reduce_config_selectorIiEEZNS1_11reduce_implILb1ES3_N6hipcub16HIPCUB_304000_NS22TransformInputIteratorIiN2at6native8internal21MapNumberOfTrueValuesEPKhlEEPiiNS8_6detail34convert_binary_result_type_wrapperISt4plusIvESG_iEEEE10hipError_tPvRmT1_T2_T3_mT4_P12ihipStream_tbEUlT_E0_NS1_11comp_targetILNS1_3genE5ELNS1_11target_archE942ELNS1_3gpuE9ELNS1_3repE0EEENS1_30default_config_static_selectorELNS0_4arch9wavefront6targetE1EEEvSQ_
    .private_segment_fixed_size: 0
    .sgpr_count:     4
    .sgpr_spill_count: 0
    .symbol:         _ZN7rocprim17ROCPRIM_400000_NS6detail17trampoline_kernelINS0_14default_configENS1_22reduce_config_selectorIiEEZNS1_11reduce_implILb1ES3_N6hipcub16HIPCUB_304000_NS22TransformInputIteratorIiN2at6native8internal21MapNumberOfTrueValuesEPKhlEEPiiNS8_6detail34convert_binary_result_type_wrapperISt4plusIvESG_iEEEE10hipError_tPvRmT1_T2_T3_mT4_P12ihipStream_tbEUlT_E0_NS1_11comp_targetILNS1_3genE5ELNS1_11target_archE942ELNS1_3gpuE9ELNS1_3repE0EEENS1_30default_config_static_selectorELNS0_4arch9wavefront6targetE1EEEvSQ_.kd
    .uniform_work_group_size: 1
    .uses_dynamic_stack: false
    .vgpr_count:     0
    .vgpr_spill_count: 0
    .wavefront_size: 64
  - .agpr_count:     0
    .args:
      - .offset:         0
        .size:           64
        .value_kind:     by_value
    .group_segment_fixed_size: 16
    .kernarg_segment_align: 8
    .kernarg_segment_size: 64
    .language:       OpenCL C
    .language_version:
      - 2
      - 0
    .max_flat_workgroup_size: 128
    .name:           _ZN7rocprim17ROCPRIM_400000_NS6detail17trampoline_kernelINS0_14default_configENS1_22reduce_config_selectorIiEEZNS1_11reduce_implILb1ES3_N6hipcub16HIPCUB_304000_NS22TransformInputIteratorIiN2at6native8internal21MapNumberOfTrueValuesEPKhlEEPiiNS8_6detail34convert_binary_result_type_wrapperISt4plusIvESG_iEEEE10hipError_tPvRmT1_T2_T3_mT4_P12ihipStream_tbEUlT_E0_NS1_11comp_targetILNS1_3genE4ELNS1_11target_archE910ELNS1_3gpuE8ELNS1_3repE0EEENS1_30default_config_static_selectorELNS0_4arch9wavefront6targetE1EEEvSQ_
    .private_segment_fixed_size: 0
    .sgpr_count:     32
    .sgpr_spill_count: 0
    .symbol:         _ZN7rocprim17ROCPRIM_400000_NS6detail17trampoline_kernelINS0_14default_configENS1_22reduce_config_selectorIiEEZNS1_11reduce_implILb1ES3_N6hipcub16HIPCUB_304000_NS22TransformInputIteratorIiN2at6native8internal21MapNumberOfTrueValuesEPKhlEEPiiNS8_6detail34convert_binary_result_type_wrapperISt4plusIvESG_iEEEE10hipError_tPvRmT1_T2_T3_mT4_P12ihipStream_tbEUlT_E0_NS1_11comp_targetILNS1_3genE4ELNS1_11target_archE910ELNS1_3gpuE8ELNS1_3repE0EEENS1_30default_config_static_selectorELNS0_4arch9wavefront6targetE1EEEvSQ_.kd
    .uniform_work_group_size: 1
    .uses_dynamic_stack: false
    .vgpr_count:     12
    .vgpr_spill_count: 0
    .wavefront_size: 64
  - .agpr_count:     0
    .args:
      - .offset:         0
        .size:           64
        .value_kind:     by_value
    .group_segment_fixed_size: 0
    .kernarg_segment_align: 8
    .kernarg_segment_size: 64
    .language:       OpenCL C
    .language_version:
      - 2
      - 0
    .max_flat_workgroup_size: 256
    .name:           _ZN7rocprim17ROCPRIM_400000_NS6detail17trampoline_kernelINS0_14default_configENS1_22reduce_config_selectorIiEEZNS1_11reduce_implILb1ES3_N6hipcub16HIPCUB_304000_NS22TransformInputIteratorIiN2at6native8internal21MapNumberOfTrueValuesEPKhlEEPiiNS8_6detail34convert_binary_result_type_wrapperISt4plusIvESG_iEEEE10hipError_tPvRmT1_T2_T3_mT4_P12ihipStream_tbEUlT_E0_NS1_11comp_targetILNS1_3genE3ELNS1_11target_archE908ELNS1_3gpuE7ELNS1_3repE0EEENS1_30default_config_static_selectorELNS0_4arch9wavefront6targetE1EEEvSQ_
    .private_segment_fixed_size: 0
    .sgpr_count:     4
    .sgpr_spill_count: 0
    .symbol:         _ZN7rocprim17ROCPRIM_400000_NS6detail17trampoline_kernelINS0_14default_configENS1_22reduce_config_selectorIiEEZNS1_11reduce_implILb1ES3_N6hipcub16HIPCUB_304000_NS22TransformInputIteratorIiN2at6native8internal21MapNumberOfTrueValuesEPKhlEEPiiNS8_6detail34convert_binary_result_type_wrapperISt4plusIvESG_iEEEE10hipError_tPvRmT1_T2_T3_mT4_P12ihipStream_tbEUlT_E0_NS1_11comp_targetILNS1_3genE3ELNS1_11target_archE908ELNS1_3gpuE7ELNS1_3repE0EEENS1_30default_config_static_selectorELNS0_4arch9wavefront6targetE1EEEvSQ_.kd
    .uniform_work_group_size: 1
    .uses_dynamic_stack: false
    .vgpr_count:     0
    .vgpr_spill_count: 0
    .wavefront_size: 64
  - .agpr_count:     0
    .args:
      - .offset:         0
        .size:           64
        .value_kind:     by_value
    .group_segment_fixed_size: 0
    .kernarg_segment_align: 8
    .kernarg_segment_size: 64
    .language:       OpenCL C
    .language_version:
      - 2
      - 0
    .max_flat_workgroup_size: 256
    .name:           _ZN7rocprim17ROCPRIM_400000_NS6detail17trampoline_kernelINS0_14default_configENS1_22reduce_config_selectorIiEEZNS1_11reduce_implILb1ES3_N6hipcub16HIPCUB_304000_NS22TransformInputIteratorIiN2at6native8internal21MapNumberOfTrueValuesEPKhlEEPiiNS8_6detail34convert_binary_result_type_wrapperISt4plusIvESG_iEEEE10hipError_tPvRmT1_T2_T3_mT4_P12ihipStream_tbEUlT_E0_NS1_11comp_targetILNS1_3genE2ELNS1_11target_archE906ELNS1_3gpuE6ELNS1_3repE0EEENS1_30default_config_static_selectorELNS0_4arch9wavefront6targetE1EEEvSQ_
    .private_segment_fixed_size: 0
    .sgpr_count:     4
    .sgpr_spill_count: 0
    .symbol:         _ZN7rocprim17ROCPRIM_400000_NS6detail17trampoline_kernelINS0_14default_configENS1_22reduce_config_selectorIiEEZNS1_11reduce_implILb1ES3_N6hipcub16HIPCUB_304000_NS22TransformInputIteratorIiN2at6native8internal21MapNumberOfTrueValuesEPKhlEEPiiNS8_6detail34convert_binary_result_type_wrapperISt4plusIvESG_iEEEE10hipError_tPvRmT1_T2_T3_mT4_P12ihipStream_tbEUlT_E0_NS1_11comp_targetILNS1_3genE2ELNS1_11target_archE906ELNS1_3gpuE6ELNS1_3repE0EEENS1_30default_config_static_selectorELNS0_4arch9wavefront6targetE1EEEvSQ_.kd
    .uniform_work_group_size: 1
    .uses_dynamic_stack: false
    .vgpr_count:     0
    .vgpr_spill_count: 0
    .wavefront_size: 64
  - .agpr_count:     0
    .args:
      - .offset:         0
        .size:           64
        .value_kind:     by_value
    .group_segment_fixed_size: 0
    .kernarg_segment_align: 8
    .kernarg_segment_size: 64
    .language:       OpenCL C
    .language_version:
      - 2
      - 0
    .max_flat_workgroup_size: 256
    .name:           _ZN7rocprim17ROCPRIM_400000_NS6detail17trampoline_kernelINS0_14default_configENS1_22reduce_config_selectorIiEEZNS1_11reduce_implILb1ES3_N6hipcub16HIPCUB_304000_NS22TransformInputIteratorIiN2at6native8internal21MapNumberOfTrueValuesEPKhlEEPiiNS8_6detail34convert_binary_result_type_wrapperISt4plusIvESG_iEEEE10hipError_tPvRmT1_T2_T3_mT4_P12ihipStream_tbEUlT_E0_NS1_11comp_targetILNS1_3genE10ELNS1_11target_archE1201ELNS1_3gpuE5ELNS1_3repE0EEENS1_30default_config_static_selectorELNS0_4arch9wavefront6targetE1EEEvSQ_
    .private_segment_fixed_size: 0
    .sgpr_count:     4
    .sgpr_spill_count: 0
    .symbol:         _ZN7rocprim17ROCPRIM_400000_NS6detail17trampoline_kernelINS0_14default_configENS1_22reduce_config_selectorIiEEZNS1_11reduce_implILb1ES3_N6hipcub16HIPCUB_304000_NS22TransformInputIteratorIiN2at6native8internal21MapNumberOfTrueValuesEPKhlEEPiiNS8_6detail34convert_binary_result_type_wrapperISt4plusIvESG_iEEEE10hipError_tPvRmT1_T2_T3_mT4_P12ihipStream_tbEUlT_E0_NS1_11comp_targetILNS1_3genE10ELNS1_11target_archE1201ELNS1_3gpuE5ELNS1_3repE0EEENS1_30default_config_static_selectorELNS0_4arch9wavefront6targetE1EEEvSQ_.kd
    .uniform_work_group_size: 1
    .uses_dynamic_stack: false
    .vgpr_count:     0
    .vgpr_spill_count: 0
    .wavefront_size: 64
  - .agpr_count:     0
    .args:
      - .offset:         0
        .size:           64
        .value_kind:     by_value
    .group_segment_fixed_size: 0
    .kernarg_segment_align: 8
    .kernarg_segment_size: 64
    .language:       OpenCL C
    .language_version:
      - 2
      - 0
    .max_flat_workgroup_size: 256
    .name:           _ZN7rocprim17ROCPRIM_400000_NS6detail17trampoline_kernelINS0_14default_configENS1_22reduce_config_selectorIiEEZNS1_11reduce_implILb1ES3_N6hipcub16HIPCUB_304000_NS22TransformInputIteratorIiN2at6native8internal21MapNumberOfTrueValuesEPKhlEEPiiNS8_6detail34convert_binary_result_type_wrapperISt4plusIvESG_iEEEE10hipError_tPvRmT1_T2_T3_mT4_P12ihipStream_tbEUlT_E0_NS1_11comp_targetILNS1_3genE10ELNS1_11target_archE1200ELNS1_3gpuE4ELNS1_3repE0EEENS1_30default_config_static_selectorELNS0_4arch9wavefront6targetE1EEEvSQ_
    .private_segment_fixed_size: 0
    .sgpr_count:     4
    .sgpr_spill_count: 0
    .symbol:         _ZN7rocprim17ROCPRIM_400000_NS6detail17trampoline_kernelINS0_14default_configENS1_22reduce_config_selectorIiEEZNS1_11reduce_implILb1ES3_N6hipcub16HIPCUB_304000_NS22TransformInputIteratorIiN2at6native8internal21MapNumberOfTrueValuesEPKhlEEPiiNS8_6detail34convert_binary_result_type_wrapperISt4plusIvESG_iEEEE10hipError_tPvRmT1_T2_T3_mT4_P12ihipStream_tbEUlT_E0_NS1_11comp_targetILNS1_3genE10ELNS1_11target_archE1200ELNS1_3gpuE4ELNS1_3repE0EEENS1_30default_config_static_selectorELNS0_4arch9wavefront6targetE1EEEvSQ_.kd
    .uniform_work_group_size: 1
    .uses_dynamic_stack: false
    .vgpr_count:     0
    .vgpr_spill_count: 0
    .wavefront_size: 64
  - .agpr_count:     0
    .args:
      - .offset:         0
        .size:           64
        .value_kind:     by_value
    .group_segment_fixed_size: 0
    .kernarg_segment_align: 8
    .kernarg_segment_size: 64
    .language:       OpenCL C
    .language_version:
      - 2
      - 0
    .max_flat_workgroup_size: 256
    .name:           _ZN7rocprim17ROCPRIM_400000_NS6detail17trampoline_kernelINS0_14default_configENS1_22reduce_config_selectorIiEEZNS1_11reduce_implILb1ES3_N6hipcub16HIPCUB_304000_NS22TransformInputIteratorIiN2at6native8internal21MapNumberOfTrueValuesEPKhlEEPiiNS8_6detail34convert_binary_result_type_wrapperISt4plusIvESG_iEEEE10hipError_tPvRmT1_T2_T3_mT4_P12ihipStream_tbEUlT_E0_NS1_11comp_targetILNS1_3genE9ELNS1_11target_archE1100ELNS1_3gpuE3ELNS1_3repE0EEENS1_30default_config_static_selectorELNS0_4arch9wavefront6targetE1EEEvSQ_
    .private_segment_fixed_size: 0
    .sgpr_count:     4
    .sgpr_spill_count: 0
    .symbol:         _ZN7rocprim17ROCPRIM_400000_NS6detail17trampoline_kernelINS0_14default_configENS1_22reduce_config_selectorIiEEZNS1_11reduce_implILb1ES3_N6hipcub16HIPCUB_304000_NS22TransformInputIteratorIiN2at6native8internal21MapNumberOfTrueValuesEPKhlEEPiiNS8_6detail34convert_binary_result_type_wrapperISt4plusIvESG_iEEEE10hipError_tPvRmT1_T2_T3_mT4_P12ihipStream_tbEUlT_E0_NS1_11comp_targetILNS1_3genE9ELNS1_11target_archE1100ELNS1_3gpuE3ELNS1_3repE0EEENS1_30default_config_static_selectorELNS0_4arch9wavefront6targetE1EEEvSQ_.kd
    .uniform_work_group_size: 1
    .uses_dynamic_stack: false
    .vgpr_count:     0
    .vgpr_spill_count: 0
    .wavefront_size: 64
  - .agpr_count:     0
    .args:
      - .offset:         0
        .size:           64
        .value_kind:     by_value
    .group_segment_fixed_size: 0
    .kernarg_segment_align: 8
    .kernarg_segment_size: 64
    .language:       OpenCL C
    .language_version:
      - 2
      - 0
    .max_flat_workgroup_size: 256
    .name:           _ZN7rocprim17ROCPRIM_400000_NS6detail17trampoline_kernelINS0_14default_configENS1_22reduce_config_selectorIiEEZNS1_11reduce_implILb1ES3_N6hipcub16HIPCUB_304000_NS22TransformInputIteratorIiN2at6native8internal21MapNumberOfTrueValuesEPKhlEEPiiNS8_6detail34convert_binary_result_type_wrapperISt4plusIvESG_iEEEE10hipError_tPvRmT1_T2_T3_mT4_P12ihipStream_tbEUlT_E0_NS1_11comp_targetILNS1_3genE8ELNS1_11target_archE1030ELNS1_3gpuE2ELNS1_3repE0EEENS1_30default_config_static_selectorELNS0_4arch9wavefront6targetE1EEEvSQ_
    .private_segment_fixed_size: 0
    .sgpr_count:     4
    .sgpr_spill_count: 0
    .symbol:         _ZN7rocprim17ROCPRIM_400000_NS6detail17trampoline_kernelINS0_14default_configENS1_22reduce_config_selectorIiEEZNS1_11reduce_implILb1ES3_N6hipcub16HIPCUB_304000_NS22TransformInputIteratorIiN2at6native8internal21MapNumberOfTrueValuesEPKhlEEPiiNS8_6detail34convert_binary_result_type_wrapperISt4plusIvESG_iEEEE10hipError_tPvRmT1_T2_T3_mT4_P12ihipStream_tbEUlT_E0_NS1_11comp_targetILNS1_3genE8ELNS1_11target_archE1030ELNS1_3gpuE2ELNS1_3repE0EEENS1_30default_config_static_selectorELNS0_4arch9wavefront6targetE1EEEvSQ_.kd
    .uniform_work_group_size: 1
    .uses_dynamic_stack: false
    .vgpr_count:     0
    .vgpr_spill_count: 0
    .wavefront_size: 64
  - .agpr_count:     0
    .args:
      - .offset:         0
        .size:           48
        .value_kind:     by_value
    .group_segment_fixed_size: 0
    .kernarg_segment_align: 8
    .kernarg_segment_size: 48
    .language:       OpenCL C
    .language_version:
      - 2
      - 0
    .max_flat_workgroup_size: 256
    .name:           _ZN7rocprim17ROCPRIM_400000_NS6detail17trampoline_kernelINS0_14default_configENS1_22reduce_config_selectorIiEEZNS1_11reduce_implILb1ES3_N6hipcub16HIPCUB_304000_NS22TransformInputIteratorIiN2at6native8internal21MapNumberOfTrueValuesEPKhlEEPiiNS8_6detail34convert_binary_result_type_wrapperISt4plusIvESG_iEEEE10hipError_tPvRmT1_T2_T3_mT4_P12ihipStream_tbEUlT_E1_NS1_11comp_targetILNS1_3genE0ELNS1_11target_archE4294967295ELNS1_3gpuE0ELNS1_3repE0EEENS1_30default_config_static_selectorELNS0_4arch9wavefront6targetE1EEEvSQ_
    .private_segment_fixed_size: 0
    .sgpr_count:     4
    .sgpr_spill_count: 0
    .symbol:         _ZN7rocprim17ROCPRIM_400000_NS6detail17trampoline_kernelINS0_14default_configENS1_22reduce_config_selectorIiEEZNS1_11reduce_implILb1ES3_N6hipcub16HIPCUB_304000_NS22TransformInputIteratorIiN2at6native8internal21MapNumberOfTrueValuesEPKhlEEPiiNS8_6detail34convert_binary_result_type_wrapperISt4plusIvESG_iEEEE10hipError_tPvRmT1_T2_T3_mT4_P12ihipStream_tbEUlT_E1_NS1_11comp_targetILNS1_3genE0ELNS1_11target_archE4294967295ELNS1_3gpuE0ELNS1_3repE0EEENS1_30default_config_static_selectorELNS0_4arch9wavefront6targetE1EEEvSQ_.kd
    .uniform_work_group_size: 1
    .uses_dynamic_stack: false
    .vgpr_count:     0
    .vgpr_spill_count: 0
    .wavefront_size: 64
  - .agpr_count:     0
    .args:
      - .offset:         0
        .size:           48
        .value_kind:     by_value
    .group_segment_fixed_size: 0
    .kernarg_segment_align: 8
    .kernarg_segment_size: 48
    .language:       OpenCL C
    .language_version:
      - 2
      - 0
    .max_flat_workgroup_size: 256
    .name:           _ZN7rocprim17ROCPRIM_400000_NS6detail17trampoline_kernelINS0_14default_configENS1_22reduce_config_selectorIiEEZNS1_11reduce_implILb1ES3_N6hipcub16HIPCUB_304000_NS22TransformInputIteratorIiN2at6native8internal21MapNumberOfTrueValuesEPKhlEEPiiNS8_6detail34convert_binary_result_type_wrapperISt4plusIvESG_iEEEE10hipError_tPvRmT1_T2_T3_mT4_P12ihipStream_tbEUlT_E1_NS1_11comp_targetILNS1_3genE5ELNS1_11target_archE942ELNS1_3gpuE9ELNS1_3repE0EEENS1_30default_config_static_selectorELNS0_4arch9wavefront6targetE1EEEvSQ_
    .private_segment_fixed_size: 0
    .sgpr_count:     4
    .sgpr_spill_count: 0
    .symbol:         _ZN7rocprim17ROCPRIM_400000_NS6detail17trampoline_kernelINS0_14default_configENS1_22reduce_config_selectorIiEEZNS1_11reduce_implILb1ES3_N6hipcub16HIPCUB_304000_NS22TransformInputIteratorIiN2at6native8internal21MapNumberOfTrueValuesEPKhlEEPiiNS8_6detail34convert_binary_result_type_wrapperISt4plusIvESG_iEEEE10hipError_tPvRmT1_T2_T3_mT4_P12ihipStream_tbEUlT_E1_NS1_11comp_targetILNS1_3genE5ELNS1_11target_archE942ELNS1_3gpuE9ELNS1_3repE0EEENS1_30default_config_static_selectorELNS0_4arch9wavefront6targetE1EEEvSQ_.kd
    .uniform_work_group_size: 1
    .uses_dynamic_stack: false
    .vgpr_count:     0
    .vgpr_spill_count: 0
    .wavefront_size: 64
  - .agpr_count:     0
    .args:
      - .offset:         0
        .size:           48
        .value_kind:     by_value
    .group_segment_fixed_size: 56
    .kernarg_segment_align: 8
    .kernarg_segment_size: 48
    .language:       OpenCL C
    .language_version:
      - 2
      - 0
    .max_flat_workgroup_size: 128
    .name:           _ZN7rocprim17ROCPRIM_400000_NS6detail17trampoline_kernelINS0_14default_configENS1_22reduce_config_selectorIiEEZNS1_11reduce_implILb1ES3_N6hipcub16HIPCUB_304000_NS22TransformInputIteratorIiN2at6native8internal21MapNumberOfTrueValuesEPKhlEEPiiNS8_6detail34convert_binary_result_type_wrapperISt4plusIvESG_iEEEE10hipError_tPvRmT1_T2_T3_mT4_P12ihipStream_tbEUlT_E1_NS1_11comp_targetILNS1_3genE4ELNS1_11target_archE910ELNS1_3gpuE8ELNS1_3repE0EEENS1_30default_config_static_selectorELNS0_4arch9wavefront6targetE1EEEvSQ_
    .private_segment_fixed_size: 0
    .sgpr_count:     49
    .sgpr_spill_count: 0
    .symbol:         _ZN7rocprim17ROCPRIM_400000_NS6detail17trampoline_kernelINS0_14default_configENS1_22reduce_config_selectorIiEEZNS1_11reduce_implILb1ES3_N6hipcub16HIPCUB_304000_NS22TransformInputIteratorIiN2at6native8internal21MapNumberOfTrueValuesEPKhlEEPiiNS8_6detail34convert_binary_result_type_wrapperISt4plusIvESG_iEEEE10hipError_tPvRmT1_T2_T3_mT4_P12ihipStream_tbEUlT_E1_NS1_11comp_targetILNS1_3genE4ELNS1_11target_archE910ELNS1_3gpuE8ELNS1_3repE0EEENS1_30default_config_static_selectorELNS0_4arch9wavefront6targetE1EEEvSQ_.kd
    .uniform_work_group_size: 1
    .uses_dynamic_stack: false
    .vgpr_count:     33
    .vgpr_spill_count: 0
    .wavefront_size: 64
  - .agpr_count:     0
    .args:
      - .offset:         0
        .size:           48
        .value_kind:     by_value
    .group_segment_fixed_size: 0
    .kernarg_segment_align: 8
    .kernarg_segment_size: 48
    .language:       OpenCL C
    .language_version:
      - 2
      - 0
    .max_flat_workgroup_size: 256
    .name:           _ZN7rocprim17ROCPRIM_400000_NS6detail17trampoline_kernelINS0_14default_configENS1_22reduce_config_selectorIiEEZNS1_11reduce_implILb1ES3_N6hipcub16HIPCUB_304000_NS22TransformInputIteratorIiN2at6native8internal21MapNumberOfTrueValuesEPKhlEEPiiNS8_6detail34convert_binary_result_type_wrapperISt4plusIvESG_iEEEE10hipError_tPvRmT1_T2_T3_mT4_P12ihipStream_tbEUlT_E1_NS1_11comp_targetILNS1_3genE3ELNS1_11target_archE908ELNS1_3gpuE7ELNS1_3repE0EEENS1_30default_config_static_selectorELNS0_4arch9wavefront6targetE1EEEvSQ_
    .private_segment_fixed_size: 0
    .sgpr_count:     4
    .sgpr_spill_count: 0
    .symbol:         _ZN7rocprim17ROCPRIM_400000_NS6detail17trampoline_kernelINS0_14default_configENS1_22reduce_config_selectorIiEEZNS1_11reduce_implILb1ES3_N6hipcub16HIPCUB_304000_NS22TransformInputIteratorIiN2at6native8internal21MapNumberOfTrueValuesEPKhlEEPiiNS8_6detail34convert_binary_result_type_wrapperISt4plusIvESG_iEEEE10hipError_tPvRmT1_T2_T3_mT4_P12ihipStream_tbEUlT_E1_NS1_11comp_targetILNS1_3genE3ELNS1_11target_archE908ELNS1_3gpuE7ELNS1_3repE0EEENS1_30default_config_static_selectorELNS0_4arch9wavefront6targetE1EEEvSQ_.kd
    .uniform_work_group_size: 1
    .uses_dynamic_stack: false
    .vgpr_count:     0
    .vgpr_spill_count: 0
    .wavefront_size: 64
  - .agpr_count:     0
    .args:
      - .offset:         0
        .size:           48
        .value_kind:     by_value
    .group_segment_fixed_size: 0
    .kernarg_segment_align: 8
    .kernarg_segment_size: 48
    .language:       OpenCL C
    .language_version:
      - 2
      - 0
    .max_flat_workgroup_size: 256
    .name:           _ZN7rocprim17ROCPRIM_400000_NS6detail17trampoline_kernelINS0_14default_configENS1_22reduce_config_selectorIiEEZNS1_11reduce_implILb1ES3_N6hipcub16HIPCUB_304000_NS22TransformInputIteratorIiN2at6native8internal21MapNumberOfTrueValuesEPKhlEEPiiNS8_6detail34convert_binary_result_type_wrapperISt4plusIvESG_iEEEE10hipError_tPvRmT1_T2_T3_mT4_P12ihipStream_tbEUlT_E1_NS1_11comp_targetILNS1_3genE2ELNS1_11target_archE906ELNS1_3gpuE6ELNS1_3repE0EEENS1_30default_config_static_selectorELNS0_4arch9wavefront6targetE1EEEvSQ_
    .private_segment_fixed_size: 0
    .sgpr_count:     4
    .sgpr_spill_count: 0
    .symbol:         _ZN7rocprim17ROCPRIM_400000_NS6detail17trampoline_kernelINS0_14default_configENS1_22reduce_config_selectorIiEEZNS1_11reduce_implILb1ES3_N6hipcub16HIPCUB_304000_NS22TransformInputIteratorIiN2at6native8internal21MapNumberOfTrueValuesEPKhlEEPiiNS8_6detail34convert_binary_result_type_wrapperISt4plusIvESG_iEEEE10hipError_tPvRmT1_T2_T3_mT4_P12ihipStream_tbEUlT_E1_NS1_11comp_targetILNS1_3genE2ELNS1_11target_archE906ELNS1_3gpuE6ELNS1_3repE0EEENS1_30default_config_static_selectorELNS0_4arch9wavefront6targetE1EEEvSQ_.kd
    .uniform_work_group_size: 1
    .uses_dynamic_stack: false
    .vgpr_count:     0
    .vgpr_spill_count: 0
    .wavefront_size: 64
  - .agpr_count:     0
    .args:
      - .offset:         0
        .size:           48
        .value_kind:     by_value
    .group_segment_fixed_size: 0
    .kernarg_segment_align: 8
    .kernarg_segment_size: 48
    .language:       OpenCL C
    .language_version:
      - 2
      - 0
    .max_flat_workgroup_size: 256
    .name:           _ZN7rocprim17ROCPRIM_400000_NS6detail17trampoline_kernelINS0_14default_configENS1_22reduce_config_selectorIiEEZNS1_11reduce_implILb1ES3_N6hipcub16HIPCUB_304000_NS22TransformInputIteratorIiN2at6native8internal21MapNumberOfTrueValuesEPKhlEEPiiNS8_6detail34convert_binary_result_type_wrapperISt4plusIvESG_iEEEE10hipError_tPvRmT1_T2_T3_mT4_P12ihipStream_tbEUlT_E1_NS1_11comp_targetILNS1_3genE10ELNS1_11target_archE1201ELNS1_3gpuE5ELNS1_3repE0EEENS1_30default_config_static_selectorELNS0_4arch9wavefront6targetE1EEEvSQ_
    .private_segment_fixed_size: 0
    .sgpr_count:     4
    .sgpr_spill_count: 0
    .symbol:         _ZN7rocprim17ROCPRIM_400000_NS6detail17trampoline_kernelINS0_14default_configENS1_22reduce_config_selectorIiEEZNS1_11reduce_implILb1ES3_N6hipcub16HIPCUB_304000_NS22TransformInputIteratorIiN2at6native8internal21MapNumberOfTrueValuesEPKhlEEPiiNS8_6detail34convert_binary_result_type_wrapperISt4plusIvESG_iEEEE10hipError_tPvRmT1_T2_T3_mT4_P12ihipStream_tbEUlT_E1_NS1_11comp_targetILNS1_3genE10ELNS1_11target_archE1201ELNS1_3gpuE5ELNS1_3repE0EEENS1_30default_config_static_selectorELNS0_4arch9wavefront6targetE1EEEvSQ_.kd
    .uniform_work_group_size: 1
    .uses_dynamic_stack: false
    .vgpr_count:     0
    .vgpr_spill_count: 0
    .wavefront_size: 64
  - .agpr_count:     0
    .args:
      - .offset:         0
        .size:           48
        .value_kind:     by_value
    .group_segment_fixed_size: 0
    .kernarg_segment_align: 8
    .kernarg_segment_size: 48
    .language:       OpenCL C
    .language_version:
      - 2
      - 0
    .max_flat_workgroup_size: 256
    .name:           _ZN7rocprim17ROCPRIM_400000_NS6detail17trampoline_kernelINS0_14default_configENS1_22reduce_config_selectorIiEEZNS1_11reduce_implILb1ES3_N6hipcub16HIPCUB_304000_NS22TransformInputIteratorIiN2at6native8internal21MapNumberOfTrueValuesEPKhlEEPiiNS8_6detail34convert_binary_result_type_wrapperISt4plusIvESG_iEEEE10hipError_tPvRmT1_T2_T3_mT4_P12ihipStream_tbEUlT_E1_NS1_11comp_targetILNS1_3genE10ELNS1_11target_archE1200ELNS1_3gpuE4ELNS1_3repE0EEENS1_30default_config_static_selectorELNS0_4arch9wavefront6targetE1EEEvSQ_
    .private_segment_fixed_size: 0
    .sgpr_count:     4
    .sgpr_spill_count: 0
    .symbol:         _ZN7rocprim17ROCPRIM_400000_NS6detail17trampoline_kernelINS0_14default_configENS1_22reduce_config_selectorIiEEZNS1_11reduce_implILb1ES3_N6hipcub16HIPCUB_304000_NS22TransformInputIteratorIiN2at6native8internal21MapNumberOfTrueValuesEPKhlEEPiiNS8_6detail34convert_binary_result_type_wrapperISt4plusIvESG_iEEEE10hipError_tPvRmT1_T2_T3_mT4_P12ihipStream_tbEUlT_E1_NS1_11comp_targetILNS1_3genE10ELNS1_11target_archE1200ELNS1_3gpuE4ELNS1_3repE0EEENS1_30default_config_static_selectorELNS0_4arch9wavefront6targetE1EEEvSQ_.kd
    .uniform_work_group_size: 1
    .uses_dynamic_stack: false
    .vgpr_count:     0
    .vgpr_spill_count: 0
    .wavefront_size: 64
  - .agpr_count:     0
    .args:
      - .offset:         0
        .size:           48
        .value_kind:     by_value
    .group_segment_fixed_size: 0
    .kernarg_segment_align: 8
    .kernarg_segment_size: 48
    .language:       OpenCL C
    .language_version:
      - 2
      - 0
    .max_flat_workgroup_size: 256
    .name:           _ZN7rocprim17ROCPRIM_400000_NS6detail17trampoline_kernelINS0_14default_configENS1_22reduce_config_selectorIiEEZNS1_11reduce_implILb1ES3_N6hipcub16HIPCUB_304000_NS22TransformInputIteratorIiN2at6native8internal21MapNumberOfTrueValuesEPKhlEEPiiNS8_6detail34convert_binary_result_type_wrapperISt4plusIvESG_iEEEE10hipError_tPvRmT1_T2_T3_mT4_P12ihipStream_tbEUlT_E1_NS1_11comp_targetILNS1_3genE9ELNS1_11target_archE1100ELNS1_3gpuE3ELNS1_3repE0EEENS1_30default_config_static_selectorELNS0_4arch9wavefront6targetE1EEEvSQ_
    .private_segment_fixed_size: 0
    .sgpr_count:     4
    .sgpr_spill_count: 0
    .symbol:         _ZN7rocprim17ROCPRIM_400000_NS6detail17trampoline_kernelINS0_14default_configENS1_22reduce_config_selectorIiEEZNS1_11reduce_implILb1ES3_N6hipcub16HIPCUB_304000_NS22TransformInputIteratorIiN2at6native8internal21MapNumberOfTrueValuesEPKhlEEPiiNS8_6detail34convert_binary_result_type_wrapperISt4plusIvESG_iEEEE10hipError_tPvRmT1_T2_T3_mT4_P12ihipStream_tbEUlT_E1_NS1_11comp_targetILNS1_3genE9ELNS1_11target_archE1100ELNS1_3gpuE3ELNS1_3repE0EEENS1_30default_config_static_selectorELNS0_4arch9wavefront6targetE1EEEvSQ_.kd
    .uniform_work_group_size: 1
    .uses_dynamic_stack: false
    .vgpr_count:     0
    .vgpr_spill_count: 0
    .wavefront_size: 64
  - .agpr_count:     0
    .args:
      - .offset:         0
        .size:           48
        .value_kind:     by_value
    .group_segment_fixed_size: 0
    .kernarg_segment_align: 8
    .kernarg_segment_size: 48
    .language:       OpenCL C
    .language_version:
      - 2
      - 0
    .max_flat_workgroup_size: 256
    .name:           _ZN7rocprim17ROCPRIM_400000_NS6detail17trampoline_kernelINS0_14default_configENS1_22reduce_config_selectorIiEEZNS1_11reduce_implILb1ES3_N6hipcub16HIPCUB_304000_NS22TransformInputIteratorIiN2at6native8internal21MapNumberOfTrueValuesEPKhlEEPiiNS8_6detail34convert_binary_result_type_wrapperISt4plusIvESG_iEEEE10hipError_tPvRmT1_T2_T3_mT4_P12ihipStream_tbEUlT_E1_NS1_11comp_targetILNS1_3genE8ELNS1_11target_archE1030ELNS1_3gpuE2ELNS1_3repE0EEENS1_30default_config_static_selectorELNS0_4arch9wavefront6targetE1EEEvSQ_
    .private_segment_fixed_size: 0
    .sgpr_count:     4
    .sgpr_spill_count: 0
    .symbol:         _ZN7rocprim17ROCPRIM_400000_NS6detail17trampoline_kernelINS0_14default_configENS1_22reduce_config_selectorIiEEZNS1_11reduce_implILb1ES3_N6hipcub16HIPCUB_304000_NS22TransformInputIteratorIiN2at6native8internal21MapNumberOfTrueValuesEPKhlEEPiiNS8_6detail34convert_binary_result_type_wrapperISt4plusIvESG_iEEEE10hipError_tPvRmT1_T2_T3_mT4_P12ihipStream_tbEUlT_E1_NS1_11comp_targetILNS1_3genE8ELNS1_11target_archE1030ELNS1_3gpuE2ELNS1_3repE0EEENS1_30default_config_static_selectorELNS0_4arch9wavefront6targetE1EEEvSQ_.kd
    .uniform_work_group_size: 1
    .uses_dynamic_stack: false
    .vgpr_count:     0
    .vgpr_spill_count: 0
    .wavefront_size: 64
  - .agpr_count:     0
    .args:
      - .offset:         0
        .size:           8
        .value_kind:     by_value
      - .address_space:  global
        .offset:         8
        .size:           8
        .value_kind:     global_buffer
      - .address_space:  global
        .offset:         16
        .size:           8
        .value_kind:     global_buffer
      - .offset:         24
        .size:           4
        .value_kind:     hidden_block_count_x
      - .offset:         28
        .size:           4
        .value_kind:     hidden_block_count_y
      - .offset:         32
        .size:           4
        .value_kind:     hidden_block_count_z
      - .offset:         36
        .size:           2
        .value_kind:     hidden_group_size_x
      - .offset:         38
        .size:           2
        .value_kind:     hidden_group_size_y
      - .offset:         40
        .size:           2
        .value_kind:     hidden_group_size_z
      - .offset:         42
        .size:           2
        .value_kind:     hidden_remainder_x
      - .offset:         44
        .size:           2
        .value_kind:     hidden_remainder_y
      - .offset:         46
        .size:           2
        .value_kind:     hidden_remainder_z
      - .offset:         64
        .size:           8
        .value_kind:     hidden_global_offset_x
      - .offset:         72
        .size:           8
        .value_kind:     hidden_global_offset_y
      - .offset:         80
        .size:           8
        .value_kind:     hidden_global_offset_z
      - .offset:         88
        .size:           2
        .value_kind:     hidden_grid_dims
    .group_segment_fixed_size: 0
    .kernarg_segment_align: 8
    .kernarg_segment_size: 280
    .language:       OpenCL C
    .language_version:
      - 2
      - 0
    .max_flat_workgroup_size: 1024
    .name:           _ZN2at6native8internal12_GLOBAL__N_126adjacent_difference_kernelIPKhEEvlT_Pi
    .private_segment_fixed_size: 0
    .sgpr_count:     18
    .sgpr_spill_count: 0
    .symbol:         _ZN2at6native8internal12_GLOBAL__N_126adjacent_difference_kernelIPKhEEvlT_Pi.kd
    .uniform_work_group_size: 1
    .uses_dynamic_stack: false
    .vgpr_count:     13
    .vgpr_spill_count: 0
    .wavefront_size: 64
  - .agpr_count:     0
    .args:
      - .offset:         0
        .size:           112
        .value_kind:     by_value
    .group_segment_fixed_size: 0
    .kernarg_segment_align: 8
    .kernarg_segment_size: 112
    .language:       OpenCL C
    .language_version:
      - 2
      - 0
    .max_flat_workgroup_size: 256
    .name:           _ZN7rocprim17ROCPRIM_400000_NS6detail17trampoline_kernelINS0_14default_configENS1_25partition_config_selectorILNS1_17partition_subalgoE8EhNS0_10empty_typeEbEEZZNS1_14partition_implILS5_8ELb0ES3_jPKhPS6_PKS6_NS0_5tupleIJPhS6_EEENSE_IJSB_SB_EEENS0_18inequality_wrapperIN6hipcub16HIPCUB_304000_NS8EqualityEEEPlJS6_EEE10hipError_tPvRmT3_T4_T5_T6_T7_T9_mT8_P12ihipStream_tbDpT10_ENKUlT_T0_E_clISt17integral_constantIbLb0EES17_EEDaS12_S13_EUlS12_E_NS1_11comp_targetILNS1_3genE0ELNS1_11target_archE4294967295ELNS1_3gpuE0ELNS1_3repE0EEENS1_30default_config_static_selectorELNS0_4arch9wavefront6targetE1EEEvT1_
    .private_segment_fixed_size: 0
    .sgpr_count:     4
    .sgpr_spill_count: 0
    .symbol:         _ZN7rocprim17ROCPRIM_400000_NS6detail17trampoline_kernelINS0_14default_configENS1_25partition_config_selectorILNS1_17partition_subalgoE8EhNS0_10empty_typeEbEEZZNS1_14partition_implILS5_8ELb0ES3_jPKhPS6_PKS6_NS0_5tupleIJPhS6_EEENSE_IJSB_SB_EEENS0_18inequality_wrapperIN6hipcub16HIPCUB_304000_NS8EqualityEEEPlJS6_EEE10hipError_tPvRmT3_T4_T5_T6_T7_T9_mT8_P12ihipStream_tbDpT10_ENKUlT_T0_E_clISt17integral_constantIbLb0EES17_EEDaS12_S13_EUlS12_E_NS1_11comp_targetILNS1_3genE0ELNS1_11target_archE4294967295ELNS1_3gpuE0ELNS1_3repE0EEENS1_30default_config_static_selectorELNS0_4arch9wavefront6targetE1EEEvT1_.kd
    .uniform_work_group_size: 1
    .uses_dynamic_stack: false
    .vgpr_count:     0
    .vgpr_spill_count: 0
    .wavefront_size: 64
  - .agpr_count:     0
    .args:
      - .offset:         0
        .size:           112
        .value_kind:     by_value
    .group_segment_fixed_size: 0
    .kernarg_segment_align: 8
    .kernarg_segment_size: 112
    .language:       OpenCL C
    .language_version:
      - 2
      - 0
    .max_flat_workgroup_size: 512
    .name:           _ZN7rocprim17ROCPRIM_400000_NS6detail17trampoline_kernelINS0_14default_configENS1_25partition_config_selectorILNS1_17partition_subalgoE8EhNS0_10empty_typeEbEEZZNS1_14partition_implILS5_8ELb0ES3_jPKhPS6_PKS6_NS0_5tupleIJPhS6_EEENSE_IJSB_SB_EEENS0_18inequality_wrapperIN6hipcub16HIPCUB_304000_NS8EqualityEEEPlJS6_EEE10hipError_tPvRmT3_T4_T5_T6_T7_T9_mT8_P12ihipStream_tbDpT10_ENKUlT_T0_E_clISt17integral_constantIbLb0EES17_EEDaS12_S13_EUlS12_E_NS1_11comp_targetILNS1_3genE5ELNS1_11target_archE942ELNS1_3gpuE9ELNS1_3repE0EEENS1_30default_config_static_selectorELNS0_4arch9wavefront6targetE1EEEvT1_
    .private_segment_fixed_size: 0
    .sgpr_count:     4
    .sgpr_spill_count: 0
    .symbol:         _ZN7rocprim17ROCPRIM_400000_NS6detail17trampoline_kernelINS0_14default_configENS1_25partition_config_selectorILNS1_17partition_subalgoE8EhNS0_10empty_typeEbEEZZNS1_14partition_implILS5_8ELb0ES3_jPKhPS6_PKS6_NS0_5tupleIJPhS6_EEENSE_IJSB_SB_EEENS0_18inequality_wrapperIN6hipcub16HIPCUB_304000_NS8EqualityEEEPlJS6_EEE10hipError_tPvRmT3_T4_T5_T6_T7_T9_mT8_P12ihipStream_tbDpT10_ENKUlT_T0_E_clISt17integral_constantIbLb0EES17_EEDaS12_S13_EUlS12_E_NS1_11comp_targetILNS1_3genE5ELNS1_11target_archE942ELNS1_3gpuE9ELNS1_3repE0EEENS1_30default_config_static_selectorELNS0_4arch9wavefront6targetE1EEEvT1_.kd
    .uniform_work_group_size: 1
    .uses_dynamic_stack: false
    .vgpr_count:     0
    .vgpr_spill_count: 0
    .wavefront_size: 64
  - .agpr_count:     0
    .args:
      - .offset:         0
        .size:           112
        .value_kind:     by_value
    .group_segment_fixed_size: 4232
    .kernarg_segment_align: 8
    .kernarg_segment_size: 112
    .language:       OpenCL C
    .language_version:
      - 2
      - 0
    .max_flat_workgroup_size: 128
    .name:           _ZN7rocprim17ROCPRIM_400000_NS6detail17trampoline_kernelINS0_14default_configENS1_25partition_config_selectorILNS1_17partition_subalgoE8EhNS0_10empty_typeEbEEZZNS1_14partition_implILS5_8ELb0ES3_jPKhPS6_PKS6_NS0_5tupleIJPhS6_EEENSE_IJSB_SB_EEENS0_18inequality_wrapperIN6hipcub16HIPCUB_304000_NS8EqualityEEEPlJS6_EEE10hipError_tPvRmT3_T4_T5_T6_T7_T9_mT8_P12ihipStream_tbDpT10_ENKUlT_T0_E_clISt17integral_constantIbLb0EES17_EEDaS12_S13_EUlS12_E_NS1_11comp_targetILNS1_3genE4ELNS1_11target_archE910ELNS1_3gpuE8ELNS1_3repE0EEENS1_30default_config_static_selectorELNS0_4arch9wavefront6targetE1EEEvT1_
    .private_segment_fixed_size: 0
    .sgpr_count:     58
    .sgpr_spill_count: 0
    .symbol:         _ZN7rocprim17ROCPRIM_400000_NS6detail17trampoline_kernelINS0_14default_configENS1_25partition_config_selectorILNS1_17partition_subalgoE8EhNS0_10empty_typeEbEEZZNS1_14partition_implILS5_8ELb0ES3_jPKhPS6_PKS6_NS0_5tupleIJPhS6_EEENSE_IJSB_SB_EEENS0_18inequality_wrapperIN6hipcub16HIPCUB_304000_NS8EqualityEEEPlJS6_EEE10hipError_tPvRmT3_T4_T5_T6_T7_T9_mT8_P12ihipStream_tbDpT10_ENKUlT_T0_E_clISt17integral_constantIbLb0EES17_EEDaS12_S13_EUlS12_E_NS1_11comp_targetILNS1_3genE4ELNS1_11target_archE910ELNS1_3gpuE8ELNS1_3repE0EEENS1_30default_config_static_selectorELNS0_4arch9wavefront6targetE1EEEvT1_.kd
    .uniform_work_group_size: 1
    .uses_dynamic_stack: false
    .vgpr_count:     125
    .vgpr_spill_count: 0
    .wavefront_size: 64
  - .agpr_count:     0
    .args:
      - .offset:         0
        .size:           112
        .value_kind:     by_value
    .group_segment_fixed_size: 0
    .kernarg_segment_align: 8
    .kernarg_segment_size: 112
    .language:       OpenCL C
    .language_version:
      - 2
      - 0
    .max_flat_workgroup_size: 256
    .name:           _ZN7rocprim17ROCPRIM_400000_NS6detail17trampoline_kernelINS0_14default_configENS1_25partition_config_selectorILNS1_17partition_subalgoE8EhNS0_10empty_typeEbEEZZNS1_14partition_implILS5_8ELb0ES3_jPKhPS6_PKS6_NS0_5tupleIJPhS6_EEENSE_IJSB_SB_EEENS0_18inequality_wrapperIN6hipcub16HIPCUB_304000_NS8EqualityEEEPlJS6_EEE10hipError_tPvRmT3_T4_T5_T6_T7_T9_mT8_P12ihipStream_tbDpT10_ENKUlT_T0_E_clISt17integral_constantIbLb0EES17_EEDaS12_S13_EUlS12_E_NS1_11comp_targetILNS1_3genE3ELNS1_11target_archE908ELNS1_3gpuE7ELNS1_3repE0EEENS1_30default_config_static_selectorELNS0_4arch9wavefront6targetE1EEEvT1_
    .private_segment_fixed_size: 0
    .sgpr_count:     4
    .sgpr_spill_count: 0
    .symbol:         _ZN7rocprim17ROCPRIM_400000_NS6detail17trampoline_kernelINS0_14default_configENS1_25partition_config_selectorILNS1_17partition_subalgoE8EhNS0_10empty_typeEbEEZZNS1_14partition_implILS5_8ELb0ES3_jPKhPS6_PKS6_NS0_5tupleIJPhS6_EEENSE_IJSB_SB_EEENS0_18inequality_wrapperIN6hipcub16HIPCUB_304000_NS8EqualityEEEPlJS6_EEE10hipError_tPvRmT3_T4_T5_T6_T7_T9_mT8_P12ihipStream_tbDpT10_ENKUlT_T0_E_clISt17integral_constantIbLb0EES17_EEDaS12_S13_EUlS12_E_NS1_11comp_targetILNS1_3genE3ELNS1_11target_archE908ELNS1_3gpuE7ELNS1_3repE0EEENS1_30default_config_static_selectorELNS0_4arch9wavefront6targetE1EEEvT1_.kd
    .uniform_work_group_size: 1
    .uses_dynamic_stack: false
    .vgpr_count:     0
    .vgpr_spill_count: 0
    .wavefront_size: 64
  - .agpr_count:     0
    .args:
      - .offset:         0
        .size:           112
        .value_kind:     by_value
    .group_segment_fixed_size: 0
    .kernarg_segment_align: 8
    .kernarg_segment_size: 112
    .language:       OpenCL C
    .language_version:
      - 2
      - 0
    .max_flat_workgroup_size: 192
    .name:           _ZN7rocprim17ROCPRIM_400000_NS6detail17trampoline_kernelINS0_14default_configENS1_25partition_config_selectorILNS1_17partition_subalgoE8EhNS0_10empty_typeEbEEZZNS1_14partition_implILS5_8ELb0ES3_jPKhPS6_PKS6_NS0_5tupleIJPhS6_EEENSE_IJSB_SB_EEENS0_18inequality_wrapperIN6hipcub16HIPCUB_304000_NS8EqualityEEEPlJS6_EEE10hipError_tPvRmT3_T4_T5_T6_T7_T9_mT8_P12ihipStream_tbDpT10_ENKUlT_T0_E_clISt17integral_constantIbLb0EES17_EEDaS12_S13_EUlS12_E_NS1_11comp_targetILNS1_3genE2ELNS1_11target_archE906ELNS1_3gpuE6ELNS1_3repE0EEENS1_30default_config_static_selectorELNS0_4arch9wavefront6targetE1EEEvT1_
    .private_segment_fixed_size: 0
    .sgpr_count:     4
    .sgpr_spill_count: 0
    .symbol:         _ZN7rocprim17ROCPRIM_400000_NS6detail17trampoline_kernelINS0_14default_configENS1_25partition_config_selectorILNS1_17partition_subalgoE8EhNS0_10empty_typeEbEEZZNS1_14partition_implILS5_8ELb0ES3_jPKhPS6_PKS6_NS0_5tupleIJPhS6_EEENSE_IJSB_SB_EEENS0_18inequality_wrapperIN6hipcub16HIPCUB_304000_NS8EqualityEEEPlJS6_EEE10hipError_tPvRmT3_T4_T5_T6_T7_T9_mT8_P12ihipStream_tbDpT10_ENKUlT_T0_E_clISt17integral_constantIbLb0EES17_EEDaS12_S13_EUlS12_E_NS1_11comp_targetILNS1_3genE2ELNS1_11target_archE906ELNS1_3gpuE6ELNS1_3repE0EEENS1_30default_config_static_selectorELNS0_4arch9wavefront6targetE1EEEvT1_.kd
    .uniform_work_group_size: 1
    .uses_dynamic_stack: false
    .vgpr_count:     0
    .vgpr_spill_count: 0
    .wavefront_size: 64
  - .agpr_count:     0
    .args:
      - .offset:         0
        .size:           112
        .value_kind:     by_value
    .group_segment_fixed_size: 0
    .kernarg_segment_align: 8
    .kernarg_segment_size: 112
    .language:       OpenCL C
    .language_version:
      - 2
      - 0
    .max_flat_workgroup_size: 256
    .name:           _ZN7rocprim17ROCPRIM_400000_NS6detail17trampoline_kernelINS0_14default_configENS1_25partition_config_selectorILNS1_17partition_subalgoE8EhNS0_10empty_typeEbEEZZNS1_14partition_implILS5_8ELb0ES3_jPKhPS6_PKS6_NS0_5tupleIJPhS6_EEENSE_IJSB_SB_EEENS0_18inequality_wrapperIN6hipcub16HIPCUB_304000_NS8EqualityEEEPlJS6_EEE10hipError_tPvRmT3_T4_T5_T6_T7_T9_mT8_P12ihipStream_tbDpT10_ENKUlT_T0_E_clISt17integral_constantIbLb0EES17_EEDaS12_S13_EUlS12_E_NS1_11comp_targetILNS1_3genE10ELNS1_11target_archE1200ELNS1_3gpuE4ELNS1_3repE0EEENS1_30default_config_static_selectorELNS0_4arch9wavefront6targetE1EEEvT1_
    .private_segment_fixed_size: 0
    .sgpr_count:     4
    .sgpr_spill_count: 0
    .symbol:         _ZN7rocprim17ROCPRIM_400000_NS6detail17trampoline_kernelINS0_14default_configENS1_25partition_config_selectorILNS1_17partition_subalgoE8EhNS0_10empty_typeEbEEZZNS1_14partition_implILS5_8ELb0ES3_jPKhPS6_PKS6_NS0_5tupleIJPhS6_EEENSE_IJSB_SB_EEENS0_18inequality_wrapperIN6hipcub16HIPCUB_304000_NS8EqualityEEEPlJS6_EEE10hipError_tPvRmT3_T4_T5_T6_T7_T9_mT8_P12ihipStream_tbDpT10_ENKUlT_T0_E_clISt17integral_constantIbLb0EES17_EEDaS12_S13_EUlS12_E_NS1_11comp_targetILNS1_3genE10ELNS1_11target_archE1200ELNS1_3gpuE4ELNS1_3repE0EEENS1_30default_config_static_selectorELNS0_4arch9wavefront6targetE1EEEvT1_.kd
    .uniform_work_group_size: 1
    .uses_dynamic_stack: false
    .vgpr_count:     0
    .vgpr_spill_count: 0
    .wavefront_size: 64
  - .agpr_count:     0
    .args:
      - .offset:         0
        .size:           112
        .value_kind:     by_value
    .group_segment_fixed_size: 0
    .kernarg_segment_align: 8
    .kernarg_segment_size: 112
    .language:       OpenCL C
    .language_version:
      - 2
      - 0
    .max_flat_workgroup_size: 384
    .name:           _ZN7rocprim17ROCPRIM_400000_NS6detail17trampoline_kernelINS0_14default_configENS1_25partition_config_selectorILNS1_17partition_subalgoE8EhNS0_10empty_typeEbEEZZNS1_14partition_implILS5_8ELb0ES3_jPKhPS6_PKS6_NS0_5tupleIJPhS6_EEENSE_IJSB_SB_EEENS0_18inequality_wrapperIN6hipcub16HIPCUB_304000_NS8EqualityEEEPlJS6_EEE10hipError_tPvRmT3_T4_T5_T6_T7_T9_mT8_P12ihipStream_tbDpT10_ENKUlT_T0_E_clISt17integral_constantIbLb0EES17_EEDaS12_S13_EUlS12_E_NS1_11comp_targetILNS1_3genE9ELNS1_11target_archE1100ELNS1_3gpuE3ELNS1_3repE0EEENS1_30default_config_static_selectorELNS0_4arch9wavefront6targetE1EEEvT1_
    .private_segment_fixed_size: 0
    .sgpr_count:     4
    .sgpr_spill_count: 0
    .symbol:         _ZN7rocprim17ROCPRIM_400000_NS6detail17trampoline_kernelINS0_14default_configENS1_25partition_config_selectorILNS1_17partition_subalgoE8EhNS0_10empty_typeEbEEZZNS1_14partition_implILS5_8ELb0ES3_jPKhPS6_PKS6_NS0_5tupleIJPhS6_EEENSE_IJSB_SB_EEENS0_18inequality_wrapperIN6hipcub16HIPCUB_304000_NS8EqualityEEEPlJS6_EEE10hipError_tPvRmT3_T4_T5_T6_T7_T9_mT8_P12ihipStream_tbDpT10_ENKUlT_T0_E_clISt17integral_constantIbLb0EES17_EEDaS12_S13_EUlS12_E_NS1_11comp_targetILNS1_3genE9ELNS1_11target_archE1100ELNS1_3gpuE3ELNS1_3repE0EEENS1_30default_config_static_selectorELNS0_4arch9wavefront6targetE1EEEvT1_.kd
    .uniform_work_group_size: 1
    .uses_dynamic_stack: false
    .vgpr_count:     0
    .vgpr_spill_count: 0
    .wavefront_size: 64
  - .agpr_count:     0
    .args:
      - .offset:         0
        .size:           112
        .value_kind:     by_value
    .group_segment_fixed_size: 0
    .kernarg_segment_align: 8
    .kernarg_segment_size: 112
    .language:       OpenCL C
    .language_version:
      - 2
      - 0
    .max_flat_workgroup_size: 384
    .name:           _ZN7rocprim17ROCPRIM_400000_NS6detail17trampoline_kernelINS0_14default_configENS1_25partition_config_selectorILNS1_17partition_subalgoE8EhNS0_10empty_typeEbEEZZNS1_14partition_implILS5_8ELb0ES3_jPKhPS6_PKS6_NS0_5tupleIJPhS6_EEENSE_IJSB_SB_EEENS0_18inequality_wrapperIN6hipcub16HIPCUB_304000_NS8EqualityEEEPlJS6_EEE10hipError_tPvRmT3_T4_T5_T6_T7_T9_mT8_P12ihipStream_tbDpT10_ENKUlT_T0_E_clISt17integral_constantIbLb0EES17_EEDaS12_S13_EUlS12_E_NS1_11comp_targetILNS1_3genE8ELNS1_11target_archE1030ELNS1_3gpuE2ELNS1_3repE0EEENS1_30default_config_static_selectorELNS0_4arch9wavefront6targetE1EEEvT1_
    .private_segment_fixed_size: 0
    .sgpr_count:     4
    .sgpr_spill_count: 0
    .symbol:         _ZN7rocprim17ROCPRIM_400000_NS6detail17trampoline_kernelINS0_14default_configENS1_25partition_config_selectorILNS1_17partition_subalgoE8EhNS0_10empty_typeEbEEZZNS1_14partition_implILS5_8ELb0ES3_jPKhPS6_PKS6_NS0_5tupleIJPhS6_EEENSE_IJSB_SB_EEENS0_18inequality_wrapperIN6hipcub16HIPCUB_304000_NS8EqualityEEEPlJS6_EEE10hipError_tPvRmT3_T4_T5_T6_T7_T9_mT8_P12ihipStream_tbDpT10_ENKUlT_T0_E_clISt17integral_constantIbLb0EES17_EEDaS12_S13_EUlS12_E_NS1_11comp_targetILNS1_3genE8ELNS1_11target_archE1030ELNS1_3gpuE2ELNS1_3repE0EEENS1_30default_config_static_selectorELNS0_4arch9wavefront6targetE1EEEvT1_.kd
    .uniform_work_group_size: 1
    .uses_dynamic_stack: false
    .vgpr_count:     0
    .vgpr_spill_count: 0
    .wavefront_size: 64
  - .agpr_count:     0
    .args:
      - .offset:         0
        .size:           128
        .value_kind:     by_value
    .group_segment_fixed_size: 0
    .kernarg_segment_align: 8
    .kernarg_segment_size: 128
    .language:       OpenCL C
    .language_version:
      - 2
      - 0
    .max_flat_workgroup_size: 256
    .name:           _ZN7rocprim17ROCPRIM_400000_NS6detail17trampoline_kernelINS0_14default_configENS1_25partition_config_selectorILNS1_17partition_subalgoE8EhNS0_10empty_typeEbEEZZNS1_14partition_implILS5_8ELb0ES3_jPKhPS6_PKS6_NS0_5tupleIJPhS6_EEENSE_IJSB_SB_EEENS0_18inequality_wrapperIN6hipcub16HIPCUB_304000_NS8EqualityEEEPlJS6_EEE10hipError_tPvRmT3_T4_T5_T6_T7_T9_mT8_P12ihipStream_tbDpT10_ENKUlT_T0_E_clISt17integral_constantIbLb1EES17_EEDaS12_S13_EUlS12_E_NS1_11comp_targetILNS1_3genE0ELNS1_11target_archE4294967295ELNS1_3gpuE0ELNS1_3repE0EEENS1_30default_config_static_selectorELNS0_4arch9wavefront6targetE1EEEvT1_
    .private_segment_fixed_size: 0
    .sgpr_count:     4
    .sgpr_spill_count: 0
    .symbol:         _ZN7rocprim17ROCPRIM_400000_NS6detail17trampoline_kernelINS0_14default_configENS1_25partition_config_selectorILNS1_17partition_subalgoE8EhNS0_10empty_typeEbEEZZNS1_14partition_implILS5_8ELb0ES3_jPKhPS6_PKS6_NS0_5tupleIJPhS6_EEENSE_IJSB_SB_EEENS0_18inequality_wrapperIN6hipcub16HIPCUB_304000_NS8EqualityEEEPlJS6_EEE10hipError_tPvRmT3_T4_T5_T6_T7_T9_mT8_P12ihipStream_tbDpT10_ENKUlT_T0_E_clISt17integral_constantIbLb1EES17_EEDaS12_S13_EUlS12_E_NS1_11comp_targetILNS1_3genE0ELNS1_11target_archE4294967295ELNS1_3gpuE0ELNS1_3repE0EEENS1_30default_config_static_selectorELNS0_4arch9wavefront6targetE1EEEvT1_.kd
    .uniform_work_group_size: 1
    .uses_dynamic_stack: false
    .vgpr_count:     0
    .vgpr_spill_count: 0
    .wavefront_size: 64
  - .agpr_count:     0
    .args:
      - .offset:         0
        .size:           128
        .value_kind:     by_value
    .group_segment_fixed_size: 0
    .kernarg_segment_align: 8
    .kernarg_segment_size: 128
    .language:       OpenCL C
    .language_version:
      - 2
      - 0
    .max_flat_workgroup_size: 512
    .name:           _ZN7rocprim17ROCPRIM_400000_NS6detail17trampoline_kernelINS0_14default_configENS1_25partition_config_selectorILNS1_17partition_subalgoE8EhNS0_10empty_typeEbEEZZNS1_14partition_implILS5_8ELb0ES3_jPKhPS6_PKS6_NS0_5tupleIJPhS6_EEENSE_IJSB_SB_EEENS0_18inequality_wrapperIN6hipcub16HIPCUB_304000_NS8EqualityEEEPlJS6_EEE10hipError_tPvRmT3_T4_T5_T6_T7_T9_mT8_P12ihipStream_tbDpT10_ENKUlT_T0_E_clISt17integral_constantIbLb1EES17_EEDaS12_S13_EUlS12_E_NS1_11comp_targetILNS1_3genE5ELNS1_11target_archE942ELNS1_3gpuE9ELNS1_3repE0EEENS1_30default_config_static_selectorELNS0_4arch9wavefront6targetE1EEEvT1_
    .private_segment_fixed_size: 0
    .sgpr_count:     4
    .sgpr_spill_count: 0
    .symbol:         _ZN7rocprim17ROCPRIM_400000_NS6detail17trampoline_kernelINS0_14default_configENS1_25partition_config_selectorILNS1_17partition_subalgoE8EhNS0_10empty_typeEbEEZZNS1_14partition_implILS5_8ELb0ES3_jPKhPS6_PKS6_NS0_5tupleIJPhS6_EEENSE_IJSB_SB_EEENS0_18inequality_wrapperIN6hipcub16HIPCUB_304000_NS8EqualityEEEPlJS6_EEE10hipError_tPvRmT3_T4_T5_T6_T7_T9_mT8_P12ihipStream_tbDpT10_ENKUlT_T0_E_clISt17integral_constantIbLb1EES17_EEDaS12_S13_EUlS12_E_NS1_11comp_targetILNS1_3genE5ELNS1_11target_archE942ELNS1_3gpuE9ELNS1_3repE0EEENS1_30default_config_static_selectorELNS0_4arch9wavefront6targetE1EEEvT1_.kd
    .uniform_work_group_size: 1
    .uses_dynamic_stack: false
    .vgpr_count:     0
    .vgpr_spill_count: 0
    .wavefront_size: 64
  - .agpr_count:     0
    .args:
      - .offset:         0
        .size:           128
        .value_kind:     by_value
    .group_segment_fixed_size: 4232
    .kernarg_segment_align: 8
    .kernarg_segment_size: 128
    .language:       OpenCL C
    .language_version:
      - 2
      - 0
    .max_flat_workgroup_size: 128
    .name:           _ZN7rocprim17ROCPRIM_400000_NS6detail17trampoline_kernelINS0_14default_configENS1_25partition_config_selectorILNS1_17partition_subalgoE8EhNS0_10empty_typeEbEEZZNS1_14partition_implILS5_8ELb0ES3_jPKhPS6_PKS6_NS0_5tupleIJPhS6_EEENSE_IJSB_SB_EEENS0_18inequality_wrapperIN6hipcub16HIPCUB_304000_NS8EqualityEEEPlJS6_EEE10hipError_tPvRmT3_T4_T5_T6_T7_T9_mT8_P12ihipStream_tbDpT10_ENKUlT_T0_E_clISt17integral_constantIbLb1EES17_EEDaS12_S13_EUlS12_E_NS1_11comp_targetILNS1_3genE4ELNS1_11target_archE910ELNS1_3gpuE8ELNS1_3repE0EEENS1_30default_config_static_selectorELNS0_4arch9wavefront6targetE1EEEvT1_
    .private_segment_fixed_size: 0
    .sgpr_count:     64
    .sgpr_spill_count: 0
    .symbol:         _ZN7rocprim17ROCPRIM_400000_NS6detail17trampoline_kernelINS0_14default_configENS1_25partition_config_selectorILNS1_17partition_subalgoE8EhNS0_10empty_typeEbEEZZNS1_14partition_implILS5_8ELb0ES3_jPKhPS6_PKS6_NS0_5tupleIJPhS6_EEENSE_IJSB_SB_EEENS0_18inequality_wrapperIN6hipcub16HIPCUB_304000_NS8EqualityEEEPlJS6_EEE10hipError_tPvRmT3_T4_T5_T6_T7_T9_mT8_P12ihipStream_tbDpT10_ENKUlT_T0_E_clISt17integral_constantIbLb1EES17_EEDaS12_S13_EUlS12_E_NS1_11comp_targetILNS1_3genE4ELNS1_11target_archE910ELNS1_3gpuE8ELNS1_3repE0EEENS1_30default_config_static_selectorELNS0_4arch9wavefront6targetE1EEEvT1_.kd
    .uniform_work_group_size: 1
    .uses_dynamic_stack: false
    .vgpr_count:     124
    .vgpr_spill_count: 0
    .wavefront_size: 64
  - .agpr_count:     0
    .args:
      - .offset:         0
        .size:           128
        .value_kind:     by_value
    .group_segment_fixed_size: 0
    .kernarg_segment_align: 8
    .kernarg_segment_size: 128
    .language:       OpenCL C
    .language_version:
      - 2
      - 0
    .max_flat_workgroup_size: 256
    .name:           _ZN7rocprim17ROCPRIM_400000_NS6detail17trampoline_kernelINS0_14default_configENS1_25partition_config_selectorILNS1_17partition_subalgoE8EhNS0_10empty_typeEbEEZZNS1_14partition_implILS5_8ELb0ES3_jPKhPS6_PKS6_NS0_5tupleIJPhS6_EEENSE_IJSB_SB_EEENS0_18inequality_wrapperIN6hipcub16HIPCUB_304000_NS8EqualityEEEPlJS6_EEE10hipError_tPvRmT3_T4_T5_T6_T7_T9_mT8_P12ihipStream_tbDpT10_ENKUlT_T0_E_clISt17integral_constantIbLb1EES17_EEDaS12_S13_EUlS12_E_NS1_11comp_targetILNS1_3genE3ELNS1_11target_archE908ELNS1_3gpuE7ELNS1_3repE0EEENS1_30default_config_static_selectorELNS0_4arch9wavefront6targetE1EEEvT1_
    .private_segment_fixed_size: 0
    .sgpr_count:     4
    .sgpr_spill_count: 0
    .symbol:         _ZN7rocprim17ROCPRIM_400000_NS6detail17trampoline_kernelINS0_14default_configENS1_25partition_config_selectorILNS1_17partition_subalgoE8EhNS0_10empty_typeEbEEZZNS1_14partition_implILS5_8ELb0ES3_jPKhPS6_PKS6_NS0_5tupleIJPhS6_EEENSE_IJSB_SB_EEENS0_18inequality_wrapperIN6hipcub16HIPCUB_304000_NS8EqualityEEEPlJS6_EEE10hipError_tPvRmT3_T4_T5_T6_T7_T9_mT8_P12ihipStream_tbDpT10_ENKUlT_T0_E_clISt17integral_constantIbLb1EES17_EEDaS12_S13_EUlS12_E_NS1_11comp_targetILNS1_3genE3ELNS1_11target_archE908ELNS1_3gpuE7ELNS1_3repE0EEENS1_30default_config_static_selectorELNS0_4arch9wavefront6targetE1EEEvT1_.kd
    .uniform_work_group_size: 1
    .uses_dynamic_stack: false
    .vgpr_count:     0
    .vgpr_spill_count: 0
    .wavefront_size: 64
  - .agpr_count:     0
    .args:
      - .offset:         0
        .size:           128
        .value_kind:     by_value
    .group_segment_fixed_size: 0
    .kernarg_segment_align: 8
    .kernarg_segment_size: 128
    .language:       OpenCL C
    .language_version:
      - 2
      - 0
    .max_flat_workgroup_size: 192
    .name:           _ZN7rocprim17ROCPRIM_400000_NS6detail17trampoline_kernelINS0_14default_configENS1_25partition_config_selectorILNS1_17partition_subalgoE8EhNS0_10empty_typeEbEEZZNS1_14partition_implILS5_8ELb0ES3_jPKhPS6_PKS6_NS0_5tupleIJPhS6_EEENSE_IJSB_SB_EEENS0_18inequality_wrapperIN6hipcub16HIPCUB_304000_NS8EqualityEEEPlJS6_EEE10hipError_tPvRmT3_T4_T5_T6_T7_T9_mT8_P12ihipStream_tbDpT10_ENKUlT_T0_E_clISt17integral_constantIbLb1EES17_EEDaS12_S13_EUlS12_E_NS1_11comp_targetILNS1_3genE2ELNS1_11target_archE906ELNS1_3gpuE6ELNS1_3repE0EEENS1_30default_config_static_selectorELNS0_4arch9wavefront6targetE1EEEvT1_
    .private_segment_fixed_size: 0
    .sgpr_count:     4
    .sgpr_spill_count: 0
    .symbol:         _ZN7rocprim17ROCPRIM_400000_NS6detail17trampoline_kernelINS0_14default_configENS1_25partition_config_selectorILNS1_17partition_subalgoE8EhNS0_10empty_typeEbEEZZNS1_14partition_implILS5_8ELb0ES3_jPKhPS6_PKS6_NS0_5tupleIJPhS6_EEENSE_IJSB_SB_EEENS0_18inequality_wrapperIN6hipcub16HIPCUB_304000_NS8EqualityEEEPlJS6_EEE10hipError_tPvRmT3_T4_T5_T6_T7_T9_mT8_P12ihipStream_tbDpT10_ENKUlT_T0_E_clISt17integral_constantIbLb1EES17_EEDaS12_S13_EUlS12_E_NS1_11comp_targetILNS1_3genE2ELNS1_11target_archE906ELNS1_3gpuE6ELNS1_3repE0EEENS1_30default_config_static_selectorELNS0_4arch9wavefront6targetE1EEEvT1_.kd
    .uniform_work_group_size: 1
    .uses_dynamic_stack: false
    .vgpr_count:     0
    .vgpr_spill_count: 0
    .wavefront_size: 64
  - .agpr_count:     0
    .args:
      - .offset:         0
        .size:           128
        .value_kind:     by_value
    .group_segment_fixed_size: 0
    .kernarg_segment_align: 8
    .kernarg_segment_size: 128
    .language:       OpenCL C
    .language_version:
      - 2
      - 0
    .max_flat_workgroup_size: 256
    .name:           _ZN7rocprim17ROCPRIM_400000_NS6detail17trampoline_kernelINS0_14default_configENS1_25partition_config_selectorILNS1_17partition_subalgoE8EhNS0_10empty_typeEbEEZZNS1_14partition_implILS5_8ELb0ES3_jPKhPS6_PKS6_NS0_5tupleIJPhS6_EEENSE_IJSB_SB_EEENS0_18inequality_wrapperIN6hipcub16HIPCUB_304000_NS8EqualityEEEPlJS6_EEE10hipError_tPvRmT3_T4_T5_T6_T7_T9_mT8_P12ihipStream_tbDpT10_ENKUlT_T0_E_clISt17integral_constantIbLb1EES17_EEDaS12_S13_EUlS12_E_NS1_11comp_targetILNS1_3genE10ELNS1_11target_archE1200ELNS1_3gpuE4ELNS1_3repE0EEENS1_30default_config_static_selectorELNS0_4arch9wavefront6targetE1EEEvT1_
    .private_segment_fixed_size: 0
    .sgpr_count:     4
    .sgpr_spill_count: 0
    .symbol:         _ZN7rocprim17ROCPRIM_400000_NS6detail17trampoline_kernelINS0_14default_configENS1_25partition_config_selectorILNS1_17partition_subalgoE8EhNS0_10empty_typeEbEEZZNS1_14partition_implILS5_8ELb0ES3_jPKhPS6_PKS6_NS0_5tupleIJPhS6_EEENSE_IJSB_SB_EEENS0_18inequality_wrapperIN6hipcub16HIPCUB_304000_NS8EqualityEEEPlJS6_EEE10hipError_tPvRmT3_T4_T5_T6_T7_T9_mT8_P12ihipStream_tbDpT10_ENKUlT_T0_E_clISt17integral_constantIbLb1EES17_EEDaS12_S13_EUlS12_E_NS1_11comp_targetILNS1_3genE10ELNS1_11target_archE1200ELNS1_3gpuE4ELNS1_3repE0EEENS1_30default_config_static_selectorELNS0_4arch9wavefront6targetE1EEEvT1_.kd
    .uniform_work_group_size: 1
    .uses_dynamic_stack: false
    .vgpr_count:     0
    .vgpr_spill_count: 0
    .wavefront_size: 64
  - .agpr_count:     0
    .args:
      - .offset:         0
        .size:           128
        .value_kind:     by_value
    .group_segment_fixed_size: 0
    .kernarg_segment_align: 8
    .kernarg_segment_size: 128
    .language:       OpenCL C
    .language_version:
      - 2
      - 0
    .max_flat_workgroup_size: 384
    .name:           _ZN7rocprim17ROCPRIM_400000_NS6detail17trampoline_kernelINS0_14default_configENS1_25partition_config_selectorILNS1_17partition_subalgoE8EhNS0_10empty_typeEbEEZZNS1_14partition_implILS5_8ELb0ES3_jPKhPS6_PKS6_NS0_5tupleIJPhS6_EEENSE_IJSB_SB_EEENS0_18inequality_wrapperIN6hipcub16HIPCUB_304000_NS8EqualityEEEPlJS6_EEE10hipError_tPvRmT3_T4_T5_T6_T7_T9_mT8_P12ihipStream_tbDpT10_ENKUlT_T0_E_clISt17integral_constantIbLb1EES17_EEDaS12_S13_EUlS12_E_NS1_11comp_targetILNS1_3genE9ELNS1_11target_archE1100ELNS1_3gpuE3ELNS1_3repE0EEENS1_30default_config_static_selectorELNS0_4arch9wavefront6targetE1EEEvT1_
    .private_segment_fixed_size: 0
    .sgpr_count:     4
    .sgpr_spill_count: 0
    .symbol:         _ZN7rocprim17ROCPRIM_400000_NS6detail17trampoline_kernelINS0_14default_configENS1_25partition_config_selectorILNS1_17partition_subalgoE8EhNS0_10empty_typeEbEEZZNS1_14partition_implILS5_8ELb0ES3_jPKhPS6_PKS6_NS0_5tupleIJPhS6_EEENSE_IJSB_SB_EEENS0_18inequality_wrapperIN6hipcub16HIPCUB_304000_NS8EqualityEEEPlJS6_EEE10hipError_tPvRmT3_T4_T5_T6_T7_T9_mT8_P12ihipStream_tbDpT10_ENKUlT_T0_E_clISt17integral_constantIbLb1EES17_EEDaS12_S13_EUlS12_E_NS1_11comp_targetILNS1_3genE9ELNS1_11target_archE1100ELNS1_3gpuE3ELNS1_3repE0EEENS1_30default_config_static_selectorELNS0_4arch9wavefront6targetE1EEEvT1_.kd
    .uniform_work_group_size: 1
    .uses_dynamic_stack: false
    .vgpr_count:     0
    .vgpr_spill_count: 0
    .wavefront_size: 64
  - .agpr_count:     0
    .args:
      - .offset:         0
        .size:           128
        .value_kind:     by_value
    .group_segment_fixed_size: 0
    .kernarg_segment_align: 8
    .kernarg_segment_size: 128
    .language:       OpenCL C
    .language_version:
      - 2
      - 0
    .max_flat_workgroup_size: 384
    .name:           _ZN7rocprim17ROCPRIM_400000_NS6detail17trampoline_kernelINS0_14default_configENS1_25partition_config_selectorILNS1_17partition_subalgoE8EhNS0_10empty_typeEbEEZZNS1_14partition_implILS5_8ELb0ES3_jPKhPS6_PKS6_NS0_5tupleIJPhS6_EEENSE_IJSB_SB_EEENS0_18inequality_wrapperIN6hipcub16HIPCUB_304000_NS8EqualityEEEPlJS6_EEE10hipError_tPvRmT3_T4_T5_T6_T7_T9_mT8_P12ihipStream_tbDpT10_ENKUlT_T0_E_clISt17integral_constantIbLb1EES17_EEDaS12_S13_EUlS12_E_NS1_11comp_targetILNS1_3genE8ELNS1_11target_archE1030ELNS1_3gpuE2ELNS1_3repE0EEENS1_30default_config_static_selectorELNS0_4arch9wavefront6targetE1EEEvT1_
    .private_segment_fixed_size: 0
    .sgpr_count:     4
    .sgpr_spill_count: 0
    .symbol:         _ZN7rocprim17ROCPRIM_400000_NS6detail17trampoline_kernelINS0_14default_configENS1_25partition_config_selectorILNS1_17partition_subalgoE8EhNS0_10empty_typeEbEEZZNS1_14partition_implILS5_8ELb0ES3_jPKhPS6_PKS6_NS0_5tupleIJPhS6_EEENSE_IJSB_SB_EEENS0_18inequality_wrapperIN6hipcub16HIPCUB_304000_NS8EqualityEEEPlJS6_EEE10hipError_tPvRmT3_T4_T5_T6_T7_T9_mT8_P12ihipStream_tbDpT10_ENKUlT_T0_E_clISt17integral_constantIbLb1EES17_EEDaS12_S13_EUlS12_E_NS1_11comp_targetILNS1_3genE8ELNS1_11target_archE1030ELNS1_3gpuE2ELNS1_3repE0EEENS1_30default_config_static_selectorELNS0_4arch9wavefront6targetE1EEEvT1_.kd
    .uniform_work_group_size: 1
    .uses_dynamic_stack: false
    .vgpr_count:     0
    .vgpr_spill_count: 0
    .wavefront_size: 64
  - .agpr_count:     0
    .args:
      - .offset:         0
        .size:           112
        .value_kind:     by_value
    .group_segment_fixed_size: 0
    .kernarg_segment_align: 8
    .kernarg_segment_size: 112
    .language:       OpenCL C
    .language_version:
      - 2
      - 0
    .max_flat_workgroup_size: 256
    .name:           _ZN7rocprim17ROCPRIM_400000_NS6detail17trampoline_kernelINS0_14default_configENS1_25partition_config_selectorILNS1_17partition_subalgoE8EhNS0_10empty_typeEbEEZZNS1_14partition_implILS5_8ELb0ES3_jPKhPS6_PKS6_NS0_5tupleIJPhS6_EEENSE_IJSB_SB_EEENS0_18inequality_wrapperIN6hipcub16HIPCUB_304000_NS8EqualityEEEPlJS6_EEE10hipError_tPvRmT3_T4_T5_T6_T7_T9_mT8_P12ihipStream_tbDpT10_ENKUlT_T0_E_clISt17integral_constantIbLb1EES16_IbLb0EEEEDaS12_S13_EUlS12_E_NS1_11comp_targetILNS1_3genE0ELNS1_11target_archE4294967295ELNS1_3gpuE0ELNS1_3repE0EEENS1_30default_config_static_selectorELNS0_4arch9wavefront6targetE1EEEvT1_
    .private_segment_fixed_size: 0
    .sgpr_count:     4
    .sgpr_spill_count: 0
    .symbol:         _ZN7rocprim17ROCPRIM_400000_NS6detail17trampoline_kernelINS0_14default_configENS1_25partition_config_selectorILNS1_17partition_subalgoE8EhNS0_10empty_typeEbEEZZNS1_14partition_implILS5_8ELb0ES3_jPKhPS6_PKS6_NS0_5tupleIJPhS6_EEENSE_IJSB_SB_EEENS0_18inequality_wrapperIN6hipcub16HIPCUB_304000_NS8EqualityEEEPlJS6_EEE10hipError_tPvRmT3_T4_T5_T6_T7_T9_mT8_P12ihipStream_tbDpT10_ENKUlT_T0_E_clISt17integral_constantIbLb1EES16_IbLb0EEEEDaS12_S13_EUlS12_E_NS1_11comp_targetILNS1_3genE0ELNS1_11target_archE4294967295ELNS1_3gpuE0ELNS1_3repE0EEENS1_30default_config_static_selectorELNS0_4arch9wavefront6targetE1EEEvT1_.kd
    .uniform_work_group_size: 1
    .uses_dynamic_stack: false
    .vgpr_count:     0
    .vgpr_spill_count: 0
    .wavefront_size: 64
  - .agpr_count:     0
    .args:
      - .offset:         0
        .size:           112
        .value_kind:     by_value
    .group_segment_fixed_size: 0
    .kernarg_segment_align: 8
    .kernarg_segment_size: 112
    .language:       OpenCL C
    .language_version:
      - 2
      - 0
    .max_flat_workgroup_size: 512
    .name:           _ZN7rocprim17ROCPRIM_400000_NS6detail17trampoline_kernelINS0_14default_configENS1_25partition_config_selectorILNS1_17partition_subalgoE8EhNS0_10empty_typeEbEEZZNS1_14partition_implILS5_8ELb0ES3_jPKhPS6_PKS6_NS0_5tupleIJPhS6_EEENSE_IJSB_SB_EEENS0_18inequality_wrapperIN6hipcub16HIPCUB_304000_NS8EqualityEEEPlJS6_EEE10hipError_tPvRmT3_T4_T5_T6_T7_T9_mT8_P12ihipStream_tbDpT10_ENKUlT_T0_E_clISt17integral_constantIbLb1EES16_IbLb0EEEEDaS12_S13_EUlS12_E_NS1_11comp_targetILNS1_3genE5ELNS1_11target_archE942ELNS1_3gpuE9ELNS1_3repE0EEENS1_30default_config_static_selectorELNS0_4arch9wavefront6targetE1EEEvT1_
    .private_segment_fixed_size: 0
    .sgpr_count:     4
    .sgpr_spill_count: 0
    .symbol:         _ZN7rocprim17ROCPRIM_400000_NS6detail17trampoline_kernelINS0_14default_configENS1_25partition_config_selectorILNS1_17partition_subalgoE8EhNS0_10empty_typeEbEEZZNS1_14partition_implILS5_8ELb0ES3_jPKhPS6_PKS6_NS0_5tupleIJPhS6_EEENSE_IJSB_SB_EEENS0_18inequality_wrapperIN6hipcub16HIPCUB_304000_NS8EqualityEEEPlJS6_EEE10hipError_tPvRmT3_T4_T5_T6_T7_T9_mT8_P12ihipStream_tbDpT10_ENKUlT_T0_E_clISt17integral_constantIbLb1EES16_IbLb0EEEEDaS12_S13_EUlS12_E_NS1_11comp_targetILNS1_3genE5ELNS1_11target_archE942ELNS1_3gpuE9ELNS1_3repE0EEENS1_30default_config_static_selectorELNS0_4arch9wavefront6targetE1EEEvT1_.kd
    .uniform_work_group_size: 1
    .uses_dynamic_stack: false
    .vgpr_count:     0
    .vgpr_spill_count: 0
    .wavefront_size: 64
  - .agpr_count:     0
    .args:
      - .offset:         0
        .size:           112
        .value_kind:     by_value
    .group_segment_fixed_size: 4232
    .kernarg_segment_align: 8
    .kernarg_segment_size: 112
    .language:       OpenCL C
    .language_version:
      - 2
      - 0
    .max_flat_workgroup_size: 128
    .name:           _ZN7rocprim17ROCPRIM_400000_NS6detail17trampoline_kernelINS0_14default_configENS1_25partition_config_selectorILNS1_17partition_subalgoE8EhNS0_10empty_typeEbEEZZNS1_14partition_implILS5_8ELb0ES3_jPKhPS6_PKS6_NS0_5tupleIJPhS6_EEENSE_IJSB_SB_EEENS0_18inequality_wrapperIN6hipcub16HIPCUB_304000_NS8EqualityEEEPlJS6_EEE10hipError_tPvRmT3_T4_T5_T6_T7_T9_mT8_P12ihipStream_tbDpT10_ENKUlT_T0_E_clISt17integral_constantIbLb1EES16_IbLb0EEEEDaS12_S13_EUlS12_E_NS1_11comp_targetILNS1_3genE4ELNS1_11target_archE910ELNS1_3gpuE8ELNS1_3repE0EEENS1_30default_config_static_selectorELNS0_4arch9wavefront6targetE1EEEvT1_
    .private_segment_fixed_size: 0
    .sgpr_count:     58
    .sgpr_spill_count: 0
    .symbol:         _ZN7rocprim17ROCPRIM_400000_NS6detail17trampoline_kernelINS0_14default_configENS1_25partition_config_selectorILNS1_17partition_subalgoE8EhNS0_10empty_typeEbEEZZNS1_14partition_implILS5_8ELb0ES3_jPKhPS6_PKS6_NS0_5tupleIJPhS6_EEENSE_IJSB_SB_EEENS0_18inequality_wrapperIN6hipcub16HIPCUB_304000_NS8EqualityEEEPlJS6_EEE10hipError_tPvRmT3_T4_T5_T6_T7_T9_mT8_P12ihipStream_tbDpT10_ENKUlT_T0_E_clISt17integral_constantIbLb1EES16_IbLb0EEEEDaS12_S13_EUlS12_E_NS1_11comp_targetILNS1_3genE4ELNS1_11target_archE910ELNS1_3gpuE8ELNS1_3repE0EEENS1_30default_config_static_selectorELNS0_4arch9wavefront6targetE1EEEvT1_.kd
    .uniform_work_group_size: 1
    .uses_dynamic_stack: false
    .vgpr_count:     125
    .vgpr_spill_count: 0
    .wavefront_size: 64
  - .agpr_count:     0
    .args:
      - .offset:         0
        .size:           112
        .value_kind:     by_value
    .group_segment_fixed_size: 0
    .kernarg_segment_align: 8
    .kernarg_segment_size: 112
    .language:       OpenCL C
    .language_version:
      - 2
      - 0
    .max_flat_workgroup_size: 256
    .name:           _ZN7rocprim17ROCPRIM_400000_NS6detail17trampoline_kernelINS0_14default_configENS1_25partition_config_selectorILNS1_17partition_subalgoE8EhNS0_10empty_typeEbEEZZNS1_14partition_implILS5_8ELb0ES3_jPKhPS6_PKS6_NS0_5tupleIJPhS6_EEENSE_IJSB_SB_EEENS0_18inequality_wrapperIN6hipcub16HIPCUB_304000_NS8EqualityEEEPlJS6_EEE10hipError_tPvRmT3_T4_T5_T6_T7_T9_mT8_P12ihipStream_tbDpT10_ENKUlT_T0_E_clISt17integral_constantIbLb1EES16_IbLb0EEEEDaS12_S13_EUlS12_E_NS1_11comp_targetILNS1_3genE3ELNS1_11target_archE908ELNS1_3gpuE7ELNS1_3repE0EEENS1_30default_config_static_selectorELNS0_4arch9wavefront6targetE1EEEvT1_
    .private_segment_fixed_size: 0
    .sgpr_count:     4
    .sgpr_spill_count: 0
    .symbol:         _ZN7rocprim17ROCPRIM_400000_NS6detail17trampoline_kernelINS0_14default_configENS1_25partition_config_selectorILNS1_17partition_subalgoE8EhNS0_10empty_typeEbEEZZNS1_14partition_implILS5_8ELb0ES3_jPKhPS6_PKS6_NS0_5tupleIJPhS6_EEENSE_IJSB_SB_EEENS0_18inequality_wrapperIN6hipcub16HIPCUB_304000_NS8EqualityEEEPlJS6_EEE10hipError_tPvRmT3_T4_T5_T6_T7_T9_mT8_P12ihipStream_tbDpT10_ENKUlT_T0_E_clISt17integral_constantIbLb1EES16_IbLb0EEEEDaS12_S13_EUlS12_E_NS1_11comp_targetILNS1_3genE3ELNS1_11target_archE908ELNS1_3gpuE7ELNS1_3repE0EEENS1_30default_config_static_selectorELNS0_4arch9wavefront6targetE1EEEvT1_.kd
    .uniform_work_group_size: 1
    .uses_dynamic_stack: false
    .vgpr_count:     0
    .vgpr_spill_count: 0
    .wavefront_size: 64
  - .agpr_count:     0
    .args:
      - .offset:         0
        .size:           112
        .value_kind:     by_value
    .group_segment_fixed_size: 0
    .kernarg_segment_align: 8
    .kernarg_segment_size: 112
    .language:       OpenCL C
    .language_version:
      - 2
      - 0
    .max_flat_workgroup_size: 192
    .name:           _ZN7rocprim17ROCPRIM_400000_NS6detail17trampoline_kernelINS0_14default_configENS1_25partition_config_selectorILNS1_17partition_subalgoE8EhNS0_10empty_typeEbEEZZNS1_14partition_implILS5_8ELb0ES3_jPKhPS6_PKS6_NS0_5tupleIJPhS6_EEENSE_IJSB_SB_EEENS0_18inequality_wrapperIN6hipcub16HIPCUB_304000_NS8EqualityEEEPlJS6_EEE10hipError_tPvRmT3_T4_T5_T6_T7_T9_mT8_P12ihipStream_tbDpT10_ENKUlT_T0_E_clISt17integral_constantIbLb1EES16_IbLb0EEEEDaS12_S13_EUlS12_E_NS1_11comp_targetILNS1_3genE2ELNS1_11target_archE906ELNS1_3gpuE6ELNS1_3repE0EEENS1_30default_config_static_selectorELNS0_4arch9wavefront6targetE1EEEvT1_
    .private_segment_fixed_size: 0
    .sgpr_count:     4
    .sgpr_spill_count: 0
    .symbol:         _ZN7rocprim17ROCPRIM_400000_NS6detail17trampoline_kernelINS0_14default_configENS1_25partition_config_selectorILNS1_17partition_subalgoE8EhNS0_10empty_typeEbEEZZNS1_14partition_implILS5_8ELb0ES3_jPKhPS6_PKS6_NS0_5tupleIJPhS6_EEENSE_IJSB_SB_EEENS0_18inequality_wrapperIN6hipcub16HIPCUB_304000_NS8EqualityEEEPlJS6_EEE10hipError_tPvRmT3_T4_T5_T6_T7_T9_mT8_P12ihipStream_tbDpT10_ENKUlT_T0_E_clISt17integral_constantIbLb1EES16_IbLb0EEEEDaS12_S13_EUlS12_E_NS1_11comp_targetILNS1_3genE2ELNS1_11target_archE906ELNS1_3gpuE6ELNS1_3repE0EEENS1_30default_config_static_selectorELNS0_4arch9wavefront6targetE1EEEvT1_.kd
    .uniform_work_group_size: 1
    .uses_dynamic_stack: false
    .vgpr_count:     0
    .vgpr_spill_count: 0
    .wavefront_size: 64
  - .agpr_count:     0
    .args:
      - .offset:         0
        .size:           112
        .value_kind:     by_value
    .group_segment_fixed_size: 0
    .kernarg_segment_align: 8
    .kernarg_segment_size: 112
    .language:       OpenCL C
    .language_version:
      - 2
      - 0
    .max_flat_workgroup_size: 256
    .name:           _ZN7rocprim17ROCPRIM_400000_NS6detail17trampoline_kernelINS0_14default_configENS1_25partition_config_selectorILNS1_17partition_subalgoE8EhNS0_10empty_typeEbEEZZNS1_14partition_implILS5_8ELb0ES3_jPKhPS6_PKS6_NS0_5tupleIJPhS6_EEENSE_IJSB_SB_EEENS0_18inequality_wrapperIN6hipcub16HIPCUB_304000_NS8EqualityEEEPlJS6_EEE10hipError_tPvRmT3_T4_T5_T6_T7_T9_mT8_P12ihipStream_tbDpT10_ENKUlT_T0_E_clISt17integral_constantIbLb1EES16_IbLb0EEEEDaS12_S13_EUlS12_E_NS1_11comp_targetILNS1_3genE10ELNS1_11target_archE1200ELNS1_3gpuE4ELNS1_3repE0EEENS1_30default_config_static_selectorELNS0_4arch9wavefront6targetE1EEEvT1_
    .private_segment_fixed_size: 0
    .sgpr_count:     4
    .sgpr_spill_count: 0
    .symbol:         _ZN7rocprim17ROCPRIM_400000_NS6detail17trampoline_kernelINS0_14default_configENS1_25partition_config_selectorILNS1_17partition_subalgoE8EhNS0_10empty_typeEbEEZZNS1_14partition_implILS5_8ELb0ES3_jPKhPS6_PKS6_NS0_5tupleIJPhS6_EEENSE_IJSB_SB_EEENS0_18inequality_wrapperIN6hipcub16HIPCUB_304000_NS8EqualityEEEPlJS6_EEE10hipError_tPvRmT3_T4_T5_T6_T7_T9_mT8_P12ihipStream_tbDpT10_ENKUlT_T0_E_clISt17integral_constantIbLb1EES16_IbLb0EEEEDaS12_S13_EUlS12_E_NS1_11comp_targetILNS1_3genE10ELNS1_11target_archE1200ELNS1_3gpuE4ELNS1_3repE0EEENS1_30default_config_static_selectorELNS0_4arch9wavefront6targetE1EEEvT1_.kd
    .uniform_work_group_size: 1
    .uses_dynamic_stack: false
    .vgpr_count:     0
    .vgpr_spill_count: 0
    .wavefront_size: 64
  - .agpr_count:     0
    .args:
      - .offset:         0
        .size:           112
        .value_kind:     by_value
    .group_segment_fixed_size: 0
    .kernarg_segment_align: 8
    .kernarg_segment_size: 112
    .language:       OpenCL C
    .language_version:
      - 2
      - 0
    .max_flat_workgroup_size: 384
    .name:           _ZN7rocprim17ROCPRIM_400000_NS6detail17trampoline_kernelINS0_14default_configENS1_25partition_config_selectorILNS1_17partition_subalgoE8EhNS0_10empty_typeEbEEZZNS1_14partition_implILS5_8ELb0ES3_jPKhPS6_PKS6_NS0_5tupleIJPhS6_EEENSE_IJSB_SB_EEENS0_18inequality_wrapperIN6hipcub16HIPCUB_304000_NS8EqualityEEEPlJS6_EEE10hipError_tPvRmT3_T4_T5_T6_T7_T9_mT8_P12ihipStream_tbDpT10_ENKUlT_T0_E_clISt17integral_constantIbLb1EES16_IbLb0EEEEDaS12_S13_EUlS12_E_NS1_11comp_targetILNS1_3genE9ELNS1_11target_archE1100ELNS1_3gpuE3ELNS1_3repE0EEENS1_30default_config_static_selectorELNS0_4arch9wavefront6targetE1EEEvT1_
    .private_segment_fixed_size: 0
    .sgpr_count:     4
    .sgpr_spill_count: 0
    .symbol:         _ZN7rocprim17ROCPRIM_400000_NS6detail17trampoline_kernelINS0_14default_configENS1_25partition_config_selectorILNS1_17partition_subalgoE8EhNS0_10empty_typeEbEEZZNS1_14partition_implILS5_8ELb0ES3_jPKhPS6_PKS6_NS0_5tupleIJPhS6_EEENSE_IJSB_SB_EEENS0_18inequality_wrapperIN6hipcub16HIPCUB_304000_NS8EqualityEEEPlJS6_EEE10hipError_tPvRmT3_T4_T5_T6_T7_T9_mT8_P12ihipStream_tbDpT10_ENKUlT_T0_E_clISt17integral_constantIbLb1EES16_IbLb0EEEEDaS12_S13_EUlS12_E_NS1_11comp_targetILNS1_3genE9ELNS1_11target_archE1100ELNS1_3gpuE3ELNS1_3repE0EEENS1_30default_config_static_selectorELNS0_4arch9wavefront6targetE1EEEvT1_.kd
    .uniform_work_group_size: 1
    .uses_dynamic_stack: false
    .vgpr_count:     0
    .vgpr_spill_count: 0
    .wavefront_size: 64
  - .agpr_count:     0
    .args:
      - .offset:         0
        .size:           112
        .value_kind:     by_value
    .group_segment_fixed_size: 0
    .kernarg_segment_align: 8
    .kernarg_segment_size: 112
    .language:       OpenCL C
    .language_version:
      - 2
      - 0
    .max_flat_workgroup_size: 384
    .name:           _ZN7rocprim17ROCPRIM_400000_NS6detail17trampoline_kernelINS0_14default_configENS1_25partition_config_selectorILNS1_17partition_subalgoE8EhNS0_10empty_typeEbEEZZNS1_14partition_implILS5_8ELb0ES3_jPKhPS6_PKS6_NS0_5tupleIJPhS6_EEENSE_IJSB_SB_EEENS0_18inequality_wrapperIN6hipcub16HIPCUB_304000_NS8EqualityEEEPlJS6_EEE10hipError_tPvRmT3_T4_T5_T6_T7_T9_mT8_P12ihipStream_tbDpT10_ENKUlT_T0_E_clISt17integral_constantIbLb1EES16_IbLb0EEEEDaS12_S13_EUlS12_E_NS1_11comp_targetILNS1_3genE8ELNS1_11target_archE1030ELNS1_3gpuE2ELNS1_3repE0EEENS1_30default_config_static_selectorELNS0_4arch9wavefront6targetE1EEEvT1_
    .private_segment_fixed_size: 0
    .sgpr_count:     4
    .sgpr_spill_count: 0
    .symbol:         _ZN7rocprim17ROCPRIM_400000_NS6detail17trampoline_kernelINS0_14default_configENS1_25partition_config_selectorILNS1_17partition_subalgoE8EhNS0_10empty_typeEbEEZZNS1_14partition_implILS5_8ELb0ES3_jPKhPS6_PKS6_NS0_5tupleIJPhS6_EEENSE_IJSB_SB_EEENS0_18inequality_wrapperIN6hipcub16HIPCUB_304000_NS8EqualityEEEPlJS6_EEE10hipError_tPvRmT3_T4_T5_T6_T7_T9_mT8_P12ihipStream_tbDpT10_ENKUlT_T0_E_clISt17integral_constantIbLb1EES16_IbLb0EEEEDaS12_S13_EUlS12_E_NS1_11comp_targetILNS1_3genE8ELNS1_11target_archE1030ELNS1_3gpuE2ELNS1_3repE0EEENS1_30default_config_static_selectorELNS0_4arch9wavefront6targetE1EEEvT1_.kd
    .uniform_work_group_size: 1
    .uses_dynamic_stack: false
    .vgpr_count:     0
    .vgpr_spill_count: 0
    .wavefront_size: 64
  - .agpr_count:     0
    .args:
      - .offset:         0
        .size:           128
        .value_kind:     by_value
    .group_segment_fixed_size: 0
    .kernarg_segment_align: 8
    .kernarg_segment_size: 128
    .language:       OpenCL C
    .language_version:
      - 2
      - 0
    .max_flat_workgroup_size: 256
    .name:           _ZN7rocprim17ROCPRIM_400000_NS6detail17trampoline_kernelINS0_14default_configENS1_25partition_config_selectorILNS1_17partition_subalgoE8EhNS0_10empty_typeEbEEZZNS1_14partition_implILS5_8ELb0ES3_jPKhPS6_PKS6_NS0_5tupleIJPhS6_EEENSE_IJSB_SB_EEENS0_18inequality_wrapperIN6hipcub16HIPCUB_304000_NS8EqualityEEEPlJS6_EEE10hipError_tPvRmT3_T4_T5_T6_T7_T9_mT8_P12ihipStream_tbDpT10_ENKUlT_T0_E_clISt17integral_constantIbLb0EES16_IbLb1EEEEDaS12_S13_EUlS12_E_NS1_11comp_targetILNS1_3genE0ELNS1_11target_archE4294967295ELNS1_3gpuE0ELNS1_3repE0EEENS1_30default_config_static_selectorELNS0_4arch9wavefront6targetE1EEEvT1_
    .private_segment_fixed_size: 0
    .sgpr_count:     4
    .sgpr_spill_count: 0
    .symbol:         _ZN7rocprim17ROCPRIM_400000_NS6detail17trampoline_kernelINS0_14default_configENS1_25partition_config_selectorILNS1_17partition_subalgoE8EhNS0_10empty_typeEbEEZZNS1_14partition_implILS5_8ELb0ES3_jPKhPS6_PKS6_NS0_5tupleIJPhS6_EEENSE_IJSB_SB_EEENS0_18inequality_wrapperIN6hipcub16HIPCUB_304000_NS8EqualityEEEPlJS6_EEE10hipError_tPvRmT3_T4_T5_T6_T7_T9_mT8_P12ihipStream_tbDpT10_ENKUlT_T0_E_clISt17integral_constantIbLb0EES16_IbLb1EEEEDaS12_S13_EUlS12_E_NS1_11comp_targetILNS1_3genE0ELNS1_11target_archE4294967295ELNS1_3gpuE0ELNS1_3repE0EEENS1_30default_config_static_selectorELNS0_4arch9wavefront6targetE1EEEvT1_.kd
    .uniform_work_group_size: 1
    .uses_dynamic_stack: false
    .vgpr_count:     0
    .vgpr_spill_count: 0
    .wavefront_size: 64
  - .agpr_count:     0
    .args:
      - .offset:         0
        .size:           128
        .value_kind:     by_value
    .group_segment_fixed_size: 0
    .kernarg_segment_align: 8
    .kernarg_segment_size: 128
    .language:       OpenCL C
    .language_version:
      - 2
      - 0
    .max_flat_workgroup_size: 512
    .name:           _ZN7rocprim17ROCPRIM_400000_NS6detail17trampoline_kernelINS0_14default_configENS1_25partition_config_selectorILNS1_17partition_subalgoE8EhNS0_10empty_typeEbEEZZNS1_14partition_implILS5_8ELb0ES3_jPKhPS6_PKS6_NS0_5tupleIJPhS6_EEENSE_IJSB_SB_EEENS0_18inequality_wrapperIN6hipcub16HIPCUB_304000_NS8EqualityEEEPlJS6_EEE10hipError_tPvRmT3_T4_T5_T6_T7_T9_mT8_P12ihipStream_tbDpT10_ENKUlT_T0_E_clISt17integral_constantIbLb0EES16_IbLb1EEEEDaS12_S13_EUlS12_E_NS1_11comp_targetILNS1_3genE5ELNS1_11target_archE942ELNS1_3gpuE9ELNS1_3repE0EEENS1_30default_config_static_selectorELNS0_4arch9wavefront6targetE1EEEvT1_
    .private_segment_fixed_size: 0
    .sgpr_count:     4
    .sgpr_spill_count: 0
    .symbol:         _ZN7rocprim17ROCPRIM_400000_NS6detail17trampoline_kernelINS0_14default_configENS1_25partition_config_selectorILNS1_17partition_subalgoE8EhNS0_10empty_typeEbEEZZNS1_14partition_implILS5_8ELb0ES3_jPKhPS6_PKS6_NS0_5tupleIJPhS6_EEENSE_IJSB_SB_EEENS0_18inequality_wrapperIN6hipcub16HIPCUB_304000_NS8EqualityEEEPlJS6_EEE10hipError_tPvRmT3_T4_T5_T6_T7_T9_mT8_P12ihipStream_tbDpT10_ENKUlT_T0_E_clISt17integral_constantIbLb0EES16_IbLb1EEEEDaS12_S13_EUlS12_E_NS1_11comp_targetILNS1_3genE5ELNS1_11target_archE942ELNS1_3gpuE9ELNS1_3repE0EEENS1_30default_config_static_selectorELNS0_4arch9wavefront6targetE1EEEvT1_.kd
    .uniform_work_group_size: 1
    .uses_dynamic_stack: false
    .vgpr_count:     0
    .vgpr_spill_count: 0
    .wavefront_size: 64
  - .agpr_count:     0
    .args:
      - .offset:         0
        .size:           128
        .value_kind:     by_value
    .group_segment_fixed_size: 4232
    .kernarg_segment_align: 8
    .kernarg_segment_size: 128
    .language:       OpenCL C
    .language_version:
      - 2
      - 0
    .max_flat_workgroup_size: 128
    .name:           _ZN7rocprim17ROCPRIM_400000_NS6detail17trampoline_kernelINS0_14default_configENS1_25partition_config_selectorILNS1_17partition_subalgoE8EhNS0_10empty_typeEbEEZZNS1_14partition_implILS5_8ELb0ES3_jPKhPS6_PKS6_NS0_5tupleIJPhS6_EEENSE_IJSB_SB_EEENS0_18inequality_wrapperIN6hipcub16HIPCUB_304000_NS8EqualityEEEPlJS6_EEE10hipError_tPvRmT3_T4_T5_T6_T7_T9_mT8_P12ihipStream_tbDpT10_ENKUlT_T0_E_clISt17integral_constantIbLb0EES16_IbLb1EEEEDaS12_S13_EUlS12_E_NS1_11comp_targetILNS1_3genE4ELNS1_11target_archE910ELNS1_3gpuE8ELNS1_3repE0EEENS1_30default_config_static_selectorELNS0_4arch9wavefront6targetE1EEEvT1_
    .private_segment_fixed_size: 0
    .sgpr_count:     64
    .sgpr_spill_count: 0
    .symbol:         _ZN7rocprim17ROCPRIM_400000_NS6detail17trampoline_kernelINS0_14default_configENS1_25partition_config_selectorILNS1_17partition_subalgoE8EhNS0_10empty_typeEbEEZZNS1_14partition_implILS5_8ELb0ES3_jPKhPS6_PKS6_NS0_5tupleIJPhS6_EEENSE_IJSB_SB_EEENS0_18inequality_wrapperIN6hipcub16HIPCUB_304000_NS8EqualityEEEPlJS6_EEE10hipError_tPvRmT3_T4_T5_T6_T7_T9_mT8_P12ihipStream_tbDpT10_ENKUlT_T0_E_clISt17integral_constantIbLb0EES16_IbLb1EEEEDaS12_S13_EUlS12_E_NS1_11comp_targetILNS1_3genE4ELNS1_11target_archE910ELNS1_3gpuE8ELNS1_3repE0EEENS1_30default_config_static_selectorELNS0_4arch9wavefront6targetE1EEEvT1_.kd
    .uniform_work_group_size: 1
    .uses_dynamic_stack: false
    .vgpr_count:     124
    .vgpr_spill_count: 0
    .wavefront_size: 64
  - .agpr_count:     0
    .args:
      - .offset:         0
        .size:           128
        .value_kind:     by_value
    .group_segment_fixed_size: 0
    .kernarg_segment_align: 8
    .kernarg_segment_size: 128
    .language:       OpenCL C
    .language_version:
      - 2
      - 0
    .max_flat_workgroup_size: 256
    .name:           _ZN7rocprim17ROCPRIM_400000_NS6detail17trampoline_kernelINS0_14default_configENS1_25partition_config_selectorILNS1_17partition_subalgoE8EhNS0_10empty_typeEbEEZZNS1_14partition_implILS5_8ELb0ES3_jPKhPS6_PKS6_NS0_5tupleIJPhS6_EEENSE_IJSB_SB_EEENS0_18inequality_wrapperIN6hipcub16HIPCUB_304000_NS8EqualityEEEPlJS6_EEE10hipError_tPvRmT3_T4_T5_T6_T7_T9_mT8_P12ihipStream_tbDpT10_ENKUlT_T0_E_clISt17integral_constantIbLb0EES16_IbLb1EEEEDaS12_S13_EUlS12_E_NS1_11comp_targetILNS1_3genE3ELNS1_11target_archE908ELNS1_3gpuE7ELNS1_3repE0EEENS1_30default_config_static_selectorELNS0_4arch9wavefront6targetE1EEEvT1_
    .private_segment_fixed_size: 0
    .sgpr_count:     4
    .sgpr_spill_count: 0
    .symbol:         _ZN7rocprim17ROCPRIM_400000_NS6detail17trampoline_kernelINS0_14default_configENS1_25partition_config_selectorILNS1_17partition_subalgoE8EhNS0_10empty_typeEbEEZZNS1_14partition_implILS5_8ELb0ES3_jPKhPS6_PKS6_NS0_5tupleIJPhS6_EEENSE_IJSB_SB_EEENS0_18inequality_wrapperIN6hipcub16HIPCUB_304000_NS8EqualityEEEPlJS6_EEE10hipError_tPvRmT3_T4_T5_T6_T7_T9_mT8_P12ihipStream_tbDpT10_ENKUlT_T0_E_clISt17integral_constantIbLb0EES16_IbLb1EEEEDaS12_S13_EUlS12_E_NS1_11comp_targetILNS1_3genE3ELNS1_11target_archE908ELNS1_3gpuE7ELNS1_3repE0EEENS1_30default_config_static_selectorELNS0_4arch9wavefront6targetE1EEEvT1_.kd
    .uniform_work_group_size: 1
    .uses_dynamic_stack: false
    .vgpr_count:     0
    .vgpr_spill_count: 0
    .wavefront_size: 64
  - .agpr_count:     0
    .args:
      - .offset:         0
        .size:           128
        .value_kind:     by_value
    .group_segment_fixed_size: 0
    .kernarg_segment_align: 8
    .kernarg_segment_size: 128
    .language:       OpenCL C
    .language_version:
      - 2
      - 0
    .max_flat_workgroup_size: 192
    .name:           _ZN7rocprim17ROCPRIM_400000_NS6detail17trampoline_kernelINS0_14default_configENS1_25partition_config_selectorILNS1_17partition_subalgoE8EhNS0_10empty_typeEbEEZZNS1_14partition_implILS5_8ELb0ES3_jPKhPS6_PKS6_NS0_5tupleIJPhS6_EEENSE_IJSB_SB_EEENS0_18inequality_wrapperIN6hipcub16HIPCUB_304000_NS8EqualityEEEPlJS6_EEE10hipError_tPvRmT3_T4_T5_T6_T7_T9_mT8_P12ihipStream_tbDpT10_ENKUlT_T0_E_clISt17integral_constantIbLb0EES16_IbLb1EEEEDaS12_S13_EUlS12_E_NS1_11comp_targetILNS1_3genE2ELNS1_11target_archE906ELNS1_3gpuE6ELNS1_3repE0EEENS1_30default_config_static_selectorELNS0_4arch9wavefront6targetE1EEEvT1_
    .private_segment_fixed_size: 0
    .sgpr_count:     4
    .sgpr_spill_count: 0
    .symbol:         _ZN7rocprim17ROCPRIM_400000_NS6detail17trampoline_kernelINS0_14default_configENS1_25partition_config_selectorILNS1_17partition_subalgoE8EhNS0_10empty_typeEbEEZZNS1_14partition_implILS5_8ELb0ES3_jPKhPS6_PKS6_NS0_5tupleIJPhS6_EEENSE_IJSB_SB_EEENS0_18inequality_wrapperIN6hipcub16HIPCUB_304000_NS8EqualityEEEPlJS6_EEE10hipError_tPvRmT3_T4_T5_T6_T7_T9_mT8_P12ihipStream_tbDpT10_ENKUlT_T0_E_clISt17integral_constantIbLb0EES16_IbLb1EEEEDaS12_S13_EUlS12_E_NS1_11comp_targetILNS1_3genE2ELNS1_11target_archE906ELNS1_3gpuE6ELNS1_3repE0EEENS1_30default_config_static_selectorELNS0_4arch9wavefront6targetE1EEEvT1_.kd
    .uniform_work_group_size: 1
    .uses_dynamic_stack: false
    .vgpr_count:     0
    .vgpr_spill_count: 0
    .wavefront_size: 64
  - .agpr_count:     0
    .args:
      - .offset:         0
        .size:           128
        .value_kind:     by_value
    .group_segment_fixed_size: 0
    .kernarg_segment_align: 8
    .kernarg_segment_size: 128
    .language:       OpenCL C
    .language_version:
      - 2
      - 0
    .max_flat_workgroup_size: 256
    .name:           _ZN7rocprim17ROCPRIM_400000_NS6detail17trampoline_kernelINS0_14default_configENS1_25partition_config_selectorILNS1_17partition_subalgoE8EhNS0_10empty_typeEbEEZZNS1_14partition_implILS5_8ELb0ES3_jPKhPS6_PKS6_NS0_5tupleIJPhS6_EEENSE_IJSB_SB_EEENS0_18inequality_wrapperIN6hipcub16HIPCUB_304000_NS8EqualityEEEPlJS6_EEE10hipError_tPvRmT3_T4_T5_T6_T7_T9_mT8_P12ihipStream_tbDpT10_ENKUlT_T0_E_clISt17integral_constantIbLb0EES16_IbLb1EEEEDaS12_S13_EUlS12_E_NS1_11comp_targetILNS1_3genE10ELNS1_11target_archE1200ELNS1_3gpuE4ELNS1_3repE0EEENS1_30default_config_static_selectorELNS0_4arch9wavefront6targetE1EEEvT1_
    .private_segment_fixed_size: 0
    .sgpr_count:     4
    .sgpr_spill_count: 0
    .symbol:         _ZN7rocprim17ROCPRIM_400000_NS6detail17trampoline_kernelINS0_14default_configENS1_25partition_config_selectorILNS1_17partition_subalgoE8EhNS0_10empty_typeEbEEZZNS1_14partition_implILS5_8ELb0ES3_jPKhPS6_PKS6_NS0_5tupleIJPhS6_EEENSE_IJSB_SB_EEENS0_18inequality_wrapperIN6hipcub16HIPCUB_304000_NS8EqualityEEEPlJS6_EEE10hipError_tPvRmT3_T4_T5_T6_T7_T9_mT8_P12ihipStream_tbDpT10_ENKUlT_T0_E_clISt17integral_constantIbLb0EES16_IbLb1EEEEDaS12_S13_EUlS12_E_NS1_11comp_targetILNS1_3genE10ELNS1_11target_archE1200ELNS1_3gpuE4ELNS1_3repE0EEENS1_30default_config_static_selectorELNS0_4arch9wavefront6targetE1EEEvT1_.kd
    .uniform_work_group_size: 1
    .uses_dynamic_stack: false
    .vgpr_count:     0
    .vgpr_spill_count: 0
    .wavefront_size: 64
  - .agpr_count:     0
    .args:
      - .offset:         0
        .size:           128
        .value_kind:     by_value
    .group_segment_fixed_size: 0
    .kernarg_segment_align: 8
    .kernarg_segment_size: 128
    .language:       OpenCL C
    .language_version:
      - 2
      - 0
    .max_flat_workgroup_size: 384
    .name:           _ZN7rocprim17ROCPRIM_400000_NS6detail17trampoline_kernelINS0_14default_configENS1_25partition_config_selectorILNS1_17partition_subalgoE8EhNS0_10empty_typeEbEEZZNS1_14partition_implILS5_8ELb0ES3_jPKhPS6_PKS6_NS0_5tupleIJPhS6_EEENSE_IJSB_SB_EEENS0_18inequality_wrapperIN6hipcub16HIPCUB_304000_NS8EqualityEEEPlJS6_EEE10hipError_tPvRmT3_T4_T5_T6_T7_T9_mT8_P12ihipStream_tbDpT10_ENKUlT_T0_E_clISt17integral_constantIbLb0EES16_IbLb1EEEEDaS12_S13_EUlS12_E_NS1_11comp_targetILNS1_3genE9ELNS1_11target_archE1100ELNS1_3gpuE3ELNS1_3repE0EEENS1_30default_config_static_selectorELNS0_4arch9wavefront6targetE1EEEvT1_
    .private_segment_fixed_size: 0
    .sgpr_count:     4
    .sgpr_spill_count: 0
    .symbol:         _ZN7rocprim17ROCPRIM_400000_NS6detail17trampoline_kernelINS0_14default_configENS1_25partition_config_selectorILNS1_17partition_subalgoE8EhNS0_10empty_typeEbEEZZNS1_14partition_implILS5_8ELb0ES3_jPKhPS6_PKS6_NS0_5tupleIJPhS6_EEENSE_IJSB_SB_EEENS0_18inequality_wrapperIN6hipcub16HIPCUB_304000_NS8EqualityEEEPlJS6_EEE10hipError_tPvRmT3_T4_T5_T6_T7_T9_mT8_P12ihipStream_tbDpT10_ENKUlT_T0_E_clISt17integral_constantIbLb0EES16_IbLb1EEEEDaS12_S13_EUlS12_E_NS1_11comp_targetILNS1_3genE9ELNS1_11target_archE1100ELNS1_3gpuE3ELNS1_3repE0EEENS1_30default_config_static_selectorELNS0_4arch9wavefront6targetE1EEEvT1_.kd
    .uniform_work_group_size: 1
    .uses_dynamic_stack: false
    .vgpr_count:     0
    .vgpr_spill_count: 0
    .wavefront_size: 64
  - .agpr_count:     0
    .args:
      - .offset:         0
        .size:           128
        .value_kind:     by_value
    .group_segment_fixed_size: 0
    .kernarg_segment_align: 8
    .kernarg_segment_size: 128
    .language:       OpenCL C
    .language_version:
      - 2
      - 0
    .max_flat_workgroup_size: 384
    .name:           _ZN7rocprim17ROCPRIM_400000_NS6detail17trampoline_kernelINS0_14default_configENS1_25partition_config_selectorILNS1_17partition_subalgoE8EhNS0_10empty_typeEbEEZZNS1_14partition_implILS5_8ELb0ES3_jPKhPS6_PKS6_NS0_5tupleIJPhS6_EEENSE_IJSB_SB_EEENS0_18inequality_wrapperIN6hipcub16HIPCUB_304000_NS8EqualityEEEPlJS6_EEE10hipError_tPvRmT3_T4_T5_T6_T7_T9_mT8_P12ihipStream_tbDpT10_ENKUlT_T0_E_clISt17integral_constantIbLb0EES16_IbLb1EEEEDaS12_S13_EUlS12_E_NS1_11comp_targetILNS1_3genE8ELNS1_11target_archE1030ELNS1_3gpuE2ELNS1_3repE0EEENS1_30default_config_static_selectorELNS0_4arch9wavefront6targetE1EEEvT1_
    .private_segment_fixed_size: 0
    .sgpr_count:     4
    .sgpr_spill_count: 0
    .symbol:         _ZN7rocprim17ROCPRIM_400000_NS6detail17trampoline_kernelINS0_14default_configENS1_25partition_config_selectorILNS1_17partition_subalgoE8EhNS0_10empty_typeEbEEZZNS1_14partition_implILS5_8ELb0ES3_jPKhPS6_PKS6_NS0_5tupleIJPhS6_EEENSE_IJSB_SB_EEENS0_18inequality_wrapperIN6hipcub16HIPCUB_304000_NS8EqualityEEEPlJS6_EEE10hipError_tPvRmT3_T4_T5_T6_T7_T9_mT8_P12ihipStream_tbDpT10_ENKUlT_T0_E_clISt17integral_constantIbLb0EES16_IbLb1EEEEDaS12_S13_EUlS12_E_NS1_11comp_targetILNS1_3genE8ELNS1_11target_archE1030ELNS1_3gpuE2ELNS1_3repE0EEENS1_30default_config_static_selectorELNS0_4arch9wavefront6targetE1EEEvT1_.kd
    .uniform_work_group_size: 1
    .uses_dynamic_stack: false
    .vgpr_count:     0
    .vgpr_spill_count: 0
    .wavefront_size: 64
  - .agpr_count:     0
    .args:
      - .offset:         0
        .size:           128
        .value_kind:     by_value
    .group_segment_fixed_size: 0
    .kernarg_segment_align: 8
    .kernarg_segment_size: 128
    .language:       OpenCL C
    .language_version:
      - 2
      - 0
    .max_flat_workgroup_size: 256
    .name:           _ZN7rocprim17ROCPRIM_400000_NS6detail17trampoline_kernelINS0_14default_configENS1_33run_length_encode_config_selectorIhjNS0_4plusIjEEEEZZNS1_33reduce_by_key_impl_wrapped_configILNS1_25lookback_scan_determinismE0ES3_S7_PKhNS0_17constant_iteratorIjlEEPhPlSF_S6_NS0_8equal_toIhEEEE10hipError_tPvRmT2_T3_mT4_T5_T6_T7_T8_P12ihipStream_tbENKUlT_T0_E_clISt17integral_constantIbLb0EESZ_EEDaSU_SV_EUlSU_E_NS1_11comp_targetILNS1_3genE0ELNS1_11target_archE4294967295ELNS1_3gpuE0ELNS1_3repE0EEENS1_30default_config_static_selectorELNS0_4arch9wavefront6targetE1EEEvT1_
    .private_segment_fixed_size: 0
    .sgpr_count:     4
    .sgpr_spill_count: 0
    .symbol:         _ZN7rocprim17ROCPRIM_400000_NS6detail17trampoline_kernelINS0_14default_configENS1_33run_length_encode_config_selectorIhjNS0_4plusIjEEEEZZNS1_33reduce_by_key_impl_wrapped_configILNS1_25lookback_scan_determinismE0ES3_S7_PKhNS0_17constant_iteratorIjlEEPhPlSF_S6_NS0_8equal_toIhEEEE10hipError_tPvRmT2_T3_mT4_T5_T6_T7_T8_P12ihipStream_tbENKUlT_T0_E_clISt17integral_constantIbLb0EESZ_EEDaSU_SV_EUlSU_E_NS1_11comp_targetILNS1_3genE0ELNS1_11target_archE4294967295ELNS1_3gpuE0ELNS1_3repE0EEENS1_30default_config_static_selectorELNS0_4arch9wavefront6targetE1EEEvT1_.kd
    .uniform_work_group_size: 1
    .uses_dynamic_stack: false
    .vgpr_count:     0
    .vgpr_spill_count: 0
    .wavefront_size: 64
  - .agpr_count:     0
    .args:
      - .offset:         0
        .size:           128
        .value_kind:     by_value
    .group_segment_fixed_size: 0
    .kernarg_segment_align: 8
    .kernarg_segment_size: 128
    .language:       OpenCL C
    .language_version:
      - 2
      - 0
    .max_flat_workgroup_size: 512
    .name:           _ZN7rocprim17ROCPRIM_400000_NS6detail17trampoline_kernelINS0_14default_configENS1_33run_length_encode_config_selectorIhjNS0_4plusIjEEEEZZNS1_33reduce_by_key_impl_wrapped_configILNS1_25lookback_scan_determinismE0ES3_S7_PKhNS0_17constant_iteratorIjlEEPhPlSF_S6_NS0_8equal_toIhEEEE10hipError_tPvRmT2_T3_mT4_T5_T6_T7_T8_P12ihipStream_tbENKUlT_T0_E_clISt17integral_constantIbLb0EESZ_EEDaSU_SV_EUlSU_E_NS1_11comp_targetILNS1_3genE5ELNS1_11target_archE942ELNS1_3gpuE9ELNS1_3repE0EEENS1_30default_config_static_selectorELNS0_4arch9wavefront6targetE1EEEvT1_
    .private_segment_fixed_size: 0
    .sgpr_count:     4
    .sgpr_spill_count: 0
    .symbol:         _ZN7rocprim17ROCPRIM_400000_NS6detail17trampoline_kernelINS0_14default_configENS1_33run_length_encode_config_selectorIhjNS0_4plusIjEEEEZZNS1_33reduce_by_key_impl_wrapped_configILNS1_25lookback_scan_determinismE0ES3_S7_PKhNS0_17constant_iteratorIjlEEPhPlSF_S6_NS0_8equal_toIhEEEE10hipError_tPvRmT2_T3_mT4_T5_T6_T7_T8_P12ihipStream_tbENKUlT_T0_E_clISt17integral_constantIbLb0EESZ_EEDaSU_SV_EUlSU_E_NS1_11comp_targetILNS1_3genE5ELNS1_11target_archE942ELNS1_3gpuE9ELNS1_3repE0EEENS1_30default_config_static_selectorELNS0_4arch9wavefront6targetE1EEEvT1_.kd
    .uniform_work_group_size: 1
    .uses_dynamic_stack: false
    .vgpr_count:     0
    .vgpr_spill_count: 0
    .wavefront_size: 64
  - .agpr_count:     0
    .args:
      - .offset:         0
        .size:           128
        .value_kind:     by_value
    .group_segment_fixed_size: 15360
    .kernarg_segment_align: 8
    .kernarg_segment_size: 128
    .language:       OpenCL C
    .language_version:
      - 2
      - 0
    .max_flat_workgroup_size: 256
    .name:           _ZN7rocprim17ROCPRIM_400000_NS6detail17trampoline_kernelINS0_14default_configENS1_33run_length_encode_config_selectorIhjNS0_4plusIjEEEEZZNS1_33reduce_by_key_impl_wrapped_configILNS1_25lookback_scan_determinismE0ES3_S7_PKhNS0_17constant_iteratorIjlEEPhPlSF_S6_NS0_8equal_toIhEEEE10hipError_tPvRmT2_T3_mT4_T5_T6_T7_T8_P12ihipStream_tbENKUlT_T0_E_clISt17integral_constantIbLb0EESZ_EEDaSU_SV_EUlSU_E_NS1_11comp_targetILNS1_3genE4ELNS1_11target_archE910ELNS1_3gpuE8ELNS1_3repE0EEENS1_30default_config_static_selectorELNS0_4arch9wavefront6targetE1EEEvT1_
    .private_segment_fixed_size: 0
    .sgpr_count:     68
    .sgpr_spill_count: 0
    .symbol:         _ZN7rocprim17ROCPRIM_400000_NS6detail17trampoline_kernelINS0_14default_configENS1_33run_length_encode_config_selectorIhjNS0_4plusIjEEEEZZNS1_33reduce_by_key_impl_wrapped_configILNS1_25lookback_scan_determinismE0ES3_S7_PKhNS0_17constant_iteratorIjlEEPhPlSF_S6_NS0_8equal_toIhEEEE10hipError_tPvRmT2_T3_mT4_T5_T6_T7_T8_P12ihipStream_tbENKUlT_T0_E_clISt17integral_constantIbLb0EESZ_EEDaSU_SV_EUlSU_E_NS1_11comp_targetILNS1_3genE4ELNS1_11target_archE910ELNS1_3gpuE8ELNS1_3repE0EEENS1_30default_config_static_selectorELNS0_4arch9wavefront6targetE1EEEvT1_.kd
    .uniform_work_group_size: 1
    .uses_dynamic_stack: false
    .vgpr_count:     115
    .vgpr_spill_count: 0
    .wavefront_size: 64
  - .agpr_count:     0
    .args:
      - .offset:         0
        .size:           128
        .value_kind:     by_value
    .group_segment_fixed_size: 0
    .kernarg_segment_align: 8
    .kernarg_segment_size: 128
    .language:       OpenCL C
    .language_version:
      - 2
      - 0
    .max_flat_workgroup_size: 256
    .name:           _ZN7rocprim17ROCPRIM_400000_NS6detail17trampoline_kernelINS0_14default_configENS1_33run_length_encode_config_selectorIhjNS0_4plusIjEEEEZZNS1_33reduce_by_key_impl_wrapped_configILNS1_25lookback_scan_determinismE0ES3_S7_PKhNS0_17constant_iteratorIjlEEPhPlSF_S6_NS0_8equal_toIhEEEE10hipError_tPvRmT2_T3_mT4_T5_T6_T7_T8_P12ihipStream_tbENKUlT_T0_E_clISt17integral_constantIbLb0EESZ_EEDaSU_SV_EUlSU_E_NS1_11comp_targetILNS1_3genE3ELNS1_11target_archE908ELNS1_3gpuE7ELNS1_3repE0EEENS1_30default_config_static_selectorELNS0_4arch9wavefront6targetE1EEEvT1_
    .private_segment_fixed_size: 0
    .sgpr_count:     4
    .sgpr_spill_count: 0
    .symbol:         _ZN7rocprim17ROCPRIM_400000_NS6detail17trampoline_kernelINS0_14default_configENS1_33run_length_encode_config_selectorIhjNS0_4plusIjEEEEZZNS1_33reduce_by_key_impl_wrapped_configILNS1_25lookback_scan_determinismE0ES3_S7_PKhNS0_17constant_iteratorIjlEEPhPlSF_S6_NS0_8equal_toIhEEEE10hipError_tPvRmT2_T3_mT4_T5_T6_T7_T8_P12ihipStream_tbENKUlT_T0_E_clISt17integral_constantIbLb0EESZ_EEDaSU_SV_EUlSU_E_NS1_11comp_targetILNS1_3genE3ELNS1_11target_archE908ELNS1_3gpuE7ELNS1_3repE0EEENS1_30default_config_static_selectorELNS0_4arch9wavefront6targetE1EEEvT1_.kd
    .uniform_work_group_size: 1
    .uses_dynamic_stack: false
    .vgpr_count:     0
    .vgpr_spill_count: 0
    .wavefront_size: 64
  - .agpr_count:     0
    .args:
      - .offset:         0
        .size:           128
        .value_kind:     by_value
    .group_segment_fixed_size: 0
    .kernarg_segment_align: 8
    .kernarg_segment_size: 128
    .language:       OpenCL C
    .language_version:
      - 2
      - 0
    .max_flat_workgroup_size: 256
    .name:           _ZN7rocprim17ROCPRIM_400000_NS6detail17trampoline_kernelINS0_14default_configENS1_33run_length_encode_config_selectorIhjNS0_4plusIjEEEEZZNS1_33reduce_by_key_impl_wrapped_configILNS1_25lookback_scan_determinismE0ES3_S7_PKhNS0_17constant_iteratorIjlEEPhPlSF_S6_NS0_8equal_toIhEEEE10hipError_tPvRmT2_T3_mT4_T5_T6_T7_T8_P12ihipStream_tbENKUlT_T0_E_clISt17integral_constantIbLb0EESZ_EEDaSU_SV_EUlSU_E_NS1_11comp_targetILNS1_3genE2ELNS1_11target_archE906ELNS1_3gpuE6ELNS1_3repE0EEENS1_30default_config_static_selectorELNS0_4arch9wavefront6targetE1EEEvT1_
    .private_segment_fixed_size: 0
    .sgpr_count:     4
    .sgpr_spill_count: 0
    .symbol:         _ZN7rocprim17ROCPRIM_400000_NS6detail17trampoline_kernelINS0_14default_configENS1_33run_length_encode_config_selectorIhjNS0_4plusIjEEEEZZNS1_33reduce_by_key_impl_wrapped_configILNS1_25lookback_scan_determinismE0ES3_S7_PKhNS0_17constant_iteratorIjlEEPhPlSF_S6_NS0_8equal_toIhEEEE10hipError_tPvRmT2_T3_mT4_T5_T6_T7_T8_P12ihipStream_tbENKUlT_T0_E_clISt17integral_constantIbLb0EESZ_EEDaSU_SV_EUlSU_E_NS1_11comp_targetILNS1_3genE2ELNS1_11target_archE906ELNS1_3gpuE6ELNS1_3repE0EEENS1_30default_config_static_selectorELNS0_4arch9wavefront6targetE1EEEvT1_.kd
    .uniform_work_group_size: 1
    .uses_dynamic_stack: false
    .vgpr_count:     0
    .vgpr_spill_count: 0
    .wavefront_size: 64
  - .agpr_count:     0
    .args:
      - .offset:         0
        .size:           128
        .value_kind:     by_value
    .group_segment_fixed_size: 0
    .kernarg_segment_align: 8
    .kernarg_segment_size: 128
    .language:       OpenCL C
    .language_version:
      - 2
      - 0
    .max_flat_workgroup_size: 384
    .name:           _ZN7rocprim17ROCPRIM_400000_NS6detail17trampoline_kernelINS0_14default_configENS1_33run_length_encode_config_selectorIhjNS0_4plusIjEEEEZZNS1_33reduce_by_key_impl_wrapped_configILNS1_25lookback_scan_determinismE0ES3_S7_PKhNS0_17constant_iteratorIjlEEPhPlSF_S6_NS0_8equal_toIhEEEE10hipError_tPvRmT2_T3_mT4_T5_T6_T7_T8_P12ihipStream_tbENKUlT_T0_E_clISt17integral_constantIbLb0EESZ_EEDaSU_SV_EUlSU_E_NS1_11comp_targetILNS1_3genE10ELNS1_11target_archE1201ELNS1_3gpuE5ELNS1_3repE0EEENS1_30default_config_static_selectorELNS0_4arch9wavefront6targetE1EEEvT1_
    .private_segment_fixed_size: 0
    .sgpr_count:     4
    .sgpr_spill_count: 0
    .symbol:         _ZN7rocprim17ROCPRIM_400000_NS6detail17trampoline_kernelINS0_14default_configENS1_33run_length_encode_config_selectorIhjNS0_4plusIjEEEEZZNS1_33reduce_by_key_impl_wrapped_configILNS1_25lookback_scan_determinismE0ES3_S7_PKhNS0_17constant_iteratorIjlEEPhPlSF_S6_NS0_8equal_toIhEEEE10hipError_tPvRmT2_T3_mT4_T5_T6_T7_T8_P12ihipStream_tbENKUlT_T0_E_clISt17integral_constantIbLb0EESZ_EEDaSU_SV_EUlSU_E_NS1_11comp_targetILNS1_3genE10ELNS1_11target_archE1201ELNS1_3gpuE5ELNS1_3repE0EEENS1_30default_config_static_selectorELNS0_4arch9wavefront6targetE1EEEvT1_.kd
    .uniform_work_group_size: 1
    .uses_dynamic_stack: false
    .vgpr_count:     0
    .vgpr_spill_count: 0
    .wavefront_size: 64
  - .agpr_count:     0
    .args:
      - .offset:         0
        .size:           128
        .value_kind:     by_value
    .group_segment_fixed_size: 0
    .kernarg_segment_align: 8
    .kernarg_segment_size: 128
    .language:       OpenCL C
    .language_version:
      - 2
      - 0
    .max_flat_workgroup_size: 384
    .name:           _ZN7rocprim17ROCPRIM_400000_NS6detail17trampoline_kernelINS0_14default_configENS1_33run_length_encode_config_selectorIhjNS0_4plusIjEEEEZZNS1_33reduce_by_key_impl_wrapped_configILNS1_25lookback_scan_determinismE0ES3_S7_PKhNS0_17constant_iteratorIjlEEPhPlSF_S6_NS0_8equal_toIhEEEE10hipError_tPvRmT2_T3_mT4_T5_T6_T7_T8_P12ihipStream_tbENKUlT_T0_E_clISt17integral_constantIbLb0EESZ_EEDaSU_SV_EUlSU_E_NS1_11comp_targetILNS1_3genE10ELNS1_11target_archE1200ELNS1_3gpuE4ELNS1_3repE0EEENS1_30default_config_static_selectorELNS0_4arch9wavefront6targetE1EEEvT1_
    .private_segment_fixed_size: 0
    .sgpr_count:     4
    .sgpr_spill_count: 0
    .symbol:         _ZN7rocprim17ROCPRIM_400000_NS6detail17trampoline_kernelINS0_14default_configENS1_33run_length_encode_config_selectorIhjNS0_4plusIjEEEEZZNS1_33reduce_by_key_impl_wrapped_configILNS1_25lookback_scan_determinismE0ES3_S7_PKhNS0_17constant_iteratorIjlEEPhPlSF_S6_NS0_8equal_toIhEEEE10hipError_tPvRmT2_T3_mT4_T5_T6_T7_T8_P12ihipStream_tbENKUlT_T0_E_clISt17integral_constantIbLb0EESZ_EEDaSU_SV_EUlSU_E_NS1_11comp_targetILNS1_3genE10ELNS1_11target_archE1200ELNS1_3gpuE4ELNS1_3repE0EEENS1_30default_config_static_selectorELNS0_4arch9wavefront6targetE1EEEvT1_.kd
    .uniform_work_group_size: 1
    .uses_dynamic_stack: false
    .vgpr_count:     0
    .vgpr_spill_count: 0
    .wavefront_size: 64
  - .agpr_count:     0
    .args:
      - .offset:         0
        .size:           128
        .value_kind:     by_value
    .group_segment_fixed_size: 0
    .kernarg_segment_align: 8
    .kernarg_segment_size: 128
    .language:       OpenCL C
    .language_version:
      - 2
      - 0
    .max_flat_workgroup_size: 384
    .name:           _ZN7rocprim17ROCPRIM_400000_NS6detail17trampoline_kernelINS0_14default_configENS1_33run_length_encode_config_selectorIhjNS0_4plusIjEEEEZZNS1_33reduce_by_key_impl_wrapped_configILNS1_25lookback_scan_determinismE0ES3_S7_PKhNS0_17constant_iteratorIjlEEPhPlSF_S6_NS0_8equal_toIhEEEE10hipError_tPvRmT2_T3_mT4_T5_T6_T7_T8_P12ihipStream_tbENKUlT_T0_E_clISt17integral_constantIbLb0EESZ_EEDaSU_SV_EUlSU_E_NS1_11comp_targetILNS1_3genE9ELNS1_11target_archE1100ELNS1_3gpuE3ELNS1_3repE0EEENS1_30default_config_static_selectorELNS0_4arch9wavefront6targetE1EEEvT1_
    .private_segment_fixed_size: 0
    .sgpr_count:     4
    .sgpr_spill_count: 0
    .symbol:         _ZN7rocprim17ROCPRIM_400000_NS6detail17trampoline_kernelINS0_14default_configENS1_33run_length_encode_config_selectorIhjNS0_4plusIjEEEEZZNS1_33reduce_by_key_impl_wrapped_configILNS1_25lookback_scan_determinismE0ES3_S7_PKhNS0_17constant_iteratorIjlEEPhPlSF_S6_NS0_8equal_toIhEEEE10hipError_tPvRmT2_T3_mT4_T5_T6_T7_T8_P12ihipStream_tbENKUlT_T0_E_clISt17integral_constantIbLb0EESZ_EEDaSU_SV_EUlSU_E_NS1_11comp_targetILNS1_3genE9ELNS1_11target_archE1100ELNS1_3gpuE3ELNS1_3repE0EEENS1_30default_config_static_selectorELNS0_4arch9wavefront6targetE1EEEvT1_.kd
    .uniform_work_group_size: 1
    .uses_dynamic_stack: false
    .vgpr_count:     0
    .vgpr_spill_count: 0
    .wavefront_size: 64
  - .agpr_count:     0
    .args:
      - .offset:         0
        .size:           128
        .value_kind:     by_value
    .group_segment_fixed_size: 0
    .kernarg_segment_align: 8
    .kernarg_segment_size: 128
    .language:       OpenCL C
    .language_version:
      - 2
      - 0
    .max_flat_workgroup_size: 384
    .name:           _ZN7rocprim17ROCPRIM_400000_NS6detail17trampoline_kernelINS0_14default_configENS1_33run_length_encode_config_selectorIhjNS0_4plusIjEEEEZZNS1_33reduce_by_key_impl_wrapped_configILNS1_25lookback_scan_determinismE0ES3_S7_PKhNS0_17constant_iteratorIjlEEPhPlSF_S6_NS0_8equal_toIhEEEE10hipError_tPvRmT2_T3_mT4_T5_T6_T7_T8_P12ihipStream_tbENKUlT_T0_E_clISt17integral_constantIbLb0EESZ_EEDaSU_SV_EUlSU_E_NS1_11comp_targetILNS1_3genE8ELNS1_11target_archE1030ELNS1_3gpuE2ELNS1_3repE0EEENS1_30default_config_static_selectorELNS0_4arch9wavefront6targetE1EEEvT1_
    .private_segment_fixed_size: 0
    .sgpr_count:     4
    .sgpr_spill_count: 0
    .symbol:         _ZN7rocprim17ROCPRIM_400000_NS6detail17trampoline_kernelINS0_14default_configENS1_33run_length_encode_config_selectorIhjNS0_4plusIjEEEEZZNS1_33reduce_by_key_impl_wrapped_configILNS1_25lookback_scan_determinismE0ES3_S7_PKhNS0_17constant_iteratorIjlEEPhPlSF_S6_NS0_8equal_toIhEEEE10hipError_tPvRmT2_T3_mT4_T5_T6_T7_T8_P12ihipStream_tbENKUlT_T0_E_clISt17integral_constantIbLb0EESZ_EEDaSU_SV_EUlSU_E_NS1_11comp_targetILNS1_3genE8ELNS1_11target_archE1030ELNS1_3gpuE2ELNS1_3repE0EEENS1_30default_config_static_selectorELNS0_4arch9wavefront6targetE1EEEvT1_.kd
    .uniform_work_group_size: 1
    .uses_dynamic_stack: false
    .vgpr_count:     0
    .vgpr_spill_count: 0
    .wavefront_size: 64
  - .agpr_count:     0
    .args:
      - .offset:         0
        .size:           128
        .value_kind:     by_value
    .group_segment_fixed_size: 0
    .kernarg_segment_align: 8
    .kernarg_segment_size: 128
    .language:       OpenCL C
    .language_version:
      - 2
      - 0
    .max_flat_workgroup_size: 256
    .name:           _ZN7rocprim17ROCPRIM_400000_NS6detail17trampoline_kernelINS0_14default_configENS1_33run_length_encode_config_selectorIhjNS0_4plusIjEEEEZZNS1_33reduce_by_key_impl_wrapped_configILNS1_25lookback_scan_determinismE0ES3_S7_PKhNS0_17constant_iteratorIjlEEPhPlSF_S6_NS0_8equal_toIhEEEE10hipError_tPvRmT2_T3_mT4_T5_T6_T7_T8_P12ihipStream_tbENKUlT_T0_E_clISt17integral_constantIbLb1EESZ_EEDaSU_SV_EUlSU_E_NS1_11comp_targetILNS1_3genE0ELNS1_11target_archE4294967295ELNS1_3gpuE0ELNS1_3repE0EEENS1_30default_config_static_selectorELNS0_4arch9wavefront6targetE1EEEvT1_
    .private_segment_fixed_size: 0
    .sgpr_count:     4
    .sgpr_spill_count: 0
    .symbol:         _ZN7rocprim17ROCPRIM_400000_NS6detail17trampoline_kernelINS0_14default_configENS1_33run_length_encode_config_selectorIhjNS0_4plusIjEEEEZZNS1_33reduce_by_key_impl_wrapped_configILNS1_25lookback_scan_determinismE0ES3_S7_PKhNS0_17constant_iteratorIjlEEPhPlSF_S6_NS0_8equal_toIhEEEE10hipError_tPvRmT2_T3_mT4_T5_T6_T7_T8_P12ihipStream_tbENKUlT_T0_E_clISt17integral_constantIbLb1EESZ_EEDaSU_SV_EUlSU_E_NS1_11comp_targetILNS1_3genE0ELNS1_11target_archE4294967295ELNS1_3gpuE0ELNS1_3repE0EEENS1_30default_config_static_selectorELNS0_4arch9wavefront6targetE1EEEvT1_.kd
    .uniform_work_group_size: 1
    .uses_dynamic_stack: false
    .vgpr_count:     0
    .vgpr_spill_count: 0
    .wavefront_size: 64
  - .agpr_count:     0
    .args:
      - .offset:         0
        .size:           128
        .value_kind:     by_value
    .group_segment_fixed_size: 0
    .kernarg_segment_align: 8
    .kernarg_segment_size: 128
    .language:       OpenCL C
    .language_version:
      - 2
      - 0
    .max_flat_workgroup_size: 512
    .name:           _ZN7rocprim17ROCPRIM_400000_NS6detail17trampoline_kernelINS0_14default_configENS1_33run_length_encode_config_selectorIhjNS0_4plusIjEEEEZZNS1_33reduce_by_key_impl_wrapped_configILNS1_25lookback_scan_determinismE0ES3_S7_PKhNS0_17constant_iteratorIjlEEPhPlSF_S6_NS0_8equal_toIhEEEE10hipError_tPvRmT2_T3_mT4_T5_T6_T7_T8_P12ihipStream_tbENKUlT_T0_E_clISt17integral_constantIbLb1EESZ_EEDaSU_SV_EUlSU_E_NS1_11comp_targetILNS1_3genE5ELNS1_11target_archE942ELNS1_3gpuE9ELNS1_3repE0EEENS1_30default_config_static_selectorELNS0_4arch9wavefront6targetE1EEEvT1_
    .private_segment_fixed_size: 0
    .sgpr_count:     4
    .sgpr_spill_count: 0
    .symbol:         _ZN7rocprim17ROCPRIM_400000_NS6detail17trampoline_kernelINS0_14default_configENS1_33run_length_encode_config_selectorIhjNS0_4plusIjEEEEZZNS1_33reduce_by_key_impl_wrapped_configILNS1_25lookback_scan_determinismE0ES3_S7_PKhNS0_17constant_iteratorIjlEEPhPlSF_S6_NS0_8equal_toIhEEEE10hipError_tPvRmT2_T3_mT4_T5_T6_T7_T8_P12ihipStream_tbENKUlT_T0_E_clISt17integral_constantIbLb1EESZ_EEDaSU_SV_EUlSU_E_NS1_11comp_targetILNS1_3genE5ELNS1_11target_archE942ELNS1_3gpuE9ELNS1_3repE0EEENS1_30default_config_static_selectorELNS0_4arch9wavefront6targetE1EEEvT1_.kd
    .uniform_work_group_size: 1
    .uses_dynamic_stack: false
    .vgpr_count:     0
    .vgpr_spill_count: 0
    .wavefront_size: 64
  - .agpr_count:     0
    .args:
      - .offset:         0
        .size:           128
        .value_kind:     by_value
    .group_segment_fixed_size: 15360
    .kernarg_segment_align: 8
    .kernarg_segment_size: 128
    .language:       OpenCL C
    .language_version:
      - 2
      - 0
    .max_flat_workgroup_size: 256
    .name:           _ZN7rocprim17ROCPRIM_400000_NS6detail17trampoline_kernelINS0_14default_configENS1_33run_length_encode_config_selectorIhjNS0_4plusIjEEEEZZNS1_33reduce_by_key_impl_wrapped_configILNS1_25lookback_scan_determinismE0ES3_S7_PKhNS0_17constant_iteratorIjlEEPhPlSF_S6_NS0_8equal_toIhEEEE10hipError_tPvRmT2_T3_mT4_T5_T6_T7_T8_P12ihipStream_tbENKUlT_T0_E_clISt17integral_constantIbLb1EESZ_EEDaSU_SV_EUlSU_E_NS1_11comp_targetILNS1_3genE4ELNS1_11target_archE910ELNS1_3gpuE8ELNS1_3repE0EEENS1_30default_config_static_selectorELNS0_4arch9wavefront6targetE1EEEvT1_
    .private_segment_fixed_size: 0
    .sgpr_count:     70
    .sgpr_spill_count: 0
    .symbol:         _ZN7rocprim17ROCPRIM_400000_NS6detail17trampoline_kernelINS0_14default_configENS1_33run_length_encode_config_selectorIhjNS0_4plusIjEEEEZZNS1_33reduce_by_key_impl_wrapped_configILNS1_25lookback_scan_determinismE0ES3_S7_PKhNS0_17constant_iteratorIjlEEPhPlSF_S6_NS0_8equal_toIhEEEE10hipError_tPvRmT2_T3_mT4_T5_T6_T7_T8_P12ihipStream_tbENKUlT_T0_E_clISt17integral_constantIbLb1EESZ_EEDaSU_SV_EUlSU_E_NS1_11comp_targetILNS1_3genE4ELNS1_11target_archE910ELNS1_3gpuE8ELNS1_3repE0EEENS1_30default_config_static_selectorELNS0_4arch9wavefront6targetE1EEEvT1_.kd
    .uniform_work_group_size: 1
    .uses_dynamic_stack: false
    .vgpr_count:     115
    .vgpr_spill_count: 0
    .wavefront_size: 64
  - .agpr_count:     0
    .args:
      - .offset:         0
        .size:           128
        .value_kind:     by_value
    .group_segment_fixed_size: 0
    .kernarg_segment_align: 8
    .kernarg_segment_size: 128
    .language:       OpenCL C
    .language_version:
      - 2
      - 0
    .max_flat_workgroup_size: 256
    .name:           _ZN7rocprim17ROCPRIM_400000_NS6detail17trampoline_kernelINS0_14default_configENS1_33run_length_encode_config_selectorIhjNS0_4plusIjEEEEZZNS1_33reduce_by_key_impl_wrapped_configILNS1_25lookback_scan_determinismE0ES3_S7_PKhNS0_17constant_iteratorIjlEEPhPlSF_S6_NS0_8equal_toIhEEEE10hipError_tPvRmT2_T3_mT4_T5_T6_T7_T8_P12ihipStream_tbENKUlT_T0_E_clISt17integral_constantIbLb1EESZ_EEDaSU_SV_EUlSU_E_NS1_11comp_targetILNS1_3genE3ELNS1_11target_archE908ELNS1_3gpuE7ELNS1_3repE0EEENS1_30default_config_static_selectorELNS0_4arch9wavefront6targetE1EEEvT1_
    .private_segment_fixed_size: 0
    .sgpr_count:     4
    .sgpr_spill_count: 0
    .symbol:         _ZN7rocprim17ROCPRIM_400000_NS6detail17trampoline_kernelINS0_14default_configENS1_33run_length_encode_config_selectorIhjNS0_4plusIjEEEEZZNS1_33reduce_by_key_impl_wrapped_configILNS1_25lookback_scan_determinismE0ES3_S7_PKhNS0_17constant_iteratorIjlEEPhPlSF_S6_NS0_8equal_toIhEEEE10hipError_tPvRmT2_T3_mT4_T5_T6_T7_T8_P12ihipStream_tbENKUlT_T0_E_clISt17integral_constantIbLb1EESZ_EEDaSU_SV_EUlSU_E_NS1_11comp_targetILNS1_3genE3ELNS1_11target_archE908ELNS1_3gpuE7ELNS1_3repE0EEENS1_30default_config_static_selectorELNS0_4arch9wavefront6targetE1EEEvT1_.kd
    .uniform_work_group_size: 1
    .uses_dynamic_stack: false
    .vgpr_count:     0
    .vgpr_spill_count: 0
    .wavefront_size: 64
  - .agpr_count:     0
    .args:
      - .offset:         0
        .size:           128
        .value_kind:     by_value
    .group_segment_fixed_size: 0
    .kernarg_segment_align: 8
    .kernarg_segment_size: 128
    .language:       OpenCL C
    .language_version:
      - 2
      - 0
    .max_flat_workgroup_size: 256
    .name:           _ZN7rocprim17ROCPRIM_400000_NS6detail17trampoline_kernelINS0_14default_configENS1_33run_length_encode_config_selectorIhjNS0_4plusIjEEEEZZNS1_33reduce_by_key_impl_wrapped_configILNS1_25lookback_scan_determinismE0ES3_S7_PKhNS0_17constant_iteratorIjlEEPhPlSF_S6_NS0_8equal_toIhEEEE10hipError_tPvRmT2_T3_mT4_T5_T6_T7_T8_P12ihipStream_tbENKUlT_T0_E_clISt17integral_constantIbLb1EESZ_EEDaSU_SV_EUlSU_E_NS1_11comp_targetILNS1_3genE2ELNS1_11target_archE906ELNS1_3gpuE6ELNS1_3repE0EEENS1_30default_config_static_selectorELNS0_4arch9wavefront6targetE1EEEvT1_
    .private_segment_fixed_size: 0
    .sgpr_count:     4
    .sgpr_spill_count: 0
    .symbol:         _ZN7rocprim17ROCPRIM_400000_NS6detail17trampoline_kernelINS0_14default_configENS1_33run_length_encode_config_selectorIhjNS0_4plusIjEEEEZZNS1_33reduce_by_key_impl_wrapped_configILNS1_25lookback_scan_determinismE0ES3_S7_PKhNS0_17constant_iteratorIjlEEPhPlSF_S6_NS0_8equal_toIhEEEE10hipError_tPvRmT2_T3_mT4_T5_T6_T7_T8_P12ihipStream_tbENKUlT_T0_E_clISt17integral_constantIbLb1EESZ_EEDaSU_SV_EUlSU_E_NS1_11comp_targetILNS1_3genE2ELNS1_11target_archE906ELNS1_3gpuE6ELNS1_3repE0EEENS1_30default_config_static_selectorELNS0_4arch9wavefront6targetE1EEEvT1_.kd
    .uniform_work_group_size: 1
    .uses_dynamic_stack: false
    .vgpr_count:     0
    .vgpr_spill_count: 0
    .wavefront_size: 64
  - .agpr_count:     0
    .args:
      - .offset:         0
        .size:           128
        .value_kind:     by_value
    .group_segment_fixed_size: 0
    .kernarg_segment_align: 8
    .kernarg_segment_size: 128
    .language:       OpenCL C
    .language_version:
      - 2
      - 0
    .max_flat_workgroup_size: 384
    .name:           _ZN7rocprim17ROCPRIM_400000_NS6detail17trampoline_kernelINS0_14default_configENS1_33run_length_encode_config_selectorIhjNS0_4plusIjEEEEZZNS1_33reduce_by_key_impl_wrapped_configILNS1_25lookback_scan_determinismE0ES3_S7_PKhNS0_17constant_iteratorIjlEEPhPlSF_S6_NS0_8equal_toIhEEEE10hipError_tPvRmT2_T3_mT4_T5_T6_T7_T8_P12ihipStream_tbENKUlT_T0_E_clISt17integral_constantIbLb1EESZ_EEDaSU_SV_EUlSU_E_NS1_11comp_targetILNS1_3genE10ELNS1_11target_archE1201ELNS1_3gpuE5ELNS1_3repE0EEENS1_30default_config_static_selectorELNS0_4arch9wavefront6targetE1EEEvT1_
    .private_segment_fixed_size: 0
    .sgpr_count:     4
    .sgpr_spill_count: 0
    .symbol:         _ZN7rocprim17ROCPRIM_400000_NS6detail17trampoline_kernelINS0_14default_configENS1_33run_length_encode_config_selectorIhjNS0_4plusIjEEEEZZNS1_33reduce_by_key_impl_wrapped_configILNS1_25lookback_scan_determinismE0ES3_S7_PKhNS0_17constant_iteratorIjlEEPhPlSF_S6_NS0_8equal_toIhEEEE10hipError_tPvRmT2_T3_mT4_T5_T6_T7_T8_P12ihipStream_tbENKUlT_T0_E_clISt17integral_constantIbLb1EESZ_EEDaSU_SV_EUlSU_E_NS1_11comp_targetILNS1_3genE10ELNS1_11target_archE1201ELNS1_3gpuE5ELNS1_3repE0EEENS1_30default_config_static_selectorELNS0_4arch9wavefront6targetE1EEEvT1_.kd
    .uniform_work_group_size: 1
    .uses_dynamic_stack: false
    .vgpr_count:     0
    .vgpr_spill_count: 0
    .wavefront_size: 64
  - .agpr_count:     0
    .args:
      - .offset:         0
        .size:           128
        .value_kind:     by_value
    .group_segment_fixed_size: 0
    .kernarg_segment_align: 8
    .kernarg_segment_size: 128
    .language:       OpenCL C
    .language_version:
      - 2
      - 0
    .max_flat_workgroup_size: 384
    .name:           _ZN7rocprim17ROCPRIM_400000_NS6detail17trampoline_kernelINS0_14default_configENS1_33run_length_encode_config_selectorIhjNS0_4plusIjEEEEZZNS1_33reduce_by_key_impl_wrapped_configILNS1_25lookback_scan_determinismE0ES3_S7_PKhNS0_17constant_iteratorIjlEEPhPlSF_S6_NS0_8equal_toIhEEEE10hipError_tPvRmT2_T3_mT4_T5_T6_T7_T8_P12ihipStream_tbENKUlT_T0_E_clISt17integral_constantIbLb1EESZ_EEDaSU_SV_EUlSU_E_NS1_11comp_targetILNS1_3genE10ELNS1_11target_archE1200ELNS1_3gpuE4ELNS1_3repE0EEENS1_30default_config_static_selectorELNS0_4arch9wavefront6targetE1EEEvT1_
    .private_segment_fixed_size: 0
    .sgpr_count:     4
    .sgpr_spill_count: 0
    .symbol:         _ZN7rocprim17ROCPRIM_400000_NS6detail17trampoline_kernelINS0_14default_configENS1_33run_length_encode_config_selectorIhjNS0_4plusIjEEEEZZNS1_33reduce_by_key_impl_wrapped_configILNS1_25lookback_scan_determinismE0ES3_S7_PKhNS0_17constant_iteratorIjlEEPhPlSF_S6_NS0_8equal_toIhEEEE10hipError_tPvRmT2_T3_mT4_T5_T6_T7_T8_P12ihipStream_tbENKUlT_T0_E_clISt17integral_constantIbLb1EESZ_EEDaSU_SV_EUlSU_E_NS1_11comp_targetILNS1_3genE10ELNS1_11target_archE1200ELNS1_3gpuE4ELNS1_3repE0EEENS1_30default_config_static_selectorELNS0_4arch9wavefront6targetE1EEEvT1_.kd
    .uniform_work_group_size: 1
    .uses_dynamic_stack: false
    .vgpr_count:     0
    .vgpr_spill_count: 0
    .wavefront_size: 64
  - .agpr_count:     0
    .args:
      - .offset:         0
        .size:           128
        .value_kind:     by_value
    .group_segment_fixed_size: 0
    .kernarg_segment_align: 8
    .kernarg_segment_size: 128
    .language:       OpenCL C
    .language_version:
      - 2
      - 0
    .max_flat_workgroup_size: 384
    .name:           _ZN7rocprim17ROCPRIM_400000_NS6detail17trampoline_kernelINS0_14default_configENS1_33run_length_encode_config_selectorIhjNS0_4plusIjEEEEZZNS1_33reduce_by_key_impl_wrapped_configILNS1_25lookback_scan_determinismE0ES3_S7_PKhNS0_17constant_iteratorIjlEEPhPlSF_S6_NS0_8equal_toIhEEEE10hipError_tPvRmT2_T3_mT4_T5_T6_T7_T8_P12ihipStream_tbENKUlT_T0_E_clISt17integral_constantIbLb1EESZ_EEDaSU_SV_EUlSU_E_NS1_11comp_targetILNS1_3genE9ELNS1_11target_archE1100ELNS1_3gpuE3ELNS1_3repE0EEENS1_30default_config_static_selectorELNS0_4arch9wavefront6targetE1EEEvT1_
    .private_segment_fixed_size: 0
    .sgpr_count:     4
    .sgpr_spill_count: 0
    .symbol:         _ZN7rocprim17ROCPRIM_400000_NS6detail17trampoline_kernelINS0_14default_configENS1_33run_length_encode_config_selectorIhjNS0_4plusIjEEEEZZNS1_33reduce_by_key_impl_wrapped_configILNS1_25lookback_scan_determinismE0ES3_S7_PKhNS0_17constant_iteratorIjlEEPhPlSF_S6_NS0_8equal_toIhEEEE10hipError_tPvRmT2_T3_mT4_T5_T6_T7_T8_P12ihipStream_tbENKUlT_T0_E_clISt17integral_constantIbLb1EESZ_EEDaSU_SV_EUlSU_E_NS1_11comp_targetILNS1_3genE9ELNS1_11target_archE1100ELNS1_3gpuE3ELNS1_3repE0EEENS1_30default_config_static_selectorELNS0_4arch9wavefront6targetE1EEEvT1_.kd
    .uniform_work_group_size: 1
    .uses_dynamic_stack: false
    .vgpr_count:     0
    .vgpr_spill_count: 0
    .wavefront_size: 64
  - .agpr_count:     0
    .args:
      - .offset:         0
        .size:           128
        .value_kind:     by_value
    .group_segment_fixed_size: 0
    .kernarg_segment_align: 8
    .kernarg_segment_size: 128
    .language:       OpenCL C
    .language_version:
      - 2
      - 0
    .max_flat_workgroup_size: 384
    .name:           _ZN7rocprim17ROCPRIM_400000_NS6detail17trampoline_kernelINS0_14default_configENS1_33run_length_encode_config_selectorIhjNS0_4plusIjEEEEZZNS1_33reduce_by_key_impl_wrapped_configILNS1_25lookback_scan_determinismE0ES3_S7_PKhNS0_17constant_iteratorIjlEEPhPlSF_S6_NS0_8equal_toIhEEEE10hipError_tPvRmT2_T3_mT4_T5_T6_T7_T8_P12ihipStream_tbENKUlT_T0_E_clISt17integral_constantIbLb1EESZ_EEDaSU_SV_EUlSU_E_NS1_11comp_targetILNS1_3genE8ELNS1_11target_archE1030ELNS1_3gpuE2ELNS1_3repE0EEENS1_30default_config_static_selectorELNS0_4arch9wavefront6targetE1EEEvT1_
    .private_segment_fixed_size: 0
    .sgpr_count:     4
    .sgpr_spill_count: 0
    .symbol:         _ZN7rocprim17ROCPRIM_400000_NS6detail17trampoline_kernelINS0_14default_configENS1_33run_length_encode_config_selectorIhjNS0_4plusIjEEEEZZNS1_33reduce_by_key_impl_wrapped_configILNS1_25lookback_scan_determinismE0ES3_S7_PKhNS0_17constant_iteratorIjlEEPhPlSF_S6_NS0_8equal_toIhEEEE10hipError_tPvRmT2_T3_mT4_T5_T6_T7_T8_P12ihipStream_tbENKUlT_T0_E_clISt17integral_constantIbLb1EESZ_EEDaSU_SV_EUlSU_E_NS1_11comp_targetILNS1_3genE8ELNS1_11target_archE1030ELNS1_3gpuE2ELNS1_3repE0EEENS1_30default_config_static_selectorELNS0_4arch9wavefront6targetE1EEEvT1_.kd
    .uniform_work_group_size: 1
    .uses_dynamic_stack: false
    .vgpr_count:     0
    .vgpr_spill_count: 0
    .wavefront_size: 64
  - .agpr_count:     0
    .args:
      - .offset:         0
        .size:           128
        .value_kind:     by_value
    .group_segment_fixed_size: 0
    .kernarg_segment_align: 8
    .kernarg_segment_size: 128
    .language:       OpenCL C
    .language_version:
      - 2
      - 0
    .max_flat_workgroup_size: 256
    .name:           _ZN7rocprim17ROCPRIM_400000_NS6detail17trampoline_kernelINS0_14default_configENS1_33run_length_encode_config_selectorIhjNS0_4plusIjEEEEZZNS1_33reduce_by_key_impl_wrapped_configILNS1_25lookback_scan_determinismE0ES3_S7_PKhNS0_17constant_iteratorIjlEEPhPlSF_S6_NS0_8equal_toIhEEEE10hipError_tPvRmT2_T3_mT4_T5_T6_T7_T8_P12ihipStream_tbENKUlT_T0_E_clISt17integral_constantIbLb1EESY_IbLb0EEEEDaSU_SV_EUlSU_E_NS1_11comp_targetILNS1_3genE0ELNS1_11target_archE4294967295ELNS1_3gpuE0ELNS1_3repE0EEENS1_30default_config_static_selectorELNS0_4arch9wavefront6targetE1EEEvT1_
    .private_segment_fixed_size: 0
    .sgpr_count:     4
    .sgpr_spill_count: 0
    .symbol:         _ZN7rocprim17ROCPRIM_400000_NS6detail17trampoline_kernelINS0_14default_configENS1_33run_length_encode_config_selectorIhjNS0_4plusIjEEEEZZNS1_33reduce_by_key_impl_wrapped_configILNS1_25lookback_scan_determinismE0ES3_S7_PKhNS0_17constant_iteratorIjlEEPhPlSF_S6_NS0_8equal_toIhEEEE10hipError_tPvRmT2_T3_mT4_T5_T6_T7_T8_P12ihipStream_tbENKUlT_T0_E_clISt17integral_constantIbLb1EESY_IbLb0EEEEDaSU_SV_EUlSU_E_NS1_11comp_targetILNS1_3genE0ELNS1_11target_archE4294967295ELNS1_3gpuE0ELNS1_3repE0EEENS1_30default_config_static_selectorELNS0_4arch9wavefront6targetE1EEEvT1_.kd
    .uniform_work_group_size: 1
    .uses_dynamic_stack: false
    .vgpr_count:     0
    .vgpr_spill_count: 0
    .wavefront_size: 64
  - .agpr_count:     0
    .args:
      - .offset:         0
        .size:           128
        .value_kind:     by_value
    .group_segment_fixed_size: 0
    .kernarg_segment_align: 8
    .kernarg_segment_size: 128
    .language:       OpenCL C
    .language_version:
      - 2
      - 0
    .max_flat_workgroup_size: 512
    .name:           _ZN7rocprim17ROCPRIM_400000_NS6detail17trampoline_kernelINS0_14default_configENS1_33run_length_encode_config_selectorIhjNS0_4plusIjEEEEZZNS1_33reduce_by_key_impl_wrapped_configILNS1_25lookback_scan_determinismE0ES3_S7_PKhNS0_17constant_iteratorIjlEEPhPlSF_S6_NS0_8equal_toIhEEEE10hipError_tPvRmT2_T3_mT4_T5_T6_T7_T8_P12ihipStream_tbENKUlT_T0_E_clISt17integral_constantIbLb1EESY_IbLb0EEEEDaSU_SV_EUlSU_E_NS1_11comp_targetILNS1_3genE5ELNS1_11target_archE942ELNS1_3gpuE9ELNS1_3repE0EEENS1_30default_config_static_selectorELNS0_4arch9wavefront6targetE1EEEvT1_
    .private_segment_fixed_size: 0
    .sgpr_count:     4
    .sgpr_spill_count: 0
    .symbol:         _ZN7rocprim17ROCPRIM_400000_NS6detail17trampoline_kernelINS0_14default_configENS1_33run_length_encode_config_selectorIhjNS0_4plusIjEEEEZZNS1_33reduce_by_key_impl_wrapped_configILNS1_25lookback_scan_determinismE0ES3_S7_PKhNS0_17constant_iteratorIjlEEPhPlSF_S6_NS0_8equal_toIhEEEE10hipError_tPvRmT2_T3_mT4_T5_T6_T7_T8_P12ihipStream_tbENKUlT_T0_E_clISt17integral_constantIbLb1EESY_IbLb0EEEEDaSU_SV_EUlSU_E_NS1_11comp_targetILNS1_3genE5ELNS1_11target_archE942ELNS1_3gpuE9ELNS1_3repE0EEENS1_30default_config_static_selectorELNS0_4arch9wavefront6targetE1EEEvT1_.kd
    .uniform_work_group_size: 1
    .uses_dynamic_stack: false
    .vgpr_count:     0
    .vgpr_spill_count: 0
    .wavefront_size: 64
  - .agpr_count:     0
    .args:
      - .offset:         0
        .size:           128
        .value_kind:     by_value
    .group_segment_fixed_size: 15360
    .kernarg_segment_align: 8
    .kernarg_segment_size: 128
    .language:       OpenCL C
    .language_version:
      - 2
      - 0
    .max_flat_workgroup_size: 256
    .name:           _ZN7rocprim17ROCPRIM_400000_NS6detail17trampoline_kernelINS0_14default_configENS1_33run_length_encode_config_selectorIhjNS0_4plusIjEEEEZZNS1_33reduce_by_key_impl_wrapped_configILNS1_25lookback_scan_determinismE0ES3_S7_PKhNS0_17constant_iteratorIjlEEPhPlSF_S6_NS0_8equal_toIhEEEE10hipError_tPvRmT2_T3_mT4_T5_T6_T7_T8_P12ihipStream_tbENKUlT_T0_E_clISt17integral_constantIbLb1EESY_IbLb0EEEEDaSU_SV_EUlSU_E_NS1_11comp_targetILNS1_3genE4ELNS1_11target_archE910ELNS1_3gpuE8ELNS1_3repE0EEENS1_30default_config_static_selectorELNS0_4arch9wavefront6targetE1EEEvT1_
    .private_segment_fixed_size: 0
    .sgpr_count:     68
    .sgpr_spill_count: 0
    .symbol:         _ZN7rocprim17ROCPRIM_400000_NS6detail17trampoline_kernelINS0_14default_configENS1_33run_length_encode_config_selectorIhjNS0_4plusIjEEEEZZNS1_33reduce_by_key_impl_wrapped_configILNS1_25lookback_scan_determinismE0ES3_S7_PKhNS0_17constant_iteratorIjlEEPhPlSF_S6_NS0_8equal_toIhEEEE10hipError_tPvRmT2_T3_mT4_T5_T6_T7_T8_P12ihipStream_tbENKUlT_T0_E_clISt17integral_constantIbLb1EESY_IbLb0EEEEDaSU_SV_EUlSU_E_NS1_11comp_targetILNS1_3genE4ELNS1_11target_archE910ELNS1_3gpuE8ELNS1_3repE0EEENS1_30default_config_static_selectorELNS0_4arch9wavefront6targetE1EEEvT1_.kd
    .uniform_work_group_size: 1
    .uses_dynamic_stack: false
    .vgpr_count:     115
    .vgpr_spill_count: 0
    .wavefront_size: 64
  - .agpr_count:     0
    .args:
      - .offset:         0
        .size:           128
        .value_kind:     by_value
    .group_segment_fixed_size: 0
    .kernarg_segment_align: 8
    .kernarg_segment_size: 128
    .language:       OpenCL C
    .language_version:
      - 2
      - 0
    .max_flat_workgroup_size: 256
    .name:           _ZN7rocprim17ROCPRIM_400000_NS6detail17trampoline_kernelINS0_14default_configENS1_33run_length_encode_config_selectorIhjNS0_4plusIjEEEEZZNS1_33reduce_by_key_impl_wrapped_configILNS1_25lookback_scan_determinismE0ES3_S7_PKhNS0_17constant_iteratorIjlEEPhPlSF_S6_NS0_8equal_toIhEEEE10hipError_tPvRmT2_T3_mT4_T5_T6_T7_T8_P12ihipStream_tbENKUlT_T0_E_clISt17integral_constantIbLb1EESY_IbLb0EEEEDaSU_SV_EUlSU_E_NS1_11comp_targetILNS1_3genE3ELNS1_11target_archE908ELNS1_3gpuE7ELNS1_3repE0EEENS1_30default_config_static_selectorELNS0_4arch9wavefront6targetE1EEEvT1_
    .private_segment_fixed_size: 0
    .sgpr_count:     4
    .sgpr_spill_count: 0
    .symbol:         _ZN7rocprim17ROCPRIM_400000_NS6detail17trampoline_kernelINS0_14default_configENS1_33run_length_encode_config_selectorIhjNS0_4plusIjEEEEZZNS1_33reduce_by_key_impl_wrapped_configILNS1_25lookback_scan_determinismE0ES3_S7_PKhNS0_17constant_iteratorIjlEEPhPlSF_S6_NS0_8equal_toIhEEEE10hipError_tPvRmT2_T3_mT4_T5_T6_T7_T8_P12ihipStream_tbENKUlT_T0_E_clISt17integral_constantIbLb1EESY_IbLb0EEEEDaSU_SV_EUlSU_E_NS1_11comp_targetILNS1_3genE3ELNS1_11target_archE908ELNS1_3gpuE7ELNS1_3repE0EEENS1_30default_config_static_selectorELNS0_4arch9wavefront6targetE1EEEvT1_.kd
    .uniform_work_group_size: 1
    .uses_dynamic_stack: false
    .vgpr_count:     0
    .vgpr_spill_count: 0
    .wavefront_size: 64
  - .agpr_count:     0
    .args:
      - .offset:         0
        .size:           128
        .value_kind:     by_value
    .group_segment_fixed_size: 0
    .kernarg_segment_align: 8
    .kernarg_segment_size: 128
    .language:       OpenCL C
    .language_version:
      - 2
      - 0
    .max_flat_workgroup_size: 256
    .name:           _ZN7rocprim17ROCPRIM_400000_NS6detail17trampoline_kernelINS0_14default_configENS1_33run_length_encode_config_selectorIhjNS0_4plusIjEEEEZZNS1_33reduce_by_key_impl_wrapped_configILNS1_25lookback_scan_determinismE0ES3_S7_PKhNS0_17constant_iteratorIjlEEPhPlSF_S6_NS0_8equal_toIhEEEE10hipError_tPvRmT2_T3_mT4_T5_T6_T7_T8_P12ihipStream_tbENKUlT_T0_E_clISt17integral_constantIbLb1EESY_IbLb0EEEEDaSU_SV_EUlSU_E_NS1_11comp_targetILNS1_3genE2ELNS1_11target_archE906ELNS1_3gpuE6ELNS1_3repE0EEENS1_30default_config_static_selectorELNS0_4arch9wavefront6targetE1EEEvT1_
    .private_segment_fixed_size: 0
    .sgpr_count:     4
    .sgpr_spill_count: 0
    .symbol:         _ZN7rocprim17ROCPRIM_400000_NS6detail17trampoline_kernelINS0_14default_configENS1_33run_length_encode_config_selectorIhjNS0_4plusIjEEEEZZNS1_33reduce_by_key_impl_wrapped_configILNS1_25lookback_scan_determinismE0ES3_S7_PKhNS0_17constant_iteratorIjlEEPhPlSF_S6_NS0_8equal_toIhEEEE10hipError_tPvRmT2_T3_mT4_T5_T6_T7_T8_P12ihipStream_tbENKUlT_T0_E_clISt17integral_constantIbLb1EESY_IbLb0EEEEDaSU_SV_EUlSU_E_NS1_11comp_targetILNS1_3genE2ELNS1_11target_archE906ELNS1_3gpuE6ELNS1_3repE0EEENS1_30default_config_static_selectorELNS0_4arch9wavefront6targetE1EEEvT1_.kd
    .uniform_work_group_size: 1
    .uses_dynamic_stack: false
    .vgpr_count:     0
    .vgpr_spill_count: 0
    .wavefront_size: 64
  - .agpr_count:     0
    .args:
      - .offset:         0
        .size:           128
        .value_kind:     by_value
    .group_segment_fixed_size: 0
    .kernarg_segment_align: 8
    .kernarg_segment_size: 128
    .language:       OpenCL C
    .language_version:
      - 2
      - 0
    .max_flat_workgroup_size: 384
    .name:           _ZN7rocprim17ROCPRIM_400000_NS6detail17trampoline_kernelINS0_14default_configENS1_33run_length_encode_config_selectorIhjNS0_4plusIjEEEEZZNS1_33reduce_by_key_impl_wrapped_configILNS1_25lookback_scan_determinismE0ES3_S7_PKhNS0_17constant_iteratorIjlEEPhPlSF_S6_NS0_8equal_toIhEEEE10hipError_tPvRmT2_T3_mT4_T5_T6_T7_T8_P12ihipStream_tbENKUlT_T0_E_clISt17integral_constantIbLb1EESY_IbLb0EEEEDaSU_SV_EUlSU_E_NS1_11comp_targetILNS1_3genE10ELNS1_11target_archE1201ELNS1_3gpuE5ELNS1_3repE0EEENS1_30default_config_static_selectorELNS0_4arch9wavefront6targetE1EEEvT1_
    .private_segment_fixed_size: 0
    .sgpr_count:     4
    .sgpr_spill_count: 0
    .symbol:         _ZN7rocprim17ROCPRIM_400000_NS6detail17trampoline_kernelINS0_14default_configENS1_33run_length_encode_config_selectorIhjNS0_4plusIjEEEEZZNS1_33reduce_by_key_impl_wrapped_configILNS1_25lookback_scan_determinismE0ES3_S7_PKhNS0_17constant_iteratorIjlEEPhPlSF_S6_NS0_8equal_toIhEEEE10hipError_tPvRmT2_T3_mT4_T5_T6_T7_T8_P12ihipStream_tbENKUlT_T0_E_clISt17integral_constantIbLb1EESY_IbLb0EEEEDaSU_SV_EUlSU_E_NS1_11comp_targetILNS1_3genE10ELNS1_11target_archE1201ELNS1_3gpuE5ELNS1_3repE0EEENS1_30default_config_static_selectorELNS0_4arch9wavefront6targetE1EEEvT1_.kd
    .uniform_work_group_size: 1
    .uses_dynamic_stack: false
    .vgpr_count:     0
    .vgpr_spill_count: 0
    .wavefront_size: 64
  - .agpr_count:     0
    .args:
      - .offset:         0
        .size:           128
        .value_kind:     by_value
    .group_segment_fixed_size: 0
    .kernarg_segment_align: 8
    .kernarg_segment_size: 128
    .language:       OpenCL C
    .language_version:
      - 2
      - 0
    .max_flat_workgroup_size: 384
    .name:           _ZN7rocprim17ROCPRIM_400000_NS6detail17trampoline_kernelINS0_14default_configENS1_33run_length_encode_config_selectorIhjNS0_4plusIjEEEEZZNS1_33reduce_by_key_impl_wrapped_configILNS1_25lookback_scan_determinismE0ES3_S7_PKhNS0_17constant_iteratorIjlEEPhPlSF_S6_NS0_8equal_toIhEEEE10hipError_tPvRmT2_T3_mT4_T5_T6_T7_T8_P12ihipStream_tbENKUlT_T0_E_clISt17integral_constantIbLb1EESY_IbLb0EEEEDaSU_SV_EUlSU_E_NS1_11comp_targetILNS1_3genE10ELNS1_11target_archE1200ELNS1_3gpuE4ELNS1_3repE0EEENS1_30default_config_static_selectorELNS0_4arch9wavefront6targetE1EEEvT1_
    .private_segment_fixed_size: 0
    .sgpr_count:     4
    .sgpr_spill_count: 0
    .symbol:         _ZN7rocprim17ROCPRIM_400000_NS6detail17trampoline_kernelINS0_14default_configENS1_33run_length_encode_config_selectorIhjNS0_4plusIjEEEEZZNS1_33reduce_by_key_impl_wrapped_configILNS1_25lookback_scan_determinismE0ES3_S7_PKhNS0_17constant_iteratorIjlEEPhPlSF_S6_NS0_8equal_toIhEEEE10hipError_tPvRmT2_T3_mT4_T5_T6_T7_T8_P12ihipStream_tbENKUlT_T0_E_clISt17integral_constantIbLb1EESY_IbLb0EEEEDaSU_SV_EUlSU_E_NS1_11comp_targetILNS1_3genE10ELNS1_11target_archE1200ELNS1_3gpuE4ELNS1_3repE0EEENS1_30default_config_static_selectorELNS0_4arch9wavefront6targetE1EEEvT1_.kd
    .uniform_work_group_size: 1
    .uses_dynamic_stack: false
    .vgpr_count:     0
    .vgpr_spill_count: 0
    .wavefront_size: 64
  - .agpr_count:     0
    .args:
      - .offset:         0
        .size:           128
        .value_kind:     by_value
    .group_segment_fixed_size: 0
    .kernarg_segment_align: 8
    .kernarg_segment_size: 128
    .language:       OpenCL C
    .language_version:
      - 2
      - 0
    .max_flat_workgroup_size: 384
    .name:           _ZN7rocprim17ROCPRIM_400000_NS6detail17trampoline_kernelINS0_14default_configENS1_33run_length_encode_config_selectorIhjNS0_4plusIjEEEEZZNS1_33reduce_by_key_impl_wrapped_configILNS1_25lookback_scan_determinismE0ES3_S7_PKhNS0_17constant_iteratorIjlEEPhPlSF_S6_NS0_8equal_toIhEEEE10hipError_tPvRmT2_T3_mT4_T5_T6_T7_T8_P12ihipStream_tbENKUlT_T0_E_clISt17integral_constantIbLb1EESY_IbLb0EEEEDaSU_SV_EUlSU_E_NS1_11comp_targetILNS1_3genE9ELNS1_11target_archE1100ELNS1_3gpuE3ELNS1_3repE0EEENS1_30default_config_static_selectorELNS0_4arch9wavefront6targetE1EEEvT1_
    .private_segment_fixed_size: 0
    .sgpr_count:     4
    .sgpr_spill_count: 0
    .symbol:         _ZN7rocprim17ROCPRIM_400000_NS6detail17trampoline_kernelINS0_14default_configENS1_33run_length_encode_config_selectorIhjNS0_4plusIjEEEEZZNS1_33reduce_by_key_impl_wrapped_configILNS1_25lookback_scan_determinismE0ES3_S7_PKhNS0_17constant_iteratorIjlEEPhPlSF_S6_NS0_8equal_toIhEEEE10hipError_tPvRmT2_T3_mT4_T5_T6_T7_T8_P12ihipStream_tbENKUlT_T0_E_clISt17integral_constantIbLb1EESY_IbLb0EEEEDaSU_SV_EUlSU_E_NS1_11comp_targetILNS1_3genE9ELNS1_11target_archE1100ELNS1_3gpuE3ELNS1_3repE0EEENS1_30default_config_static_selectorELNS0_4arch9wavefront6targetE1EEEvT1_.kd
    .uniform_work_group_size: 1
    .uses_dynamic_stack: false
    .vgpr_count:     0
    .vgpr_spill_count: 0
    .wavefront_size: 64
  - .agpr_count:     0
    .args:
      - .offset:         0
        .size:           128
        .value_kind:     by_value
    .group_segment_fixed_size: 0
    .kernarg_segment_align: 8
    .kernarg_segment_size: 128
    .language:       OpenCL C
    .language_version:
      - 2
      - 0
    .max_flat_workgroup_size: 384
    .name:           _ZN7rocprim17ROCPRIM_400000_NS6detail17trampoline_kernelINS0_14default_configENS1_33run_length_encode_config_selectorIhjNS0_4plusIjEEEEZZNS1_33reduce_by_key_impl_wrapped_configILNS1_25lookback_scan_determinismE0ES3_S7_PKhNS0_17constant_iteratorIjlEEPhPlSF_S6_NS0_8equal_toIhEEEE10hipError_tPvRmT2_T3_mT4_T5_T6_T7_T8_P12ihipStream_tbENKUlT_T0_E_clISt17integral_constantIbLb1EESY_IbLb0EEEEDaSU_SV_EUlSU_E_NS1_11comp_targetILNS1_3genE8ELNS1_11target_archE1030ELNS1_3gpuE2ELNS1_3repE0EEENS1_30default_config_static_selectorELNS0_4arch9wavefront6targetE1EEEvT1_
    .private_segment_fixed_size: 0
    .sgpr_count:     4
    .sgpr_spill_count: 0
    .symbol:         _ZN7rocprim17ROCPRIM_400000_NS6detail17trampoline_kernelINS0_14default_configENS1_33run_length_encode_config_selectorIhjNS0_4plusIjEEEEZZNS1_33reduce_by_key_impl_wrapped_configILNS1_25lookback_scan_determinismE0ES3_S7_PKhNS0_17constant_iteratorIjlEEPhPlSF_S6_NS0_8equal_toIhEEEE10hipError_tPvRmT2_T3_mT4_T5_T6_T7_T8_P12ihipStream_tbENKUlT_T0_E_clISt17integral_constantIbLb1EESY_IbLb0EEEEDaSU_SV_EUlSU_E_NS1_11comp_targetILNS1_3genE8ELNS1_11target_archE1030ELNS1_3gpuE2ELNS1_3repE0EEENS1_30default_config_static_selectorELNS0_4arch9wavefront6targetE1EEEvT1_.kd
    .uniform_work_group_size: 1
    .uses_dynamic_stack: false
    .vgpr_count:     0
    .vgpr_spill_count: 0
    .wavefront_size: 64
  - .agpr_count:     0
    .args:
      - .offset:         0
        .size:           128
        .value_kind:     by_value
    .group_segment_fixed_size: 0
    .kernarg_segment_align: 8
    .kernarg_segment_size: 128
    .language:       OpenCL C
    .language_version:
      - 2
      - 0
    .max_flat_workgroup_size: 256
    .name:           _ZN7rocprim17ROCPRIM_400000_NS6detail17trampoline_kernelINS0_14default_configENS1_33run_length_encode_config_selectorIhjNS0_4plusIjEEEEZZNS1_33reduce_by_key_impl_wrapped_configILNS1_25lookback_scan_determinismE0ES3_S7_PKhNS0_17constant_iteratorIjlEEPhPlSF_S6_NS0_8equal_toIhEEEE10hipError_tPvRmT2_T3_mT4_T5_T6_T7_T8_P12ihipStream_tbENKUlT_T0_E_clISt17integral_constantIbLb0EESY_IbLb1EEEEDaSU_SV_EUlSU_E_NS1_11comp_targetILNS1_3genE0ELNS1_11target_archE4294967295ELNS1_3gpuE0ELNS1_3repE0EEENS1_30default_config_static_selectorELNS0_4arch9wavefront6targetE1EEEvT1_
    .private_segment_fixed_size: 0
    .sgpr_count:     4
    .sgpr_spill_count: 0
    .symbol:         _ZN7rocprim17ROCPRIM_400000_NS6detail17trampoline_kernelINS0_14default_configENS1_33run_length_encode_config_selectorIhjNS0_4plusIjEEEEZZNS1_33reduce_by_key_impl_wrapped_configILNS1_25lookback_scan_determinismE0ES3_S7_PKhNS0_17constant_iteratorIjlEEPhPlSF_S6_NS0_8equal_toIhEEEE10hipError_tPvRmT2_T3_mT4_T5_T6_T7_T8_P12ihipStream_tbENKUlT_T0_E_clISt17integral_constantIbLb0EESY_IbLb1EEEEDaSU_SV_EUlSU_E_NS1_11comp_targetILNS1_3genE0ELNS1_11target_archE4294967295ELNS1_3gpuE0ELNS1_3repE0EEENS1_30default_config_static_selectorELNS0_4arch9wavefront6targetE1EEEvT1_.kd
    .uniform_work_group_size: 1
    .uses_dynamic_stack: false
    .vgpr_count:     0
    .vgpr_spill_count: 0
    .wavefront_size: 64
  - .agpr_count:     0
    .args:
      - .offset:         0
        .size:           128
        .value_kind:     by_value
    .group_segment_fixed_size: 0
    .kernarg_segment_align: 8
    .kernarg_segment_size: 128
    .language:       OpenCL C
    .language_version:
      - 2
      - 0
    .max_flat_workgroup_size: 512
    .name:           _ZN7rocprim17ROCPRIM_400000_NS6detail17trampoline_kernelINS0_14default_configENS1_33run_length_encode_config_selectorIhjNS0_4plusIjEEEEZZNS1_33reduce_by_key_impl_wrapped_configILNS1_25lookback_scan_determinismE0ES3_S7_PKhNS0_17constant_iteratorIjlEEPhPlSF_S6_NS0_8equal_toIhEEEE10hipError_tPvRmT2_T3_mT4_T5_T6_T7_T8_P12ihipStream_tbENKUlT_T0_E_clISt17integral_constantIbLb0EESY_IbLb1EEEEDaSU_SV_EUlSU_E_NS1_11comp_targetILNS1_3genE5ELNS1_11target_archE942ELNS1_3gpuE9ELNS1_3repE0EEENS1_30default_config_static_selectorELNS0_4arch9wavefront6targetE1EEEvT1_
    .private_segment_fixed_size: 0
    .sgpr_count:     4
    .sgpr_spill_count: 0
    .symbol:         _ZN7rocprim17ROCPRIM_400000_NS6detail17trampoline_kernelINS0_14default_configENS1_33run_length_encode_config_selectorIhjNS0_4plusIjEEEEZZNS1_33reduce_by_key_impl_wrapped_configILNS1_25lookback_scan_determinismE0ES3_S7_PKhNS0_17constant_iteratorIjlEEPhPlSF_S6_NS0_8equal_toIhEEEE10hipError_tPvRmT2_T3_mT4_T5_T6_T7_T8_P12ihipStream_tbENKUlT_T0_E_clISt17integral_constantIbLb0EESY_IbLb1EEEEDaSU_SV_EUlSU_E_NS1_11comp_targetILNS1_3genE5ELNS1_11target_archE942ELNS1_3gpuE9ELNS1_3repE0EEENS1_30default_config_static_selectorELNS0_4arch9wavefront6targetE1EEEvT1_.kd
    .uniform_work_group_size: 1
    .uses_dynamic_stack: false
    .vgpr_count:     0
    .vgpr_spill_count: 0
    .wavefront_size: 64
  - .agpr_count:     0
    .args:
      - .offset:         0
        .size:           128
        .value_kind:     by_value
    .group_segment_fixed_size: 15360
    .kernarg_segment_align: 8
    .kernarg_segment_size: 128
    .language:       OpenCL C
    .language_version:
      - 2
      - 0
    .max_flat_workgroup_size: 256
    .name:           _ZN7rocprim17ROCPRIM_400000_NS6detail17trampoline_kernelINS0_14default_configENS1_33run_length_encode_config_selectorIhjNS0_4plusIjEEEEZZNS1_33reduce_by_key_impl_wrapped_configILNS1_25lookback_scan_determinismE0ES3_S7_PKhNS0_17constant_iteratorIjlEEPhPlSF_S6_NS0_8equal_toIhEEEE10hipError_tPvRmT2_T3_mT4_T5_T6_T7_T8_P12ihipStream_tbENKUlT_T0_E_clISt17integral_constantIbLb0EESY_IbLb1EEEEDaSU_SV_EUlSU_E_NS1_11comp_targetILNS1_3genE4ELNS1_11target_archE910ELNS1_3gpuE8ELNS1_3repE0EEENS1_30default_config_static_selectorELNS0_4arch9wavefront6targetE1EEEvT1_
    .private_segment_fixed_size: 0
    .sgpr_count:     70
    .sgpr_spill_count: 0
    .symbol:         _ZN7rocprim17ROCPRIM_400000_NS6detail17trampoline_kernelINS0_14default_configENS1_33run_length_encode_config_selectorIhjNS0_4plusIjEEEEZZNS1_33reduce_by_key_impl_wrapped_configILNS1_25lookback_scan_determinismE0ES3_S7_PKhNS0_17constant_iteratorIjlEEPhPlSF_S6_NS0_8equal_toIhEEEE10hipError_tPvRmT2_T3_mT4_T5_T6_T7_T8_P12ihipStream_tbENKUlT_T0_E_clISt17integral_constantIbLb0EESY_IbLb1EEEEDaSU_SV_EUlSU_E_NS1_11comp_targetILNS1_3genE4ELNS1_11target_archE910ELNS1_3gpuE8ELNS1_3repE0EEENS1_30default_config_static_selectorELNS0_4arch9wavefront6targetE1EEEvT1_.kd
    .uniform_work_group_size: 1
    .uses_dynamic_stack: false
    .vgpr_count:     115
    .vgpr_spill_count: 0
    .wavefront_size: 64
  - .agpr_count:     0
    .args:
      - .offset:         0
        .size:           128
        .value_kind:     by_value
    .group_segment_fixed_size: 0
    .kernarg_segment_align: 8
    .kernarg_segment_size: 128
    .language:       OpenCL C
    .language_version:
      - 2
      - 0
    .max_flat_workgroup_size: 256
    .name:           _ZN7rocprim17ROCPRIM_400000_NS6detail17trampoline_kernelINS0_14default_configENS1_33run_length_encode_config_selectorIhjNS0_4plusIjEEEEZZNS1_33reduce_by_key_impl_wrapped_configILNS1_25lookback_scan_determinismE0ES3_S7_PKhNS0_17constant_iteratorIjlEEPhPlSF_S6_NS0_8equal_toIhEEEE10hipError_tPvRmT2_T3_mT4_T5_T6_T7_T8_P12ihipStream_tbENKUlT_T0_E_clISt17integral_constantIbLb0EESY_IbLb1EEEEDaSU_SV_EUlSU_E_NS1_11comp_targetILNS1_3genE3ELNS1_11target_archE908ELNS1_3gpuE7ELNS1_3repE0EEENS1_30default_config_static_selectorELNS0_4arch9wavefront6targetE1EEEvT1_
    .private_segment_fixed_size: 0
    .sgpr_count:     4
    .sgpr_spill_count: 0
    .symbol:         _ZN7rocprim17ROCPRIM_400000_NS6detail17trampoline_kernelINS0_14default_configENS1_33run_length_encode_config_selectorIhjNS0_4plusIjEEEEZZNS1_33reduce_by_key_impl_wrapped_configILNS1_25lookback_scan_determinismE0ES3_S7_PKhNS0_17constant_iteratorIjlEEPhPlSF_S6_NS0_8equal_toIhEEEE10hipError_tPvRmT2_T3_mT4_T5_T6_T7_T8_P12ihipStream_tbENKUlT_T0_E_clISt17integral_constantIbLb0EESY_IbLb1EEEEDaSU_SV_EUlSU_E_NS1_11comp_targetILNS1_3genE3ELNS1_11target_archE908ELNS1_3gpuE7ELNS1_3repE0EEENS1_30default_config_static_selectorELNS0_4arch9wavefront6targetE1EEEvT1_.kd
    .uniform_work_group_size: 1
    .uses_dynamic_stack: false
    .vgpr_count:     0
    .vgpr_spill_count: 0
    .wavefront_size: 64
  - .agpr_count:     0
    .args:
      - .offset:         0
        .size:           128
        .value_kind:     by_value
    .group_segment_fixed_size: 0
    .kernarg_segment_align: 8
    .kernarg_segment_size: 128
    .language:       OpenCL C
    .language_version:
      - 2
      - 0
    .max_flat_workgroup_size: 256
    .name:           _ZN7rocprim17ROCPRIM_400000_NS6detail17trampoline_kernelINS0_14default_configENS1_33run_length_encode_config_selectorIhjNS0_4plusIjEEEEZZNS1_33reduce_by_key_impl_wrapped_configILNS1_25lookback_scan_determinismE0ES3_S7_PKhNS0_17constant_iteratorIjlEEPhPlSF_S6_NS0_8equal_toIhEEEE10hipError_tPvRmT2_T3_mT4_T5_T6_T7_T8_P12ihipStream_tbENKUlT_T0_E_clISt17integral_constantIbLb0EESY_IbLb1EEEEDaSU_SV_EUlSU_E_NS1_11comp_targetILNS1_3genE2ELNS1_11target_archE906ELNS1_3gpuE6ELNS1_3repE0EEENS1_30default_config_static_selectorELNS0_4arch9wavefront6targetE1EEEvT1_
    .private_segment_fixed_size: 0
    .sgpr_count:     4
    .sgpr_spill_count: 0
    .symbol:         _ZN7rocprim17ROCPRIM_400000_NS6detail17trampoline_kernelINS0_14default_configENS1_33run_length_encode_config_selectorIhjNS0_4plusIjEEEEZZNS1_33reduce_by_key_impl_wrapped_configILNS1_25lookback_scan_determinismE0ES3_S7_PKhNS0_17constant_iteratorIjlEEPhPlSF_S6_NS0_8equal_toIhEEEE10hipError_tPvRmT2_T3_mT4_T5_T6_T7_T8_P12ihipStream_tbENKUlT_T0_E_clISt17integral_constantIbLb0EESY_IbLb1EEEEDaSU_SV_EUlSU_E_NS1_11comp_targetILNS1_3genE2ELNS1_11target_archE906ELNS1_3gpuE6ELNS1_3repE0EEENS1_30default_config_static_selectorELNS0_4arch9wavefront6targetE1EEEvT1_.kd
    .uniform_work_group_size: 1
    .uses_dynamic_stack: false
    .vgpr_count:     0
    .vgpr_spill_count: 0
    .wavefront_size: 64
  - .agpr_count:     0
    .args:
      - .offset:         0
        .size:           128
        .value_kind:     by_value
    .group_segment_fixed_size: 0
    .kernarg_segment_align: 8
    .kernarg_segment_size: 128
    .language:       OpenCL C
    .language_version:
      - 2
      - 0
    .max_flat_workgroup_size: 384
    .name:           _ZN7rocprim17ROCPRIM_400000_NS6detail17trampoline_kernelINS0_14default_configENS1_33run_length_encode_config_selectorIhjNS0_4plusIjEEEEZZNS1_33reduce_by_key_impl_wrapped_configILNS1_25lookback_scan_determinismE0ES3_S7_PKhNS0_17constant_iteratorIjlEEPhPlSF_S6_NS0_8equal_toIhEEEE10hipError_tPvRmT2_T3_mT4_T5_T6_T7_T8_P12ihipStream_tbENKUlT_T0_E_clISt17integral_constantIbLb0EESY_IbLb1EEEEDaSU_SV_EUlSU_E_NS1_11comp_targetILNS1_3genE10ELNS1_11target_archE1201ELNS1_3gpuE5ELNS1_3repE0EEENS1_30default_config_static_selectorELNS0_4arch9wavefront6targetE1EEEvT1_
    .private_segment_fixed_size: 0
    .sgpr_count:     4
    .sgpr_spill_count: 0
    .symbol:         _ZN7rocprim17ROCPRIM_400000_NS6detail17trampoline_kernelINS0_14default_configENS1_33run_length_encode_config_selectorIhjNS0_4plusIjEEEEZZNS1_33reduce_by_key_impl_wrapped_configILNS1_25lookback_scan_determinismE0ES3_S7_PKhNS0_17constant_iteratorIjlEEPhPlSF_S6_NS0_8equal_toIhEEEE10hipError_tPvRmT2_T3_mT4_T5_T6_T7_T8_P12ihipStream_tbENKUlT_T0_E_clISt17integral_constantIbLb0EESY_IbLb1EEEEDaSU_SV_EUlSU_E_NS1_11comp_targetILNS1_3genE10ELNS1_11target_archE1201ELNS1_3gpuE5ELNS1_3repE0EEENS1_30default_config_static_selectorELNS0_4arch9wavefront6targetE1EEEvT1_.kd
    .uniform_work_group_size: 1
    .uses_dynamic_stack: false
    .vgpr_count:     0
    .vgpr_spill_count: 0
    .wavefront_size: 64
  - .agpr_count:     0
    .args:
      - .offset:         0
        .size:           128
        .value_kind:     by_value
    .group_segment_fixed_size: 0
    .kernarg_segment_align: 8
    .kernarg_segment_size: 128
    .language:       OpenCL C
    .language_version:
      - 2
      - 0
    .max_flat_workgroup_size: 384
    .name:           _ZN7rocprim17ROCPRIM_400000_NS6detail17trampoline_kernelINS0_14default_configENS1_33run_length_encode_config_selectorIhjNS0_4plusIjEEEEZZNS1_33reduce_by_key_impl_wrapped_configILNS1_25lookback_scan_determinismE0ES3_S7_PKhNS0_17constant_iteratorIjlEEPhPlSF_S6_NS0_8equal_toIhEEEE10hipError_tPvRmT2_T3_mT4_T5_T6_T7_T8_P12ihipStream_tbENKUlT_T0_E_clISt17integral_constantIbLb0EESY_IbLb1EEEEDaSU_SV_EUlSU_E_NS1_11comp_targetILNS1_3genE10ELNS1_11target_archE1200ELNS1_3gpuE4ELNS1_3repE0EEENS1_30default_config_static_selectorELNS0_4arch9wavefront6targetE1EEEvT1_
    .private_segment_fixed_size: 0
    .sgpr_count:     4
    .sgpr_spill_count: 0
    .symbol:         _ZN7rocprim17ROCPRIM_400000_NS6detail17trampoline_kernelINS0_14default_configENS1_33run_length_encode_config_selectorIhjNS0_4plusIjEEEEZZNS1_33reduce_by_key_impl_wrapped_configILNS1_25lookback_scan_determinismE0ES3_S7_PKhNS0_17constant_iteratorIjlEEPhPlSF_S6_NS0_8equal_toIhEEEE10hipError_tPvRmT2_T3_mT4_T5_T6_T7_T8_P12ihipStream_tbENKUlT_T0_E_clISt17integral_constantIbLb0EESY_IbLb1EEEEDaSU_SV_EUlSU_E_NS1_11comp_targetILNS1_3genE10ELNS1_11target_archE1200ELNS1_3gpuE4ELNS1_3repE0EEENS1_30default_config_static_selectorELNS0_4arch9wavefront6targetE1EEEvT1_.kd
    .uniform_work_group_size: 1
    .uses_dynamic_stack: false
    .vgpr_count:     0
    .vgpr_spill_count: 0
    .wavefront_size: 64
  - .agpr_count:     0
    .args:
      - .offset:         0
        .size:           128
        .value_kind:     by_value
    .group_segment_fixed_size: 0
    .kernarg_segment_align: 8
    .kernarg_segment_size: 128
    .language:       OpenCL C
    .language_version:
      - 2
      - 0
    .max_flat_workgroup_size: 384
    .name:           _ZN7rocprim17ROCPRIM_400000_NS6detail17trampoline_kernelINS0_14default_configENS1_33run_length_encode_config_selectorIhjNS0_4plusIjEEEEZZNS1_33reduce_by_key_impl_wrapped_configILNS1_25lookback_scan_determinismE0ES3_S7_PKhNS0_17constant_iteratorIjlEEPhPlSF_S6_NS0_8equal_toIhEEEE10hipError_tPvRmT2_T3_mT4_T5_T6_T7_T8_P12ihipStream_tbENKUlT_T0_E_clISt17integral_constantIbLb0EESY_IbLb1EEEEDaSU_SV_EUlSU_E_NS1_11comp_targetILNS1_3genE9ELNS1_11target_archE1100ELNS1_3gpuE3ELNS1_3repE0EEENS1_30default_config_static_selectorELNS0_4arch9wavefront6targetE1EEEvT1_
    .private_segment_fixed_size: 0
    .sgpr_count:     4
    .sgpr_spill_count: 0
    .symbol:         _ZN7rocprim17ROCPRIM_400000_NS6detail17trampoline_kernelINS0_14default_configENS1_33run_length_encode_config_selectorIhjNS0_4plusIjEEEEZZNS1_33reduce_by_key_impl_wrapped_configILNS1_25lookback_scan_determinismE0ES3_S7_PKhNS0_17constant_iteratorIjlEEPhPlSF_S6_NS0_8equal_toIhEEEE10hipError_tPvRmT2_T3_mT4_T5_T6_T7_T8_P12ihipStream_tbENKUlT_T0_E_clISt17integral_constantIbLb0EESY_IbLb1EEEEDaSU_SV_EUlSU_E_NS1_11comp_targetILNS1_3genE9ELNS1_11target_archE1100ELNS1_3gpuE3ELNS1_3repE0EEENS1_30default_config_static_selectorELNS0_4arch9wavefront6targetE1EEEvT1_.kd
    .uniform_work_group_size: 1
    .uses_dynamic_stack: false
    .vgpr_count:     0
    .vgpr_spill_count: 0
    .wavefront_size: 64
  - .agpr_count:     0
    .args:
      - .offset:         0
        .size:           128
        .value_kind:     by_value
    .group_segment_fixed_size: 0
    .kernarg_segment_align: 8
    .kernarg_segment_size: 128
    .language:       OpenCL C
    .language_version:
      - 2
      - 0
    .max_flat_workgroup_size: 384
    .name:           _ZN7rocprim17ROCPRIM_400000_NS6detail17trampoline_kernelINS0_14default_configENS1_33run_length_encode_config_selectorIhjNS0_4plusIjEEEEZZNS1_33reduce_by_key_impl_wrapped_configILNS1_25lookback_scan_determinismE0ES3_S7_PKhNS0_17constant_iteratorIjlEEPhPlSF_S6_NS0_8equal_toIhEEEE10hipError_tPvRmT2_T3_mT4_T5_T6_T7_T8_P12ihipStream_tbENKUlT_T0_E_clISt17integral_constantIbLb0EESY_IbLb1EEEEDaSU_SV_EUlSU_E_NS1_11comp_targetILNS1_3genE8ELNS1_11target_archE1030ELNS1_3gpuE2ELNS1_3repE0EEENS1_30default_config_static_selectorELNS0_4arch9wavefront6targetE1EEEvT1_
    .private_segment_fixed_size: 0
    .sgpr_count:     4
    .sgpr_spill_count: 0
    .symbol:         _ZN7rocprim17ROCPRIM_400000_NS6detail17trampoline_kernelINS0_14default_configENS1_33run_length_encode_config_selectorIhjNS0_4plusIjEEEEZZNS1_33reduce_by_key_impl_wrapped_configILNS1_25lookback_scan_determinismE0ES3_S7_PKhNS0_17constant_iteratorIjlEEPhPlSF_S6_NS0_8equal_toIhEEEE10hipError_tPvRmT2_T3_mT4_T5_T6_T7_T8_P12ihipStream_tbENKUlT_T0_E_clISt17integral_constantIbLb0EESY_IbLb1EEEEDaSU_SV_EUlSU_E_NS1_11comp_targetILNS1_3genE8ELNS1_11target_archE1030ELNS1_3gpuE2ELNS1_3repE0EEENS1_30default_config_static_selectorELNS0_4arch9wavefront6targetE1EEEvT1_.kd
    .uniform_work_group_size: 1
    .uses_dynamic_stack: false
    .vgpr_count:     0
    .vgpr_spill_count: 0
    .wavefront_size: 64
  - .agpr_count:     0
    .args:
      - .offset:         0
        .size:           8
        .value_kind:     by_value
      - .address_space:  global
        .offset:         8
        .size:           8
        .value_kind:     global_buffer
      - .address_space:  global
        .offset:         16
        .size:           8
        .value_kind:     global_buffer
      - .offset:         24
        .size:           4
        .value_kind:     hidden_block_count_x
      - .offset:         28
        .size:           4
        .value_kind:     hidden_block_count_y
      - .offset:         32
        .size:           4
        .value_kind:     hidden_block_count_z
      - .offset:         36
        .size:           2
        .value_kind:     hidden_group_size_x
      - .offset:         38
        .size:           2
        .value_kind:     hidden_group_size_y
      - .offset:         40
        .size:           2
        .value_kind:     hidden_group_size_z
      - .offset:         42
        .size:           2
        .value_kind:     hidden_remainder_x
      - .offset:         44
        .size:           2
        .value_kind:     hidden_remainder_y
      - .offset:         46
        .size:           2
        .value_kind:     hidden_remainder_z
      - .offset:         64
        .size:           8
        .value_kind:     hidden_global_offset_x
      - .offset:         72
        .size:           8
        .value_kind:     hidden_global_offset_y
      - .offset:         80
        .size:           8
        .value_kind:     hidden_global_offset_z
      - .offset:         88
        .size:           2
        .value_kind:     hidden_grid_dims
    .group_segment_fixed_size: 0
    .kernarg_segment_align: 8
    .kernarg_segment_size: 280
    .language:       OpenCL C
    .language_version:
      - 2
      - 0
    .max_flat_workgroup_size: 1024
    .name:           _ZN2at6native8internal12_GLOBAL__N_126adjacent_difference_kernelIPKaEEvlT_Pi
    .private_segment_fixed_size: 0
    .sgpr_count:     18
    .sgpr_spill_count: 0
    .symbol:         _ZN2at6native8internal12_GLOBAL__N_126adjacent_difference_kernelIPKaEEvlT_Pi.kd
    .uniform_work_group_size: 1
    .uses_dynamic_stack: false
    .vgpr_count:     13
    .vgpr_spill_count: 0
    .wavefront_size: 64
  - .agpr_count:     0
    .args:
      - .offset:         0
        .size:           112
        .value_kind:     by_value
    .group_segment_fixed_size: 0
    .kernarg_segment_align: 8
    .kernarg_segment_size: 112
    .language:       OpenCL C
    .language_version:
      - 2
      - 0
    .max_flat_workgroup_size: 256
    .name:           _ZN7rocprim17ROCPRIM_400000_NS6detail17trampoline_kernelINS0_14default_configENS1_25partition_config_selectorILNS1_17partition_subalgoE8EaNS0_10empty_typeEbEEZZNS1_14partition_implILS5_8ELb0ES3_jPKaPS6_PKS6_NS0_5tupleIJPaS6_EEENSE_IJSB_SB_EEENS0_18inequality_wrapperIN6hipcub16HIPCUB_304000_NS8EqualityEEEPlJS6_EEE10hipError_tPvRmT3_T4_T5_T6_T7_T9_mT8_P12ihipStream_tbDpT10_ENKUlT_T0_E_clISt17integral_constantIbLb0EES17_EEDaS12_S13_EUlS12_E_NS1_11comp_targetILNS1_3genE0ELNS1_11target_archE4294967295ELNS1_3gpuE0ELNS1_3repE0EEENS1_30default_config_static_selectorELNS0_4arch9wavefront6targetE1EEEvT1_
    .private_segment_fixed_size: 0
    .sgpr_count:     4
    .sgpr_spill_count: 0
    .symbol:         _ZN7rocprim17ROCPRIM_400000_NS6detail17trampoline_kernelINS0_14default_configENS1_25partition_config_selectorILNS1_17partition_subalgoE8EaNS0_10empty_typeEbEEZZNS1_14partition_implILS5_8ELb0ES3_jPKaPS6_PKS6_NS0_5tupleIJPaS6_EEENSE_IJSB_SB_EEENS0_18inequality_wrapperIN6hipcub16HIPCUB_304000_NS8EqualityEEEPlJS6_EEE10hipError_tPvRmT3_T4_T5_T6_T7_T9_mT8_P12ihipStream_tbDpT10_ENKUlT_T0_E_clISt17integral_constantIbLb0EES17_EEDaS12_S13_EUlS12_E_NS1_11comp_targetILNS1_3genE0ELNS1_11target_archE4294967295ELNS1_3gpuE0ELNS1_3repE0EEENS1_30default_config_static_selectorELNS0_4arch9wavefront6targetE1EEEvT1_.kd
    .uniform_work_group_size: 1
    .uses_dynamic_stack: false
    .vgpr_count:     0
    .vgpr_spill_count: 0
    .wavefront_size: 64
  - .agpr_count:     0
    .args:
      - .offset:         0
        .size:           112
        .value_kind:     by_value
    .group_segment_fixed_size: 0
    .kernarg_segment_align: 8
    .kernarg_segment_size: 112
    .language:       OpenCL C
    .language_version:
      - 2
      - 0
    .max_flat_workgroup_size: 512
    .name:           _ZN7rocprim17ROCPRIM_400000_NS6detail17trampoline_kernelINS0_14default_configENS1_25partition_config_selectorILNS1_17partition_subalgoE8EaNS0_10empty_typeEbEEZZNS1_14partition_implILS5_8ELb0ES3_jPKaPS6_PKS6_NS0_5tupleIJPaS6_EEENSE_IJSB_SB_EEENS0_18inequality_wrapperIN6hipcub16HIPCUB_304000_NS8EqualityEEEPlJS6_EEE10hipError_tPvRmT3_T4_T5_T6_T7_T9_mT8_P12ihipStream_tbDpT10_ENKUlT_T0_E_clISt17integral_constantIbLb0EES17_EEDaS12_S13_EUlS12_E_NS1_11comp_targetILNS1_3genE5ELNS1_11target_archE942ELNS1_3gpuE9ELNS1_3repE0EEENS1_30default_config_static_selectorELNS0_4arch9wavefront6targetE1EEEvT1_
    .private_segment_fixed_size: 0
    .sgpr_count:     4
    .sgpr_spill_count: 0
    .symbol:         _ZN7rocprim17ROCPRIM_400000_NS6detail17trampoline_kernelINS0_14default_configENS1_25partition_config_selectorILNS1_17partition_subalgoE8EaNS0_10empty_typeEbEEZZNS1_14partition_implILS5_8ELb0ES3_jPKaPS6_PKS6_NS0_5tupleIJPaS6_EEENSE_IJSB_SB_EEENS0_18inequality_wrapperIN6hipcub16HIPCUB_304000_NS8EqualityEEEPlJS6_EEE10hipError_tPvRmT3_T4_T5_T6_T7_T9_mT8_P12ihipStream_tbDpT10_ENKUlT_T0_E_clISt17integral_constantIbLb0EES17_EEDaS12_S13_EUlS12_E_NS1_11comp_targetILNS1_3genE5ELNS1_11target_archE942ELNS1_3gpuE9ELNS1_3repE0EEENS1_30default_config_static_selectorELNS0_4arch9wavefront6targetE1EEEvT1_.kd
    .uniform_work_group_size: 1
    .uses_dynamic_stack: false
    .vgpr_count:     0
    .vgpr_spill_count: 0
    .wavefront_size: 64
  - .agpr_count:     0
    .args:
      - .offset:         0
        .size:           112
        .value_kind:     by_value
    .group_segment_fixed_size: 4232
    .kernarg_segment_align: 8
    .kernarg_segment_size: 112
    .language:       OpenCL C
    .language_version:
      - 2
      - 0
    .max_flat_workgroup_size: 128
    .name:           _ZN7rocprim17ROCPRIM_400000_NS6detail17trampoline_kernelINS0_14default_configENS1_25partition_config_selectorILNS1_17partition_subalgoE8EaNS0_10empty_typeEbEEZZNS1_14partition_implILS5_8ELb0ES3_jPKaPS6_PKS6_NS0_5tupleIJPaS6_EEENSE_IJSB_SB_EEENS0_18inequality_wrapperIN6hipcub16HIPCUB_304000_NS8EqualityEEEPlJS6_EEE10hipError_tPvRmT3_T4_T5_T6_T7_T9_mT8_P12ihipStream_tbDpT10_ENKUlT_T0_E_clISt17integral_constantIbLb0EES17_EEDaS12_S13_EUlS12_E_NS1_11comp_targetILNS1_3genE4ELNS1_11target_archE910ELNS1_3gpuE8ELNS1_3repE0EEENS1_30default_config_static_selectorELNS0_4arch9wavefront6targetE1EEEvT1_
    .private_segment_fixed_size: 0
    .sgpr_count:     58
    .sgpr_spill_count: 0
    .symbol:         _ZN7rocprim17ROCPRIM_400000_NS6detail17trampoline_kernelINS0_14default_configENS1_25partition_config_selectorILNS1_17partition_subalgoE8EaNS0_10empty_typeEbEEZZNS1_14partition_implILS5_8ELb0ES3_jPKaPS6_PKS6_NS0_5tupleIJPaS6_EEENSE_IJSB_SB_EEENS0_18inequality_wrapperIN6hipcub16HIPCUB_304000_NS8EqualityEEEPlJS6_EEE10hipError_tPvRmT3_T4_T5_T6_T7_T9_mT8_P12ihipStream_tbDpT10_ENKUlT_T0_E_clISt17integral_constantIbLb0EES17_EEDaS12_S13_EUlS12_E_NS1_11comp_targetILNS1_3genE4ELNS1_11target_archE910ELNS1_3gpuE8ELNS1_3repE0EEENS1_30default_config_static_selectorELNS0_4arch9wavefront6targetE1EEEvT1_.kd
    .uniform_work_group_size: 1
    .uses_dynamic_stack: false
    .vgpr_count:     125
    .vgpr_spill_count: 0
    .wavefront_size: 64
  - .agpr_count:     0
    .args:
      - .offset:         0
        .size:           112
        .value_kind:     by_value
    .group_segment_fixed_size: 0
    .kernarg_segment_align: 8
    .kernarg_segment_size: 112
    .language:       OpenCL C
    .language_version:
      - 2
      - 0
    .max_flat_workgroup_size: 256
    .name:           _ZN7rocprim17ROCPRIM_400000_NS6detail17trampoline_kernelINS0_14default_configENS1_25partition_config_selectorILNS1_17partition_subalgoE8EaNS0_10empty_typeEbEEZZNS1_14partition_implILS5_8ELb0ES3_jPKaPS6_PKS6_NS0_5tupleIJPaS6_EEENSE_IJSB_SB_EEENS0_18inequality_wrapperIN6hipcub16HIPCUB_304000_NS8EqualityEEEPlJS6_EEE10hipError_tPvRmT3_T4_T5_T6_T7_T9_mT8_P12ihipStream_tbDpT10_ENKUlT_T0_E_clISt17integral_constantIbLb0EES17_EEDaS12_S13_EUlS12_E_NS1_11comp_targetILNS1_3genE3ELNS1_11target_archE908ELNS1_3gpuE7ELNS1_3repE0EEENS1_30default_config_static_selectorELNS0_4arch9wavefront6targetE1EEEvT1_
    .private_segment_fixed_size: 0
    .sgpr_count:     4
    .sgpr_spill_count: 0
    .symbol:         _ZN7rocprim17ROCPRIM_400000_NS6detail17trampoline_kernelINS0_14default_configENS1_25partition_config_selectorILNS1_17partition_subalgoE8EaNS0_10empty_typeEbEEZZNS1_14partition_implILS5_8ELb0ES3_jPKaPS6_PKS6_NS0_5tupleIJPaS6_EEENSE_IJSB_SB_EEENS0_18inequality_wrapperIN6hipcub16HIPCUB_304000_NS8EqualityEEEPlJS6_EEE10hipError_tPvRmT3_T4_T5_T6_T7_T9_mT8_P12ihipStream_tbDpT10_ENKUlT_T0_E_clISt17integral_constantIbLb0EES17_EEDaS12_S13_EUlS12_E_NS1_11comp_targetILNS1_3genE3ELNS1_11target_archE908ELNS1_3gpuE7ELNS1_3repE0EEENS1_30default_config_static_selectorELNS0_4arch9wavefront6targetE1EEEvT1_.kd
    .uniform_work_group_size: 1
    .uses_dynamic_stack: false
    .vgpr_count:     0
    .vgpr_spill_count: 0
    .wavefront_size: 64
  - .agpr_count:     0
    .args:
      - .offset:         0
        .size:           112
        .value_kind:     by_value
    .group_segment_fixed_size: 0
    .kernarg_segment_align: 8
    .kernarg_segment_size: 112
    .language:       OpenCL C
    .language_version:
      - 2
      - 0
    .max_flat_workgroup_size: 192
    .name:           _ZN7rocprim17ROCPRIM_400000_NS6detail17trampoline_kernelINS0_14default_configENS1_25partition_config_selectorILNS1_17partition_subalgoE8EaNS0_10empty_typeEbEEZZNS1_14partition_implILS5_8ELb0ES3_jPKaPS6_PKS6_NS0_5tupleIJPaS6_EEENSE_IJSB_SB_EEENS0_18inequality_wrapperIN6hipcub16HIPCUB_304000_NS8EqualityEEEPlJS6_EEE10hipError_tPvRmT3_T4_T5_T6_T7_T9_mT8_P12ihipStream_tbDpT10_ENKUlT_T0_E_clISt17integral_constantIbLb0EES17_EEDaS12_S13_EUlS12_E_NS1_11comp_targetILNS1_3genE2ELNS1_11target_archE906ELNS1_3gpuE6ELNS1_3repE0EEENS1_30default_config_static_selectorELNS0_4arch9wavefront6targetE1EEEvT1_
    .private_segment_fixed_size: 0
    .sgpr_count:     4
    .sgpr_spill_count: 0
    .symbol:         _ZN7rocprim17ROCPRIM_400000_NS6detail17trampoline_kernelINS0_14default_configENS1_25partition_config_selectorILNS1_17partition_subalgoE8EaNS0_10empty_typeEbEEZZNS1_14partition_implILS5_8ELb0ES3_jPKaPS6_PKS6_NS0_5tupleIJPaS6_EEENSE_IJSB_SB_EEENS0_18inequality_wrapperIN6hipcub16HIPCUB_304000_NS8EqualityEEEPlJS6_EEE10hipError_tPvRmT3_T4_T5_T6_T7_T9_mT8_P12ihipStream_tbDpT10_ENKUlT_T0_E_clISt17integral_constantIbLb0EES17_EEDaS12_S13_EUlS12_E_NS1_11comp_targetILNS1_3genE2ELNS1_11target_archE906ELNS1_3gpuE6ELNS1_3repE0EEENS1_30default_config_static_selectorELNS0_4arch9wavefront6targetE1EEEvT1_.kd
    .uniform_work_group_size: 1
    .uses_dynamic_stack: false
    .vgpr_count:     0
    .vgpr_spill_count: 0
    .wavefront_size: 64
  - .agpr_count:     0
    .args:
      - .offset:         0
        .size:           112
        .value_kind:     by_value
    .group_segment_fixed_size: 0
    .kernarg_segment_align: 8
    .kernarg_segment_size: 112
    .language:       OpenCL C
    .language_version:
      - 2
      - 0
    .max_flat_workgroup_size: 256
    .name:           _ZN7rocprim17ROCPRIM_400000_NS6detail17trampoline_kernelINS0_14default_configENS1_25partition_config_selectorILNS1_17partition_subalgoE8EaNS0_10empty_typeEbEEZZNS1_14partition_implILS5_8ELb0ES3_jPKaPS6_PKS6_NS0_5tupleIJPaS6_EEENSE_IJSB_SB_EEENS0_18inequality_wrapperIN6hipcub16HIPCUB_304000_NS8EqualityEEEPlJS6_EEE10hipError_tPvRmT3_T4_T5_T6_T7_T9_mT8_P12ihipStream_tbDpT10_ENKUlT_T0_E_clISt17integral_constantIbLb0EES17_EEDaS12_S13_EUlS12_E_NS1_11comp_targetILNS1_3genE10ELNS1_11target_archE1200ELNS1_3gpuE4ELNS1_3repE0EEENS1_30default_config_static_selectorELNS0_4arch9wavefront6targetE1EEEvT1_
    .private_segment_fixed_size: 0
    .sgpr_count:     4
    .sgpr_spill_count: 0
    .symbol:         _ZN7rocprim17ROCPRIM_400000_NS6detail17trampoline_kernelINS0_14default_configENS1_25partition_config_selectorILNS1_17partition_subalgoE8EaNS0_10empty_typeEbEEZZNS1_14partition_implILS5_8ELb0ES3_jPKaPS6_PKS6_NS0_5tupleIJPaS6_EEENSE_IJSB_SB_EEENS0_18inequality_wrapperIN6hipcub16HIPCUB_304000_NS8EqualityEEEPlJS6_EEE10hipError_tPvRmT3_T4_T5_T6_T7_T9_mT8_P12ihipStream_tbDpT10_ENKUlT_T0_E_clISt17integral_constantIbLb0EES17_EEDaS12_S13_EUlS12_E_NS1_11comp_targetILNS1_3genE10ELNS1_11target_archE1200ELNS1_3gpuE4ELNS1_3repE0EEENS1_30default_config_static_selectorELNS0_4arch9wavefront6targetE1EEEvT1_.kd
    .uniform_work_group_size: 1
    .uses_dynamic_stack: false
    .vgpr_count:     0
    .vgpr_spill_count: 0
    .wavefront_size: 64
  - .agpr_count:     0
    .args:
      - .offset:         0
        .size:           112
        .value_kind:     by_value
    .group_segment_fixed_size: 0
    .kernarg_segment_align: 8
    .kernarg_segment_size: 112
    .language:       OpenCL C
    .language_version:
      - 2
      - 0
    .max_flat_workgroup_size: 384
    .name:           _ZN7rocprim17ROCPRIM_400000_NS6detail17trampoline_kernelINS0_14default_configENS1_25partition_config_selectorILNS1_17partition_subalgoE8EaNS0_10empty_typeEbEEZZNS1_14partition_implILS5_8ELb0ES3_jPKaPS6_PKS6_NS0_5tupleIJPaS6_EEENSE_IJSB_SB_EEENS0_18inequality_wrapperIN6hipcub16HIPCUB_304000_NS8EqualityEEEPlJS6_EEE10hipError_tPvRmT3_T4_T5_T6_T7_T9_mT8_P12ihipStream_tbDpT10_ENKUlT_T0_E_clISt17integral_constantIbLb0EES17_EEDaS12_S13_EUlS12_E_NS1_11comp_targetILNS1_3genE9ELNS1_11target_archE1100ELNS1_3gpuE3ELNS1_3repE0EEENS1_30default_config_static_selectorELNS0_4arch9wavefront6targetE1EEEvT1_
    .private_segment_fixed_size: 0
    .sgpr_count:     4
    .sgpr_spill_count: 0
    .symbol:         _ZN7rocprim17ROCPRIM_400000_NS6detail17trampoline_kernelINS0_14default_configENS1_25partition_config_selectorILNS1_17partition_subalgoE8EaNS0_10empty_typeEbEEZZNS1_14partition_implILS5_8ELb0ES3_jPKaPS6_PKS6_NS0_5tupleIJPaS6_EEENSE_IJSB_SB_EEENS0_18inequality_wrapperIN6hipcub16HIPCUB_304000_NS8EqualityEEEPlJS6_EEE10hipError_tPvRmT3_T4_T5_T6_T7_T9_mT8_P12ihipStream_tbDpT10_ENKUlT_T0_E_clISt17integral_constantIbLb0EES17_EEDaS12_S13_EUlS12_E_NS1_11comp_targetILNS1_3genE9ELNS1_11target_archE1100ELNS1_3gpuE3ELNS1_3repE0EEENS1_30default_config_static_selectorELNS0_4arch9wavefront6targetE1EEEvT1_.kd
    .uniform_work_group_size: 1
    .uses_dynamic_stack: false
    .vgpr_count:     0
    .vgpr_spill_count: 0
    .wavefront_size: 64
  - .agpr_count:     0
    .args:
      - .offset:         0
        .size:           112
        .value_kind:     by_value
    .group_segment_fixed_size: 0
    .kernarg_segment_align: 8
    .kernarg_segment_size: 112
    .language:       OpenCL C
    .language_version:
      - 2
      - 0
    .max_flat_workgroup_size: 384
    .name:           _ZN7rocprim17ROCPRIM_400000_NS6detail17trampoline_kernelINS0_14default_configENS1_25partition_config_selectorILNS1_17partition_subalgoE8EaNS0_10empty_typeEbEEZZNS1_14partition_implILS5_8ELb0ES3_jPKaPS6_PKS6_NS0_5tupleIJPaS6_EEENSE_IJSB_SB_EEENS0_18inequality_wrapperIN6hipcub16HIPCUB_304000_NS8EqualityEEEPlJS6_EEE10hipError_tPvRmT3_T4_T5_T6_T7_T9_mT8_P12ihipStream_tbDpT10_ENKUlT_T0_E_clISt17integral_constantIbLb0EES17_EEDaS12_S13_EUlS12_E_NS1_11comp_targetILNS1_3genE8ELNS1_11target_archE1030ELNS1_3gpuE2ELNS1_3repE0EEENS1_30default_config_static_selectorELNS0_4arch9wavefront6targetE1EEEvT1_
    .private_segment_fixed_size: 0
    .sgpr_count:     4
    .sgpr_spill_count: 0
    .symbol:         _ZN7rocprim17ROCPRIM_400000_NS6detail17trampoline_kernelINS0_14default_configENS1_25partition_config_selectorILNS1_17partition_subalgoE8EaNS0_10empty_typeEbEEZZNS1_14partition_implILS5_8ELb0ES3_jPKaPS6_PKS6_NS0_5tupleIJPaS6_EEENSE_IJSB_SB_EEENS0_18inequality_wrapperIN6hipcub16HIPCUB_304000_NS8EqualityEEEPlJS6_EEE10hipError_tPvRmT3_T4_T5_T6_T7_T9_mT8_P12ihipStream_tbDpT10_ENKUlT_T0_E_clISt17integral_constantIbLb0EES17_EEDaS12_S13_EUlS12_E_NS1_11comp_targetILNS1_3genE8ELNS1_11target_archE1030ELNS1_3gpuE2ELNS1_3repE0EEENS1_30default_config_static_selectorELNS0_4arch9wavefront6targetE1EEEvT1_.kd
    .uniform_work_group_size: 1
    .uses_dynamic_stack: false
    .vgpr_count:     0
    .vgpr_spill_count: 0
    .wavefront_size: 64
  - .agpr_count:     0
    .args:
      - .offset:         0
        .size:           128
        .value_kind:     by_value
    .group_segment_fixed_size: 0
    .kernarg_segment_align: 8
    .kernarg_segment_size: 128
    .language:       OpenCL C
    .language_version:
      - 2
      - 0
    .max_flat_workgroup_size: 256
    .name:           _ZN7rocprim17ROCPRIM_400000_NS6detail17trampoline_kernelINS0_14default_configENS1_25partition_config_selectorILNS1_17partition_subalgoE8EaNS0_10empty_typeEbEEZZNS1_14partition_implILS5_8ELb0ES3_jPKaPS6_PKS6_NS0_5tupleIJPaS6_EEENSE_IJSB_SB_EEENS0_18inequality_wrapperIN6hipcub16HIPCUB_304000_NS8EqualityEEEPlJS6_EEE10hipError_tPvRmT3_T4_T5_T6_T7_T9_mT8_P12ihipStream_tbDpT10_ENKUlT_T0_E_clISt17integral_constantIbLb1EES17_EEDaS12_S13_EUlS12_E_NS1_11comp_targetILNS1_3genE0ELNS1_11target_archE4294967295ELNS1_3gpuE0ELNS1_3repE0EEENS1_30default_config_static_selectorELNS0_4arch9wavefront6targetE1EEEvT1_
    .private_segment_fixed_size: 0
    .sgpr_count:     4
    .sgpr_spill_count: 0
    .symbol:         _ZN7rocprim17ROCPRIM_400000_NS6detail17trampoline_kernelINS0_14default_configENS1_25partition_config_selectorILNS1_17partition_subalgoE8EaNS0_10empty_typeEbEEZZNS1_14partition_implILS5_8ELb0ES3_jPKaPS6_PKS6_NS0_5tupleIJPaS6_EEENSE_IJSB_SB_EEENS0_18inequality_wrapperIN6hipcub16HIPCUB_304000_NS8EqualityEEEPlJS6_EEE10hipError_tPvRmT3_T4_T5_T6_T7_T9_mT8_P12ihipStream_tbDpT10_ENKUlT_T0_E_clISt17integral_constantIbLb1EES17_EEDaS12_S13_EUlS12_E_NS1_11comp_targetILNS1_3genE0ELNS1_11target_archE4294967295ELNS1_3gpuE0ELNS1_3repE0EEENS1_30default_config_static_selectorELNS0_4arch9wavefront6targetE1EEEvT1_.kd
    .uniform_work_group_size: 1
    .uses_dynamic_stack: false
    .vgpr_count:     0
    .vgpr_spill_count: 0
    .wavefront_size: 64
  - .agpr_count:     0
    .args:
      - .offset:         0
        .size:           128
        .value_kind:     by_value
    .group_segment_fixed_size: 0
    .kernarg_segment_align: 8
    .kernarg_segment_size: 128
    .language:       OpenCL C
    .language_version:
      - 2
      - 0
    .max_flat_workgroup_size: 512
    .name:           _ZN7rocprim17ROCPRIM_400000_NS6detail17trampoline_kernelINS0_14default_configENS1_25partition_config_selectorILNS1_17partition_subalgoE8EaNS0_10empty_typeEbEEZZNS1_14partition_implILS5_8ELb0ES3_jPKaPS6_PKS6_NS0_5tupleIJPaS6_EEENSE_IJSB_SB_EEENS0_18inequality_wrapperIN6hipcub16HIPCUB_304000_NS8EqualityEEEPlJS6_EEE10hipError_tPvRmT3_T4_T5_T6_T7_T9_mT8_P12ihipStream_tbDpT10_ENKUlT_T0_E_clISt17integral_constantIbLb1EES17_EEDaS12_S13_EUlS12_E_NS1_11comp_targetILNS1_3genE5ELNS1_11target_archE942ELNS1_3gpuE9ELNS1_3repE0EEENS1_30default_config_static_selectorELNS0_4arch9wavefront6targetE1EEEvT1_
    .private_segment_fixed_size: 0
    .sgpr_count:     4
    .sgpr_spill_count: 0
    .symbol:         _ZN7rocprim17ROCPRIM_400000_NS6detail17trampoline_kernelINS0_14default_configENS1_25partition_config_selectorILNS1_17partition_subalgoE8EaNS0_10empty_typeEbEEZZNS1_14partition_implILS5_8ELb0ES3_jPKaPS6_PKS6_NS0_5tupleIJPaS6_EEENSE_IJSB_SB_EEENS0_18inequality_wrapperIN6hipcub16HIPCUB_304000_NS8EqualityEEEPlJS6_EEE10hipError_tPvRmT3_T4_T5_T6_T7_T9_mT8_P12ihipStream_tbDpT10_ENKUlT_T0_E_clISt17integral_constantIbLb1EES17_EEDaS12_S13_EUlS12_E_NS1_11comp_targetILNS1_3genE5ELNS1_11target_archE942ELNS1_3gpuE9ELNS1_3repE0EEENS1_30default_config_static_selectorELNS0_4arch9wavefront6targetE1EEEvT1_.kd
    .uniform_work_group_size: 1
    .uses_dynamic_stack: false
    .vgpr_count:     0
    .vgpr_spill_count: 0
    .wavefront_size: 64
  - .agpr_count:     0
    .args:
      - .offset:         0
        .size:           128
        .value_kind:     by_value
    .group_segment_fixed_size: 4232
    .kernarg_segment_align: 8
    .kernarg_segment_size: 128
    .language:       OpenCL C
    .language_version:
      - 2
      - 0
    .max_flat_workgroup_size: 128
    .name:           _ZN7rocprim17ROCPRIM_400000_NS6detail17trampoline_kernelINS0_14default_configENS1_25partition_config_selectorILNS1_17partition_subalgoE8EaNS0_10empty_typeEbEEZZNS1_14partition_implILS5_8ELb0ES3_jPKaPS6_PKS6_NS0_5tupleIJPaS6_EEENSE_IJSB_SB_EEENS0_18inequality_wrapperIN6hipcub16HIPCUB_304000_NS8EqualityEEEPlJS6_EEE10hipError_tPvRmT3_T4_T5_T6_T7_T9_mT8_P12ihipStream_tbDpT10_ENKUlT_T0_E_clISt17integral_constantIbLb1EES17_EEDaS12_S13_EUlS12_E_NS1_11comp_targetILNS1_3genE4ELNS1_11target_archE910ELNS1_3gpuE8ELNS1_3repE0EEENS1_30default_config_static_selectorELNS0_4arch9wavefront6targetE1EEEvT1_
    .private_segment_fixed_size: 0
    .sgpr_count:     64
    .sgpr_spill_count: 0
    .symbol:         _ZN7rocprim17ROCPRIM_400000_NS6detail17trampoline_kernelINS0_14default_configENS1_25partition_config_selectorILNS1_17partition_subalgoE8EaNS0_10empty_typeEbEEZZNS1_14partition_implILS5_8ELb0ES3_jPKaPS6_PKS6_NS0_5tupleIJPaS6_EEENSE_IJSB_SB_EEENS0_18inequality_wrapperIN6hipcub16HIPCUB_304000_NS8EqualityEEEPlJS6_EEE10hipError_tPvRmT3_T4_T5_T6_T7_T9_mT8_P12ihipStream_tbDpT10_ENKUlT_T0_E_clISt17integral_constantIbLb1EES17_EEDaS12_S13_EUlS12_E_NS1_11comp_targetILNS1_3genE4ELNS1_11target_archE910ELNS1_3gpuE8ELNS1_3repE0EEENS1_30default_config_static_selectorELNS0_4arch9wavefront6targetE1EEEvT1_.kd
    .uniform_work_group_size: 1
    .uses_dynamic_stack: false
    .vgpr_count:     124
    .vgpr_spill_count: 0
    .wavefront_size: 64
  - .agpr_count:     0
    .args:
      - .offset:         0
        .size:           128
        .value_kind:     by_value
    .group_segment_fixed_size: 0
    .kernarg_segment_align: 8
    .kernarg_segment_size: 128
    .language:       OpenCL C
    .language_version:
      - 2
      - 0
    .max_flat_workgroup_size: 256
    .name:           _ZN7rocprim17ROCPRIM_400000_NS6detail17trampoline_kernelINS0_14default_configENS1_25partition_config_selectorILNS1_17partition_subalgoE8EaNS0_10empty_typeEbEEZZNS1_14partition_implILS5_8ELb0ES3_jPKaPS6_PKS6_NS0_5tupleIJPaS6_EEENSE_IJSB_SB_EEENS0_18inequality_wrapperIN6hipcub16HIPCUB_304000_NS8EqualityEEEPlJS6_EEE10hipError_tPvRmT3_T4_T5_T6_T7_T9_mT8_P12ihipStream_tbDpT10_ENKUlT_T0_E_clISt17integral_constantIbLb1EES17_EEDaS12_S13_EUlS12_E_NS1_11comp_targetILNS1_3genE3ELNS1_11target_archE908ELNS1_3gpuE7ELNS1_3repE0EEENS1_30default_config_static_selectorELNS0_4arch9wavefront6targetE1EEEvT1_
    .private_segment_fixed_size: 0
    .sgpr_count:     4
    .sgpr_spill_count: 0
    .symbol:         _ZN7rocprim17ROCPRIM_400000_NS6detail17trampoline_kernelINS0_14default_configENS1_25partition_config_selectorILNS1_17partition_subalgoE8EaNS0_10empty_typeEbEEZZNS1_14partition_implILS5_8ELb0ES3_jPKaPS6_PKS6_NS0_5tupleIJPaS6_EEENSE_IJSB_SB_EEENS0_18inequality_wrapperIN6hipcub16HIPCUB_304000_NS8EqualityEEEPlJS6_EEE10hipError_tPvRmT3_T4_T5_T6_T7_T9_mT8_P12ihipStream_tbDpT10_ENKUlT_T0_E_clISt17integral_constantIbLb1EES17_EEDaS12_S13_EUlS12_E_NS1_11comp_targetILNS1_3genE3ELNS1_11target_archE908ELNS1_3gpuE7ELNS1_3repE0EEENS1_30default_config_static_selectorELNS0_4arch9wavefront6targetE1EEEvT1_.kd
    .uniform_work_group_size: 1
    .uses_dynamic_stack: false
    .vgpr_count:     0
    .vgpr_spill_count: 0
    .wavefront_size: 64
  - .agpr_count:     0
    .args:
      - .offset:         0
        .size:           128
        .value_kind:     by_value
    .group_segment_fixed_size: 0
    .kernarg_segment_align: 8
    .kernarg_segment_size: 128
    .language:       OpenCL C
    .language_version:
      - 2
      - 0
    .max_flat_workgroup_size: 192
    .name:           _ZN7rocprim17ROCPRIM_400000_NS6detail17trampoline_kernelINS0_14default_configENS1_25partition_config_selectorILNS1_17partition_subalgoE8EaNS0_10empty_typeEbEEZZNS1_14partition_implILS5_8ELb0ES3_jPKaPS6_PKS6_NS0_5tupleIJPaS6_EEENSE_IJSB_SB_EEENS0_18inequality_wrapperIN6hipcub16HIPCUB_304000_NS8EqualityEEEPlJS6_EEE10hipError_tPvRmT3_T4_T5_T6_T7_T9_mT8_P12ihipStream_tbDpT10_ENKUlT_T0_E_clISt17integral_constantIbLb1EES17_EEDaS12_S13_EUlS12_E_NS1_11comp_targetILNS1_3genE2ELNS1_11target_archE906ELNS1_3gpuE6ELNS1_3repE0EEENS1_30default_config_static_selectorELNS0_4arch9wavefront6targetE1EEEvT1_
    .private_segment_fixed_size: 0
    .sgpr_count:     4
    .sgpr_spill_count: 0
    .symbol:         _ZN7rocprim17ROCPRIM_400000_NS6detail17trampoline_kernelINS0_14default_configENS1_25partition_config_selectorILNS1_17partition_subalgoE8EaNS0_10empty_typeEbEEZZNS1_14partition_implILS5_8ELb0ES3_jPKaPS6_PKS6_NS0_5tupleIJPaS6_EEENSE_IJSB_SB_EEENS0_18inequality_wrapperIN6hipcub16HIPCUB_304000_NS8EqualityEEEPlJS6_EEE10hipError_tPvRmT3_T4_T5_T6_T7_T9_mT8_P12ihipStream_tbDpT10_ENKUlT_T0_E_clISt17integral_constantIbLb1EES17_EEDaS12_S13_EUlS12_E_NS1_11comp_targetILNS1_3genE2ELNS1_11target_archE906ELNS1_3gpuE6ELNS1_3repE0EEENS1_30default_config_static_selectorELNS0_4arch9wavefront6targetE1EEEvT1_.kd
    .uniform_work_group_size: 1
    .uses_dynamic_stack: false
    .vgpr_count:     0
    .vgpr_spill_count: 0
    .wavefront_size: 64
  - .agpr_count:     0
    .args:
      - .offset:         0
        .size:           128
        .value_kind:     by_value
    .group_segment_fixed_size: 0
    .kernarg_segment_align: 8
    .kernarg_segment_size: 128
    .language:       OpenCL C
    .language_version:
      - 2
      - 0
    .max_flat_workgroup_size: 256
    .name:           _ZN7rocprim17ROCPRIM_400000_NS6detail17trampoline_kernelINS0_14default_configENS1_25partition_config_selectorILNS1_17partition_subalgoE8EaNS0_10empty_typeEbEEZZNS1_14partition_implILS5_8ELb0ES3_jPKaPS6_PKS6_NS0_5tupleIJPaS6_EEENSE_IJSB_SB_EEENS0_18inequality_wrapperIN6hipcub16HIPCUB_304000_NS8EqualityEEEPlJS6_EEE10hipError_tPvRmT3_T4_T5_T6_T7_T9_mT8_P12ihipStream_tbDpT10_ENKUlT_T0_E_clISt17integral_constantIbLb1EES17_EEDaS12_S13_EUlS12_E_NS1_11comp_targetILNS1_3genE10ELNS1_11target_archE1200ELNS1_3gpuE4ELNS1_3repE0EEENS1_30default_config_static_selectorELNS0_4arch9wavefront6targetE1EEEvT1_
    .private_segment_fixed_size: 0
    .sgpr_count:     4
    .sgpr_spill_count: 0
    .symbol:         _ZN7rocprim17ROCPRIM_400000_NS6detail17trampoline_kernelINS0_14default_configENS1_25partition_config_selectorILNS1_17partition_subalgoE8EaNS0_10empty_typeEbEEZZNS1_14partition_implILS5_8ELb0ES3_jPKaPS6_PKS6_NS0_5tupleIJPaS6_EEENSE_IJSB_SB_EEENS0_18inequality_wrapperIN6hipcub16HIPCUB_304000_NS8EqualityEEEPlJS6_EEE10hipError_tPvRmT3_T4_T5_T6_T7_T9_mT8_P12ihipStream_tbDpT10_ENKUlT_T0_E_clISt17integral_constantIbLb1EES17_EEDaS12_S13_EUlS12_E_NS1_11comp_targetILNS1_3genE10ELNS1_11target_archE1200ELNS1_3gpuE4ELNS1_3repE0EEENS1_30default_config_static_selectorELNS0_4arch9wavefront6targetE1EEEvT1_.kd
    .uniform_work_group_size: 1
    .uses_dynamic_stack: false
    .vgpr_count:     0
    .vgpr_spill_count: 0
    .wavefront_size: 64
  - .agpr_count:     0
    .args:
      - .offset:         0
        .size:           128
        .value_kind:     by_value
    .group_segment_fixed_size: 0
    .kernarg_segment_align: 8
    .kernarg_segment_size: 128
    .language:       OpenCL C
    .language_version:
      - 2
      - 0
    .max_flat_workgroup_size: 384
    .name:           _ZN7rocprim17ROCPRIM_400000_NS6detail17trampoline_kernelINS0_14default_configENS1_25partition_config_selectorILNS1_17partition_subalgoE8EaNS0_10empty_typeEbEEZZNS1_14partition_implILS5_8ELb0ES3_jPKaPS6_PKS6_NS0_5tupleIJPaS6_EEENSE_IJSB_SB_EEENS0_18inequality_wrapperIN6hipcub16HIPCUB_304000_NS8EqualityEEEPlJS6_EEE10hipError_tPvRmT3_T4_T5_T6_T7_T9_mT8_P12ihipStream_tbDpT10_ENKUlT_T0_E_clISt17integral_constantIbLb1EES17_EEDaS12_S13_EUlS12_E_NS1_11comp_targetILNS1_3genE9ELNS1_11target_archE1100ELNS1_3gpuE3ELNS1_3repE0EEENS1_30default_config_static_selectorELNS0_4arch9wavefront6targetE1EEEvT1_
    .private_segment_fixed_size: 0
    .sgpr_count:     4
    .sgpr_spill_count: 0
    .symbol:         _ZN7rocprim17ROCPRIM_400000_NS6detail17trampoline_kernelINS0_14default_configENS1_25partition_config_selectorILNS1_17partition_subalgoE8EaNS0_10empty_typeEbEEZZNS1_14partition_implILS5_8ELb0ES3_jPKaPS6_PKS6_NS0_5tupleIJPaS6_EEENSE_IJSB_SB_EEENS0_18inequality_wrapperIN6hipcub16HIPCUB_304000_NS8EqualityEEEPlJS6_EEE10hipError_tPvRmT3_T4_T5_T6_T7_T9_mT8_P12ihipStream_tbDpT10_ENKUlT_T0_E_clISt17integral_constantIbLb1EES17_EEDaS12_S13_EUlS12_E_NS1_11comp_targetILNS1_3genE9ELNS1_11target_archE1100ELNS1_3gpuE3ELNS1_3repE0EEENS1_30default_config_static_selectorELNS0_4arch9wavefront6targetE1EEEvT1_.kd
    .uniform_work_group_size: 1
    .uses_dynamic_stack: false
    .vgpr_count:     0
    .vgpr_spill_count: 0
    .wavefront_size: 64
  - .agpr_count:     0
    .args:
      - .offset:         0
        .size:           128
        .value_kind:     by_value
    .group_segment_fixed_size: 0
    .kernarg_segment_align: 8
    .kernarg_segment_size: 128
    .language:       OpenCL C
    .language_version:
      - 2
      - 0
    .max_flat_workgroup_size: 384
    .name:           _ZN7rocprim17ROCPRIM_400000_NS6detail17trampoline_kernelINS0_14default_configENS1_25partition_config_selectorILNS1_17partition_subalgoE8EaNS0_10empty_typeEbEEZZNS1_14partition_implILS5_8ELb0ES3_jPKaPS6_PKS6_NS0_5tupleIJPaS6_EEENSE_IJSB_SB_EEENS0_18inequality_wrapperIN6hipcub16HIPCUB_304000_NS8EqualityEEEPlJS6_EEE10hipError_tPvRmT3_T4_T5_T6_T7_T9_mT8_P12ihipStream_tbDpT10_ENKUlT_T0_E_clISt17integral_constantIbLb1EES17_EEDaS12_S13_EUlS12_E_NS1_11comp_targetILNS1_3genE8ELNS1_11target_archE1030ELNS1_3gpuE2ELNS1_3repE0EEENS1_30default_config_static_selectorELNS0_4arch9wavefront6targetE1EEEvT1_
    .private_segment_fixed_size: 0
    .sgpr_count:     4
    .sgpr_spill_count: 0
    .symbol:         _ZN7rocprim17ROCPRIM_400000_NS6detail17trampoline_kernelINS0_14default_configENS1_25partition_config_selectorILNS1_17partition_subalgoE8EaNS0_10empty_typeEbEEZZNS1_14partition_implILS5_8ELb0ES3_jPKaPS6_PKS6_NS0_5tupleIJPaS6_EEENSE_IJSB_SB_EEENS0_18inequality_wrapperIN6hipcub16HIPCUB_304000_NS8EqualityEEEPlJS6_EEE10hipError_tPvRmT3_T4_T5_T6_T7_T9_mT8_P12ihipStream_tbDpT10_ENKUlT_T0_E_clISt17integral_constantIbLb1EES17_EEDaS12_S13_EUlS12_E_NS1_11comp_targetILNS1_3genE8ELNS1_11target_archE1030ELNS1_3gpuE2ELNS1_3repE0EEENS1_30default_config_static_selectorELNS0_4arch9wavefront6targetE1EEEvT1_.kd
    .uniform_work_group_size: 1
    .uses_dynamic_stack: false
    .vgpr_count:     0
    .vgpr_spill_count: 0
    .wavefront_size: 64
  - .agpr_count:     0
    .args:
      - .offset:         0
        .size:           112
        .value_kind:     by_value
    .group_segment_fixed_size: 0
    .kernarg_segment_align: 8
    .kernarg_segment_size: 112
    .language:       OpenCL C
    .language_version:
      - 2
      - 0
    .max_flat_workgroup_size: 256
    .name:           _ZN7rocprim17ROCPRIM_400000_NS6detail17trampoline_kernelINS0_14default_configENS1_25partition_config_selectorILNS1_17partition_subalgoE8EaNS0_10empty_typeEbEEZZNS1_14partition_implILS5_8ELb0ES3_jPKaPS6_PKS6_NS0_5tupleIJPaS6_EEENSE_IJSB_SB_EEENS0_18inequality_wrapperIN6hipcub16HIPCUB_304000_NS8EqualityEEEPlJS6_EEE10hipError_tPvRmT3_T4_T5_T6_T7_T9_mT8_P12ihipStream_tbDpT10_ENKUlT_T0_E_clISt17integral_constantIbLb1EES16_IbLb0EEEEDaS12_S13_EUlS12_E_NS1_11comp_targetILNS1_3genE0ELNS1_11target_archE4294967295ELNS1_3gpuE0ELNS1_3repE0EEENS1_30default_config_static_selectorELNS0_4arch9wavefront6targetE1EEEvT1_
    .private_segment_fixed_size: 0
    .sgpr_count:     4
    .sgpr_spill_count: 0
    .symbol:         _ZN7rocprim17ROCPRIM_400000_NS6detail17trampoline_kernelINS0_14default_configENS1_25partition_config_selectorILNS1_17partition_subalgoE8EaNS0_10empty_typeEbEEZZNS1_14partition_implILS5_8ELb0ES3_jPKaPS6_PKS6_NS0_5tupleIJPaS6_EEENSE_IJSB_SB_EEENS0_18inequality_wrapperIN6hipcub16HIPCUB_304000_NS8EqualityEEEPlJS6_EEE10hipError_tPvRmT3_T4_T5_T6_T7_T9_mT8_P12ihipStream_tbDpT10_ENKUlT_T0_E_clISt17integral_constantIbLb1EES16_IbLb0EEEEDaS12_S13_EUlS12_E_NS1_11comp_targetILNS1_3genE0ELNS1_11target_archE4294967295ELNS1_3gpuE0ELNS1_3repE0EEENS1_30default_config_static_selectorELNS0_4arch9wavefront6targetE1EEEvT1_.kd
    .uniform_work_group_size: 1
    .uses_dynamic_stack: false
    .vgpr_count:     0
    .vgpr_spill_count: 0
    .wavefront_size: 64
  - .agpr_count:     0
    .args:
      - .offset:         0
        .size:           112
        .value_kind:     by_value
    .group_segment_fixed_size: 0
    .kernarg_segment_align: 8
    .kernarg_segment_size: 112
    .language:       OpenCL C
    .language_version:
      - 2
      - 0
    .max_flat_workgroup_size: 512
    .name:           _ZN7rocprim17ROCPRIM_400000_NS6detail17trampoline_kernelINS0_14default_configENS1_25partition_config_selectorILNS1_17partition_subalgoE8EaNS0_10empty_typeEbEEZZNS1_14partition_implILS5_8ELb0ES3_jPKaPS6_PKS6_NS0_5tupleIJPaS6_EEENSE_IJSB_SB_EEENS0_18inequality_wrapperIN6hipcub16HIPCUB_304000_NS8EqualityEEEPlJS6_EEE10hipError_tPvRmT3_T4_T5_T6_T7_T9_mT8_P12ihipStream_tbDpT10_ENKUlT_T0_E_clISt17integral_constantIbLb1EES16_IbLb0EEEEDaS12_S13_EUlS12_E_NS1_11comp_targetILNS1_3genE5ELNS1_11target_archE942ELNS1_3gpuE9ELNS1_3repE0EEENS1_30default_config_static_selectorELNS0_4arch9wavefront6targetE1EEEvT1_
    .private_segment_fixed_size: 0
    .sgpr_count:     4
    .sgpr_spill_count: 0
    .symbol:         _ZN7rocprim17ROCPRIM_400000_NS6detail17trampoline_kernelINS0_14default_configENS1_25partition_config_selectorILNS1_17partition_subalgoE8EaNS0_10empty_typeEbEEZZNS1_14partition_implILS5_8ELb0ES3_jPKaPS6_PKS6_NS0_5tupleIJPaS6_EEENSE_IJSB_SB_EEENS0_18inequality_wrapperIN6hipcub16HIPCUB_304000_NS8EqualityEEEPlJS6_EEE10hipError_tPvRmT3_T4_T5_T6_T7_T9_mT8_P12ihipStream_tbDpT10_ENKUlT_T0_E_clISt17integral_constantIbLb1EES16_IbLb0EEEEDaS12_S13_EUlS12_E_NS1_11comp_targetILNS1_3genE5ELNS1_11target_archE942ELNS1_3gpuE9ELNS1_3repE0EEENS1_30default_config_static_selectorELNS0_4arch9wavefront6targetE1EEEvT1_.kd
    .uniform_work_group_size: 1
    .uses_dynamic_stack: false
    .vgpr_count:     0
    .vgpr_spill_count: 0
    .wavefront_size: 64
  - .agpr_count:     0
    .args:
      - .offset:         0
        .size:           112
        .value_kind:     by_value
    .group_segment_fixed_size: 4232
    .kernarg_segment_align: 8
    .kernarg_segment_size: 112
    .language:       OpenCL C
    .language_version:
      - 2
      - 0
    .max_flat_workgroup_size: 128
    .name:           _ZN7rocprim17ROCPRIM_400000_NS6detail17trampoline_kernelINS0_14default_configENS1_25partition_config_selectorILNS1_17partition_subalgoE8EaNS0_10empty_typeEbEEZZNS1_14partition_implILS5_8ELb0ES3_jPKaPS6_PKS6_NS0_5tupleIJPaS6_EEENSE_IJSB_SB_EEENS0_18inequality_wrapperIN6hipcub16HIPCUB_304000_NS8EqualityEEEPlJS6_EEE10hipError_tPvRmT3_T4_T5_T6_T7_T9_mT8_P12ihipStream_tbDpT10_ENKUlT_T0_E_clISt17integral_constantIbLb1EES16_IbLb0EEEEDaS12_S13_EUlS12_E_NS1_11comp_targetILNS1_3genE4ELNS1_11target_archE910ELNS1_3gpuE8ELNS1_3repE0EEENS1_30default_config_static_selectorELNS0_4arch9wavefront6targetE1EEEvT1_
    .private_segment_fixed_size: 0
    .sgpr_count:     58
    .sgpr_spill_count: 0
    .symbol:         _ZN7rocprim17ROCPRIM_400000_NS6detail17trampoline_kernelINS0_14default_configENS1_25partition_config_selectorILNS1_17partition_subalgoE8EaNS0_10empty_typeEbEEZZNS1_14partition_implILS5_8ELb0ES3_jPKaPS6_PKS6_NS0_5tupleIJPaS6_EEENSE_IJSB_SB_EEENS0_18inequality_wrapperIN6hipcub16HIPCUB_304000_NS8EqualityEEEPlJS6_EEE10hipError_tPvRmT3_T4_T5_T6_T7_T9_mT8_P12ihipStream_tbDpT10_ENKUlT_T0_E_clISt17integral_constantIbLb1EES16_IbLb0EEEEDaS12_S13_EUlS12_E_NS1_11comp_targetILNS1_3genE4ELNS1_11target_archE910ELNS1_3gpuE8ELNS1_3repE0EEENS1_30default_config_static_selectorELNS0_4arch9wavefront6targetE1EEEvT1_.kd
    .uniform_work_group_size: 1
    .uses_dynamic_stack: false
    .vgpr_count:     125
    .vgpr_spill_count: 0
    .wavefront_size: 64
  - .agpr_count:     0
    .args:
      - .offset:         0
        .size:           112
        .value_kind:     by_value
    .group_segment_fixed_size: 0
    .kernarg_segment_align: 8
    .kernarg_segment_size: 112
    .language:       OpenCL C
    .language_version:
      - 2
      - 0
    .max_flat_workgroup_size: 256
    .name:           _ZN7rocprim17ROCPRIM_400000_NS6detail17trampoline_kernelINS0_14default_configENS1_25partition_config_selectorILNS1_17partition_subalgoE8EaNS0_10empty_typeEbEEZZNS1_14partition_implILS5_8ELb0ES3_jPKaPS6_PKS6_NS0_5tupleIJPaS6_EEENSE_IJSB_SB_EEENS0_18inequality_wrapperIN6hipcub16HIPCUB_304000_NS8EqualityEEEPlJS6_EEE10hipError_tPvRmT3_T4_T5_T6_T7_T9_mT8_P12ihipStream_tbDpT10_ENKUlT_T0_E_clISt17integral_constantIbLb1EES16_IbLb0EEEEDaS12_S13_EUlS12_E_NS1_11comp_targetILNS1_3genE3ELNS1_11target_archE908ELNS1_3gpuE7ELNS1_3repE0EEENS1_30default_config_static_selectorELNS0_4arch9wavefront6targetE1EEEvT1_
    .private_segment_fixed_size: 0
    .sgpr_count:     4
    .sgpr_spill_count: 0
    .symbol:         _ZN7rocprim17ROCPRIM_400000_NS6detail17trampoline_kernelINS0_14default_configENS1_25partition_config_selectorILNS1_17partition_subalgoE8EaNS0_10empty_typeEbEEZZNS1_14partition_implILS5_8ELb0ES3_jPKaPS6_PKS6_NS0_5tupleIJPaS6_EEENSE_IJSB_SB_EEENS0_18inequality_wrapperIN6hipcub16HIPCUB_304000_NS8EqualityEEEPlJS6_EEE10hipError_tPvRmT3_T4_T5_T6_T7_T9_mT8_P12ihipStream_tbDpT10_ENKUlT_T0_E_clISt17integral_constantIbLb1EES16_IbLb0EEEEDaS12_S13_EUlS12_E_NS1_11comp_targetILNS1_3genE3ELNS1_11target_archE908ELNS1_3gpuE7ELNS1_3repE0EEENS1_30default_config_static_selectorELNS0_4arch9wavefront6targetE1EEEvT1_.kd
    .uniform_work_group_size: 1
    .uses_dynamic_stack: false
    .vgpr_count:     0
    .vgpr_spill_count: 0
    .wavefront_size: 64
  - .agpr_count:     0
    .args:
      - .offset:         0
        .size:           112
        .value_kind:     by_value
    .group_segment_fixed_size: 0
    .kernarg_segment_align: 8
    .kernarg_segment_size: 112
    .language:       OpenCL C
    .language_version:
      - 2
      - 0
    .max_flat_workgroup_size: 192
    .name:           _ZN7rocprim17ROCPRIM_400000_NS6detail17trampoline_kernelINS0_14default_configENS1_25partition_config_selectorILNS1_17partition_subalgoE8EaNS0_10empty_typeEbEEZZNS1_14partition_implILS5_8ELb0ES3_jPKaPS6_PKS6_NS0_5tupleIJPaS6_EEENSE_IJSB_SB_EEENS0_18inequality_wrapperIN6hipcub16HIPCUB_304000_NS8EqualityEEEPlJS6_EEE10hipError_tPvRmT3_T4_T5_T6_T7_T9_mT8_P12ihipStream_tbDpT10_ENKUlT_T0_E_clISt17integral_constantIbLb1EES16_IbLb0EEEEDaS12_S13_EUlS12_E_NS1_11comp_targetILNS1_3genE2ELNS1_11target_archE906ELNS1_3gpuE6ELNS1_3repE0EEENS1_30default_config_static_selectorELNS0_4arch9wavefront6targetE1EEEvT1_
    .private_segment_fixed_size: 0
    .sgpr_count:     4
    .sgpr_spill_count: 0
    .symbol:         _ZN7rocprim17ROCPRIM_400000_NS6detail17trampoline_kernelINS0_14default_configENS1_25partition_config_selectorILNS1_17partition_subalgoE8EaNS0_10empty_typeEbEEZZNS1_14partition_implILS5_8ELb0ES3_jPKaPS6_PKS6_NS0_5tupleIJPaS6_EEENSE_IJSB_SB_EEENS0_18inequality_wrapperIN6hipcub16HIPCUB_304000_NS8EqualityEEEPlJS6_EEE10hipError_tPvRmT3_T4_T5_T6_T7_T9_mT8_P12ihipStream_tbDpT10_ENKUlT_T0_E_clISt17integral_constantIbLb1EES16_IbLb0EEEEDaS12_S13_EUlS12_E_NS1_11comp_targetILNS1_3genE2ELNS1_11target_archE906ELNS1_3gpuE6ELNS1_3repE0EEENS1_30default_config_static_selectorELNS0_4arch9wavefront6targetE1EEEvT1_.kd
    .uniform_work_group_size: 1
    .uses_dynamic_stack: false
    .vgpr_count:     0
    .vgpr_spill_count: 0
    .wavefront_size: 64
  - .agpr_count:     0
    .args:
      - .offset:         0
        .size:           112
        .value_kind:     by_value
    .group_segment_fixed_size: 0
    .kernarg_segment_align: 8
    .kernarg_segment_size: 112
    .language:       OpenCL C
    .language_version:
      - 2
      - 0
    .max_flat_workgroup_size: 256
    .name:           _ZN7rocprim17ROCPRIM_400000_NS6detail17trampoline_kernelINS0_14default_configENS1_25partition_config_selectorILNS1_17partition_subalgoE8EaNS0_10empty_typeEbEEZZNS1_14partition_implILS5_8ELb0ES3_jPKaPS6_PKS6_NS0_5tupleIJPaS6_EEENSE_IJSB_SB_EEENS0_18inequality_wrapperIN6hipcub16HIPCUB_304000_NS8EqualityEEEPlJS6_EEE10hipError_tPvRmT3_T4_T5_T6_T7_T9_mT8_P12ihipStream_tbDpT10_ENKUlT_T0_E_clISt17integral_constantIbLb1EES16_IbLb0EEEEDaS12_S13_EUlS12_E_NS1_11comp_targetILNS1_3genE10ELNS1_11target_archE1200ELNS1_3gpuE4ELNS1_3repE0EEENS1_30default_config_static_selectorELNS0_4arch9wavefront6targetE1EEEvT1_
    .private_segment_fixed_size: 0
    .sgpr_count:     4
    .sgpr_spill_count: 0
    .symbol:         _ZN7rocprim17ROCPRIM_400000_NS6detail17trampoline_kernelINS0_14default_configENS1_25partition_config_selectorILNS1_17partition_subalgoE8EaNS0_10empty_typeEbEEZZNS1_14partition_implILS5_8ELb0ES3_jPKaPS6_PKS6_NS0_5tupleIJPaS6_EEENSE_IJSB_SB_EEENS0_18inequality_wrapperIN6hipcub16HIPCUB_304000_NS8EqualityEEEPlJS6_EEE10hipError_tPvRmT3_T4_T5_T6_T7_T9_mT8_P12ihipStream_tbDpT10_ENKUlT_T0_E_clISt17integral_constantIbLb1EES16_IbLb0EEEEDaS12_S13_EUlS12_E_NS1_11comp_targetILNS1_3genE10ELNS1_11target_archE1200ELNS1_3gpuE4ELNS1_3repE0EEENS1_30default_config_static_selectorELNS0_4arch9wavefront6targetE1EEEvT1_.kd
    .uniform_work_group_size: 1
    .uses_dynamic_stack: false
    .vgpr_count:     0
    .vgpr_spill_count: 0
    .wavefront_size: 64
  - .agpr_count:     0
    .args:
      - .offset:         0
        .size:           112
        .value_kind:     by_value
    .group_segment_fixed_size: 0
    .kernarg_segment_align: 8
    .kernarg_segment_size: 112
    .language:       OpenCL C
    .language_version:
      - 2
      - 0
    .max_flat_workgroup_size: 384
    .name:           _ZN7rocprim17ROCPRIM_400000_NS6detail17trampoline_kernelINS0_14default_configENS1_25partition_config_selectorILNS1_17partition_subalgoE8EaNS0_10empty_typeEbEEZZNS1_14partition_implILS5_8ELb0ES3_jPKaPS6_PKS6_NS0_5tupleIJPaS6_EEENSE_IJSB_SB_EEENS0_18inequality_wrapperIN6hipcub16HIPCUB_304000_NS8EqualityEEEPlJS6_EEE10hipError_tPvRmT3_T4_T5_T6_T7_T9_mT8_P12ihipStream_tbDpT10_ENKUlT_T0_E_clISt17integral_constantIbLb1EES16_IbLb0EEEEDaS12_S13_EUlS12_E_NS1_11comp_targetILNS1_3genE9ELNS1_11target_archE1100ELNS1_3gpuE3ELNS1_3repE0EEENS1_30default_config_static_selectorELNS0_4arch9wavefront6targetE1EEEvT1_
    .private_segment_fixed_size: 0
    .sgpr_count:     4
    .sgpr_spill_count: 0
    .symbol:         _ZN7rocprim17ROCPRIM_400000_NS6detail17trampoline_kernelINS0_14default_configENS1_25partition_config_selectorILNS1_17partition_subalgoE8EaNS0_10empty_typeEbEEZZNS1_14partition_implILS5_8ELb0ES3_jPKaPS6_PKS6_NS0_5tupleIJPaS6_EEENSE_IJSB_SB_EEENS0_18inequality_wrapperIN6hipcub16HIPCUB_304000_NS8EqualityEEEPlJS6_EEE10hipError_tPvRmT3_T4_T5_T6_T7_T9_mT8_P12ihipStream_tbDpT10_ENKUlT_T0_E_clISt17integral_constantIbLb1EES16_IbLb0EEEEDaS12_S13_EUlS12_E_NS1_11comp_targetILNS1_3genE9ELNS1_11target_archE1100ELNS1_3gpuE3ELNS1_3repE0EEENS1_30default_config_static_selectorELNS0_4arch9wavefront6targetE1EEEvT1_.kd
    .uniform_work_group_size: 1
    .uses_dynamic_stack: false
    .vgpr_count:     0
    .vgpr_spill_count: 0
    .wavefront_size: 64
  - .agpr_count:     0
    .args:
      - .offset:         0
        .size:           112
        .value_kind:     by_value
    .group_segment_fixed_size: 0
    .kernarg_segment_align: 8
    .kernarg_segment_size: 112
    .language:       OpenCL C
    .language_version:
      - 2
      - 0
    .max_flat_workgroup_size: 384
    .name:           _ZN7rocprim17ROCPRIM_400000_NS6detail17trampoline_kernelINS0_14default_configENS1_25partition_config_selectorILNS1_17partition_subalgoE8EaNS0_10empty_typeEbEEZZNS1_14partition_implILS5_8ELb0ES3_jPKaPS6_PKS6_NS0_5tupleIJPaS6_EEENSE_IJSB_SB_EEENS0_18inequality_wrapperIN6hipcub16HIPCUB_304000_NS8EqualityEEEPlJS6_EEE10hipError_tPvRmT3_T4_T5_T6_T7_T9_mT8_P12ihipStream_tbDpT10_ENKUlT_T0_E_clISt17integral_constantIbLb1EES16_IbLb0EEEEDaS12_S13_EUlS12_E_NS1_11comp_targetILNS1_3genE8ELNS1_11target_archE1030ELNS1_3gpuE2ELNS1_3repE0EEENS1_30default_config_static_selectorELNS0_4arch9wavefront6targetE1EEEvT1_
    .private_segment_fixed_size: 0
    .sgpr_count:     4
    .sgpr_spill_count: 0
    .symbol:         _ZN7rocprim17ROCPRIM_400000_NS6detail17trampoline_kernelINS0_14default_configENS1_25partition_config_selectorILNS1_17partition_subalgoE8EaNS0_10empty_typeEbEEZZNS1_14partition_implILS5_8ELb0ES3_jPKaPS6_PKS6_NS0_5tupleIJPaS6_EEENSE_IJSB_SB_EEENS0_18inequality_wrapperIN6hipcub16HIPCUB_304000_NS8EqualityEEEPlJS6_EEE10hipError_tPvRmT3_T4_T5_T6_T7_T9_mT8_P12ihipStream_tbDpT10_ENKUlT_T0_E_clISt17integral_constantIbLb1EES16_IbLb0EEEEDaS12_S13_EUlS12_E_NS1_11comp_targetILNS1_3genE8ELNS1_11target_archE1030ELNS1_3gpuE2ELNS1_3repE0EEENS1_30default_config_static_selectorELNS0_4arch9wavefront6targetE1EEEvT1_.kd
    .uniform_work_group_size: 1
    .uses_dynamic_stack: false
    .vgpr_count:     0
    .vgpr_spill_count: 0
    .wavefront_size: 64
  - .agpr_count:     0
    .args:
      - .offset:         0
        .size:           128
        .value_kind:     by_value
    .group_segment_fixed_size: 0
    .kernarg_segment_align: 8
    .kernarg_segment_size: 128
    .language:       OpenCL C
    .language_version:
      - 2
      - 0
    .max_flat_workgroup_size: 256
    .name:           _ZN7rocprim17ROCPRIM_400000_NS6detail17trampoline_kernelINS0_14default_configENS1_25partition_config_selectorILNS1_17partition_subalgoE8EaNS0_10empty_typeEbEEZZNS1_14partition_implILS5_8ELb0ES3_jPKaPS6_PKS6_NS0_5tupleIJPaS6_EEENSE_IJSB_SB_EEENS0_18inequality_wrapperIN6hipcub16HIPCUB_304000_NS8EqualityEEEPlJS6_EEE10hipError_tPvRmT3_T4_T5_T6_T7_T9_mT8_P12ihipStream_tbDpT10_ENKUlT_T0_E_clISt17integral_constantIbLb0EES16_IbLb1EEEEDaS12_S13_EUlS12_E_NS1_11comp_targetILNS1_3genE0ELNS1_11target_archE4294967295ELNS1_3gpuE0ELNS1_3repE0EEENS1_30default_config_static_selectorELNS0_4arch9wavefront6targetE1EEEvT1_
    .private_segment_fixed_size: 0
    .sgpr_count:     4
    .sgpr_spill_count: 0
    .symbol:         _ZN7rocprim17ROCPRIM_400000_NS6detail17trampoline_kernelINS0_14default_configENS1_25partition_config_selectorILNS1_17partition_subalgoE8EaNS0_10empty_typeEbEEZZNS1_14partition_implILS5_8ELb0ES3_jPKaPS6_PKS6_NS0_5tupleIJPaS6_EEENSE_IJSB_SB_EEENS0_18inequality_wrapperIN6hipcub16HIPCUB_304000_NS8EqualityEEEPlJS6_EEE10hipError_tPvRmT3_T4_T5_T6_T7_T9_mT8_P12ihipStream_tbDpT10_ENKUlT_T0_E_clISt17integral_constantIbLb0EES16_IbLb1EEEEDaS12_S13_EUlS12_E_NS1_11comp_targetILNS1_3genE0ELNS1_11target_archE4294967295ELNS1_3gpuE0ELNS1_3repE0EEENS1_30default_config_static_selectorELNS0_4arch9wavefront6targetE1EEEvT1_.kd
    .uniform_work_group_size: 1
    .uses_dynamic_stack: false
    .vgpr_count:     0
    .vgpr_spill_count: 0
    .wavefront_size: 64
  - .agpr_count:     0
    .args:
      - .offset:         0
        .size:           128
        .value_kind:     by_value
    .group_segment_fixed_size: 0
    .kernarg_segment_align: 8
    .kernarg_segment_size: 128
    .language:       OpenCL C
    .language_version:
      - 2
      - 0
    .max_flat_workgroup_size: 512
    .name:           _ZN7rocprim17ROCPRIM_400000_NS6detail17trampoline_kernelINS0_14default_configENS1_25partition_config_selectorILNS1_17partition_subalgoE8EaNS0_10empty_typeEbEEZZNS1_14partition_implILS5_8ELb0ES3_jPKaPS6_PKS6_NS0_5tupleIJPaS6_EEENSE_IJSB_SB_EEENS0_18inequality_wrapperIN6hipcub16HIPCUB_304000_NS8EqualityEEEPlJS6_EEE10hipError_tPvRmT3_T4_T5_T6_T7_T9_mT8_P12ihipStream_tbDpT10_ENKUlT_T0_E_clISt17integral_constantIbLb0EES16_IbLb1EEEEDaS12_S13_EUlS12_E_NS1_11comp_targetILNS1_3genE5ELNS1_11target_archE942ELNS1_3gpuE9ELNS1_3repE0EEENS1_30default_config_static_selectorELNS0_4arch9wavefront6targetE1EEEvT1_
    .private_segment_fixed_size: 0
    .sgpr_count:     4
    .sgpr_spill_count: 0
    .symbol:         _ZN7rocprim17ROCPRIM_400000_NS6detail17trampoline_kernelINS0_14default_configENS1_25partition_config_selectorILNS1_17partition_subalgoE8EaNS0_10empty_typeEbEEZZNS1_14partition_implILS5_8ELb0ES3_jPKaPS6_PKS6_NS0_5tupleIJPaS6_EEENSE_IJSB_SB_EEENS0_18inequality_wrapperIN6hipcub16HIPCUB_304000_NS8EqualityEEEPlJS6_EEE10hipError_tPvRmT3_T4_T5_T6_T7_T9_mT8_P12ihipStream_tbDpT10_ENKUlT_T0_E_clISt17integral_constantIbLb0EES16_IbLb1EEEEDaS12_S13_EUlS12_E_NS1_11comp_targetILNS1_3genE5ELNS1_11target_archE942ELNS1_3gpuE9ELNS1_3repE0EEENS1_30default_config_static_selectorELNS0_4arch9wavefront6targetE1EEEvT1_.kd
    .uniform_work_group_size: 1
    .uses_dynamic_stack: false
    .vgpr_count:     0
    .vgpr_spill_count: 0
    .wavefront_size: 64
  - .agpr_count:     0
    .args:
      - .offset:         0
        .size:           128
        .value_kind:     by_value
    .group_segment_fixed_size: 4232
    .kernarg_segment_align: 8
    .kernarg_segment_size: 128
    .language:       OpenCL C
    .language_version:
      - 2
      - 0
    .max_flat_workgroup_size: 128
    .name:           _ZN7rocprim17ROCPRIM_400000_NS6detail17trampoline_kernelINS0_14default_configENS1_25partition_config_selectorILNS1_17partition_subalgoE8EaNS0_10empty_typeEbEEZZNS1_14partition_implILS5_8ELb0ES3_jPKaPS6_PKS6_NS0_5tupleIJPaS6_EEENSE_IJSB_SB_EEENS0_18inequality_wrapperIN6hipcub16HIPCUB_304000_NS8EqualityEEEPlJS6_EEE10hipError_tPvRmT3_T4_T5_T6_T7_T9_mT8_P12ihipStream_tbDpT10_ENKUlT_T0_E_clISt17integral_constantIbLb0EES16_IbLb1EEEEDaS12_S13_EUlS12_E_NS1_11comp_targetILNS1_3genE4ELNS1_11target_archE910ELNS1_3gpuE8ELNS1_3repE0EEENS1_30default_config_static_selectorELNS0_4arch9wavefront6targetE1EEEvT1_
    .private_segment_fixed_size: 0
    .sgpr_count:     64
    .sgpr_spill_count: 0
    .symbol:         _ZN7rocprim17ROCPRIM_400000_NS6detail17trampoline_kernelINS0_14default_configENS1_25partition_config_selectorILNS1_17partition_subalgoE8EaNS0_10empty_typeEbEEZZNS1_14partition_implILS5_8ELb0ES3_jPKaPS6_PKS6_NS0_5tupleIJPaS6_EEENSE_IJSB_SB_EEENS0_18inequality_wrapperIN6hipcub16HIPCUB_304000_NS8EqualityEEEPlJS6_EEE10hipError_tPvRmT3_T4_T5_T6_T7_T9_mT8_P12ihipStream_tbDpT10_ENKUlT_T0_E_clISt17integral_constantIbLb0EES16_IbLb1EEEEDaS12_S13_EUlS12_E_NS1_11comp_targetILNS1_3genE4ELNS1_11target_archE910ELNS1_3gpuE8ELNS1_3repE0EEENS1_30default_config_static_selectorELNS0_4arch9wavefront6targetE1EEEvT1_.kd
    .uniform_work_group_size: 1
    .uses_dynamic_stack: false
    .vgpr_count:     124
    .vgpr_spill_count: 0
    .wavefront_size: 64
  - .agpr_count:     0
    .args:
      - .offset:         0
        .size:           128
        .value_kind:     by_value
    .group_segment_fixed_size: 0
    .kernarg_segment_align: 8
    .kernarg_segment_size: 128
    .language:       OpenCL C
    .language_version:
      - 2
      - 0
    .max_flat_workgroup_size: 256
    .name:           _ZN7rocprim17ROCPRIM_400000_NS6detail17trampoline_kernelINS0_14default_configENS1_25partition_config_selectorILNS1_17partition_subalgoE8EaNS0_10empty_typeEbEEZZNS1_14partition_implILS5_8ELb0ES3_jPKaPS6_PKS6_NS0_5tupleIJPaS6_EEENSE_IJSB_SB_EEENS0_18inequality_wrapperIN6hipcub16HIPCUB_304000_NS8EqualityEEEPlJS6_EEE10hipError_tPvRmT3_T4_T5_T6_T7_T9_mT8_P12ihipStream_tbDpT10_ENKUlT_T0_E_clISt17integral_constantIbLb0EES16_IbLb1EEEEDaS12_S13_EUlS12_E_NS1_11comp_targetILNS1_3genE3ELNS1_11target_archE908ELNS1_3gpuE7ELNS1_3repE0EEENS1_30default_config_static_selectorELNS0_4arch9wavefront6targetE1EEEvT1_
    .private_segment_fixed_size: 0
    .sgpr_count:     4
    .sgpr_spill_count: 0
    .symbol:         _ZN7rocprim17ROCPRIM_400000_NS6detail17trampoline_kernelINS0_14default_configENS1_25partition_config_selectorILNS1_17partition_subalgoE8EaNS0_10empty_typeEbEEZZNS1_14partition_implILS5_8ELb0ES3_jPKaPS6_PKS6_NS0_5tupleIJPaS6_EEENSE_IJSB_SB_EEENS0_18inequality_wrapperIN6hipcub16HIPCUB_304000_NS8EqualityEEEPlJS6_EEE10hipError_tPvRmT3_T4_T5_T6_T7_T9_mT8_P12ihipStream_tbDpT10_ENKUlT_T0_E_clISt17integral_constantIbLb0EES16_IbLb1EEEEDaS12_S13_EUlS12_E_NS1_11comp_targetILNS1_3genE3ELNS1_11target_archE908ELNS1_3gpuE7ELNS1_3repE0EEENS1_30default_config_static_selectorELNS0_4arch9wavefront6targetE1EEEvT1_.kd
    .uniform_work_group_size: 1
    .uses_dynamic_stack: false
    .vgpr_count:     0
    .vgpr_spill_count: 0
    .wavefront_size: 64
  - .agpr_count:     0
    .args:
      - .offset:         0
        .size:           128
        .value_kind:     by_value
    .group_segment_fixed_size: 0
    .kernarg_segment_align: 8
    .kernarg_segment_size: 128
    .language:       OpenCL C
    .language_version:
      - 2
      - 0
    .max_flat_workgroup_size: 192
    .name:           _ZN7rocprim17ROCPRIM_400000_NS6detail17trampoline_kernelINS0_14default_configENS1_25partition_config_selectorILNS1_17partition_subalgoE8EaNS0_10empty_typeEbEEZZNS1_14partition_implILS5_8ELb0ES3_jPKaPS6_PKS6_NS0_5tupleIJPaS6_EEENSE_IJSB_SB_EEENS0_18inequality_wrapperIN6hipcub16HIPCUB_304000_NS8EqualityEEEPlJS6_EEE10hipError_tPvRmT3_T4_T5_T6_T7_T9_mT8_P12ihipStream_tbDpT10_ENKUlT_T0_E_clISt17integral_constantIbLb0EES16_IbLb1EEEEDaS12_S13_EUlS12_E_NS1_11comp_targetILNS1_3genE2ELNS1_11target_archE906ELNS1_3gpuE6ELNS1_3repE0EEENS1_30default_config_static_selectorELNS0_4arch9wavefront6targetE1EEEvT1_
    .private_segment_fixed_size: 0
    .sgpr_count:     4
    .sgpr_spill_count: 0
    .symbol:         _ZN7rocprim17ROCPRIM_400000_NS6detail17trampoline_kernelINS0_14default_configENS1_25partition_config_selectorILNS1_17partition_subalgoE8EaNS0_10empty_typeEbEEZZNS1_14partition_implILS5_8ELb0ES3_jPKaPS6_PKS6_NS0_5tupleIJPaS6_EEENSE_IJSB_SB_EEENS0_18inequality_wrapperIN6hipcub16HIPCUB_304000_NS8EqualityEEEPlJS6_EEE10hipError_tPvRmT3_T4_T5_T6_T7_T9_mT8_P12ihipStream_tbDpT10_ENKUlT_T0_E_clISt17integral_constantIbLb0EES16_IbLb1EEEEDaS12_S13_EUlS12_E_NS1_11comp_targetILNS1_3genE2ELNS1_11target_archE906ELNS1_3gpuE6ELNS1_3repE0EEENS1_30default_config_static_selectorELNS0_4arch9wavefront6targetE1EEEvT1_.kd
    .uniform_work_group_size: 1
    .uses_dynamic_stack: false
    .vgpr_count:     0
    .vgpr_spill_count: 0
    .wavefront_size: 64
  - .agpr_count:     0
    .args:
      - .offset:         0
        .size:           128
        .value_kind:     by_value
    .group_segment_fixed_size: 0
    .kernarg_segment_align: 8
    .kernarg_segment_size: 128
    .language:       OpenCL C
    .language_version:
      - 2
      - 0
    .max_flat_workgroup_size: 256
    .name:           _ZN7rocprim17ROCPRIM_400000_NS6detail17trampoline_kernelINS0_14default_configENS1_25partition_config_selectorILNS1_17partition_subalgoE8EaNS0_10empty_typeEbEEZZNS1_14partition_implILS5_8ELb0ES3_jPKaPS6_PKS6_NS0_5tupleIJPaS6_EEENSE_IJSB_SB_EEENS0_18inequality_wrapperIN6hipcub16HIPCUB_304000_NS8EqualityEEEPlJS6_EEE10hipError_tPvRmT3_T4_T5_T6_T7_T9_mT8_P12ihipStream_tbDpT10_ENKUlT_T0_E_clISt17integral_constantIbLb0EES16_IbLb1EEEEDaS12_S13_EUlS12_E_NS1_11comp_targetILNS1_3genE10ELNS1_11target_archE1200ELNS1_3gpuE4ELNS1_3repE0EEENS1_30default_config_static_selectorELNS0_4arch9wavefront6targetE1EEEvT1_
    .private_segment_fixed_size: 0
    .sgpr_count:     4
    .sgpr_spill_count: 0
    .symbol:         _ZN7rocprim17ROCPRIM_400000_NS6detail17trampoline_kernelINS0_14default_configENS1_25partition_config_selectorILNS1_17partition_subalgoE8EaNS0_10empty_typeEbEEZZNS1_14partition_implILS5_8ELb0ES3_jPKaPS6_PKS6_NS0_5tupleIJPaS6_EEENSE_IJSB_SB_EEENS0_18inequality_wrapperIN6hipcub16HIPCUB_304000_NS8EqualityEEEPlJS6_EEE10hipError_tPvRmT3_T4_T5_T6_T7_T9_mT8_P12ihipStream_tbDpT10_ENKUlT_T0_E_clISt17integral_constantIbLb0EES16_IbLb1EEEEDaS12_S13_EUlS12_E_NS1_11comp_targetILNS1_3genE10ELNS1_11target_archE1200ELNS1_3gpuE4ELNS1_3repE0EEENS1_30default_config_static_selectorELNS0_4arch9wavefront6targetE1EEEvT1_.kd
    .uniform_work_group_size: 1
    .uses_dynamic_stack: false
    .vgpr_count:     0
    .vgpr_spill_count: 0
    .wavefront_size: 64
  - .agpr_count:     0
    .args:
      - .offset:         0
        .size:           128
        .value_kind:     by_value
    .group_segment_fixed_size: 0
    .kernarg_segment_align: 8
    .kernarg_segment_size: 128
    .language:       OpenCL C
    .language_version:
      - 2
      - 0
    .max_flat_workgroup_size: 384
    .name:           _ZN7rocprim17ROCPRIM_400000_NS6detail17trampoline_kernelINS0_14default_configENS1_25partition_config_selectorILNS1_17partition_subalgoE8EaNS0_10empty_typeEbEEZZNS1_14partition_implILS5_8ELb0ES3_jPKaPS6_PKS6_NS0_5tupleIJPaS6_EEENSE_IJSB_SB_EEENS0_18inequality_wrapperIN6hipcub16HIPCUB_304000_NS8EqualityEEEPlJS6_EEE10hipError_tPvRmT3_T4_T5_T6_T7_T9_mT8_P12ihipStream_tbDpT10_ENKUlT_T0_E_clISt17integral_constantIbLb0EES16_IbLb1EEEEDaS12_S13_EUlS12_E_NS1_11comp_targetILNS1_3genE9ELNS1_11target_archE1100ELNS1_3gpuE3ELNS1_3repE0EEENS1_30default_config_static_selectorELNS0_4arch9wavefront6targetE1EEEvT1_
    .private_segment_fixed_size: 0
    .sgpr_count:     4
    .sgpr_spill_count: 0
    .symbol:         _ZN7rocprim17ROCPRIM_400000_NS6detail17trampoline_kernelINS0_14default_configENS1_25partition_config_selectorILNS1_17partition_subalgoE8EaNS0_10empty_typeEbEEZZNS1_14partition_implILS5_8ELb0ES3_jPKaPS6_PKS6_NS0_5tupleIJPaS6_EEENSE_IJSB_SB_EEENS0_18inequality_wrapperIN6hipcub16HIPCUB_304000_NS8EqualityEEEPlJS6_EEE10hipError_tPvRmT3_T4_T5_T6_T7_T9_mT8_P12ihipStream_tbDpT10_ENKUlT_T0_E_clISt17integral_constantIbLb0EES16_IbLb1EEEEDaS12_S13_EUlS12_E_NS1_11comp_targetILNS1_3genE9ELNS1_11target_archE1100ELNS1_3gpuE3ELNS1_3repE0EEENS1_30default_config_static_selectorELNS0_4arch9wavefront6targetE1EEEvT1_.kd
    .uniform_work_group_size: 1
    .uses_dynamic_stack: false
    .vgpr_count:     0
    .vgpr_spill_count: 0
    .wavefront_size: 64
  - .agpr_count:     0
    .args:
      - .offset:         0
        .size:           128
        .value_kind:     by_value
    .group_segment_fixed_size: 0
    .kernarg_segment_align: 8
    .kernarg_segment_size: 128
    .language:       OpenCL C
    .language_version:
      - 2
      - 0
    .max_flat_workgroup_size: 384
    .name:           _ZN7rocprim17ROCPRIM_400000_NS6detail17trampoline_kernelINS0_14default_configENS1_25partition_config_selectorILNS1_17partition_subalgoE8EaNS0_10empty_typeEbEEZZNS1_14partition_implILS5_8ELb0ES3_jPKaPS6_PKS6_NS0_5tupleIJPaS6_EEENSE_IJSB_SB_EEENS0_18inequality_wrapperIN6hipcub16HIPCUB_304000_NS8EqualityEEEPlJS6_EEE10hipError_tPvRmT3_T4_T5_T6_T7_T9_mT8_P12ihipStream_tbDpT10_ENKUlT_T0_E_clISt17integral_constantIbLb0EES16_IbLb1EEEEDaS12_S13_EUlS12_E_NS1_11comp_targetILNS1_3genE8ELNS1_11target_archE1030ELNS1_3gpuE2ELNS1_3repE0EEENS1_30default_config_static_selectorELNS0_4arch9wavefront6targetE1EEEvT1_
    .private_segment_fixed_size: 0
    .sgpr_count:     4
    .sgpr_spill_count: 0
    .symbol:         _ZN7rocprim17ROCPRIM_400000_NS6detail17trampoline_kernelINS0_14default_configENS1_25partition_config_selectorILNS1_17partition_subalgoE8EaNS0_10empty_typeEbEEZZNS1_14partition_implILS5_8ELb0ES3_jPKaPS6_PKS6_NS0_5tupleIJPaS6_EEENSE_IJSB_SB_EEENS0_18inequality_wrapperIN6hipcub16HIPCUB_304000_NS8EqualityEEEPlJS6_EEE10hipError_tPvRmT3_T4_T5_T6_T7_T9_mT8_P12ihipStream_tbDpT10_ENKUlT_T0_E_clISt17integral_constantIbLb0EES16_IbLb1EEEEDaS12_S13_EUlS12_E_NS1_11comp_targetILNS1_3genE8ELNS1_11target_archE1030ELNS1_3gpuE2ELNS1_3repE0EEENS1_30default_config_static_selectorELNS0_4arch9wavefront6targetE1EEEvT1_.kd
    .uniform_work_group_size: 1
    .uses_dynamic_stack: false
    .vgpr_count:     0
    .vgpr_spill_count: 0
    .wavefront_size: 64
  - .agpr_count:     0
    .args:
      - .offset:         0
        .size:           128
        .value_kind:     by_value
    .group_segment_fixed_size: 0
    .kernarg_segment_align: 8
    .kernarg_segment_size: 128
    .language:       OpenCL C
    .language_version:
      - 2
      - 0
    .max_flat_workgroup_size: 256
    .name:           _ZN7rocprim17ROCPRIM_400000_NS6detail17trampoline_kernelINS0_14default_configENS1_33run_length_encode_config_selectorIajNS0_4plusIjEEEEZZNS1_33reduce_by_key_impl_wrapped_configILNS1_25lookback_scan_determinismE0ES3_S7_PKaNS0_17constant_iteratorIjlEEPaPlSF_S6_NS0_8equal_toIaEEEE10hipError_tPvRmT2_T3_mT4_T5_T6_T7_T8_P12ihipStream_tbENKUlT_T0_E_clISt17integral_constantIbLb0EESZ_EEDaSU_SV_EUlSU_E_NS1_11comp_targetILNS1_3genE0ELNS1_11target_archE4294967295ELNS1_3gpuE0ELNS1_3repE0EEENS1_30default_config_static_selectorELNS0_4arch9wavefront6targetE1EEEvT1_
    .private_segment_fixed_size: 0
    .sgpr_count:     4
    .sgpr_spill_count: 0
    .symbol:         _ZN7rocprim17ROCPRIM_400000_NS6detail17trampoline_kernelINS0_14default_configENS1_33run_length_encode_config_selectorIajNS0_4plusIjEEEEZZNS1_33reduce_by_key_impl_wrapped_configILNS1_25lookback_scan_determinismE0ES3_S7_PKaNS0_17constant_iteratorIjlEEPaPlSF_S6_NS0_8equal_toIaEEEE10hipError_tPvRmT2_T3_mT4_T5_T6_T7_T8_P12ihipStream_tbENKUlT_T0_E_clISt17integral_constantIbLb0EESZ_EEDaSU_SV_EUlSU_E_NS1_11comp_targetILNS1_3genE0ELNS1_11target_archE4294967295ELNS1_3gpuE0ELNS1_3repE0EEENS1_30default_config_static_selectorELNS0_4arch9wavefront6targetE1EEEvT1_.kd
    .uniform_work_group_size: 1
    .uses_dynamic_stack: false
    .vgpr_count:     0
    .vgpr_spill_count: 0
    .wavefront_size: 64
  - .agpr_count:     0
    .args:
      - .offset:         0
        .size:           128
        .value_kind:     by_value
    .group_segment_fixed_size: 0
    .kernarg_segment_align: 8
    .kernarg_segment_size: 128
    .language:       OpenCL C
    .language_version:
      - 2
      - 0
    .max_flat_workgroup_size: 512
    .name:           _ZN7rocprim17ROCPRIM_400000_NS6detail17trampoline_kernelINS0_14default_configENS1_33run_length_encode_config_selectorIajNS0_4plusIjEEEEZZNS1_33reduce_by_key_impl_wrapped_configILNS1_25lookback_scan_determinismE0ES3_S7_PKaNS0_17constant_iteratorIjlEEPaPlSF_S6_NS0_8equal_toIaEEEE10hipError_tPvRmT2_T3_mT4_T5_T6_T7_T8_P12ihipStream_tbENKUlT_T0_E_clISt17integral_constantIbLb0EESZ_EEDaSU_SV_EUlSU_E_NS1_11comp_targetILNS1_3genE5ELNS1_11target_archE942ELNS1_3gpuE9ELNS1_3repE0EEENS1_30default_config_static_selectorELNS0_4arch9wavefront6targetE1EEEvT1_
    .private_segment_fixed_size: 0
    .sgpr_count:     4
    .sgpr_spill_count: 0
    .symbol:         _ZN7rocprim17ROCPRIM_400000_NS6detail17trampoline_kernelINS0_14default_configENS1_33run_length_encode_config_selectorIajNS0_4plusIjEEEEZZNS1_33reduce_by_key_impl_wrapped_configILNS1_25lookback_scan_determinismE0ES3_S7_PKaNS0_17constant_iteratorIjlEEPaPlSF_S6_NS0_8equal_toIaEEEE10hipError_tPvRmT2_T3_mT4_T5_T6_T7_T8_P12ihipStream_tbENKUlT_T0_E_clISt17integral_constantIbLb0EESZ_EEDaSU_SV_EUlSU_E_NS1_11comp_targetILNS1_3genE5ELNS1_11target_archE942ELNS1_3gpuE9ELNS1_3repE0EEENS1_30default_config_static_selectorELNS0_4arch9wavefront6targetE1EEEvT1_.kd
    .uniform_work_group_size: 1
    .uses_dynamic_stack: false
    .vgpr_count:     0
    .vgpr_spill_count: 0
    .wavefront_size: 64
  - .agpr_count:     0
    .args:
      - .offset:         0
        .size:           128
        .value_kind:     by_value
    .group_segment_fixed_size: 15360
    .kernarg_segment_align: 8
    .kernarg_segment_size: 128
    .language:       OpenCL C
    .language_version:
      - 2
      - 0
    .max_flat_workgroup_size: 256
    .name:           _ZN7rocprim17ROCPRIM_400000_NS6detail17trampoline_kernelINS0_14default_configENS1_33run_length_encode_config_selectorIajNS0_4plusIjEEEEZZNS1_33reduce_by_key_impl_wrapped_configILNS1_25lookback_scan_determinismE0ES3_S7_PKaNS0_17constant_iteratorIjlEEPaPlSF_S6_NS0_8equal_toIaEEEE10hipError_tPvRmT2_T3_mT4_T5_T6_T7_T8_P12ihipStream_tbENKUlT_T0_E_clISt17integral_constantIbLb0EESZ_EEDaSU_SV_EUlSU_E_NS1_11comp_targetILNS1_3genE4ELNS1_11target_archE910ELNS1_3gpuE8ELNS1_3repE0EEENS1_30default_config_static_selectorELNS0_4arch9wavefront6targetE1EEEvT1_
    .private_segment_fixed_size: 0
    .sgpr_count:     68
    .sgpr_spill_count: 0
    .symbol:         _ZN7rocprim17ROCPRIM_400000_NS6detail17trampoline_kernelINS0_14default_configENS1_33run_length_encode_config_selectorIajNS0_4plusIjEEEEZZNS1_33reduce_by_key_impl_wrapped_configILNS1_25lookback_scan_determinismE0ES3_S7_PKaNS0_17constant_iteratorIjlEEPaPlSF_S6_NS0_8equal_toIaEEEE10hipError_tPvRmT2_T3_mT4_T5_T6_T7_T8_P12ihipStream_tbENKUlT_T0_E_clISt17integral_constantIbLb0EESZ_EEDaSU_SV_EUlSU_E_NS1_11comp_targetILNS1_3genE4ELNS1_11target_archE910ELNS1_3gpuE8ELNS1_3repE0EEENS1_30default_config_static_selectorELNS0_4arch9wavefront6targetE1EEEvT1_.kd
    .uniform_work_group_size: 1
    .uses_dynamic_stack: false
    .vgpr_count:     115
    .vgpr_spill_count: 0
    .wavefront_size: 64
  - .agpr_count:     0
    .args:
      - .offset:         0
        .size:           128
        .value_kind:     by_value
    .group_segment_fixed_size: 0
    .kernarg_segment_align: 8
    .kernarg_segment_size: 128
    .language:       OpenCL C
    .language_version:
      - 2
      - 0
    .max_flat_workgroup_size: 256
    .name:           _ZN7rocprim17ROCPRIM_400000_NS6detail17trampoline_kernelINS0_14default_configENS1_33run_length_encode_config_selectorIajNS0_4plusIjEEEEZZNS1_33reduce_by_key_impl_wrapped_configILNS1_25lookback_scan_determinismE0ES3_S7_PKaNS0_17constant_iteratorIjlEEPaPlSF_S6_NS0_8equal_toIaEEEE10hipError_tPvRmT2_T3_mT4_T5_T6_T7_T8_P12ihipStream_tbENKUlT_T0_E_clISt17integral_constantIbLb0EESZ_EEDaSU_SV_EUlSU_E_NS1_11comp_targetILNS1_3genE3ELNS1_11target_archE908ELNS1_3gpuE7ELNS1_3repE0EEENS1_30default_config_static_selectorELNS0_4arch9wavefront6targetE1EEEvT1_
    .private_segment_fixed_size: 0
    .sgpr_count:     4
    .sgpr_spill_count: 0
    .symbol:         _ZN7rocprim17ROCPRIM_400000_NS6detail17trampoline_kernelINS0_14default_configENS1_33run_length_encode_config_selectorIajNS0_4plusIjEEEEZZNS1_33reduce_by_key_impl_wrapped_configILNS1_25lookback_scan_determinismE0ES3_S7_PKaNS0_17constant_iteratorIjlEEPaPlSF_S6_NS0_8equal_toIaEEEE10hipError_tPvRmT2_T3_mT4_T5_T6_T7_T8_P12ihipStream_tbENKUlT_T0_E_clISt17integral_constantIbLb0EESZ_EEDaSU_SV_EUlSU_E_NS1_11comp_targetILNS1_3genE3ELNS1_11target_archE908ELNS1_3gpuE7ELNS1_3repE0EEENS1_30default_config_static_selectorELNS0_4arch9wavefront6targetE1EEEvT1_.kd
    .uniform_work_group_size: 1
    .uses_dynamic_stack: false
    .vgpr_count:     0
    .vgpr_spill_count: 0
    .wavefront_size: 64
  - .agpr_count:     0
    .args:
      - .offset:         0
        .size:           128
        .value_kind:     by_value
    .group_segment_fixed_size: 0
    .kernarg_segment_align: 8
    .kernarg_segment_size: 128
    .language:       OpenCL C
    .language_version:
      - 2
      - 0
    .max_flat_workgroup_size: 256
    .name:           _ZN7rocprim17ROCPRIM_400000_NS6detail17trampoline_kernelINS0_14default_configENS1_33run_length_encode_config_selectorIajNS0_4plusIjEEEEZZNS1_33reduce_by_key_impl_wrapped_configILNS1_25lookback_scan_determinismE0ES3_S7_PKaNS0_17constant_iteratorIjlEEPaPlSF_S6_NS0_8equal_toIaEEEE10hipError_tPvRmT2_T3_mT4_T5_T6_T7_T8_P12ihipStream_tbENKUlT_T0_E_clISt17integral_constantIbLb0EESZ_EEDaSU_SV_EUlSU_E_NS1_11comp_targetILNS1_3genE2ELNS1_11target_archE906ELNS1_3gpuE6ELNS1_3repE0EEENS1_30default_config_static_selectorELNS0_4arch9wavefront6targetE1EEEvT1_
    .private_segment_fixed_size: 0
    .sgpr_count:     4
    .sgpr_spill_count: 0
    .symbol:         _ZN7rocprim17ROCPRIM_400000_NS6detail17trampoline_kernelINS0_14default_configENS1_33run_length_encode_config_selectorIajNS0_4plusIjEEEEZZNS1_33reduce_by_key_impl_wrapped_configILNS1_25lookback_scan_determinismE0ES3_S7_PKaNS0_17constant_iteratorIjlEEPaPlSF_S6_NS0_8equal_toIaEEEE10hipError_tPvRmT2_T3_mT4_T5_T6_T7_T8_P12ihipStream_tbENKUlT_T0_E_clISt17integral_constantIbLb0EESZ_EEDaSU_SV_EUlSU_E_NS1_11comp_targetILNS1_3genE2ELNS1_11target_archE906ELNS1_3gpuE6ELNS1_3repE0EEENS1_30default_config_static_selectorELNS0_4arch9wavefront6targetE1EEEvT1_.kd
    .uniform_work_group_size: 1
    .uses_dynamic_stack: false
    .vgpr_count:     0
    .vgpr_spill_count: 0
    .wavefront_size: 64
  - .agpr_count:     0
    .args:
      - .offset:         0
        .size:           128
        .value_kind:     by_value
    .group_segment_fixed_size: 0
    .kernarg_segment_align: 8
    .kernarg_segment_size: 128
    .language:       OpenCL C
    .language_version:
      - 2
      - 0
    .max_flat_workgroup_size: 384
    .name:           _ZN7rocprim17ROCPRIM_400000_NS6detail17trampoline_kernelINS0_14default_configENS1_33run_length_encode_config_selectorIajNS0_4plusIjEEEEZZNS1_33reduce_by_key_impl_wrapped_configILNS1_25lookback_scan_determinismE0ES3_S7_PKaNS0_17constant_iteratorIjlEEPaPlSF_S6_NS0_8equal_toIaEEEE10hipError_tPvRmT2_T3_mT4_T5_T6_T7_T8_P12ihipStream_tbENKUlT_T0_E_clISt17integral_constantIbLb0EESZ_EEDaSU_SV_EUlSU_E_NS1_11comp_targetILNS1_3genE10ELNS1_11target_archE1201ELNS1_3gpuE5ELNS1_3repE0EEENS1_30default_config_static_selectorELNS0_4arch9wavefront6targetE1EEEvT1_
    .private_segment_fixed_size: 0
    .sgpr_count:     4
    .sgpr_spill_count: 0
    .symbol:         _ZN7rocprim17ROCPRIM_400000_NS6detail17trampoline_kernelINS0_14default_configENS1_33run_length_encode_config_selectorIajNS0_4plusIjEEEEZZNS1_33reduce_by_key_impl_wrapped_configILNS1_25lookback_scan_determinismE0ES3_S7_PKaNS0_17constant_iteratorIjlEEPaPlSF_S6_NS0_8equal_toIaEEEE10hipError_tPvRmT2_T3_mT4_T5_T6_T7_T8_P12ihipStream_tbENKUlT_T0_E_clISt17integral_constantIbLb0EESZ_EEDaSU_SV_EUlSU_E_NS1_11comp_targetILNS1_3genE10ELNS1_11target_archE1201ELNS1_3gpuE5ELNS1_3repE0EEENS1_30default_config_static_selectorELNS0_4arch9wavefront6targetE1EEEvT1_.kd
    .uniform_work_group_size: 1
    .uses_dynamic_stack: false
    .vgpr_count:     0
    .vgpr_spill_count: 0
    .wavefront_size: 64
  - .agpr_count:     0
    .args:
      - .offset:         0
        .size:           128
        .value_kind:     by_value
    .group_segment_fixed_size: 0
    .kernarg_segment_align: 8
    .kernarg_segment_size: 128
    .language:       OpenCL C
    .language_version:
      - 2
      - 0
    .max_flat_workgroup_size: 384
    .name:           _ZN7rocprim17ROCPRIM_400000_NS6detail17trampoline_kernelINS0_14default_configENS1_33run_length_encode_config_selectorIajNS0_4plusIjEEEEZZNS1_33reduce_by_key_impl_wrapped_configILNS1_25lookback_scan_determinismE0ES3_S7_PKaNS0_17constant_iteratorIjlEEPaPlSF_S6_NS0_8equal_toIaEEEE10hipError_tPvRmT2_T3_mT4_T5_T6_T7_T8_P12ihipStream_tbENKUlT_T0_E_clISt17integral_constantIbLb0EESZ_EEDaSU_SV_EUlSU_E_NS1_11comp_targetILNS1_3genE10ELNS1_11target_archE1200ELNS1_3gpuE4ELNS1_3repE0EEENS1_30default_config_static_selectorELNS0_4arch9wavefront6targetE1EEEvT1_
    .private_segment_fixed_size: 0
    .sgpr_count:     4
    .sgpr_spill_count: 0
    .symbol:         _ZN7rocprim17ROCPRIM_400000_NS6detail17trampoline_kernelINS0_14default_configENS1_33run_length_encode_config_selectorIajNS0_4plusIjEEEEZZNS1_33reduce_by_key_impl_wrapped_configILNS1_25lookback_scan_determinismE0ES3_S7_PKaNS0_17constant_iteratorIjlEEPaPlSF_S6_NS0_8equal_toIaEEEE10hipError_tPvRmT2_T3_mT4_T5_T6_T7_T8_P12ihipStream_tbENKUlT_T0_E_clISt17integral_constantIbLb0EESZ_EEDaSU_SV_EUlSU_E_NS1_11comp_targetILNS1_3genE10ELNS1_11target_archE1200ELNS1_3gpuE4ELNS1_3repE0EEENS1_30default_config_static_selectorELNS0_4arch9wavefront6targetE1EEEvT1_.kd
    .uniform_work_group_size: 1
    .uses_dynamic_stack: false
    .vgpr_count:     0
    .vgpr_spill_count: 0
    .wavefront_size: 64
  - .agpr_count:     0
    .args:
      - .offset:         0
        .size:           128
        .value_kind:     by_value
    .group_segment_fixed_size: 0
    .kernarg_segment_align: 8
    .kernarg_segment_size: 128
    .language:       OpenCL C
    .language_version:
      - 2
      - 0
    .max_flat_workgroup_size: 384
    .name:           _ZN7rocprim17ROCPRIM_400000_NS6detail17trampoline_kernelINS0_14default_configENS1_33run_length_encode_config_selectorIajNS0_4plusIjEEEEZZNS1_33reduce_by_key_impl_wrapped_configILNS1_25lookback_scan_determinismE0ES3_S7_PKaNS0_17constant_iteratorIjlEEPaPlSF_S6_NS0_8equal_toIaEEEE10hipError_tPvRmT2_T3_mT4_T5_T6_T7_T8_P12ihipStream_tbENKUlT_T0_E_clISt17integral_constantIbLb0EESZ_EEDaSU_SV_EUlSU_E_NS1_11comp_targetILNS1_3genE9ELNS1_11target_archE1100ELNS1_3gpuE3ELNS1_3repE0EEENS1_30default_config_static_selectorELNS0_4arch9wavefront6targetE1EEEvT1_
    .private_segment_fixed_size: 0
    .sgpr_count:     4
    .sgpr_spill_count: 0
    .symbol:         _ZN7rocprim17ROCPRIM_400000_NS6detail17trampoline_kernelINS0_14default_configENS1_33run_length_encode_config_selectorIajNS0_4plusIjEEEEZZNS1_33reduce_by_key_impl_wrapped_configILNS1_25lookback_scan_determinismE0ES3_S7_PKaNS0_17constant_iteratorIjlEEPaPlSF_S6_NS0_8equal_toIaEEEE10hipError_tPvRmT2_T3_mT4_T5_T6_T7_T8_P12ihipStream_tbENKUlT_T0_E_clISt17integral_constantIbLb0EESZ_EEDaSU_SV_EUlSU_E_NS1_11comp_targetILNS1_3genE9ELNS1_11target_archE1100ELNS1_3gpuE3ELNS1_3repE0EEENS1_30default_config_static_selectorELNS0_4arch9wavefront6targetE1EEEvT1_.kd
    .uniform_work_group_size: 1
    .uses_dynamic_stack: false
    .vgpr_count:     0
    .vgpr_spill_count: 0
    .wavefront_size: 64
  - .agpr_count:     0
    .args:
      - .offset:         0
        .size:           128
        .value_kind:     by_value
    .group_segment_fixed_size: 0
    .kernarg_segment_align: 8
    .kernarg_segment_size: 128
    .language:       OpenCL C
    .language_version:
      - 2
      - 0
    .max_flat_workgroup_size: 384
    .name:           _ZN7rocprim17ROCPRIM_400000_NS6detail17trampoline_kernelINS0_14default_configENS1_33run_length_encode_config_selectorIajNS0_4plusIjEEEEZZNS1_33reduce_by_key_impl_wrapped_configILNS1_25lookback_scan_determinismE0ES3_S7_PKaNS0_17constant_iteratorIjlEEPaPlSF_S6_NS0_8equal_toIaEEEE10hipError_tPvRmT2_T3_mT4_T5_T6_T7_T8_P12ihipStream_tbENKUlT_T0_E_clISt17integral_constantIbLb0EESZ_EEDaSU_SV_EUlSU_E_NS1_11comp_targetILNS1_3genE8ELNS1_11target_archE1030ELNS1_3gpuE2ELNS1_3repE0EEENS1_30default_config_static_selectorELNS0_4arch9wavefront6targetE1EEEvT1_
    .private_segment_fixed_size: 0
    .sgpr_count:     4
    .sgpr_spill_count: 0
    .symbol:         _ZN7rocprim17ROCPRIM_400000_NS6detail17trampoline_kernelINS0_14default_configENS1_33run_length_encode_config_selectorIajNS0_4plusIjEEEEZZNS1_33reduce_by_key_impl_wrapped_configILNS1_25lookback_scan_determinismE0ES3_S7_PKaNS0_17constant_iteratorIjlEEPaPlSF_S6_NS0_8equal_toIaEEEE10hipError_tPvRmT2_T3_mT4_T5_T6_T7_T8_P12ihipStream_tbENKUlT_T0_E_clISt17integral_constantIbLb0EESZ_EEDaSU_SV_EUlSU_E_NS1_11comp_targetILNS1_3genE8ELNS1_11target_archE1030ELNS1_3gpuE2ELNS1_3repE0EEENS1_30default_config_static_selectorELNS0_4arch9wavefront6targetE1EEEvT1_.kd
    .uniform_work_group_size: 1
    .uses_dynamic_stack: false
    .vgpr_count:     0
    .vgpr_spill_count: 0
    .wavefront_size: 64
  - .agpr_count:     0
    .args:
      - .offset:         0
        .size:           128
        .value_kind:     by_value
    .group_segment_fixed_size: 0
    .kernarg_segment_align: 8
    .kernarg_segment_size: 128
    .language:       OpenCL C
    .language_version:
      - 2
      - 0
    .max_flat_workgroup_size: 256
    .name:           _ZN7rocprim17ROCPRIM_400000_NS6detail17trampoline_kernelINS0_14default_configENS1_33run_length_encode_config_selectorIajNS0_4plusIjEEEEZZNS1_33reduce_by_key_impl_wrapped_configILNS1_25lookback_scan_determinismE0ES3_S7_PKaNS0_17constant_iteratorIjlEEPaPlSF_S6_NS0_8equal_toIaEEEE10hipError_tPvRmT2_T3_mT4_T5_T6_T7_T8_P12ihipStream_tbENKUlT_T0_E_clISt17integral_constantIbLb1EESZ_EEDaSU_SV_EUlSU_E_NS1_11comp_targetILNS1_3genE0ELNS1_11target_archE4294967295ELNS1_3gpuE0ELNS1_3repE0EEENS1_30default_config_static_selectorELNS0_4arch9wavefront6targetE1EEEvT1_
    .private_segment_fixed_size: 0
    .sgpr_count:     4
    .sgpr_spill_count: 0
    .symbol:         _ZN7rocprim17ROCPRIM_400000_NS6detail17trampoline_kernelINS0_14default_configENS1_33run_length_encode_config_selectorIajNS0_4plusIjEEEEZZNS1_33reduce_by_key_impl_wrapped_configILNS1_25lookback_scan_determinismE0ES3_S7_PKaNS0_17constant_iteratorIjlEEPaPlSF_S6_NS0_8equal_toIaEEEE10hipError_tPvRmT2_T3_mT4_T5_T6_T7_T8_P12ihipStream_tbENKUlT_T0_E_clISt17integral_constantIbLb1EESZ_EEDaSU_SV_EUlSU_E_NS1_11comp_targetILNS1_3genE0ELNS1_11target_archE4294967295ELNS1_3gpuE0ELNS1_3repE0EEENS1_30default_config_static_selectorELNS0_4arch9wavefront6targetE1EEEvT1_.kd
    .uniform_work_group_size: 1
    .uses_dynamic_stack: false
    .vgpr_count:     0
    .vgpr_spill_count: 0
    .wavefront_size: 64
  - .agpr_count:     0
    .args:
      - .offset:         0
        .size:           128
        .value_kind:     by_value
    .group_segment_fixed_size: 0
    .kernarg_segment_align: 8
    .kernarg_segment_size: 128
    .language:       OpenCL C
    .language_version:
      - 2
      - 0
    .max_flat_workgroup_size: 512
    .name:           _ZN7rocprim17ROCPRIM_400000_NS6detail17trampoline_kernelINS0_14default_configENS1_33run_length_encode_config_selectorIajNS0_4plusIjEEEEZZNS1_33reduce_by_key_impl_wrapped_configILNS1_25lookback_scan_determinismE0ES3_S7_PKaNS0_17constant_iteratorIjlEEPaPlSF_S6_NS0_8equal_toIaEEEE10hipError_tPvRmT2_T3_mT4_T5_T6_T7_T8_P12ihipStream_tbENKUlT_T0_E_clISt17integral_constantIbLb1EESZ_EEDaSU_SV_EUlSU_E_NS1_11comp_targetILNS1_3genE5ELNS1_11target_archE942ELNS1_3gpuE9ELNS1_3repE0EEENS1_30default_config_static_selectorELNS0_4arch9wavefront6targetE1EEEvT1_
    .private_segment_fixed_size: 0
    .sgpr_count:     4
    .sgpr_spill_count: 0
    .symbol:         _ZN7rocprim17ROCPRIM_400000_NS6detail17trampoline_kernelINS0_14default_configENS1_33run_length_encode_config_selectorIajNS0_4plusIjEEEEZZNS1_33reduce_by_key_impl_wrapped_configILNS1_25lookback_scan_determinismE0ES3_S7_PKaNS0_17constant_iteratorIjlEEPaPlSF_S6_NS0_8equal_toIaEEEE10hipError_tPvRmT2_T3_mT4_T5_T6_T7_T8_P12ihipStream_tbENKUlT_T0_E_clISt17integral_constantIbLb1EESZ_EEDaSU_SV_EUlSU_E_NS1_11comp_targetILNS1_3genE5ELNS1_11target_archE942ELNS1_3gpuE9ELNS1_3repE0EEENS1_30default_config_static_selectorELNS0_4arch9wavefront6targetE1EEEvT1_.kd
    .uniform_work_group_size: 1
    .uses_dynamic_stack: false
    .vgpr_count:     0
    .vgpr_spill_count: 0
    .wavefront_size: 64
  - .agpr_count:     0
    .args:
      - .offset:         0
        .size:           128
        .value_kind:     by_value
    .group_segment_fixed_size: 15360
    .kernarg_segment_align: 8
    .kernarg_segment_size: 128
    .language:       OpenCL C
    .language_version:
      - 2
      - 0
    .max_flat_workgroup_size: 256
    .name:           _ZN7rocprim17ROCPRIM_400000_NS6detail17trampoline_kernelINS0_14default_configENS1_33run_length_encode_config_selectorIajNS0_4plusIjEEEEZZNS1_33reduce_by_key_impl_wrapped_configILNS1_25lookback_scan_determinismE0ES3_S7_PKaNS0_17constant_iteratorIjlEEPaPlSF_S6_NS0_8equal_toIaEEEE10hipError_tPvRmT2_T3_mT4_T5_T6_T7_T8_P12ihipStream_tbENKUlT_T0_E_clISt17integral_constantIbLb1EESZ_EEDaSU_SV_EUlSU_E_NS1_11comp_targetILNS1_3genE4ELNS1_11target_archE910ELNS1_3gpuE8ELNS1_3repE0EEENS1_30default_config_static_selectorELNS0_4arch9wavefront6targetE1EEEvT1_
    .private_segment_fixed_size: 0
    .sgpr_count:     70
    .sgpr_spill_count: 0
    .symbol:         _ZN7rocprim17ROCPRIM_400000_NS6detail17trampoline_kernelINS0_14default_configENS1_33run_length_encode_config_selectorIajNS0_4plusIjEEEEZZNS1_33reduce_by_key_impl_wrapped_configILNS1_25lookback_scan_determinismE0ES3_S7_PKaNS0_17constant_iteratorIjlEEPaPlSF_S6_NS0_8equal_toIaEEEE10hipError_tPvRmT2_T3_mT4_T5_T6_T7_T8_P12ihipStream_tbENKUlT_T0_E_clISt17integral_constantIbLb1EESZ_EEDaSU_SV_EUlSU_E_NS1_11comp_targetILNS1_3genE4ELNS1_11target_archE910ELNS1_3gpuE8ELNS1_3repE0EEENS1_30default_config_static_selectorELNS0_4arch9wavefront6targetE1EEEvT1_.kd
    .uniform_work_group_size: 1
    .uses_dynamic_stack: false
    .vgpr_count:     115
    .vgpr_spill_count: 0
    .wavefront_size: 64
  - .agpr_count:     0
    .args:
      - .offset:         0
        .size:           128
        .value_kind:     by_value
    .group_segment_fixed_size: 0
    .kernarg_segment_align: 8
    .kernarg_segment_size: 128
    .language:       OpenCL C
    .language_version:
      - 2
      - 0
    .max_flat_workgroup_size: 256
    .name:           _ZN7rocprim17ROCPRIM_400000_NS6detail17trampoline_kernelINS0_14default_configENS1_33run_length_encode_config_selectorIajNS0_4plusIjEEEEZZNS1_33reduce_by_key_impl_wrapped_configILNS1_25lookback_scan_determinismE0ES3_S7_PKaNS0_17constant_iteratorIjlEEPaPlSF_S6_NS0_8equal_toIaEEEE10hipError_tPvRmT2_T3_mT4_T5_T6_T7_T8_P12ihipStream_tbENKUlT_T0_E_clISt17integral_constantIbLb1EESZ_EEDaSU_SV_EUlSU_E_NS1_11comp_targetILNS1_3genE3ELNS1_11target_archE908ELNS1_3gpuE7ELNS1_3repE0EEENS1_30default_config_static_selectorELNS0_4arch9wavefront6targetE1EEEvT1_
    .private_segment_fixed_size: 0
    .sgpr_count:     4
    .sgpr_spill_count: 0
    .symbol:         _ZN7rocprim17ROCPRIM_400000_NS6detail17trampoline_kernelINS0_14default_configENS1_33run_length_encode_config_selectorIajNS0_4plusIjEEEEZZNS1_33reduce_by_key_impl_wrapped_configILNS1_25lookback_scan_determinismE0ES3_S7_PKaNS0_17constant_iteratorIjlEEPaPlSF_S6_NS0_8equal_toIaEEEE10hipError_tPvRmT2_T3_mT4_T5_T6_T7_T8_P12ihipStream_tbENKUlT_T0_E_clISt17integral_constantIbLb1EESZ_EEDaSU_SV_EUlSU_E_NS1_11comp_targetILNS1_3genE3ELNS1_11target_archE908ELNS1_3gpuE7ELNS1_3repE0EEENS1_30default_config_static_selectorELNS0_4arch9wavefront6targetE1EEEvT1_.kd
    .uniform_work_group_size: 1
    .uses_dynamic_stack: false
    .vgpr_count:     0
    .vgpr_spill_count: 0
    .wavefront_size: 64
  - .agpr_count:     0
    .args:
      - .offset:         0
        .size:           128
        .value_kind:     by_value
    .group_segment_fixed_size: 0
    .kernarg_segment_align: 8
    .kernarg_segment_size: 128
    .language:       OpenCL C
    .language_version:
      - 2
      - 0
    .max_flat_workgroup_size: 256
    .name:           _ZN7rocprim17ROCPRIM_400000_NS6detail17trampoline_kernelINS0_14default_configENS1_33run_length_encode_config_selectorIajNS0_4plusIjEEEEZZNS1_33reduce_by_key_impl_wrapped_configILNS1_25lookback_scan_determinismE0ES3_S7_PKaNS0_17constant_iteratorIjlEEPaPlSF_S6_NS0_8equal_toIaEEEE10hipError_tPvRmT2_T3_mT4_T5_T6_T7_T8_P12ihipStream_tbENKUlT_T0_E_clISt17integral_constantIbLb1EESZ_EEDaSU_SV_EUlSU_E_NS1_11comp_targetILNS1_3genE2ELNS1_11target_archE906ELNS1_3gpuE6ELNS1_3repE0EEENS1_30default_config_static_selectorELNS0_4arch9wavefront6targetE1EEEvT1_
    .private_segment_fixed_size: 0
    .sgpr_count:     4
    .sgpr_spill_count: 0
    .symbol:         _ZN7rocprim17ROCPRIM_400000_NS6detail17trampoline_kernelINS0_14default_configENS1_33run_length_encode_config_selectorIajNS0_4plusIjEEEEZZNS1_33reduce_by_key_impl_wrapped_configILNS1_25lookback_scan_determinismE0ES3_S7_PKaNS0_17constant_iteratorIjlEEPaPlSF_S6_NS0_8equal_toIaEEEE10hipError_tPvRmT2_T3_mT4_T5_T6_T7_T8_P12ihipStream_tbENKUlT_T0_E_clISt17integral_constantIbLb1EESZ_EEDaSU_SV_EUlSU_E_NS1_11comp_targetILNS1_3genE2ELNS1_11target_archE906ELNS1_3gpuE6ELNS1_3repE0EEENS1_30default_config_static_selectorELNS0_4arch9wavefront6targetE1EEEvT1_.kd
    .uniform_work_group_size: 1
    .uses_dynamic_stack: false
    .vgpr_count:     0
    .vgpr_spill_count: 0
    .wavefront_size: 64
  - .agpr_count:     0
    .args:
      - .offset:         0
        .size:           128
        .value_kind:     by_value
    .group_segment_fixed_size: 0
    .kernarg_segment_align: 8
    .kernarg_segment_size: 128
    .language:       OpenCL C
    .language_version:
      - 2
      - 0
    .max_flat_workgroup_size: 384
    .name:           _ZN7rocprim17ROCPRIM_400000_NS6detail17trampoline_kernelINS0_14default_configENS1_33run_length_encode_config_selectorIajNS0_4plusIjEEEEZZNS1_33reduce_by_key_impl_wrapped_configILNS1_25lookback_scan_determinismE0ES3_S7_PKaNS0_17constant_iteratorIjlEEPaPlSF_S6_NS0_8equal_toIaEEEE10hipError_tPvRmT2_T3_mT4_T5_T6_T7_T8_P12ihipStream_tbENKUlT_T0_E_clISt17integral_constantIbLb1EESZ_EEDaSU_SV_EUlSU_E_NS1_11comp_targetILNS1_3genE10ELNS1_11target_archE1201ELNS1_3gpuE5ELNS1_3repE0EEENS1_30default_config_static_selectorELNS0_4arch9wavefront6targetE1EEEvT1_
    .private_segment_fixed_size: 0
    .sgpr_count:     4
    .sgpr_spill_count: 0
    .symbol:         _ZN7rocprim17ROCPRIM_400000_NS6detail17trampoline_kernelINS0_14default_configENS1_33run_length_encode_config_selectorIajNS0_4plusIjEEEEZZNS1_33reduce_by_key_impl_wrapped_configILNS1_25lookback_scan_determinismE0ES3_S7_PKaNS0_17constant_iteratorIjlEEPaPlSF_S6_NS0_8equal_toIaEEEE10hipError_tPvRmT2_T3_mT4_T5_T6_T7_T8_P12ihipStream_tbENKUlT_T0_E_clISt17integral_constantIbLb1EESZ_EEDaSU_SV_EUlSU_E_NS1_11comp_targetILNS1_3genE10ELNS1_11target_archE1201ELNS1_3gpuE5ELNS1_3repE0EEENS1_30default_config_static_selectorELNS0_4arch9wavefront6targetE1EEEvT1_.kd
    .uniform_work_group_size: 1
    .uses_dynamic_stack: false
    .vgpr_count:     0
    .vgpr_spill_count: 0
    .wavefront_size: 64
  - .agpr_count:     0
    .args:
      - .offset:         0
        .size:           128
        .value_kind:     by_value
    .group_segment_fixed_size: 0
    .kernarg_segment_align: 8
    .kernarg_segment_size: 128
    .language:       OpenCL C
    .language_version:
      - 2
      - 0
    .max_flat_workgroup_size: 384
    .name:           _ZN7rocprim17ROCPRIM_400000_NS6detail17trampoline_kernelINS0_14default_configENS1_33run_length_encode_config_selectorIajNS0_4plusIjEEEEZZNS1_33reduce_by_key_impl_wrapped_configILNS1_25lookback_scan_determinismE0ES3_S7_PKaNS0_17constant_iteratorIjlEEPaPlSF_S6_NS0_8equal_toIaEEEE10hipError_tPvRmT2_T3_mT4_T5_T6_T7_T8_P12ihipStream_tbENKUlT_T0_E_clISt17integral_constantIbLb1EESZ_EEDaSU_SV_EUlSU_E_NS1_11comp_targetILNS1_3genE10ELNS1_11target_archE1200ELNS1_3gpuE4ELNS1_3repE0EEENS1_30default_config_static_selectorELNS0_4arch9wavefront6targetE1EEEvT1_
    .private_segment_fixed_size: 0
    .sgpr_count:     4
    .sgpr_spill_count: 0
    .symbol:         _ZN7rocprim17ROCPRIM_400000_NS6detail17trampoline_kernelINS0_14default_configENS1_33run_length_encode_config_selectorIajNS0_4plusIjEEEEZZNS1_33reduce_by_key_impl_wrapped_configILNS1_25lookback_scan_determinismE0ES3_S7_PKaNS0_17constant_iteratorIjlEEPaPlSF_S6_NS0_8equal_toIaEEEE10hipError_tPvRmT2_T3_mT4_T5_T6_T7_T8_P12ihipStream_tbENKUlT_T0_E_clISt17integral_constantIbLb1EESZ_EEDaSU_SV_EUlSU_E_NS1_11comp_targetILNS1_3genE10ELNS1_11target_archE1200ELNS1_3gpuE4ELNS1_3repE0EEENS1_30default_config_static_selectorELNS0_4arch9wavefront6targetE1EEEvT1_.kd
    .uniform_work_group_size: 1
    .uses_dynamic_stack: false
    .vgpr_count:     0
    .vgpr_spill_count: 0
    .wavefront_size: 64
  - .agpr_count:     0
    .args:
      - .offset:         0
        .size:           128
        .value_kind:     by_value
    .group_segment_fixed_size: 0
    .kernarg_segment_align: 8
    .kernarg_segment_size: 128
    .language:       OpenCL C
    .language_version:
      - 2
      - 0
    .max_flat_workgroup_size: 384
    .name:           _ZN7rocprim17ROCPRIM_400000_NS6detail17trampoline_kernelINS0_14default_configENS1_33run_length_encode_config_selectorIajNS0_4plusIjEEEEZZNS1_33reduce_by_key_impl_wrapped_configILNS1_25lookback_scan_determinismE0ES3_S7_PKaNS0_17constant_iteratorIjlEEPaPlSF_S6_NS0_8equal_toIaEEEE10hipError_tPvRmT2_T3_mT4_T5_T6_T7_T8_P12ihipStream_tbENKUlT_T0_E_clISt17integral_constantIbLb1EESZ_EEDaSU_SV_EUlSU_E_NS1_11comp_targetILNS1_3genE9ELNS1_11target_archE1100ELNS1_3gpuE3ELNS1_3repE0EEENS1_30default_config_static_selectorELNS0_4arch9wavefront6targetE1EEEvT1_
    .private_segment_fixed_size: 0
    .sgpr_count:     4
    .sgpr_spill_count: 0
    .symbol:         _ZN7rocprim17ROCPRIM_400000_NS6detail17trampoline_kernelINS0_14default_configENS1_33run_length_encode_config_selectorIajNS0_4plusIjEEEEZZNS1_33reduce_by_key_impl_wrapped_configILNS1_25lookback_scan_determinismE0ES3_S7_PKaNS0_17constant_iteratorIjlEEPaPlSF_S6_NS0_8equal_toIaEEEE10hipError_tPvRmT2_T3_mT4_T5_T6_T7_T8_P12ihipStream_tbENKUlT_T0_E_clISt17integral_constantIbLb1EESZ_EEDaSU_SV_EUlSU_E_NS1_11comp_targetILNS1_3genE9ELNS1_11target_archE1100ELNS1_3gpuE3ELNS1_3repE0EEENS1_30default_config_static_selectorELNS0_4arch9wavefront6targetE1EEEvT1_.kd
    .uniform_work_group_size: 1
    .uses_dynamic_stack: false
    .vgpr_count:     0
    .vgpr_spill_count: 0
    .wavefront_size: 64
  - .agpr_count:     0
    .args:
      - .offset:         0
        .size:           128
        .value_kind:     by_value
    .group_segment_fixed_size: 0
    .kernarg_segment_align: 8
    .kernarg_segment_size: 128
    .language:       OpenCL C
    .language_version:
      - 2
      - 0
    .max_flat_workgroup_size: 384
    .name:           _ZN7rocprim17ROCPRIM_400000_NS6detail17trampoline_kernelINS0_14default_configENS1_33run_length_encode_config_selectorIajNS0_4plusIjEEEEZZNS1_33reduce_by_key_impl_wrapped_configILNS1_25lookback_scan_determinismE0ES3_S7_PKaNS0_17constant_iteratorIjlEEPaPlSF_S6_NS0_8equal_toIaEEEE10hipError_tPvRmT2_T3_mT4_T5_T6_T7_T8_P12ihipStream_tbENKUlT_T0_E_clISt17integral_constantIbLb1EESZ_EEDaSU_SV_EUlSU_E_NS1_11comp_targetILNS1_3genE8ELNS1_11target_archE1030ELNS1_3gpuE2ELNS1_3repE0EEENS1_30default_config_static_selectorELNS0_4arch9wavefront6targetE1EEEvT1_
    .private_segment_fixed_size: 0
    .sgpr_count:     4
    .sgpr_spill_count: 0
    .symbol:         _ZN7rocprim17ROCPRIM_400000_NS6detail17trampoline_kernelINS0_14default_configENS1_33run_length_encode_config_selectorIajNS0_4plusIjEEEEZZNS1_33reduce_by_key_impl_wrapped_configILNS1_25lookback_scan_determinismE0ES3_S7_PKaNS0_17constant_iteratorIjlEEPaPlSF_S6_NS0_8equal_toIaEEEE10hipError_tPvRmT2_T3_mT4_T5_T6_T7_T8_P12ihipStream_tbENKUlT_T0_E_clISt17integral_constantIbLb1EESZ_EEDaSU_SV_EUlSU_E_NS1_11comp_targetILNS1_3genE8ELNS1_11target_archE1030ELNS1_3gpuE2ELNS1_3repE0EEENS1_30default_config_static_selectorELNS0_4arch9wavefront6targetE1EEEvT1_.kd
    .uniform_work_group_size: 1
    .uses_dynamic_stack: false
    .vgpr_count:     0
    .vgpr_spill_count: 0
    .wavefront_size: 64
  - .agpr_count:     0
    .args:
      - .offset:         0
        .size:           128
        .value_kind:     by_value
    .group_segment_fixed_size: 0
    .kernarg_segment_align: 8
    .kernarg_segment_size: 128
    .language:       OpenCL C
    .language_version:
      - 2
      - 0
    .max_flat_workgroup_size: 256
    .name:           _ZN7rocprim17ROCPRIM_400000_NS6detail17trampoline_kernelINS0_14default_configENS1_33run_length_encode_config_selectorIajNS0_4plusIjEEEEZZNS1_33reduce_by_key_impl_wrapped_configILNS1_25lookback_scan_determinismE0ES3_S7_PKaNS0_17constant_iteratorIjlEEPaPlSF_S6_NS0_8equal_toIaEEEE10hipError_tPvRmT2_T3_mT4_T5_T6_T7_T8_P12ihipStream_tbENKUlT_T0_E_clISt17integral_constantIbLb1EESY_IbLb0EEEEDaSU_SV_EUlSU_E_NS1_11comp_targetILNS1_3genE0ELNS1_11target_archE4294967295ELNS1_3gpuE0ELNS1_3repE0EEENS1_30default_config_static_selectorELNS0_4arch9wavefront6targetE1EEEvT1_
    .private_segment_fixed_size: 0
    .sgpr_count:     4
    .sgpr_spill_count: 0
    .symbol:         _ZN7rocprim17ROCPRIM_400000_NS6detail17trampoline_kernelINS0_14default_configENS1_33run_length_encode_config_selectorIajNS0_4plusIjEEEEZZNS1_33reduce_by_key_impl_wrapped_configILNS1_25lookback_scan_determinismE0ES3_S7_PKaNS0_17constant_iteratorIjlEEPaPlSF_S6_NS0_8equal_toIaEEEE10hipError_tPvRmT2_T3_mT4_T5_T6_T7_T8_P12ihipStream_tbENKUlT_T0_E_clISt17integral_constantIbLb1EESY_IbLb0EEEEDaSU_SV_EUlSU_E_NS1_11comp_targetILNS1_3genE0ELNS1_11target_archE4294967295ELNS1_3gpuE0ELNS1_3repE0EEENS1_30default_config_static_selectorELNS0_4arch9wavefront6targetE1EEEvT1_.kd
    .uniform_work_group_size: 1
    .uses_dynamic_stack: false
    .vgpr_count:     0
    .vgpr_spill_count: 0
    .wavefront_size: 64
  - .agpr_count:     0
    .args:
      - .offset:         0
        .size:           128
        .value_kind:     by_value
    .group_segment_fixed_size: 0
    .kernarg_segment_align: 8
    .kernarg_segment_size: 128
    .language:       OpenCL C
    .language_version:
      - 2
      - 0
    .max_flat_workgroup_size: 512
    .name:           _ZN7rocprim17ROCPRIM_400000_NS6detail17trampoline_kernelINS0_14default_configENS1_33run_length_encode_config_selectorIajNS0_4plusIjEEEEZZNS1_33reduce_by_key_impl_wrapped_configILNS1_25lookback_scan_determinismE0ES3_S7_PKaNS0_17constant_iteratorIjlEEPaPlSF_S6_NS0_8equal_toIaEEEE10hipError_tPvRmT2_T3_mT4_T5_T6_T7_T8_P12ihipStream_tbENKUlT_T0_E_clISt17integral_constantIbLb1EESY_IbLb0EEEEDaSU_SV_EUlSU_E_NS1_11comp_targetILNS1_3genE5ELNS1_11target_archE942ELNS1_3gpuE9ELNS1_3repE0EEENS1_30default_config_static_selectorELNS0_4arch9wavefront6targetE1EEEvT1_
    .private_segment_fixed_size: 0
    .sgpr_count:     4
    .sgpr_spill_count: 0
    .symbol:         _ZN7rocprim17ROCPRIM_400000_NS6detail17trampoline_kernelINS0_14default_configENS1_33run_length_encode_config_selectorIajNS0_4plusIjEEEEZZNS1_33reduce_by_key_impl_wrapped_configILNS1_25lookback_scan_determinismE0ES3_S7_PKaNS0_17constant_iteratorIjlEEPaPlSF_S6_NS0_8equal_toIaEEEE10hipError_tPvRmT2_T3_mT4_T5_T6_T7_T8_P12ihipStream_tbENKUlT_T0_E_clISt17integral_constantIbLb1EESY_IbLb0EEEEDaSU_SV_EUlSU_E_NS1_11comp_targetILNS1_3genE5ELNS1_11target_archE942ELNS1_3gpuE9ELNS1_3repE0EEENS1_30default_config_static_selectorELNS0_4arch9wavefront6targetE1EEEvT1_.kd
    .uniform_work_group_size: 1
    .uses_dynamic_stack: false
    .vgpr_count:     0
    .vgpr_spill_count: 0
    .wavefront_size: 64
  - .agpr_count:     0
    .args:
      - .offset:         0
        .size:           128
        .value_kind:     by_value
    .group_segment_fixed_size: 15360
    .kernarg_segment_align: 8
    .kernarg_segment_size: 128
    .language:       OpenCL C
    .language_version:
      - 2
      - 0
    .max_flat_workgroup_size: 256
    .name:           _ZN7rocprim17ROCPRIM_400000_NS6detail17trampoline_kernelINS0_14default_configENS1_33run_length_encode_config_selectorIajNS0_4plusIjEEEEZZNS1_33reduce_by_key_impl_wrapped_configILNS1_25lookback_scan_determinismE0ES3_S7_PKaNS0_17constant_iteratorIjlEEPaPlSF_S6_NS0_8equal_toIaEEEE10hipError_tPvRmT2_T3_mT4_T5_T6_T7_T8_P12ihipStream_tbENKUlT_T0_E_clISt17integral_constantIbLb1EESY_IbLb0EEEEDaSU_SV_EUlSU_E_NS1_11comp_targetILNS1_3genE4ELNS1_11target_archE910ELNS1_3gpuE8ELNS1_3repE0EEENS1_30default_config_static_selectorELNS0_4arch9wavefront6targetE1EEEvT1_
    .private_segment_fixed_size: 0
    .sgpr_count:     68
    .sgpr_spill_count: 0
    .symbol:         _ZN7rocprim17ROCPRIM_400000_NS6detail17trampoline_kernelINS0_14default_configENS1_33run_length_encode_config_selectorIajNS0_4plusIjEEEEZZNS1_33reduce_by_key_impl_wrapped_configILNS1_25lookback_scan_determinismE0ES3_S7_PKaNS0_17constant_iteratorIjlEEPaPlSF_S6_NS0_8equal_toIaEEEE10hipError_tPvRmT2_T3_mT4_T5_T6_T7_T8_P12ihipStream_tbENKUlT_T0_E_clISt17integral_constantIbLb1EESY_IbLb0EEEEDaSU_SV_EUlSU_E_NS1_11comp_targetILNS1_3genE4ELNS1_11target_archE910ELNS1_3gpuE8ELNS1_3repE0EEENS1_30default_config_static_selectorELNS0_4arch9wavefront6targetE1EEEvT1_.kd
    .uniform_work_group_size: 1
    .uses_dynamic_stack: false
    .vgpr_count:     115
    .vgpr_spill_count: 0
    .wavefront_size: 64
  - .agpr_count:     0
    .args:
      - .offset:         0
        .size:           128
        .value_kind:     by_value
    .group_segment_fixed_size: 0
    .kernarg_segment_align: 8
    .kernarg_segment_size: 128
    .language:       OpenCL C
    .language_version:
      - 2
      - 0
    .max_flat_workgroup_size: 256
    .name:           _ZN7rocprim17ROCPRIM_400000_NS6detail17trampoline_kernelINS0_14default_configENS1_33run_length_encode_config_selectorIajNS0_4plusIjEEEEZZNS1_33reduce_by_key_impl_wrapped_configILNS1_25lookback_scan_determinismE0ES3_S7_PKaNS0_17constant_iteratorIjlEEPaPlSF_S6_NS0_8equal_toIaEEEE10hipError_tPvRmT2_T3_mT4_T5_T6_T7_T8_P12ihipStream_tbENKUlT_T0_E_clISt17integral_constantIbLb1EESY_IbLb0EEEEDaSU_SV_EUlSU_E_NS1_11comp_targetILNS1_3genE3ELNS1_11target_archE908ELNS1_3gpuE7ELNS1_3repE0EEENS1_30default_config_static_selectorELNS0_4arch9wavefront6targetE1EEEvT1_
    .private_segment_fixed_size: 0
    .sgpr_count:     4
    .sgpr_spill_count: 0
    .symbol:         _ZN7rocprim17ROCPRIM_400000_NS6detail17trampoline_kernelINS0_14default_configENS1_33run_length_encode_config_selectorIajNS0_4plusIjEEEEZZNS1_33reduce_by_key_impl_wrapped_configILNS1_25lookback_scan_determinismE0ES3_S7_PKaNS0_17constant_iteratorIjlEEPaPlSF_S6_NS0_8equal_toIaEEEE10hipError_tPvRmT2_T3_mT4_T5_T6_T7_T8_P12ihipStream_tbENKUlT_T0_E_clISt17integral_constantIbLb1EESY_IbLb0EEEEDaSU_SV_EUlSU_E_NS1_11comp_targetILNS1_3genE3ELNS1_11target_archE908ELNS1_3gpuE7ELNS1_3repE0EEENS1_30default_config_static_selectorELNS0_4arch9wavefront6targetE1EEEvT1_.kd
    .uniform_work_group_size: 1
    .uses_dynamic_stack: false
    .vgpr_count:     0
    .vgpr_spill_count: 0
    .wavefront_size: 64
  - .agpr_count:     0
    .args:
      - .offset:         0
        .size:           128
        .value_kind:     by_value
    .group_segment_fixed_size: 0
    .kernarg_segment_align: 8
    .kernarg_segment_size: 128
    .language:       OpenCL C
    .language_version:
      - 2
      - 0
    .max_flat_workgroup_size: 256
    .name:           _ZN7rocprim17ROCPRIM_400000_NS6detail17trampoline_kernelINS0_14default_configENS1_33run_length_encode_config_selectorIajNS0_4plusIjEEEEZZNS1_33reduce_by_key_impl_wrapped_configILNS1_25lookback_scan_determinismE0ES3_S7_PKaNS0_17constant_iteratorIjlEEPaPlSF_S6_NS0_8equal_toIaEEEE10hipError_tPvRmT2_T3_mT4_T5_T6_T7_T8_P12ihipStream_tbENKUlT_T0_E_clISt17integral_constantIbLb1EESY_IbLb0EEEEDaSU_SV_EUlSU_E_NS1_11comp_targetILNS1_3genE2ELNS1_11target_archE906ELNS1_3gpuE6ELNS1_3repE0EEENS1_30default_config_static_selectorELNS0_4arch9wavefront6targetE1EEEvT1_
    .private_segment_fixed_size: 0
    .sgpr_count:     4
    .sgpr_spill_count: 0
    .symbol:         _ZN7rocprim17ROCPRIM_400000_NS6detail17trampoline_kernelINS0_14default_configENS1_33run_length_encode_config_selectorIajNS0_4plusIjEEEEZZNS1_33reduce_by_key_impl_wrapped_configILNS1_25lookback_scan_determinismE0ES3_S7_PKaNS0_17constant_iteratorIjlEEPaPlSF_S6_NS0_8equal_toIaEEEE10hipError_tPvRmT2_T3_mT4_T5_T6_T7_T8_P12ihipStream_tbENKUlT_T0_E_clISt17integral_constantIbLb1EESY_IbLb0EEEEDaSU_SV_EUlSU_E_NS1_11comp_targetILNS1_3genE2ELNS1_11target_archE906ELNS1_3gpuE6ELNS1_3repE0EEENS1_30default_config_static_selectorELNS0_4arch9wavefront6targetE1EEEvT1_.kd
    .uniform_work_group_size: 1
    .uses_dynamic_stack: false
    .vgpr_count:     0
    .vgpr_spill_count: 0
    .wavefront_size: 64
  - .agpr_count:     0
    .args:
      - .offset:         0
        .size:           128
        .value_kind:     by_value
    .group_segment_fixed_size: 0
    .kernarg_segment_align: 8
    .kernarg_segment_size: 128
    .language:       OpenCL C
    .language_version:
      - 2
      - 0
    .max_flat_workgroup_size: 384
    .name:           _ZN7rocprim17ROCPRIM_400000_NS6detail17trampoline_kernelINS0_14default_configENS1_33run_length_encode_config_selectorIajNS0_4plusIjEEEEZZNS1_33reduce_by_key_impl_wrapped_configILNS1_25lookback_scan_determinismE0ES3_S7_PKaNS0_17constant_iteratorIjlEEPaPlSF_S6_NS0_8equal_toIaEEEE10hipError_tPvRmT2_T3_mT4_T5_T6_T7_T8_P12ihipStream_tbENKUlT_T0_E_clISt17integral_constantIbLb1EESY_IbLb0EEEEDaSU_SV_EUlSU_E_NS1_11comp_targetILNS1_3genE10ELNS1_11target_archE1201ELNS1_3gpuE5ELNS1_3repE0EEENS1_30default_config_static_selectorELNS0_4arch9wavefront6targetE1EEEvT1_
    .private_segment_fixed_size: 0
    .sgpr_count:     4
    .sgpr_spill_count: 0
    .symbol:         _ZN7rocprim17ROCPRIM_400000_NS6detail17trampoline_kernelINS0_14default_configENS1_33run_length_encode_config_selectorIajNS0_4plusIjEEEEZZNS1_33reduce_by_key_impl_wrapped_configILNS1_25lookback_scan_determinismE0ES3_S7_PKaNS0_17constant_iteratorIjlEEPaPlSF_S6_NS0_8equal_toIaEEEE10hipError_tPvRmT2_T3_mT4_T5_T6_T7_T8_P12ihipStream_tbENKUlT_T0_E_clISt17integral_constantIbLb1EESY_IbLb0EEEEDaSU_SV_EUlSU_E_NS1_11comp_targetILNS1_3genE10ELNS1_11target_archE1201ELNS1_3gpuE5ELNS1_3repE0EEENS1_30default_config_static_selectorELNS0_4arch9wavefront6targetE1EEEvT1_.kd
    .uniform_work_group_size: 1
    .uses_dynamic_stack: false
    .vgpr_count:     0
    .vgpr_spill_count: 0
    .wavefront_size: 64
  - .agpr_count:     0
    .args:
      - .offset:         0
        .size:           128
        .value_kind:     by_value
    .group_segment_fixed_size: 0
    .kernarg_segment_align: 8
    .kernarg_segment_size: 128
    .language:       OpenCL C
    .language_version:
      - 2
      - 0
    .max_flat_workgroup_size: 384
    .name:           _ZN7rocprim17ROCPRIM_400000_NS6detail17trampoline_kernelINS0_14default_configENS1_33run_length_encode_config_selectorIajNS0_4plusIjEEEEZZNS1_33reduce_by_key_impl_wrapped_configILNS1_25lookback_scan_determinismE0ES3_S7_PKaNS0_17constant_iteratorIjlEEPaPlSF_S6_NS0_8equal_toIaEEEE10hipError_tPvRmT2_T3_mT4_T5_T6_T7_T8_P12ihipStream_tbENKUlT_T0_E_clISt17integral_constantIbLb1EESY_IbLb0EEEEDaSU_SV_EUlSU_E_NS1_11comp_targetILNS1_3genE10ELNS1_11target_archE1200ELNS1_3gpuE4ELNS1_3repE0EEENS1_30default_config_static_selectorELNS0_4arch9wavefront6targetE1EEEvT1_
    .private_segment_fixed_size: 0
    .sgpr_count:     4
    .sgpr_spill_count: 0
    .symbol:         _ZN7rocprim17ROCPRIM_400000_NS6detail17trampoline_kernelINS0_14default_configENS1_33run_length_encode_config_selectorIajNS0_4plusIjEEEEZZNS1_33reduce_by_key_impl_wrapped_configILNS1_25lookback_scan_determinismE0ES3_S7_PKaNS0_17constant_iteratorIjlEEPaPlSF_S6_NS0_8equal_toIaEEEE10hipError_tPvRmT2_T3_mT4_T5_T6_T7_T8_P12ihipStream_tbENKUlT_T0_E_clISt17integral_constantIbLb1EESY_IbLb0EEEEDaSU_SV_EUlSU_E_NS1_11comp_targetILNS1_3genE10ELNS1_11target_archE1200ELNS1_3gpuE4ELNS1_3repE0EEENS1_30default_config_static_selectorELNS0_4arch9wavefront6targetE1EEEvT1_.kd
    .uniform_work_group_size: 1
    .uses_dynamic_stack: false
    .vgpr_count:     0
    .vgpr_spill_count: 0
    .wavefront_size: 64
  - .agpr_count:     0
    .args:
      - .offset:         0
        .size:           128
        .value_kind:     by_value
    .group_segment_fixed_size: 0
    .kernarg_segment_align: 8
    .kernarg_segment_size: 128
    .language:       OpenCL C
    .language_version:
      - 2
      - 0
    .max_flat_workgroup_size: 384
    .name:           _ZN7rocprim17ROCPRIM_400000_NS6detail17trampoline_kernelINS0_14default_configENS1_33run_length_encode_config_selectorIajNS0_4plusIjEEEEZZNS1_33reduce_by_key_impl_wrapped_configILNS1_25lookback_scan_determinismE0ES3_S7_PKaNS0_17constant_iteratorIjlEEPaPlSF_S6_NS0_8equal_toIaEEEE10hipError_tPvRmT2_T3_mT4_T5_T6_T7_T8_P12ihipStream_tbENKUlT_T0_E_clISt17integral_constantIbLb1EESY_IbLb0EEEEDaSU_SV_EUlSU_E_NS1_11comp_targetILNS1_3genE9ELNS1_11target_archE1100ELNS1_3gpuE3ELNS1_3repE0EEENS1_30default_config_static_selectorELNS0_4arch9wavefront6targetE1EEEvT1_
    .private_segment_fixed_size: 0
    .sgpr_count:     4
    .sgpr_spill_count: 0
    .symbol:         _ZN7rocprim17ROCPRIM_400000_NS6detail17trampoline_kernelINS0_14default_configENS1_33run_length_encode_config_selectorIajNS0_4plusIjEEEEZZNS1_33reduce_by_key_impl_wrapped_configILNS1_25lookback_scan_determinismE0ES3_S7_PKaNS0_17constant_iteratorIjlEEPaPlSF_S6_NS0_8equal_toIaEEEE10hipError_tPvRmT2_T3_mT4_T5_T6_T7_T8_P12ihipStream_tbENKUlT_T0_E_clISt17integral_constantIbLb1EESY_IbLb0EEEEDaSU_SV_EUlSU_E_NS1_11comp_targetILNS1_3genE9ELNS1_11target_archE1100ELNS1_3gpuE3ELNS1_3repE0EEENS1_30default_config_static_selectorELNS0_4arch9wavefront6targetE1EEEvT1_.kd
    .uniform_work_group_size: 1
    .uses_dynamic_stack: false
    .vgpr_count:     0
    .vgpr_spill_count: 0
    .wavefront_size: 64
  - .agpr_count:     0
    .args:
      - .offset:         0
        .size:           128
        .value_kind:     by_value
    .group_segment_fixed_size: 0
    .kernarg_segment_align: 8
    .kernarg_segment_size: 128
    .language:       OpenCL C
    .language_version:
      - 2
      - 0
    .max_flat_workgroup_size: 384
    .name:           _ZN7rocprim17ROCPRIM_400000_NS6detail17trampoline_kernelINS0_14default_configENS1_33run_length_encode_config_selectorIajNS0_4plusIjEEEEZZNS1_33reduce_by_key_impl_wrapped_configILNS1_25lookback_scan_determinismE0ES3_S7_PKaNS0_17constant_iteratorIjlEEPaPlSF_S6_NS0_8equal_toIaEEEE10hipError_tPvRmT2_T3_mT4_T5_T6_T7_T8_P12ihipStream_tbENKUlT_T0_E_clISt17integral_constantIbLb1EESY_IbLb0EEEEDaSU_SV_EUlSU_E_NS1_11comp_targetILNS1_3genE8ELNS1_11target_archE1030ELNS1_3gpuE2ELNS1_3repE0EEENS1_30default_config_static_selectorELNS0_4arch9wavefront6targetE1EEEvT1_
    .private_segment_fixed_size: 0
    .sgpr_count:     4
    .sgpr_spill_count: 0
    .symbol:         _ZN7rocprim17ROCPRIM_400000_NS6detail17trampoline_kernelINS0_14default_configENS1_33run_length_encode_config_selectorIajNS0_4plusIjEEEEZZNS1_33reduce_by_key_impl_wrapped_configILNS1_25lookback_scan_determinismE0ES3_S7_PKaNS0_17constant_iteratorIjlEEPaPlSF_S6_NS0_8equal_toIaEEEE10hipError_tPvRmT2_T3_mT4_T5_T6_T7_T8_P12ihipStream_tbENKUlT_T0_E_clISt17integral_constantIbLb1EESY_IbLb0EEEEDaSU_SV_EUlSU_E_NS1_11comp_targetILNS1_3genE8ELNS1_11target_archE1030ELNS1_3gpuE2ELNS1_3repE0EEENS1_30default_config_static_selectorELNS0_4arch9wavefront6targetE1EEEvT1_.kd
    .uniform_work_group_size: 1
    .uses_dynamic_stack: false
    .vgpr_count:     0
    .vgpr_spill_count: 0
    .wavefront_size: 64
  - .agpr_count:     0
    .args:
      - .offset:         0
        .size:           128
        .value_kind:     by_value
    .group_segment_fixed_size: 0
    .kernarg_segment_align: 8
    .kernarg_segment_size: 128
    .language:       OpenCL C
    .language_version:
      - 2
      - 0
    .max_flat_workgroup_size: 256
    .name:           _ZN7rocprim17ROCPRIM_400000_NS6detail17trampoline_kernelINS0_14default_configENS1_33run_length_encode_config_selectorIajNS0_4plusIjEEEEZZNS1_33reduce_by_key_impl_wrapped_configILNS1_25lookback_scan_determinismE0ES3_S7_PKaNS0_17constant_iteratorIjlEEPaPlSF_S6_NS0_8equal_toIaEEEE10hipError_tPvRmT2_T3_mT4_T5_T6_T7_T8_P12ihipStream_tbENKUlT_T0_E_clISt17integral_constantIbLb0EESY_IbLb1EEEEDaSU_SV_EUlSU_E_NS1_11comp_targetILNS1_3genE0ELNS1_11target_archE4294967295ELNS1_3gpuE0ELNS1_3repE0EEENS1_30default_config_static_selectorELNS0_4arch9wavefront6targetE1EEEvT1_
    .private_segment_fixed_size: 0
    .sgpr_count:     4
    .sgpr_spill_count: 0
    .symbol:         _ZN7rocprim17ROCPRIM_400000_NS6detail17trampoline_kernelINS0_14default_configENS1_33run_length_encode_config_selectorIajNS0_4plusIjEEEEZZNS1_33reduce_by_key_impl_wrapped_configILNS1_25lookback_scan_determinismE0ES3_S7_PKaNS0_17constant_iteratorIjlEEPaPlSF_S6_NS0_8equal_toIaEEEE10hipError_tPvRmT2_T3_mT4_T5_T6_T7_T8_P12ihipStream_tbENKUlT_T0_E_clISt17integral_constantIbLb0EESY_IbLb1EEEEDaSU_SV_EUlSU_E_NS1_11comp_targetILNS1_3genE0ELNS1_11target_archE4294967295ELNS1_3gpuE0ELNS1_3repE0EEENS1_30default_config_static_selectorELNS0_4arch9wavefront6targetE1EEEvT1_.kd
    .uniform_work_group_size: 1
    .uses_dynamic_stack: false
    .vgpr_count:     0
    .vgpr_spill_count: 0
    .wavefront_size: 64
  - .agpr_count:     0
    .args:
      - .offset:         0
        .size:           128
        .value_kind:     by_value
    .group_segment_fixed_size: 0
    .kernarg_segment_align: 8
    .kernarg_segment_size: 128
    .language:       OpenCL C
    .language_version:
      - 2
      - 0
    .max_flat_workgroup_size: 512
    .name:           _ZN7rocprim17ROCPRIM_400000_NS6detail17trampoline_kernelINS0_14default_configENS1_33run_length_encode_config_selectorIajNS0_4plusIjEEEEZZNS1_33reduce_by_key_impl_wrapped_configILNS1_25lookback_scan_determinismE0ES3_S7_PKaNS0_17constant_iteratorIjlEEPaPlSF_S6_NS0_8equal_toIaEEEE10hipError_tPvRmT2_T3_mT4_T5_T6_T7_T8_P12ihipStream_tbENKUlT_T0_E_clISt17integral_constantIbLb0EESY_IbLb1EEEEDaSU_SV_EUlSU_E_NS1_11comp_targetILNS1_3genE5ELNS1_11target_archE942ELNS1_3gpuE9ELNS1_3repE0EEENS1_30default_config_static_selectorELNS0_4arch9wavefront6targetE1EEEvT1_
    .private_segment_fixed_size: 0
    .sgpr_count:     4
    .sgpr_spill_count: 0
    .symbol:         _ZN7rocprim17ROCPRIM_400000_NS6detail17trampoline_kernelINS0_14default_configENS1_33run_length_encode_config_selectorIajNS0_4plusIjEEEEZZNS1_33reduce_by_key_impl_wrapped_configILNS1_25lookback_scan_determinismE0ES3_S7_PKaNS0_17constant_iteratorIjlEEPaPlSF_S6_NS0_8equal_toIaEEEE10hipError_tPvRmT2_T3_mT4_T5_T6_T7_T8_P12ihipStream_tbENKUlT_T0_E_clISt17integral_constantIbLb0EESY_IbLb1EEEEDaSU_SV_EUlSU_E_NS1_11comp_targetILNS1_3genE5ELNS1_11target_archE942ELNS1_3gpuE9ELNS1_3repE0EEENS1_30default_config_static_selectorELNS0_4arch9wavefront6targetE1EEEvT1_.kd
    .uniform_work_group_size: 1
    .uses_dynamic_stack: false
    .vgpr_count:     0
    .vgpr_spill_count: 0
    .wavefront_size: 64
  - .agpr_count:     0
    .args:
      - .offset:         0
        .size:           128
        .value_kind:     by_value
    .group_segment_fixed_size: 15360
    .kernarg_segment_align: 8
    .kernarg_segment_size: 128
    .language:       OpenCL C
    .language_version:
      - 2
      - 0
    .max_flat_workgroup_size: 256
    .name:           _ZN7rocprim17ROCPRIM_400000_NS6detail17trampoline_kernelINS0_14default_configENS1_33run_length_encode_config_selectorIajNS0_4plusIjEEEEZZNS1_33reduce_by_key_impl_wrapped_configILNS1_25lookback_scan_determinismE0ES3_S7_PKaNS0_17constant_iteratorIjlEEPaPlSF_S6_NS0_8equal_toIaEEEE10hipError_tPvRmT2_T3_mT4_T5_T6_T7_T8_P12ihipStream_tbENKUlT_T0_E_clISt17integral_constantIbLb0EESY_IbLb1EEEEDaSU_SV_EUlSU_E_NS1_11comp_targetILNS1_3genE4ELNS1_11target_archE910ELNS1_3gpuE8ELNS1_3repE0EEENS1_30default_config_static_selectorELNS0_4arch9wavefront6targetE1EEEvT1_
    .private_segment_fixed_size: 0
    .sgpr_count:     70
    .sgpr_spill_count: 0
    .symbol:         _ZN7rocprim17ROCPRIM_400000_NS6detail17trampoline_kernelINS0_14default_configENS1_33run_length_encode_config_selectorIajNS0_4plusIjEEEEZZNS1_33reduce_by_key_impl_wrapped_configILNS1_25lookback_scan_determinismE0ES3_S7_PKaNS0_17constant_iteratorIjlEEPaPlSF_S6_NS0_8equal_toIaEEEE10hipError_tPvRmT2_T3_mT4_T5_T6_T7_T8_P12ihipStream_tbENKUlT_T0_E_clISt17integral_constantIbLb0EESY_IbLb1EEEEDaSU_SV_EUlSU_E_NS1_11comp_targetILNS1_3genE4ELNS1_11target_archE910ELNS1_3gpuE8ELNS1_3repE0EEENS1_30default_config_static_selectorELNS0_4arch9wavefront6targetE1EEEvT1_.kd
    .uniform_work_group_size: 1
    .uses_dynamic_stack: false
    .vgpr_count:     115
    .vgpr_spill_count: 0
    .wavefront_size: 64
  - .agpr_count:     0
    .args:
      - .offset:         0
        .size:           128
        .value_kind:     by_value
    .group_segment_fixed_size: 0
    .kernarg_segment_align: 8
    .kernarg_segment_size: 128
    .language:       OpenCL C
    .language_version:
      - 2
      - 0
    .max_flat_workgroup_size: 256
    .name:           _ZN7rocprim17ROCPRIM_400000_NS6detail17trampoline_kernelINS0_14default_configENS1_33run_length_encode_config_selectorIajNS0_4plusIjEEEEZZNS1_33reduce_by_key_impl_wrapped_configILNS1_25lookback_scan_determinismE0ES3_S7_PKaNS0_17constant_iteratorIjlEEPaPlSF_S6_NS0_8equal_toIaEEEE10hipError_tPvRmT2_T3_mT4_T5_T6_T7_T8_P12ihipStream_tbENKUlT_T0_E_clISt17integral_constantIbLb0EESY_IbLb1EEEEDaSU_SV_EUlSU_E_NS1_11comp_targetILNS1_3genE3ELNS1_11target_archE908ELNS1_3gpuE7ELNS1_3repE0EEENS1_30default_config_static_selectorELNS0_4arch9wavefront6targetE1EEEvT1_
    .private_segment_fixed_size: 0
    .sgpr_count:     4
    .sgpr_spill_count: 0
    .symbol:         _ZN7rocprim17ROCPRIM_400000_NS6detail17trampoline_kernelINS0_14default_configENS1_33run_length_encode_config_selectorIajNS0_4plusIjEEEEZZNS1_33reduce_by_key_impl_wrapped_configILNS1_25lookback_scan_determinismE0ES3_S7_PKaNS0_17constant_iteratorIjlEEPaPlSF_S6_NS0_8equal_toIaEEEE10hipError_tPvRmT2_T3_mT4_T5_T6_T7_T8_P12ihipStream_tbENKUlT_T0_E_clISt17integral_constantIbLb0EESY_IbLb1EEEEDaSU_SV_EUlSU_E_NS1_11comp_targetILNS1_3genE3ELNS1_11target_archE908ELNS1_3gpuE7ELNS1_3repE0EEENS1_30default_config_static_selectorELNS0_4arch9wavefront6targetE1EEEvT1_.kd
    .uniform_work_group_size: 1
    .uses_dynamic_stack: false
    .vgpr_count:     0
    .vgpr_spill_count: 0
    .wavefront_size: 64
  - .agpr_count:     0
    .args:
      - .offset:         0
        .size:           128
        .value_kind:     by_value
    .group_segment_fixed_size: 0
    .kernarg_segment_align: 8
    .kernarg_segment_size: 128
    .language:       OpenCL C
    .language_version:
      - 2
      - 0
    .max_flat_workgroup_size: 256
    .name:           _ZN7rocprim17ROCPRIM_400000_NS6detail17trampoline_kernelINS0_14default_configENS1_33run_length_encode_config_selectorIajNS0_4plusIjEEEEZZNS1_33reduce_by_key_impl_wrapped_configILNS1_25lookback_scan_determinismE0ES3_S7_PKaNS0_17constant_iteratorIjlEEPaPlSF_S6_NS0_8equal_toIaEEEE10hipError_tPvRmT2_T3_mT4_T5_T6_T7_T8_P12ihipStream_tbENKUlT_T0_E_clISt17integral_constantIbLb0EESY_IbLb1EEEEDaSU_SV_EUlSU_E_NS1_11comp_targetILNS1_3genE2ELNS1_11target_archE906ELNS1_3gpuE6ELNS1_3repE0EEENS1_30default_config_static_selectorELNS0_4arch9wavefront6targetE1EEEvT1_
    .private_segment_fixed_size: 0
    .sgpr_count:     4
    .sgpr_spill_count: 0
    .symbol:         _ZN7rocprim17ROCPRIM_400000_NS6detail17trampoline_kernelINS0_14default_configENS1_33run_length_encode_config_selectorIajNS0_4plusIjEEEEZZNS1_33reduce_by_key_impl_wrapped_configILNS1_25lookback_scan_determinismE0ES3_S7_PKaNS0_17constant_iteratorIjlEEPaPlSF_S6_NS0_8equal_toIaEEEE10hipError_tPvRmT2_T3_mT4_T5_T6_T7_T8_P12ihipStream_tbENKUlT_T0_E_clISt17integral_constantIbLb0EESY_IbLb1EEEEDaSU_SV_EUlSU_E_NS1_11comp_targetILNS1_3genE2ELNS1_11target_archE906ELNS1_3gpuE6ELNS1_3repE0EEENS1_30default_config_static_selectorELNS0_4arch9wavefront6targetE1EEEvT1_.kd
    .uniform_work_group_size: 1
    .uses_dynamic_stack: false
    .vgpr_count:     0
    .vgpr_spill_count: 0
    .wavefront_size: 64
  - .agpr_count:     0
    .args:
      - .offset:         0
        .size:           128
        .value_kind:     by_value
    .group_segment_fixed_size: 0
    .kernarg_segment_align: 8
    .kernarg_segment_size: 128
    .language:       OpenCL C
    .language_version:
      - 2
      - 0
    .max_flat_workgroup_size: 384
    .name:           _ZN7rocprim17ROCPRIM_400000_NS6detail17trampoline_kernelINS0_14default_configENS1_33run_length_encode_config_selectorIajNS0_4plusIjEEEEZZNS1_33reduce_by_key_impl_wrapped_configILNS1_25lookback_scan_determinismE0ES3_S7_PKaNS0_17constant_iteratorIjlEEPaPlSF_S6_NS0_8equal_toIaEEEE10hipError_tPvRmT2_T3_mT4_T5_T6_T7_T8_P12ihipStream_tbENKUlT_T0_E_clISt17integral_constantIbLb0EESY_IbLb1EEEEDaSU_SV_EUlSU_E_NS1_11comp_targetILNS1_3genE10ELNS1_11target_archE1201ELNS1_3gpuE5ELNS1_3repE0EEENS1_30default_config_static_selectorELNS0_4arch9wavefront6targetE1EEEvT1_
    .private_segment_fixed_size: 0
    .sgpr_count:     4
    .sgpr_spill_count: 0
    .symbol:         _ZN7rocprim17ROCPRIM_400000_NS6detail17trampoline_kernelINS0_14default_configENS1_33run_length_encode_config_selectorIajNS0_4plusIjEEEEZZNS1_33reduce_by_key_impl_wrapped_configILNS1_25lookback_scan_determinismE0ES3_S7_PKaNS0_17constant_iteratorIjlEEPaPlSF_S6_NS0_8equal_toIaEEEE10hipError_tPvRmT2_T3_mT4_T5_T6_T7_T8_P12ihipStream_tbENKUlT_T0_E_clISt17integral_constantIbLb0EESY_IbLb1EEEEDaSU_SV_EUlSU_E_NS1_11comp_targetILNS1_3genE10ELNS1_11target_archE1201ELNS1_3gpuE5ELNS1_3repE0EEENS1_30default_config_static_selectorELNS0_4arch9wavefront6targetE1EEEvT1_.kd
    .uniform_work_group_size: 1
    .uses_dynamic_stack: false
    .vgpr_count:     0
    .vgpr_spill_count: 0
    .wavefront_size: 64
  - .agpr_count:     0
    .args:
      - .offset:         0
        .size:           128
        .value_kind:     by_value
    .group_segment_fixed_size: 0
    .kernarg_segment_align: 8
    .kernarg_segment_size: 128
    .language:       OpenCL C
    .language_version:
      - 2
      - 0
    .max_flat_workgroup_size: 384
    .name:           _ZN7rocprim17ROCPRIM_400000_NS6detail17trampoline_kernelINS0_14default_configENS1_33run_length_encode_config_selectorIajNS0_4plusIjEEEEZZNS1_33reduce_by_key_impl_wrapped_configILNS1_25lookback_scan_determinismE0ES3_S7_PKaNS0_17constant_iteratorIjlEEPaPlSF_S6_NS0_8equal_toIaEEEE10hipError_tPvRmT2_T3_mT4_T5_T6_T7_T8_P12ihipStream_tbENKUlT_T0_E_clISt17integral_constantIbLb0EESY_IbLb1EEEEDaSU_SV_EUlSU_E_NS1_11comp_targetILNS1_3genE10ELNS1_11target_archE1200ELNS1_3gpuE4ELNS1_3repE0EEENS1_30default_config_static_selectorELNS0_4arch9wavefront6targetE1EEEvT1_
    .private_segment_fixed_size: 0
    .sgpr_count:     4
    .sgpr_spill_count: 0
    .symbol:         _ZN7rocprim17ROCPRIM_400000_NS6detail17trampoline_kernelINS0_14default_configENS1_33run_length_encode_config_selectorIajNS0_4plusIjEEEEZZNS1_33reduce_by_key_impl_wrapped_configILNS1_25lookback_scan_determinismE0ES3_S7_PKaNS0_17constant_iteratorIjlEEPaPlSF_S6_NS0_8equal_toIaEEEE10hipError_tPvRmT2_T3_mT4_T5_T6_T7_T8_P12ihipStream_tbENKUlT_T0_E_clISt17integral_constantIbLb0EESY_IbLb1EEEEDaSU_SV_EUlSU_E_NS1_11comp_targetILNS1_3genE10ELNS1_11target_archE1200ELNS1_3gpuE4ELNS1_3repE0EEENS1_30default_config_static_selectorELNS0_4arch9wavefront6targetE1EEEvT1_.kd
    .uniform_work_group_size: 1
    .uses_dynamic_stack: false
    .vgpr_count:     0
    .vgpr_spill_count: 0
    .wavefront_size: 64
  - .agpr_count:     0
    .args:
      - .offset:         0
        .size:           128
        .value_kind:     by_value
    .group_segment_fixed_size: 0
    .kernarg_segment_align: 8
    .kernarg_segment_size: 128
    .language:       OpenCL C
    .language_version:
      - 2
      - 0
    .max_flat_workgroup_size: 384
    .name:           _ZN7rocprim17ROCPRIM_400000_NS6detail17trampoline_kernelINS0_14default_configENS1_33run_length_encode_config_selectorIajNS0_4plusIjEEEEZZNS1_33reduce_by_key_impl_wrapped_configILNS1_25lookback_scan_determinismE0ES3_S7_PKaNS0_17constant_iteratorIjlEEPaPlSF_S6_NS0_8equal_toIaEEEE10hipError_tPvRmT2_T3_mT4_T5_T6_T7_T8_P12ihipStream_tbENKUlT_T0_E_clISt17integral_constantIbLb0EESY_IbLb1EEEEDaSU_SV_EUlSU_E_NS1_11comp_targetILNS1_3genE9ELNS1_11target_archE1100ELNS1_3gpuE3ELNS1_3repE0EEENS1_30default_config_static_selectorELNS0_4arch9wavefront6targetE1EEEvT1_
    .private_segment_fixed_size: 0
    .sgpr_count:     4
    .sgpr_spill_count: 0
    .symbol:         _ZN7rocprim17ROCPRIM_400000_NS6detail17trampoline_kernelINS0_14default_configENS1_33run_length_encode_config_selectorIajNS0_4plusIjEEEEZZNS1_33reduce_by_key_impl_wrapped_configILNS1_25lookback_scan_determinismE0ES3_S7_PKaNS0_17constant_iteratorIjlEEPaPlSF_S6_NS0_8equal_toIaEEEE10hipError_tPvRmT2_T3_mT4_T5_T6_T7_T8_P12ihipStream_tbENKUlT_T0_E_clISt17integral_constantIbLb0EESY_IbLb1EEEEDaSU_SV_EUlSU_E_NS1_11comp_targetILNS1_3genE9ELNS1_11target_archE1100ELNS1_3gpuE3ELNS1_3repE0EEENS1_30default_config_static_selectorELNS0_4arch9wavefront6targetE1EEEvT1_.kd
    .uniform_work_group_size: 1
    .uses_dynamic_stack: false
    .vgpr_count:     0
    .vgpr_spill_count: 0
    .wavefront_size: 64
  - .agpr_count:     0
    .args:
      - .offset:         0
        .size:           128
        .value_kind:     by_value
    .group_segment_fixed_size: 0
    .kernarg_segment_align: 8
    .kernarg_segment_size: 128
    .language:       OpenCL C
    .language_version:
      - 2
      - 0
    .max_flat_workgroup_size: 384
    .name:           _ZN7rocprim17ROCPRIM_400000_NS6detail17trampoline_kernelINS0_14default_configENS1_33run_length_encode_config_selectorIajNS0_4plusIjEEEEZZNS1_33reduce_by_key_impl_wrapped_configILNS1_25lookback_scan_determinismE0ES3_S7_PKaNS0_17constant_iteratorIjlEEPaPlSF_S6_NS0_8equal_toIaEEEE10hipError_tPvRmT2_T3_mT4_T5_T6_T7_T8_P12ihipStream_tbENKUlT_T0_E_clISt17integral_constantIbLb0EESY_IbLb1EEEEDaSU_SV_EUlSU_E_NS1_11comp_targetILNS1_3genE8ELNS1_11target_archE1030ELNS1_3gpuE2ELNS1_3repE0EEENS1_30default_config_static_selectorELNS0_4arch9wavefront6targetE1EEEvT1_
    .private_segment_fixed_size: 0
    .sgpr_count:     4
    .sgpr_spill_count: 0
    .symbol:         _ZN7rocprim17ROCPRIM_400000_NS6detail17trampoline_kernelINS0_14default_configENS1_33run_length_encode_config_selectorIajNS0_4plusIjEEEEZZNS1_33reduce_by_key_impl_wrapped_configILNS1_25lookback_scan_determinismE0ES3_S7_PKaNS0_17constant_iteratorIjlEEPaPlSF_S6_NS0_8equal_toIaEEEE10hipError_tPvRmT2_T3_mT4_T5_T6_T7_T8_P12ihipStream_tbENKUlT_T0_E_clISt17integral_constantIbLb0EESY_IbLb1EEEEDaSU_SV_EUlSU_E_NS1_11comp_targetILNS1_3genE8ELNS1_11target_archE1030ELNS1_3gpuE2ELNS1_3repE0EEENS1_30default_config_static_selectorELNS0_4arch9wavefront6targetE1EEEvT1_.kd
    .uniform_work_group_size: 1
    .uses_dynamic_stack: false
    .vgpr_count:     0
    .vgpr_spill_count: 0
    .wavefront_size: 64
  - .agpr_count:     0
    .args:
      - .offset:         0
        .size:           8
        .value_kind:     by_value
      - .address_space:  global
        .offset:         8
        .size:           8
        .value_kind:     global_buffer
      - .address_space:  global
        .offset:         16
        .size:           8
        .value_kind:     global_buffer
      - .offset:         24
        .size:           4
        .value_kind:     hidden_block_count_x
      - .offset:         28
        .size:           4
        .value_kind:     hidden_block_count_y
      - .offset:         32
        .size:           4
        .value_kind:     hidden_block_count_z
      - .offset:         36
        .size:           2
        .value_kind:     hidden_group_size_x
      - .offset:         38
        .size:           2
        .value_kind:     hidden_group_size_y
      - .offset:         40
        .size:           2
        .value_kind:     hidden_group_size_z
      - .offset:         42
        .size:           2
        .value_kind:     hidden_remainder_x
      - .offset:         44
        .size:           2
        .value_kind:     hidden_remainder_y
      - .offset:         46
        .size:           2
        .value_kind:     hidden_remainder_z
      - .offset:         64
        .size:           8
        .value_kind:     hidden_global_offset_x
      - .offset:         72
        .size:           8
        .value_kind:     hidden_global_offset_y
      - .offset:         80
        .size:           8
        .value_kind:     hidden_global_offset_z
      - .offset:         88
        .size:           2
        .value_kind:     hidden_grid_dims
    .group_segment_fixed_size: 0
    .kernarg_segment_align: 8
    .kernarg_segment_size: 280
    .language:       OpenCL C
    .language_version:
      - 2
      - 0
    .max_flat_workgroup_size: 1024
    .name:           _ZN2at6native8internal12_GLOBAL__N_126adjacent_difference_kernelIPKdEEvlT_Pi
    .private_segment_fixed_size: 0
    .sgpr_count:     18
    .sgpr_spill_count: 0
    .symbol:         _ZN2at6native8internal12_GLOBAL__N_126adjacent_difference_kernelIPKdEEvlT_Pi.kd
    .uniform_work_group_size: 1
    .uses_dynamic_stack: false
    .vgpr_count:     18
    .vgpr_spill_count: 0
    .wavefront_size: 64
  - .agpr_count:     0
    .args:
      - .offset:         0
        .size:           112
        .value_kind:     by_value
    .group_segment_fixed_size: 0
    .kernarg_segment_align: 8
    .kernarg_segment_size: 112
    .language:       OpenCL C
    .language_version:
      - 2
      - 0
    .max_flat_workgroup_size: 512
    .name:           _ZN7rocprim17ROCPRIM_400000_NS6detail17trampoline_kernelINS0_14default_configENS1_25partition_config_selectorILNS1_17partition_subalgoE8EdNS0_10empty_typeEbEEZZNS1_14partition_implILS5_8ELb0ES3_jPKdPS6_PKS6_NS0_5tupleIJPdS6_EEENSE_IJSB_SB_EEENS0_18inequality_wrapperIN6hipcub16HIPCUB_304000_NS8EqualityEEEPlJS6_EEE10hipError_tPvRmT3_T4_T5_T6_T7_T9_mT8_P12ihipStream_tbDpT10_ENKUlT_T0_E_clISt17integral_constantIbLb0EES17_EEDaS12_S13_EUlS12_E_NS1_11comp_targetILNS1_3genE0ELNS1_11target_archE4294967295ELNS1_3gpuE0ELNS1_3repE0EEENS1_30default_config_static_selectorELNS0_4arch9wavefront6targetE1EEEvT1_
    .private_segment_fixed_size: 0
    .sgpr_count:     4
    .sgpr_spill_count: 0
    .symbol:         _ZN7rocprim17ROCPRIM_400000_NS6detail17trampoline_kernelINS0_14default_configENS1_25partition_config_selectorILNS1_17partition_subalgoE8EdNS0_10empty_typeEbEEZZNS1_14partition_implILS5_8ELb0ES3_jPKdPS6_PKS6_NS0_5tupleIJPdS6_EEENSE_IJSB_SB_EEENS0_18inequality_wrapperIN6hipcub16HIPCUB_304000_NS8EqualityEEEPlJS6_EEE10hipError_tPvRmT3_T4_T5_T6_T7_T9_mT8_P12ihipStream_tbDpT10_ENKUlT_T0_E_clISt17integral_constantIbLb0EES17_EEDaS12_S13_EUlS12_E_NS1_11comp_targetILNS1_3genE0ELNS1_11target_archE4294967295ELNS1_3gpuE0ELNS1_3repE0EEENS1_30default_config_static_selectorELNS0_4arch9wavefront6targetE1EEEvT1_.kd
    .uniform_work_group_size: 1
    .uses_dynamic_stack: false
    .vgpr_count:     0
    .vgpr_spill_count: 0
    .wavefront_size: 64
  - .agpr_count:     0
    .args:
      - .offset:         0
        .size:           112
        .value_kind:     by_value
    .group_segment_fixed_size: 0
    .kernarg_segment_align: 8
    .kernarg_segment_size: 112
    .language:       OpenCL C
    .language_version:
      - 2
      - 0
    .max_flat_workgroup_size: 512
    .name:           _ZN7rocprim17ROCPRIM_400000_NS6detail17trampoline_kernelINS0_14default_configENS1_25partition_config_selectorILNS1_17partition_subalgoE8EdNS0_10empty_typeEbEEZZNS1_14partition_implILS5_8ELb0ES3_jPKdPS6_PKS6_NS0_5tupleIJPdS6_EEENSE_IJSB_SB_EEENS0_18inequality_wrapperIN6hipcub16HIPCUB_304000_NS8EqualityEEEPlJS6_EEE10hipError_tPvRmT3_T4_T5_T6_T7_T9_mT8_P12ihipStream_tbDpT10_ENKUlT_T0_E_clISt17integral_constantIbLb0EES17_EEDaS12_S13_EUlS12_E_NS1_11comp_targetILNS1_3genE5ELNS1_11target_archE942ELNS1_3gpuE9ELNS1_3repE0EEENS1_30default_config_static_selectorELNS0_4arch9wavefront6targetE1EEEvT1_
    .private_segment_fixed_size: 0
    .sgpr_count:     4
    .sgpr_spill_count: 0
    .symbol:         _ZN7rocprim17ROCPRIM_400000_NS6detail17trampoline_kernelINS0_14default_configENS1_25partition_config_selectorILNS1_17partition_subalgoE8EdNS0_10empty_typeEbEEZZNS1_14partition_implILS5_8ELb0ES3_jPKdPS6_PKS6_NS0_5tupleIJPdS6_EEENSE_IJSB_SB_EEENS0_18inequality_wrapperIN6hipcub16HIPCUB_304000_NS8EqualityEEEPlJS6_EEE10hipError_tPvRmT3_T4_T5_T6_T7_T9_mT8_P12ihipStream_tbDpT10_ENKUlT_T0_E_clISt17integral_constantIbLb0EES17_EEDaS12_S13_EUlS12_E_NS1_11comp_targetILNS1_3genE5ELNS1_11target_archE942ELNS1_3gpuE9ELNS1_3repE0EEENS1_30default_config_static_selectorELNS0_4arch9wavefront6targetE1EEEvT1_.kd
    .uniform_work_group_size: 1
    .uses_dynamic_stack: false
    .vgpr_count:     0
    .vgpr_spill_count: 0
    .wavefront_size: 64
  - .agpr_count:     0
    .args:
      - .offset:         0
        .size:           112
        .value_kind:     by_value
    .group_segment_fixed_size: 10248
    .kernarg_segment_align: 8
    .kernarg_segment_size: 112
    .language:       OpenCL C
    .language_version:
      - 2
      - 0
    .max_flat_workgroup_size: 256
    .name:           _ZN7rocprim17ROCPRIM_400000_NS6detail17trampoline_kernelINS0_14default_configENS1_25partition_config_selectorILNS1_17partition_subalgoE8EdNS0_10empty_typeEbEEZZNS1_14partition_implILS5_8ELb0ES3_jPKdPS6_PKS6_NS0_5tupleIJPdS6_EEENSE_IJSB_SB_EEENS0_18inequality_wrapperIN6hipcub16HIPCUB_304000_NS8EqualityEEEPlJS6_EEE10hipError_tPvRmT3_T4_T5_T6_T7_T9_mT8_P12ihipStream_tbDpT10_ENKUlT_T0_E_clISt17integral_constantIbLb0EES17_EEDaS12_S13_EUlS12_E_NS1_11comp_targetILNS1_3genE4ELNS1_11target_archE910ELNS1_3gpuE8ELNS1_3repE0EEENS1_30default_config_static_selectorELNS0_4arch9wavefront6targetE1EEEvT1_
    .private_segment_fixed_size: 0
    .sgpr_count:     44
    .sgpr_spill_count: 0
    .symbol:         _ZN7rocprim17ROCPRIM_400000_NS6detail17trampoline_kernelINS0_14default_configENS1_25partition_config_selectorILNS1_17partition_subalgoE8EdNS0_10empty_typeEbEEZZNS1_14partition_implILS5_8ELb0ES3_jPKdPS6_PKS6_NS0_5tupleIJPdS6_EEENSE_IJSB_SB_EEENS0_18inequality_wrapperIN6hipcub16HIPCUB_304000_NS8EqualityEEEPlJS6_EEE10hipError_tPvRmT3_T4_T5_T6_T7_T9_mT8_P12ihipStream_tbDpT10_ENKUlT_T0_E_clISt17integral_constantIbLb0EES17_EEDaS12_S13_EUlS12_E_NS1_11comp_targetILNS1_3genE4ELNS1_11target_archE910ELNS1_3gpuE8ELNS1_3repE0EEENS1_30default_config_static_selectorELNS0_4arch9wavefront6targetE1EEEvT1_.kd
    .uniform_work_group_size: 1
    .uses_dynamic_stack: false
    .vgpr_count:     47
    .vgpr_spill_count: 0
    .wavefront_size: 64
  - .agpr_count:     0
    .args:
      - .offset:         0
        .size:           112
        .value_kind:     by_value
    .group_segment_fixed_size: 0
    .kernarg_segment_align: 8
    .kernarg_segment_size: 112
    .language:       OpenCL C
    .language_version:
      - 2
      - 0
    .max_flat_workgroup_size: 512
    .name:           _ZN7rocprim17ROCPRIM_400000_NS6detail17trampoline_kernelINS0_14default_configENS1_25partition_config_selectorILNS1_17partition_subalgoE8EdNS0_10empty_typeEbEEZZNS1_14partition_implILS5_8ELb0ES3_jPKdPS6_PKS6_NS0_5tupleIJPdS6_EEENSE_IJSB_SB_EEENS0_18inequality_wrapperIN6hipcub16HIPCUB_304000_NS8EqualityEEEPlJS6_EEE10hipError_tPvRmT3_T4_T5_T6_T7_T9_mT8_P12ihipStream_tbDpT10_ENKUlT_T0_E_clISt17integral_constantIbLb0EES17_EEDaS12_S13_EUlS12_E_NS1_11comp_targetILNS1_3genE3ELNS1_11target_archE908ELNS1_3gpuE7ELNS1_3repE0EEENS1_30default_config_static_selectorELNS0_4arch9wavefront6targetE1EEEvT1_
    .private_segment_fixed_size: 0
    .sgpr_count:     4
    .sgpr_spill_count: 0
    .symbol:         _ZN7rocprim17ROCPRIM_400000_NS6detail17trampoline_kernelINS0_14default_configENS1_25partition_config_selectorILNS1_17partition_subalgoE8EdNS0_10empty_typeEbEEZZNS1_14partition_implILS5_8ELb0ES3_jPKdPS6_PKS6_NS0_5tupleIJPdS6_EEENSE_IJSB_SB_EEENS0_18inequality_wrapperIN6hipcub16HIPCUB_304000_NS8EqualityEEEPlJS6_EEE10hipError_tPvRmT3_T4_T5_T6_T7_T9_mT8_P12ihipStream_tbDpT10_ENKUlT_T0_E_clISt17integral_constantIbLb0EES17_EEDaS12_S13_EUlS12_E_NS1_11comp_targetILNS1_3genE3ELNS1_11target_archE908ELNS1_3gpuE7ELNS1_3repE0EEENS1_30default_config_static_selectorELNS0_4arch9wavefront6targetE1EEEvT1_.kd
    .uniform_work_group_size: 1
    .uses_dynamic_stack: false
    .vgpr_count:     0
    .vgpr_spill_count: 0
    .wavefront_size: 64
  - .agpr_count:     0
    .args:
      - .offset:         0
        .size:           112
        .value_kind:     by_value
    .group_segment_fixed_size: 0
    .kernarg_segment_align: 8
    .kernarg_segment_size: 112
    .language:       OpenCL C
    .language_version:
      - 2
      - 0
    .max_flat_workgroup_size: 256
    .name:           _ZN7rocprim17ROCPRIM_400000_NS6detail17trampoline_kernelINS0_14default_configENS1_25partition_config_selectorILNS1_17partition_subalgoE8EdNS0_10empty_typeEbEEZZNS1_14partition_implILS5_8ELb0ES3_jPKdPS6_PKS6_NS0_5tupleIJPdS6_EEENSE_IJSB_SB_EEENS0_18inequality_wrapperIN6hipcub16HIPCUB_304000_NS8EqualityEEEPlJS6_EEE10hipError_tPvRmT3_T4_T5_T6_T7_T9_mT8_P12ihipStream_tbDpT10_ENKUlT_T0_E_clISt17integral_constantIbLb0EES17_EEDaS12_S13_EUlS12_E_NS1_11comp_targetILNS1_3genE2ELNS1_11target_archE906ELNS1_3gpuE6ELNS1_3repE0EEENS1_30default_config_static_selectorELNS0_4arch9wavefront6targetE1EEEvT1_
    .private_segment_fixed_size: 0
    .sgpr_count:     4
    .sgpr_spill_count: 0
    .symbol:         _ZN7rocprim17ROCPRIM_400000_NS6detail17trampoline_kernelINS0_14default_configENS1_25partition_config_selectorILNS1_17partition_subalgoE8EdNS0_10empty_typeEbEEZZNS1_14partition_implILS5_8ELb0ES3_jPKdPS6_PKS6_NS0_5tupleIJPdS6_EEENSE_IJSB_SB_EEENS0_18inequality_wrapperIN6hipcub16HIPCUB_304000_NS8EqualityEEEPlJS6_EEE10hipError_tPvRmT3_T4_T5_T6_T7_T9_mT8_P12ihipStream_tbDpT10_ENKUlT_T0_E_clISt17integral_constantIbLb0EES17_EEDaS12_S13_EUlS12_E_NS1_11comp_targetILNS1_3genE2ELNS1_11target_archE906ELNS1_3gpuE6ELNS1_3repE0EEENS1_30default_config_static_selectorELNS0_4arch9wavefront6targetE1EEEvT1_.kd
    .uniform_work_group_size: 1
    .uses_dynamic_stack: false
    .vgpr_count:     0
    .vgpr_spill_count: 0
    .wavefront_size: 64
  - .agpr_count:     0
    .args:
      - .offset:         0
        .size:           112
        .value_kind:     by_value
    .group_segment_fixed_size: 0
    .kernarg_segment_align: 8
    .kernarg_segment_size: 112
    .language:       OpenCL C
    .language_version:
      - 2
      - 0
    .max_flat_workgroup_size: 384
    .name:           _ZN7rocprim17ROCPRIM_400000_NS6detail17trampoline_kernelINS0_14default_configENS1_25partition_config_selectorILNS1_17partition_subalgoE8EdNS0_10empty_typeEbEEZZNS1_14partition_implILS5_8ELb0ES3_jPKdPS6_PKS6_NS0_5tupleIJPdS6_EEENSE_IJSB_SB_EEENS0_18inequality_wrapperIN6hipcub16HIPCUB_304000_NS8EqualityEEEPlJS6_EEE10hipError_tPvRmT3_T4_T5_T6_T7_T9_mT8_P12ihipStream_tbDpT10_ENKUlT_T0_E_clISt17integral_constantIbLb0EES17_EEDaS12_S13_EUlS12_E_NS1_11comp_targetILNS1_3genE10ELNS1_11target_archE1200ELNS1_3gpuE4ELNS1_3repE0EEENS1_30default_config_static_selectorELNS0_4arch9wavefront6targetE1EEEvT1_
    .private_segment_fixed_size: 0
    .sgpr_count:     4
    .sgpr_spill_count: 0
    .symbol:         _ZN7rocprim17ROCPRIM_400000_NS6detail17trampoline_kernelINS0_14default_configENS1_25partition_config_selectorILNS1_17partition_subalgoE8EdNS0_10empty_typeEbEEZZNS1_14partition_implILS5_8ELb0ES3_jPKdPS6_PKS6_NS0_5tupleIJPdS6_EEENSE_IJSB_SB_EEENS0_18inequality_wrapperIN6hipcub16HIPCUB_304000_NS8EqualityEEEPlJS6_EEE10hipError_tPvRmT3_T4_T5_T6_T7_T9_mT8_P12ihipStream_tbDpT10_ENKUlT_T0_E_clISt17integral_constantIbLb0EES17_EEDaS12_S13_EUlS12_E_NS1_11comp_targetILNS1_3genE10ELNS1_11target_archE1200ELNS1_3gpuE4ELNS1_3repE0EEENS1_30default_config_static_selectorELNS0_4arch9wavefront6targetE1EEEvT1_.kd
    .uniform_work_group_size: 1
    .uses_dynamic_stack: false
    .vgpr_count:     0
    .vgpr_spill_count: 0
    .wavefront_size: 64
  - .agpr_count:     0
    .args:
      - .offset:         0
        .size:           112
        .value_kind:     by_value
    .group_segment_fixed_size: 0
    .kernarg_segment_align: 8
    .kernarg_segment_size: 112
    .language:       OpenCL C
    .language_version:
      - 2
      - 0
    .max_flat_workgroup_size: 512
    .name:           _ZN7rocprim17ROCPRIM_400000_NS6detail17trampoline_kernelINS0_14default_configENS1_25partition_config_selectorILNS1_17partition_subalgoE8EdNS0_10empty_typeEbEEZZNS1_14partition_implILS5_8ELb0ES3_jPKdPS6_PKS6_NS0_5tupleIJPdS6_EEENSE_IJSB_SB_EEENS0_18inequality_wrapperIN6hipcub16HIPCUB_304000_NS8EqualityEEEPlJS6_EEE10hipError_tPvRmT3_T4_T5_T6_T7_T9_mT8_P12ihipStream_tbDpT10_ENKUlT_T0_E_clISt17integral_constantIbLb0EES17_EEDaS12_S13_EUlS12_E_NS1_11comp_targetILNS1_3genE9ELNS1_11target_archE1100ELNS1_3gpuE3ELNS1_3repE0EEENS1_30default_config_static_selectorELNS0_4arch9wavefront6targetE1EEEvT1_
    .private_segment_fixed_size: 0
    .sgpr_count:     4
    .sgpr_spill_count: 0
    .symbol:         _ZN7rocprim17ROCPRIM_400000_NS6detail17trampoline_kernelINS0_14default_configENS1_25partition_config_selectorILNS1_17partition_subalgoE8EdNS0_10empty_typeEbEEZZNS1_14partition_implILS5_8ELb0ES3_jPKdPS6_PKS6_NS0_5tupleIJPdS6_EEENSE_IJSB_SB_EEENS0_18inequality_wrapperIN6hipcub16HIPCUB_304000_NS8EqualityEEEPlJS6_EEE10hipError_tPvRmT3_T4_T5_T6_T7_T9_mT8_P12ihipStream_tbDpT10_ENKUlT_T0_E_clISt17integral_constantIbLb0EES17_EEDaS12_S13_EUlS12_E_NS1_11comp_targetILNS1_3genE9ELNS1_11target_archE1100ELNS1_3gpuE3ELNS1_3repE0EEENS1_30default_config_static_selectorELNS0_4arch9wavefront6targetE1EEEvT1_.kd
    .uniform_work_group_size: 1
    .uses_dynamic_stack: false
    .vgpr_count:     0
    .vgpr_spill_count: 0
    .wavefront_size: 64
  - .agpr_count:     0
    .args:
      - .offset:         0
        .size:           112
        .value_kind:     by_value
    .group_segment_fixed_size: 0
    .kernarg_segment_align: 8
    .kernarg_segment_size: 112
    .language:       OpenCL C
    .language_version:
      - 2
      - 0
    .max_flat_workgroup_size: 512
    .name:           _ZN7rocprim17ROCPRIM_400000_NS6detail17trampoline_kernelINS0_14default_configENS1_25partition_config_selectorILNS1_17partition_subalgoE8EdNS0_10empty_typeEbEEZZNS1_14partition_implILS5_8ELb0ES3_jPKdPS6_PKS6_NS0_5tupleIJPdS6_EEENSE_IJSB_SB_EEENS0_18inequality_wrapperIN6hipcub16HIPCUB_304000_NS8EqualityEEEPlJS6_EEE10hipError_tPvRmT3_T4_T5_T6_T7_T9_mT8_P12ihipStream_tbDpT10_ENKUlT_T0_E_clISt17integral_constantIbLb0EES17_EEDaS12_S13_EUlS12_E_NS1_11comp_targetILNS1_3genE8ELNS1_11target_archE1030ELNS1_3gpuE2ELNS1_3repE0EEENS1_30default_config_static_selectorELNS0_4arch9wavefront6targetE1EEEvT1_
    .private_segment_fixed_size: 0
    .sgpr_count:     4
    .sgpr_spill_count: 0
    .symbol:         _ZN7rocprim17ROCPRIM_400000_NS6detail17trampoline_kernelINS0_14default_configENS1_25partition_config_selectorILNS1_17partition_subalgoE8EdNS0_10empty_typeEbEEZZNS1_14partition_implILS5_8ELb0ES3_jPKdPS6_PKS6_NS0_5tupleIJPdS6_EEENSE_IJSB_SB_EEENS0_18inequality_wrapperIN6hipcub16HIPCUB_304000_NS8EqualityEEEPlJS6_EEE10hipError_tPvRmT3_T4_T5_T6_T7_T9_mT8_P12ihipStream_tbDpT10_ENKUlT_T0_E_clISt17integral_constantIbLb0EES17_EEDaS12_S13_EUlS12_E_NS1_11comp_targetILNS1_3genE8ELNS1_11target_archE1030ELNS1_3gpuE2ELNS1_3repE0EEENS1_30default_config_static_selectorELNS0_4arch9wavefront6targetE1EEEvT1_.kd
    .uniform_work_group_size: 1
    .uses_dynamic_stack: false
    .vgpr_count:     0
    .vgpr_spill_count: 0
    .wavefront_size: 64
  - .agpr_count:     0
    .args:
      - .offset:         0
        .size:           128
        .value_kind:     by_value
    .group_segment_fixed_size: 0
    .kernarg_segment_align: 8
    .kernarg_segment_size: 128
    .language:       OpenCL C
    .language_version:
      - 2
      - 0
    .max_flat_workgroup_size: 512
    .name:           _ZN7rocprim17ROCPRIM_400000_NS6detail17trampoline_kernelINS0_14default_configENS1_25partition_config_selectorILNS1_17partition_subalgoE8EdNS0_10empty_typeEbEEZZNS1_14partition_implILS5_8ELb0ES3_jPKdPS6_PKS6_NS0_5tupleIJPdS6_EEENSE_IJSB_SB_EEENS0_18inequality_wrapperIN6hipcub16HIPCUB_304000_NS8EqualityEEEPlJS6_EEE10hipError_tPvRmT3_T4_T5_T6_T7_T9_mT8_P12ihipStream_tbDpT10_ENKUlT_T0_E_clISt17integral_constantIbLb1EES17_EEDaS12_S13_EUlS12_E_NS1_11comp_targetILNS1_3genE0ELNS1_11target_archE4294967295ELNS1_3gpuE0ELNS1_3repE0EEENS1_30default_config_static_selectorELNS0_4arch9wavefront6targetE1EEEvT1_
    .private_segment_fixed_size: 0
    .sgpr_count:     4
    .sgpr_spill_count: 0
    .symbol:         _ZN7rocprim17ROCPRIM_400000_NS6detail17trampoline_kernelINS0_14default_configENS1_25partition_config_selectorILNS1_17partition_subalgoE8EdNS0_10empty_typeEbEEZZNS1_14partition_implILS5_8ELb0ES3_jPKdPS6_PKS6_NS0_5tupleIJPdS6_EEENSE_IJSB_SB_EEENS0_18inequality_wrapperIN6hipcub16HIPCUB_304000_NS8EqualityEEEPlJS6_EEE10hipError_tPvRmT3_T4_T5_T6_T7_T9_mT8_P12ihipStream_tbDpT10_ENKUlT_T0_E_clISt17integral_constantIbLb1EES17_EEDaS12_S13_EUlS12_E_NS1_11comp_targetILNS1_3genE0ELNS1_11target_archE4294967295ELNS1_3gpuE0ELNS1_3repE0EEENS1_30default_config_static_selectorELNS0_4arch9wavefront6targetE1EEEvT1_.kd
    .uniform_work_group_size: 1
    .uses_dynamic_stack: false
    .vgpr_count:     0
    .vgpr_spill_count: 0
    .wavefront_size: 64
  - .agpr_count:     0
    .args:
      - .offset:         0
        .size:           128
        .value_kind:     by_value
    .group_segment_fixed_size: 0
    .kernarg_segment_align: 8
    .kernarg_segment_size: 128
    .language:       OpenCL C
    .language_version:
      - 2
      - 0
    .max_flat_workgroup_size: 512
    .name:           _ZN7rocprim17ROCPRIM_400000_NS6detail17trampoline_kernelINS0_14default_configENS1_25partition_config_selectorILNS1_17partition_subalgoE8EdNS0_10empty_typeEbEEZZNS1_14partition_implILS5_8ELb0ES3_jPKdPS6_PKS6_NS0_5tupleIJPdS6_EEENSE_IJSB_SB_EEENS0_18inequality_wrapperIN6hipcub16HIPCUB_304000_NS8EqualityEEEPlJS6_EEE10hipError_tPvRmT3_T4_T5_T6_T7_T9_mT8_P12ihipStream_tbDpT10_ENKUlT_T0_E_clISt17integral_constantIbLb1EES17_EEDaS12_S13_EUlS12_E_NS1_11comp_targetILNS1_3genE5ELNS1_11target_archE942ELNS1_3gpuE9ELNS1_3repE0EEENS1_30default_config_static_selectorELNS0_4arch9wavefront6targetE1EEEvT1_
    .private_segment_fixed_size: 0
    .sgpr_count:     4
    .sgpr_spill_count: 0
    .symbol:         _ZN7rocprim17ROCPRIM_400000_NS6detail17trampoline_kernelINS0_14default_configENS1_25partition_config_selectorILNS1_17partition_subalgoE8EdNS0_10empty_typeEbEEZZNS1_14partition_implILS5_8ELb0ES3_jPKdPS6_PKS6_NS0_5tupleIJPdS6_EEENSE_IJSB_SB_EEENS0_18inequality_wrapperIN6hipcub16HIPCUB_304000_NS8EqualityEEEPlJS6_EEE10hipError_tPvRmT3_T4_T5_T6_T7_T9_mT8_P12ihipStream_tbDpT10_ENKUlT_T0_E_clISt17integral_constantIbLb1EES17_EEDaS12_S13_EUlS12_E_NS1_11comp_targetILNS1_3genE5ELNS1_11target_archE942ELNS1_3gpuE9ELNS1_3repE0EEENS1_30default_config_static_selectorELNS0_4arch9wavefront6targetE1EEEvT1_.kd
    .uniform_work_group_size: 1
    .uses_dynamic_stack: false
    .vgpr_count:     0
    .vgpr_spill_count: 0
    .wavefront_size: 64
  - .agpr_count:     0
    .args:
      - .offset:         0
        .size:           128
        .value_kind:     by_value
    .group_segment_fixed_size: 10248
    .kernarg_segment_align: 8
    .kernarg_segment_size: 128
    .language:       OpenCL C
    .language_version:
      - 2
      - 0
    .max_flat_workgroup_size: 256
    .name:           _ZN7rocprim17ROCPRIM_400000_NS6detail17trampoline_kernelINS0_14default_configENS1_25partition_config_selectorILNS1_17partition_subalgoE8EdNS0_10empty_typeEbEEZZNS1_14partition_implILS5_8ELb0ES3_jPKdPS6_PKS6_NS0_5tupleIJPdS6_EEENSE_IJSB_SB_EEENS0_18inequality_wrapperIN6hipcub16HIPCUB_304000_NS8EqualityEEEPlJS6_EEE10hipError_tPvRmT3_T4_T5_T6_T7_T9_mT8_P12ihipStream_tbDpT10_ENKUlT_T0_E_clISt17integral_constantIbLb1EES17_EEDaS12_S13_EUlS12_E_NS1_11comp_targetILNS1_3genE4ELNS1_11target_archE910ELNS1_3gpuE8ELNS1_3repE0EEENS1_30default_config_static_selectorELNS0_4arch9wavefront6targetE1EEEvT1_
    .private_segment_fixed_size: 0
    .sgpr_count:     44
    .sgpr_spill_count: 0
    .symbol:         _ZN7rocprim17ROCPRIM_400000_NS6detail17trampoline_kernelINS0_14default_configENS1_25partition_config_selectorILNS1_17partition_subalgoE8EdNS0_10empty_typeEbEEZZNS1_14partition_implILS5_8ELb0ES3_jPKdPS6_PKS6_NS0_5tupleIJPdS6_EEENSE_IJSB_SB_EEENS0_18inequality_wrapperIN6hipcub16HIPCUB_304000_NS8EqualityEEEPlJS6_EEE10hipError_tPvRmT3_T4_T5_T6_T7_T9_mT8_P12ihipStream_tbDpT10_ENKUlT_T0_E_clISt17integral_constantIbLb1EES17_EEDaS12_S13_EUlS12_E_NS1_11comp_targetILNS1_3genE4ELNS1_11target_archE910ELNS1_3gpuE8ELNS1_3repE0EEENS1_30default_config_static_selectorELNS0_4arch9wavefront6targetE1EEEvT1_.kd
    .uniform_work_group_size: 1
    .uses_dynamic_stack: false
    .vgpr_count:     49
    .vgpr_spill_count: 0
    .wavefront_size: 64
  - .agpr_count:     0
    .args:
      - .offset:         0
        .size:           128
        .value_kind:     by_value
    .group_segment_fixed_size: 0
    .kernarg_segment_align: 8
    .kernarg_segment_size: 128
    .language:       OpenCL C
    .language_version:
      - 2
      - 0
    .max_flat_workgroup_size: 512
    .name:           _ZN7rocprim17ROCPRIM_400000_NS6detail17trampoline_kernelINS0_14default_configENS1_25partition_config_selectorILNS1_17partition_subalgoE8EdNS0_10empty_typeEbEEZZNS1_14partition_implILS5_8ELb0ES3_jPKdPS6_PKS6_NS0_5tupleIJPdS6_EEENSE_IJSB_SB_EEENS0_18inequality_wrapperIN6hipcub16HIPCUB_304000_NS8EqualityEEEPlJS6_EEE10hipError_tPvRmT3_T4_T5_T6_T7_T9_mT8_P12ihipStream_tbDpT10_ENKUlT_T0_E_clISt17integral_constantIbLb1EES17_EEDaS12_S13_EUlS12_E_NS1_11comp_targetILNS1_3genE3ELNS1_11target_archE908ELNS1_3gpuE7ELNS1_3repE0EEENS1_30default_config_static_selectorELNS0_4arch9wavefront6targetE1EEEvT1_
    .private_segment_fixed_size: 0
    .sgpr_count:     4
    .sgpr_spill_count: 0
    .symbol:         _ZN7rocprim17ROCPRIM_400000_NS6detail17trampoline_kernelINS0_14default_configENS1_25partition_config_selectorILNS1_17partition_subalgoE8EdNS0_10empty_typeEbEEZZNS1_14partition_implILS5_8ELb0ES3_jPKdPS6_PKS6_NS0_5tupleIJPdS6_EEENSE_IJSB_SB_EEENS0_18inequality_wrapperIN6hipcub16HIPCUB_304000_NS8EqualityEEEPlJS6_EEE10hipError_tPvRmT3_T4_T5_T6_T7_T9_mT8_P12ihipStream_tbDpT10_ENKUlT_T0_E_clISt17integral_constantIbLb1EES17_EEDaS12_S13_EUlS12_E_NS1_11comp_targetILNS1_3genE3ELNS1_11target_archE908ELNS1_3gpuE7ELNS1_3repE0EEENS1_30default_config_static_selectorELNS0_4arch9wavefront6targetE1EEEvT1_.kd
    .uniform_work_group_size: 1
    .uses_dynamic_stack: false
    .vgpr_count:     0
    .vgpr_spill_count: 0
    .wavefront_size: 64
  - .agpr_count:     0
    .args:
      - .offset:         0
        .size:           128
        .value_kind:     by_value
    .group_segment_fixed_size: 0
    .kernarg_segment_align: 8
    .kernarg_segment_size: 128
    .language:       OpenCL C
    .language_version:
      - 2
      - 0
    .max_flat_workgroup_size: 256
    .name:           _ZN7rocprim17ROCPRIM_400000_NS6detail17trampoline_kernelINS0_14default_configENS1_25partition_config_selectorILNS1_17partition_subalgoE8EdNS0_10empty_typeEbEEZZNS1_14partition_implILS5_8ELb0ES3_jPKdPS6_PKS6_NS0_5tupleIJPdS6_EEENSE_IJSB_SB_EEENS0_18inequality_wrapperIN6hipcub16HIPCUB_304000_NS8EqualityEEEPlJS6_EEE10hipError_tPvRmT3_T4_T5_T6_T7_T9_mT8_P12ihipStream_tbDpT10_ENKUlT_T0_E_clISt17integral_constantIbLb1EES17_EEDaS12_S13_EUlS12_E_NS1_11comp_targetILNS1_3genE2ELNS1_11target_archE906ELNS1_3gpuE6ELNS1_3repE0EEENS1_30default_config_static_selectorELNS0_4arch9wavefront6targetE1EEEvT1_
    .private_segment_fixed_size: 0
    .sgpr_count:     4
    .sgpr_spill_count: 0
    .symbol:         _ZN7rocprim17ROCPRIM_400000_NS6detail17trampoline_kernelINS0_14default_configENS1_25partition_config_selectorILNS1_17partition_subalgoE8EdNS0_10empty_typeEbEEZZNS1_14partition_implILS5_8ELb0ES3_jPKdPS6_PKS6_NS0_5tupleIJPdS6_EEENSE_IJSB_SB_EEENS0_18inequality_wrapperIN6hipcub16HIPCUB_304000_NS8EqualityEEEPlJS6_EEE10hipError_tPvRmT3_T4_T5_T6_T7_T9_mT8_P12ihipStream_tbDpT10_ENKUlT_T0_E_clISt17integral_constantIbLb1EES17_EEDaS12_S13_EUlS12_E_NS1_11comp_targetILNS1_3genE2ELNS1_11target_archE906ELNS1_3gpuE6ELNS1_3repE0EEENS1_30default_config_static_selectorELNS0_4arch9wavefront6targetE1EEEvT1_.kd
    .uniform_work_group_size: 1
    .uses_dynamic_stack: false
    .vgpr_count:     0
    .vgpr_spill_count: 0
    .wavefront_size: 64
  - .agpr_count:     0
    .args:
      - .offset:         0
        .size:           128
        .value_kind:     by_value
    .group_segment_fixed_size: 0
    .kernarg_segment_align: 8
    .kernarg_segment_size: 128
    .language:       OpenCL C
    .language_version:
      - 2
      - 0
    .max_flat_workgroup_size: 384
    .name:           _ZN7rocprim17ROCPRIM_400000_NS6detail17trampoline_kernelINS0_14default_configENS1_25partition_config_selectorILNS1_17partition_subalgoE8EdNS0_10empty_typeEbEEZZNS1_14partition_implILS5_8ELb0ES3_jPKdPS6_PKS6_NS0_5tupleIJPdS6_EEENSE_IJSB_SB_EEENS0_18inequality_wrapperIN6hipcub16HIPCUB_304000_NS8EqualityEEEPlJS6_EEE10hipError_tPvRmT3_T4_T5_T6_T7_T9_mT8_P12ihipStream_tbDpT10_ENKUlT_T0_E_clISt17integral_constantIbLb1EES17_EEDaS12_S13_EUlS12_E_NS1_11comp_targetILNS1_3genE10ELNS1_11target_archE1200ELNS1_3gpuE4ELNS1_3repE0EEENS1_30default_config_static_selectorELNS0_4arch9wavefront6targetE1EEEvT1_
    .private_segment_fixed_size: 0
    .sgpr_count:     4
    .sgpr_spill_count: 0
    .symbol:         _ZN7rocprim17ROCPRIM_400000_NS6detail17trampoline_kernelINS0_14default_configENS1_25partition_config_selectorILNS1_17partition_subalgoE8EdNS0_10empty_typeEbEEZZNS1_14partition_implILS5_8ELb0ES3_jPKdPS6_PKS6_NS0_5tupleIJPdS6_EEENSE_IJSB_SB_EEENS0_18inequality_wrapperIN6hipcub16HIPCUB_304000_NS8EqualityEEEPlJS6_EEE10hipError_tPvRmT3_T4_T5_T6_T7_T9_mT8_P12ihipStream_tbDpT10_ENKUlT_T0_E_clISt17integral_constantIbLb1EES17_EEDaS12_S13_EUlS12_E_NS1_11comp_targetILNS1_3genE10ELNS1_11target_archE1200ELNS1_3gpuE4ELNS1_3repE0EEENS1_30default_config_static_selectorELNS0_4arch9wavefront6targetE1EEEvT1_.kd
    .uniform_work_group_size: 1
    .uses_dynamic_stack: false
    .vgpr_count:     0
    .vgpr_spill_count: 0
    .wavefront_size: 64
  - .agpr_count:     0
    .args:
      - .offset:         0
        .size:           128
        .value_kind:     by_value
    .group_segment_fixed_size: 0
    .kernarg_segment_align: 8
    .kernarg_segment_size: 128
    .language:       OpenCL C
    .language_version:
      - 2
      - 0
    .max_flat_workgroup_size: 512
    .name:           _ZN7rocprim17ROCPRIM_400000_NS6detail17trampoline_kernelINS0_14default_configENS1_25partition_config_selectorILNS1_17partition_subalgoE8EdNS0_10empty_typeEbEEZZNS1_14partition_implILS5_8ELb0ES3_jPKdPS6_PKS6_NS0_5tupleIJPdS6_EEENSE_IJSB_SB_EEENS0_18inequality_wrapperIN6hipcub16HIPCUB_304000_NS8EqualityEEEPlJS6_EEE10hipError_tPvRmT3_T4_T5_T6_T7_T9_mT8_P12ihipStream_tbDpT10_ENKUlT_T0_E_clISt17integral_constantIbLb1EES17_EEDaS12_S13_EUlS12_E_NS1_11comp_targetILNS1_3genE9ELNS1_11target_archE1100ELNS1_3gpuE3ELNS1_3repE0EEENS1_30default_config_static_selectorELNS0_4arch9wavefront6targetE1EEEvT1_
    .private_segment_fixed_size: 0
    .sgpr_count:     4
    .sgpr_spill_count: 0
    .symbol:         _ZN7rocprim17ROCPRIM_400000_NS6detail17trampoline_kernelINS0_14default_configENS1_25partition_config_selectorILNS1_17partition_subalgoE8EdNS0_10empty_typeEbEEZZNS1_14partition_implILS5_8ELb0ES3_jPKdPS6_PKS6_NS0_5tupleIJPdS6_EEENSE_IJSB_SB_EEENS0_18inequality_wrapperIN6hipcub16HIPCUB_304000_NS8EqualityEEEPlJS6_EEE10hipError_tPvRmT3_T4_T5_T6_T7_T9_mT8_P12ihipStream_tbDpT10_ENKUlT_T0_E_clISt17integral_constantIbLb1EES17_EEDaS12_S13_EUlS12_E_NS1_11comp_targetILNS1_3genE9ELNS1_11target_archE1100ELNS1_3gpuE3ELNS1_3repE0EEENS1_30default_config_static_selectorELNS0_4arch9wavefront6targetE1EEEvT1_.kd
    .uniform_work_group_size: 1
    .uses_dynamic_stack: false
    .vgpr_count:     0
    .vgpr_spill_count: 0
    .wavefront_size: 64
  - .agpr_count:     0
    .args:
      - .offset:         0
        .size:           128
        .value_kind:     by_value
    .group_segment_fixed_size: 0
    .kernarg_segment_align: 8
    .kernarg_segment_size: 128
    .language:       OpenCL C
    .language_version:
      - 2
      - 0
    .max_flat_workgroup_size: 512
    .name:           _ZN7rocprim17ROCPRIM_400000_NS6detail17trampoline_kernelINS0_14default_configENS1_25partition_config_selectorILNS1_17partition_subalgoE8EdNS0_10empty_typeEbEEZZNS1_14partition_implILS5_8ELb0ES3_jPKdPS6_PKS6_NS0_5tupleIJPdS6_EEENSE_IJSB_SB_EEENS0_18inequality_wrapperIN6hipcub16HIPCUB_304000_NS8EqualityEEEPlJS6_EEE10hipError_tPvRmT3_T4_T5_T6_T7_T9_mT8_P12ihipStream_tbDpT10_ENKUlT_T0_E_clISt17integral_constantIbLb1EES17_EEDaS12_S13_EUlS12_E_NS1_11comp_targetILNS1_3genE8ELNS1_11target_archE1030ELNS1_3gpuE2ELNS1_3repE0EEENS1_30default_config_static_selectorELNS0_4arch9wavefront6targetE1EEEvT1_
    .private_segment_fixed_size: 0
    .sgpr_count:     4
    .sgpr_spill_count: 0
    .symbol:         _ZN7rocprim17ROCPRIM_400000_NS6detail17trampoline_kernelINS0_14default_configENS1_25partition_config_selectorILNS1_17partition_subalgoE8EdNS0_10empty_typeEbEEZZNS1_14partition_implILS5_8ELb0ES3_jPKdPS6_PKS6_NS0_5tupleIJPdS6_EEENSE_IJSB_SB_EEENS0_18inequality_wrapperIN6hipcub16HIPCUB_304000_NS8EqualityEEEPlJS6_EEE10hipError_tPvRmT3_T4_T5_T6_T7_T9_mT8_P12ihipStream_tbDpT10_ENKUlT_T0_E_clISt17integral_constantIbLb1EES17_EEDaS12_S13_EUlS12_E_NS1_11comp_targetILNS1_3genE8ELNS1_11target_archE1030ELNS1_3gpuE2ELNS1_3repE0EEENS1_30default_config_static_selectorELNS0_4arch9wavefront6targetE1EEEvT1_.kd
    .uniform_work_group_size: 1
    .uses_dynamic_stack: false
    .vgpr_count:     0
    .vgpr_spill_count: 0
    .wavefront_size: 64
  - .agpr_count:     0
    .args:
      - .offset:         0
        .size:           112
        .value_kind:     by_value
    .group_segment_fixed_size: 0
    .kernarg_segment_align: 8
    .kernarg_segment_size: 112
    .language:       OpenCL C
    .language_version:
      - 2
      - 0
    .max_flat_workgroup_size: 512
    .name:           _ZN7rocprim17ROCPRIM_400000_NS6detail17trampoline_kernelINS0_14default_configENS1_25partition_config_selectorILNS1_17partition_subalgoE8EdNS0_10empty_typeEbEEZZNS1_14partition_implILS5_8ELb0ES3_jPKdPS6_PKS6_NS0_5tupleIJPdS6_EEENSE_IJSB_SB_EEENS0_18inequality_wrapperIN6hipcub16HIPCUB_304000_NS8EqualityEEEPlJS6_EEE10hipError_tPvRmT3_T4_T5_T6_T7_T9_mT8_P12ihipStream_tbDpT10_ENKUlT_T0_E_clISt17integral_constantIbLb1EES16_IbLb0EEEEDaS12_S13_EUlS12_E_NS1_11comp_targetILNS1_3genE0ELNS1_11target_archE4294967295ELNS1_3gpuE0ELNS1_3repE0EEENS1_30default_config_static_selectorELNS0_4arch9wavefront6targetE1EEEvT1_
    .private_segment_fixed_size: 0
    .sgpr_count:     4
    .sgpr_spill_count: 0
    .symbol:         _ZN7rocprim17ROCPRIM_400000_NS6detail17trampoline_kernelINS0_14default_configENS1_25partition_config_selectorILNS1_17partition_subalgoE8EdNS0_10empty_typeEbEEZZNS1_14partition_implILS5_8ELb0ES3_jPKdPS6_PKS6_NS0_5tupleIJPdS6_EEENSE_IJSB_SB_EEENS0_18inequality_wrapperIN6hipcub16HIPCUB_304000_NS8EqualityEEEPlJS6_EEE10hipError_tPvRmT3_T4_T5_T6_T7_T9_mT8_P12ihipStream_tbDpT10_ENKUlT_T0_E_clISt17integral_constantIbLb1EES16_IbLb0EEEEDaS12_S13_EUlS12_E_NS1_11comp_targetILNS1_3genE0ELNS1_11target_archE4294967295ELNS1_3gpuE0ELNS1_3repE0EEENS1_30default_config_static_selectorELNS0_4arch9wavefront6targetE1EEEvT1_.kd
    .uniform_work_group_size: 1
    .uses_dynamic_stack: false
    .vgpr_count:     0
    .vgpr_spill_count: 0
    .wavefront_size: 64
  - .agpr_count:     0
    .args:
      - .offset:         0
        .size:           112
        .value_kind:     by_value
    .group_segment_fixed_size: 0
    .kernarg_segment_align: 8
    .kernarg_segment_size: 112
    .language:       OpenCL C
    .language_version:
      - 2
      - 0
    .max_flat_workgroup_size: 512
    .name:           _ZN7rocprim17ROCPRIM_400000_NS6detail17trampoline_kernelINS0_14default_configENS1_25partition_config_selectorILNS1_17partition_subalgoE8EdNS0_10empty_typeEbEEZZNS1_14partition_implILS5_8ELb0ES3_jPKdPS6_PKS6_NS0_5tupleIJPdS6_EEENSE_IJSB_SB_EEENS0_18inequality_wrapperIN6hipcub16HIPCUB_304000_NS8EqualityEEEPlJS6_EEE10hipError_tPvRmT3_T4_T5_T6_T7_T9_mT8_P12ihipStream_tbDpT10_ENKUlT_T0_E_clISt17integral_constantIbLb1EES16_IbLb0EEEEDaS12_S13_EUlS12_E_NS1_11comp_targetILNS1_3genE5ELNS1_11target_archE942ELNS1_3gpuE9ELNS1_3repE0EEENS1_30default_config_static_selectorELNS0_4arch9wavefront6targetE1EEEvT1_
    .private_segment_fixed_size: 0
    .sgpr_count:     4
    .sgpr_spill_count: 0
    .symbol:         _ZN7rocprim17ROCPRIM_400000_NS6detail17trampoline_kernelINS0_14default_configENS1_25partition_config_selectorILNS1_17partition_subalgoE8EdNS0_10empty_typeEbEEZZNS1_14partition_implILS5_8ELb0ES3_jPKdPS6_PKS6_NS0_5tupleIJPdS6_EEENSE_IJSB_SB_EEENS0_18inequality_wrapperIN6hipcub16HIPCUB_304000_NS8EqualityEEEPlJS6_EEE10hipError_tPvRmT3_T4_T5_T6_T7_T9_mT8_P12ihipStream_tbDpT10_ENKUlT_T0_E_clISt17integral_constantIbLb1EES16_IbLb0EEEEDaS12_S13_EUlS12_E_NS1_11comp_targetILNS1_3genE5ELNS1_11target_archE942ELNS1_3gpuE9ELNS1_3repE0EEENS1_30default_config_static_selectorELNS0_4arch9wavefront6targetE1EEEvT1_.kd
    .uniform_work_group_size: 1
    .uses_dynamic_stack: false
    .vgpr_count:     0
    .vgpr_spill_count: 0
    .wavefront_size: 64
  - .agpr_count:     0
    .args:
      - .offset:         0
        .size:           112
        .value_kind:     by_value
    .group_segment_fixed_size: 10248
    .kernarg_segment_align: 8
    .kernarg_segment_size: 112
    .language:       OpenCL C
    .language_version:
      - 2
      - 0
    .max_flat_workgroup_size: 256
    .name:           _ZN7rocprim17ROCPRIM_400000_NS6detail17trampoline_kernelINS0_14default_configENS1_25partition_config_selectorILNS1_17partition_subalgoE8EdNS0_10empty_typeEbEEZZNS1_14partition_implILS5_8ELb0ES3_jPKdPS6_PKS6_NS0_5tupleIJPdS6_EEENSE_IJSB_SB_EEENS0_18inequality_wrapperIN6hipcub16HIPCUB_304000_NS8EqualityEEEPlJS6_EEE10hipError_tPvRmT3_T4_T5_T6_T7_T9_mT8_P12ihipStream_tbDpT10_ENKUlT_T0_E_clISt17integral_constantIbLb1EES16_IbLb0EEEEDaS12_S13_EUlS12_E_NS1_11comp_targetILNS1_3genE4ELNS1_11target_archE910ELNS1_3gpuE8ELNS1_3repE0EEENS1_30default_config_static_selectorELNS0_4arch9wavefront6targetE1EEEvT1_
    .private_segment_fixed_size: 0
    .sgpr_count:     44
    .sgpr_spill_count: 0
    .symbol:         _ZN7rocprim17ROCPRIM_400000_NS6detail17trampoline_kernelINS0_14default_configENS1_25partition_config_selectorILNS1_17partition_subalgoE8EdNS0_10empty_typeEbEEZZNS1_14partition_implILS5_8ELb0ES3_jPKdPS6_PKS6_NS0_5tupleIJPdS6_EEENSE_IJSB_SB_EEENS0_18inequality_wrapperIN6hipcub16HIPCUB_304000_NS8EqualityEEEPlJS6_EEE10hipError_tPvRmT3_T4_T5_T6_T7_T9_mT8_P12ihipStream_tbDpT10_ENKUlT_T0_E_clISt17integral_constantIbLb1EES16_IbLb0EEEEDaS12_S13_EUlS12_E_NS1_11comp_targetILNS1_3genE4ELNS1_11target_archE910ELNS1_3gpuE8ELNS1_3repE0EEENS1_30default_config_static_selectorELNS0_4arch9wavefront6targetE1EEEvT1_.kd
    .uniform_work_group_size: 1
    .uses_dynamic_stack: false
    .vgpr_count:     47
    .vgpr_spill_count: 0
    .wavefront_size: 64
  - .agpr_count:     0
    .args:
      - .offset:         0
        .size:           112
        .value_kind:     by_value
    .group_segment_fixed_size: 0
    .kernarg_segment_align: 8
    .kernarg_segment_size: 112
    .language:       OpenCL C
    .language_version:
      - 2
      - 0
    .max_flat_workgroup_size: 512
    .name:           _ZN7rocprim17ROCPRIM_400000_NS6detail17trampoline_kernelINS0_14default_configENS1_25partition_config_selectorILNS1_17partition_subalgoE8EdNS0_10empty_typeEbEEZZNS1_14partition_implILS5_8ELb0ES3_jPKdPS6_PKS6_NS0_5tupleIJPdS6_EEENSE_IJSB_SB_EEENS0_18inequality_wrapperIN6hipcub16HIPCUB_304000_NS8EqualityEEEPlJS6_EEE10hipError_tPvRmT3_T4_T5_T6_T7_T9_mT8_P12ihipStream_tbDpT10_ENKUlT_T0_E_clISt17integral_constantIbLb1EES16_IbLb0EEEEDaS12_S13_EUlS12_E_NS1_11comp_targetILNS1_3genE3ELNS1_11target_archE908ELNS1_3gpuE7ELNS1_3repE0EEENS1_30default_config_static_selectorELNS0_4arch9wavefront6targetE1EEEvT1_
    .private_segment_fixed_size: 0
    .sgpr_count:     4
    .sgpr_spill_count: 0
    .symbol:         _ZN7rocprim17ROCPRIM_400000_NS6detail17trampoline_kernelINS0_14default_configENS1_25partition_config_selectorILNS1_17partition_subalgoE8EdNS0_10empty_typeEbEEZZNS1_14partition_implILS5_8ELb0ES3_jPKdPS6_PKS6_NS0_5tupleIJPdS6_EEENSE_IJSB_SB_EEENS0_18inequality_wrapperIN6hipcub16HIPCUB_304000_NS8EqualityEEEPlJS6_EEE10hipError_tPvRmT3_T4_T5_T6_T7_T9_mT8_P12ihipStream_tbDpT10_ENKUlT_T0_E_clISt17integral_constantIbLb1EES16_IbLb0EEEEDaS12_S13_EUlS12_E_NS1_11comp_targetILNS1_3genE3ELNS1_11target_archE908ELNS1_3gpuE7ELNS1_3repE0EEENS1_30default_config_static_selectorELNS0_4arch9wavefront6targetE1EEEvT1_.kd
    .uniform_work_group_size: 1
    .uses_dynamic_stack: false
    .vgpr_count:     0
    .vgpr_spill_count: 0
    .wavefront_size: 64
  - .agpr_count:     0
    .args:
      - .offset:         0
        .size:           112
        .value_kind:     by_value
    .group_segment_fixed_size: 0
    .kernarg_segment_align: 8
    .kernarg_segment_size: 112
    .language:       OpenCL C
    .language_version:
      - 2
      - 0
    .max_flat_workgroup_size: 256
    .name:           _ZN7rocprim17ROCPRIM_400000_NS6detail17trampoline_kernelINS0_14default_configENS1_25partition_config_selectorILNS1_17partition_subalgoE8EdNS0_10empty_typeEbEEZZNS1_14partition_implILS5_8ELb0ES3_jPKdPS6_PKS6_NS0_5tupleIJPdS6_EEENSE_IJSB_SB_EEENS0_18inequality_wrapperIN6hipcub16HIPCUB_304000_NS8EqualityEEEPlJS6_EEE10hipError_tPvRmT3_T4_T5_T6_T7_T9_mT8_P12ihipStream_tbDpT10_ENKUlT_T0_E_clISt17integral_constantIbLb1EES16_IbLb0EEEEDaS12_S13_EUlS12_E_NS1_11comp_targetILNS1_3genE2ELNS1_11target_archE906ELNS1_3gpuE6ELNS1_3repE0EEENS1_30default_config_static_selectorELNS0_4arch9wavefront6targetE1EEEvT1_
    .private_segment_fixed_size: 0
    .sgpr_count:     4
    .sgpr_spill_count: 0
    .symbol:         _ZN7rocprim17ROCPRIM_400000_NS6detail17trampoline_kernelINS0_14default_configENS1_25partition_config_selectorILNS1_17partition_subalgoE8EdNS0_10empty_typeEbEEZZNS1_14partition_implILS5_8ELb0ES3_jPKdPS6_PKS6_NS0_5tupleIJPdS6_EEENSE_IJSB_SB_EEENS0_18inequality_wrapperIN6hipcub16HIPCUB_304000_NS8EqualityEEEPlJS6_EEE10hipError_tPvRmT3_T4_T5_T6_T7_T9_mT8_P12ihipStream_tbDpT10_ENKUlT_T0_E_clISt17integral_constantIbLb1EES16_IbLb0EEEEDaS12_S13_EUlS12_E_NS1_11comp_targetILNS1_3genE2ELNS1_11target_archE906ELNS1_3gpuE6ELNS1_3repE0EEENS1_30default_config_static_selectorELNS0_4arch9wavefront6targetE1EEEvT1_.kd
    .uniform_work_group_size: 1
    .uses_dynamic_stack: false
    .vgpr_count:     0
    .vgpr_spill_count: 0
    .wavefront_size: 64
  - .agpr_count:     0
    .args:
      - .offset:         0
        .size:           112
        .value_kind:     by_value
    .group_segment_fixed_size: 0
    .kernarg_segment_align: 8
    .kernarg_segment_size: 112
    .language:       OpenCL C
    .language_version:
      - 2
      - 0
    .max_flat_workgroup_size: 384
    .name:           _ZN7rocprim17ROCPRIM_400000_NS6detail17trampoline_kernelINS0_14default_configENS1_25partition_config_selectorILNS1_17partition_subalgoE8EdNS0_10empty_typeEbEEZZNS1_14partition_implILS5_8ELb0ES3_jPKdPS6_PKS6_NS0_5tupleIJPdS6_EEENSE_IJSB_SB_EEENS0_18inequality_wrapperIN6hipcub16HIPCUB_304000_NS8EqualityEEEPlJS6_EEE10hipError_tPvRmT3_T4_T5_T6_T7_T9_mT8_P12ihipStream_tbDpT10_ENKUlT_T0_E_clISt17integral_constantIbLb1EES16_IbLb0EEEEDaS12_S13_EUlS12_E_NS1_11comp_targetILNS1_3genE10ELNS1_11target_archE1200ELNS1_3gpuE4ELNS1_3repE0EEENS1_30default_config_static_selectorELNS0_4arch9wavefront6targetE1EEEvT1_
    .private_segment_fixed_size: 0
    .sgpr_count:     4
    .sgpr_spill_count: 0
    .symbol:         _ZN7rocprim17ROCPRIM_400000_NS6detail17trampoline_kernelINS0_14default_configENS1_25partition_config_selectorILNS1_17partition_subalgoE8EdNS0_10empty_typeEbEEZZNS1_14partition_implILS5_8ELb0ES3_jPKdPS6_PKS6_NS0_5tupleIJPdS6_EEENSE_IJSB_SB_EEENS0_18inequality_wrapperIN6hipcub16HIPCUB_304000_NS8EqualityEEEPlJS6_EEE10hipError_tPvRmT3_T4_T5_T6_T7_T9_mT8_P12ihipStream_tbDpT10_ENKUlT_T0_E_clISt17integral_constantIbLb1EES16_IbLb0EEEEDaS12_S13_EUlS12_E_NS1_11comp_targetILNS1_3genE10ELNS1_11target_archE1200ELNS1_3gpuE4ELNS1_3repE0EEENS1_30default_config_static_selectorELNS0_4arch9wavefront6targetE1EEEvT1_.kd
    .uniform_work_group_size: 1
    .uses_dynamic_stack: false
    .vgpr_count:     0
    .vgpr_spill_count: 0
    .wavefront_size: 64
  - .agpr_count:     0
    .args:
      - .offset:         0
        .size:           112
        .value_kind:     by_value
    .group_segment_fixed_size: 0
    .kernarg_segment_align: 8
    .kernarg_segment_size: 112
    .language:       OpenCL C
    .language_version:
      - 2
      - 0
    .max_flat_workgroup_size: 512
    .name:           _ZN7rocprim17ROCPRIM_400000_NS6detail17trampoline_kernelINS0_14default_configENS1_25partition_config_selectorILNS1_17partition_subalgoE8EdNS0_10empty_typeEbEEZZNS1_14partition_implILS5_8ELb0ES3_jPKdPS6_PKS6_NS0_5tupleIJPdS6_EEENSE_IJSB_SB_EEENS0_18inequality_wrapperIN6hipcub16HIPCUB_304000_NS8EqualityEEEPlJS6_EEE10hipError_tPvRmT3_T4_T5_T6_T7_T9_mT8_P12ihipStream_tbDpT10_ENKUlT_T0_E_clISt17integral_constantIbLb1EES16_IbLb0EEEEDaS12_S13_EUlS12_E_NS1_11comp_targetILNS1_3genE9ELNS1_11target_archE1100ELNS1_3gpuE3ELNS1_3repE0EEENS1_30default_config_static_selectorELNS0_4arch9wavefront6targetE1EEEvT1_
    .private_segment_fixed_size: 0
    .sgpr_count:     4
    .sgpr_spill_count: 0
    .symbol:         _ZN7rocprim17ROCPRIM_400000_NS6detail17trampoline_kernelINS0_14default_configENS1_25partition_config_selectorILNS1_17partition_subalgoE8EdNS0_10empty_typeEbEEZZNS1_14partition_implILS5_8ELb0ES3_jPKdPS6_PKS6_NS0_5tupleIJPdS6_EEENSE_IJSB_SB_EEENS0_18inequality_wrapperIN6hipcub16HIPCUB_304000_NS8EqualityEEEPlJS6_EEE10hipError_tPvRmT3_T4_T5_T6_T7_T9_mT8_P12ihipStream_tbDpT10_ENKUlT_T0_E_clISt17integral_constantIbLb1EES16_IbLb0EEEEDaS12_S13_EUlS12_E_NS1_11comp_targetILNS1_3genE9ELNS1_11target_archE1100ELNS1_3gpuE3ELNS1_3repE0EEENS1_30default_config_static_selectorELNS0_4arch9wavefront6targetE1EEEvT1_.kd
    .uniform_work_group_size: 1
    .uses_dynamic_stack: false
    .vgpr_count:     0
    .vgpr_spill_count: 0
    .wavefront_size: 64
  - .agpr_count:     0
    .args:
      - .offset:         0
        .size:           112
        .value_kind:     by_value
    .group_segment_fixed_size: 0
    .kernarg_segment_align: 8
    .kernarg_segment_size: 112
    .language:       OpenCL C
    .language_version:
      - 2
      - 0
    .max_flat_workgroup_size: 512
    .name:           _ZN7rocprim17ROCPRIM_400000_NS6detail17trampoline_kernelINS0_14default_configENS1_25partition_config_selectorILNS1_17partition_subalgoE8EdNS0_10empty_typeEbEEZZNS1_14partition_implILS5_8ELb0ES3_jPKdPS6_PKS6_NS0_5tupleIJPdS6_EEENSE_IJSB_SB_EEENS0_18inequality_wrapperIN6hipcub16HIPCUB_304000_NS8EqualityEEEPlJS6_EEE10hipError_tPvRmT3_T4_T5_T6_T7_T9_mT8_P12ihipStream_tbDpT10_ENKUlT_T0_E_clISt17integral_constantIbLb1EES16_IbLb0EEEEDaS12_S13_EUlS12_E_NS1_11comp_targetILNS1_3genE8ELNS1_11target_archE1030ELNS1_3gpuE2ELNS1_3repE0EEENS1_30default_config_static_selectorELNS0_4arch9wavefront6targetE1EEEvT1_
    .private_segment_fixed_size: 0
    .sgpr_count:     4
    .sgpr_spill_count: 0
    .symbol:         _ZN7rocprim17ROCPRIM_400000_NS6detail17trampoline_kernelINS0_14default_configENS1_25partition_config_selectorILNS1_17partition_subalgoE8EdNS0_10empty_typeEbEEZZNS1_14partition_implILS5_8ELb0ES3_jPKdPS6_PKS6_NS0_5tupleIJPdS6_EEENSE_IJSB_SB_EEENS0_18inequality_wrapperIN6hipcub16HIPCUB_304000_NS8EqualityEEEPlJS6_EEE10hipError_tPvRmT3_T4_T5_T6_T7_T9_mT8_P12ihipStream_tbDpT10_ENKUlT_T0_E_clISt17integral_constantIbLb1EES16_IbLb0EEEEDaS12_S13_EUlS12_E_NS1_11comp_targetILNS1_3genE8ELNS1_11target_archE1030ELNS1_3gpuE2ELNS1_3repE0EEENS1_30default_config_static_selectorELNS0_4arch9wavefront6targetE1EEEvT1_.kd
    .uniform_work_group_size: 1
    .uses_dynamic_stack: false
    .vgpr_count:     0
    .vgpr_spill_count: 0
    .wavefront_size: 64
  - .agpr_count:     0
    .args:
      - .offset:         0
        .size:           128
        .value_kind:     by_value
    .group_segment_fixed_size: 0
    .kernarg_segment_align: 8
    .kernarg_segment_size: 128
    .language:       OpenCL C
    .language_version:
      - 2
      - 0
    .max_flat_workgroup_size: 512
    .name:           _ZN7rocprim17ROCPRIM_400000_NS6detail17trampoline_kernelINS0_14default_configENS1_25partition_config_selectorILNS1_17partition_subalgoE8EdNS0_10empty_typeEbEEZZNS1_14partition_implILS5_8ELb0ES3_jPKdPS6_PKS6_NS0_5tupleIJPdS6_EEENSE_IJSB_SB_EEENS0_18inequality_wrapperIN6hipcub16HIPCUB_304000_NS8EqualityEEEPlJS6_EEE10hipError_tPvRmT3_T4_T5_T6_T7_T9_mT8_P12ihipStream_tbDpT10_ENKUlT_T0_E_clISt17integral_constantIbLb0EES16_IbLb1EEEEDaS12_S13_EUlS12_E_NS1_11comp_targetILNS1_3genE0ELNS1_11target_archE4294967295ELNS1_3gpuE0ELNS1_3repE0EEENS1_30default_config_static_selectorELNS0_4arch9wavefront6targetE1EEEvT1_
    .private_segment_fixed_size: 0
    .sgpr_count:     4
    .sgpr_spill_count: 0
    .symbol:         _ZN7rocprim17ROCPRIM_400000_NS6detail17trampoline_kernelINS0_14default_configENS1_25partition_config_selectorILNS1_17partition_subalgoE8EdNS0_10empty_typeEbEEZZNS1_14partition_implILS5_8ELb0ES3_jPKdPS6_PKS6_NS0_5tupleIJPdS6_EEENSE_IJSB_SB_EEENS0_18inequality_wrapperIN6hipcub16HIPCUB_304000_NS8EqualityEEEPlJS6_EEE10hipError_tPvRmT3_T4_T5_T6_T7_T9_mT8_P12ihipStream_tbDpT10_ENKUlT_T0_E_clISt17integral_constantIbLb0EES16_IbLb1EEEEDaS12_S13_EUlS12_E_NS1_11comp_targetILNS1_3genE0ELNS1_11target_archE4294967295ELNS1_3gpuE0ELNS1_3repE0EEENS1_30default_config_static_selectorELNS0_4arch9wavefront6targetE1EEEvT1_.kd
    .uniform_work_group_size: 1
    .uses_dynamic_stack: false
    .vgpr_count:     0
    .vgpr_spill_count: 0
    .wavefront_size: 64
  - .agpr_count:     0
    .args:
      - .offset:         0
        .size:           128
        .value_kind:     by_value
    .group_segment_fixed_size: 0
    .kernarg_segment_align: 8
    .kernarg_segment_size: 128
    .language:       OpenCL C
    .language_version:
      - 2
      - 0
    .max_flat_workgroup_size: 512
    .name:           _ZN7rocprim17ROCPRIM_400000_NS6detail17trampoline_kernelINS0_14default_configENS1_25partition_config_selectorILNS1_17partition_subalgoE8EdNS0_10empty_typeEbEEZZNS1_14partition_implILS5_8ELb0ES3_jPKdPS6_PKS6_NS0_5tupleIJPdS6_EEENSE_IJSB_SB_EEENS0_18inequality_wrapperIN6hipcub16HIPCUB_304000_NS8EqualityEEEPlJS6_EEE10hipError_tPvRmT3_T4_T5_T6_T7_T9_mT8_P12ihipStream_tbDpT10_ENKUlT_T0_E_clISt17integral_constantIbLb0EES16_IbLb1EEEEDaS12_S13_EUlS12_E_NS1_11comp_targetILNS1_3genE5ELNS1_11target_archE942ELNS1_3gpuE9ELNS1_3repE0EEENS1_30default_config_static_selectorELNS0_4arch9wavefront6targetE1EEEvT1_
    .private_segment_fixed_size: 0
    .sgpr_count:     4
    .sgpr_spill_count: 0
    .symbol:         _ZN7rocprim17ROCPRIM_400000_NS6detail17trampoline_kernelINS0_14default_configENS1_25partition_config_selectorILNS1_17partition_subalgoE8EdNS0_10empty_typeEbEEZZNS1_14partition_implILS5_8ELb0ES3_jPKdPS6_PKS6_NS0_5tupleIJPdS6_EEENSE_IJSB_SB_EEENS0_18inequality_wrapperIN6hipcub16HIPCUB_304000_NS8EqualityEEEPlJS6_EEE10hipError_tPvRmT3_T4_T5_T6_T7_T9_mT8_P12ihipStream_tbDpT10_ENKUlT_T0_E_clISt17integral_constantIbLb0EES16_IbLb1EEEEDaS12_S13_EUlS12_E_NS1_11comp_targetILNS1_3genE5ELNS1_11target_archE942ELNS1_3gpuE9ELNS1_3repE0EEENS1_30default_config_static_selectorELNS0_4arch9wavefront6targetE1EEEvT1_.kd
    .uniform_work_group_size: 1
    .uses_dynamic_stack: false
    .vgpr_count:     0
    .vgpr_spill_count: 0
    .wavefront_size: 64
  - .agpr_count:     0
    .args:
      - .offset:         0
        .size:           128
        .value_kind:     by_value
    .group_segment_fixed_size: 10248
    .kernarg_segment_align: 8
    .kernarg_segment_size: 128
    .language:       OpenCL C
    .language_version:
      - 2
      - 0
    .max_flat_workgroup_size: 256
    .name:           _ZN7rocprim17ROCPRIM_400000_NS6detail17trampoline_kernelINS0_14default_configENS1_25partition_config_selectorILNS1_17partition_subalgoE8EdNS0_10empty_typeEbEEZZNS1_14partition_implILS5_8ELb0ES3_jPKdPS6_PKS6_NS0_5tupleIJPdS6_EEENSE_IJSB_SB_EEENS0_18inequality_wrapperIN6hipcub16HIPCUB_304000_NS8EqualityEEEPlJS6_EEE10hipError_tPvRmT3_T4_T5_T6_T7_T9_mT8_P12ihipStream_tbDpT10_ENKUlT_T0_E_clISt17integral_constantIbLb0EES16_IbLb1EEEEDaS12_S13_EUlS12_E_NS1_11comp_targetILNS1_3genE4ELNS1_11target_archE910ELNS1_3gpuE8ELNS1_3repE0EEENS1_30default_config_static_selectorELNS0_4arch9wavefront6targetE1EEEvT1_
    .private_segment_fixed_size: 0
    .sgpr_count:     42
    .sgpr_spill_count: 0
    .symbol:         _ZN7rocprim17ROCPRIM_400000_NS6detail17trampoline_kernelINS0_14default_configENS1_25partition_config_selectorILNS1_17partition_subalgoE8EdNS0_10empty_typeEbEEZZNS1_14partition_implILS5_8ELb0ES3_jPKdPS6_PKS6_NS0_5tupleIJPdS6_EEENSE_IJSB_SB_EEENS0_18inequality_wrapperIN6hipcub16HIPCUB_304000_NS8EqualityEEEPlJS6_EEE10hipError_tPvRmT3_T4_T5_T6_T7_T9_mT8_P12ihipStream_tbDpT10_ENKUlT_T0_E_clISt17integral_constantIbLb0EES16_IbLb1EEEEDaS12_S13_EUlS12_E_NS1_11comp_targetILNS1_3genE4ELNS1_11target_archE910ELNS1_3gpuE8ELNS1_3repE0EEENS1_30default_config_static_selectorELNS0_4arch9wavefront6targetE1EEEvT1_.kd
    .uniform_work_group_size: 1
    .uses_dynamic_stack: false
    .vgpr_count:     49
    .vgpr_spill_count: 0
    .wavefront_size: 64
  - .agpr_count:     0
    .args:
      - .offset:         0
        .size:           128
        .value_kind:     by_value
    .group_segment_fixed_size: 0
    .kernarg_segment_align: 8
    .kernarg_segment_size: 128
    .language:       OpenCL C
    .language_version:
      - 2
      - 0
    .max_flat_workgroup_size: 512
    .name:           _ZN7rocprim17ROCPRIM_400000_NS6detail17trampoline_kernelINS0_14default_configENS1_25partition_config_selectorILNS1_17partition_subalgoE8EdNS0_10empty_typeEbEEZZNS1_14partition_implILS5_8ELb0ES3_jPKdPS6_PKS6_NS0_5tupleIJPdS6_EEENSE_IJSB_SB_EEENS0_18inequality_wrapperIN6hipcub16HIPCUB_304000_NS8EqualityEEEPlJS6_EEE10hipError_tPvRmT3_T4_T5_T6_T7_T9_mT8_P12ihipStream_tbDpT10_ENKUlT_T0_E_clISt17integral_constantIbLb0EES16_IbLb1EEEEDaS12_S13_EUlS12_E_NS1_11comp_targetILNS1_3genE3ELNS1_11target_archE908ELNS1_3gpuE7ELNS1_3repE0EEENS1_30default_config_static_selectorELNS0_4arch9wavefront6targetE1EEEvT1_
    .private_segment_fixed_size: 0
    .sgpr_count:     4
    .sgpr_spill_count: 0
    .symbol:         _ZN7rocprim17ROCPRIM_400000_NS6detail17trampoline_kernelINS0_14default_configENS1_25partition_config_selectorILNS1_17partition_subalgoE8EdNS0_10empty_typeEbEEZZNS1_14partition_implILS5_8ELb0ES3_jPKdPS6_PKS6_NS0_5tupleIJPdS6_EEENSE_IJSB_SB_EEENS0_18inequality_wrapperIN6hipcub16HIPCUB_304000_NS8EqualityEEEPlJS6_EEE10hipError_tPvRmT3_T4_T5_T6_T7_T9_mT8_P12ihipStream_tbDpT10_ENKUlT_T0_E_clISt17integral_constantIbLb0EES16_IbLb1EEEEDaS12_S13_EUlS12_E_NS1_11comp_targetILNS1_3genE3ELNS1_11target_archE908ELNS1_3gpuE7ELNS1_3repE0EEENS1_30default_config_static_selectorELNS0_4arch9wavefront6targetE1EEEvT1_.kd
    .uniform_work_group_size: 1
    .uses_dynamic_stack: false
    .vgpr_count:     0
    .vgpr_spill_count: 0
    .wavefront_size: 64
  - .agpr_count:     0
    .args:
      - .offset:         0
        .size:           128
        .value_kind:     by_value
    .group_segment_fixed_size: 0
    .kernarg_segment_align: 8
    .kernarg_segment_size: 128
    .language:       OpenCL C
    .language_version:
      - 2
      - 0
    .max_flat_workgroup_size: 256
    .name:           _ZN7rocprim17ROCPRIM_400000_NS6detail17trampoline_kernelINS0_14default_configENS1_25partition_config_selectorILNS1_17partition_subalgoE8EdNS0_10empty_typeEbEEZZNS1_14partition_implILS5_8ELb0ES3_jPKdPS6_PKS6_NS0_5tupleIJPdS6_EEENSE_IJSB_SB_EEENS0_18inequality_wrapperIN6hipcub16HIPCUB_304000_NS8EqualityEEEPlJS6_EEE10hipError_tPvRmT3_T4_T5_T6_T7_T9_mT8_P12ihipStream_tbDpT10_ENKUlT_T0_E_clISt17integral_constantIbLb0EES16_IbLb1EEEEDaS12_S13_EUlS12_E_NS1_11comp_targetILNS1_3genE2ELNS1_11target_archE906ELNS1_3gpuE6ELNS1_3repE0EEENS1_30default_config_static_selectorELNS0_4arch9wavefront6targetE1EEEvT1_
    .private_segment_fixed_size: 0
    .sgpr_count:     4
    .sgpr_spill_count: 0
    .symbol:         _ZN7rocprim17ROCPRIM_400000_NS6detail17trampoline_kernelINS0_14default_configENS1_25partition_config_selectorILNS1_17partition_subalgoE8EdNS0_10empty_typeEbEEZZNS1_14partition_implILS5_8ELb0ES3_jPKdPS6_PKS6_NS0_5tupleIJPdS6_EEENSE_IJSB_SB_EEENS0_18inequality_wrapperIN6hipcub16HIPCUB_304000_NS8EqualityEEEPlJS6_EEE10hipError_tPvRmT3_T4_T5_T6_T7_T9_mT8_P12ihipStream_tbDpT10_ENKUlT_T0_E_clISt17integral_constantIbLb0EES16_IbLb1EEEEDaS12_S13_EUlS12_E_NS1_11comp_targetILNS1_3genE2ELNS1_11target_archE906ELNS1_3gpuE6ELNS1_3repE0EEENS1_30default_config_static_selectorELNS0_4arch9wavefront6targetE1EEEvT1_.kd
    .uniform_work_group_size: 1
    .uses_dynamic_stack: false
    .vgpr_count:     0
    .vgpr_spill_count: 0
    .wavefront_size: 64
  - .agpr_count:     0
    .args:
      - .offset:         0
        .size:           128
        .value_kind:     by_value
    .group_segment_fixed_size: 0
    .kernarg_segment_align: 8
    .kernarg_segment_size: 128
    .language:       OpenCL C
    .language_version:
      - 2
      - 0
    .max_flat_workgroup_size: 384
    .name:           _ZN7rocprim17ROCPRIM_400000_NS6detail17trampoline_kernelINS0_14default_configENS1_25partition_config_selectorILNS1_17partition_subalgoE8EdNS0_10empty_typeEbEEZZNS1_14partition_implILS5_8ELb0ES3_jPKdPS6_PKS6_NS0_5tupleIJPdS6_EEENSE_IJSB_SB_EEENS0_18inequality_wrapperIN6hipcub16HIPCUB_304000_NS8EqualityEEEPlJS6_EEE10hipError_tPvRmT3_T4_T5_T6_T7_T9_mT8_P12ihipStream_tbDpT10_ENKUlT_T0_E_clISt17integral_constantIbLb0EES16_IbLb1EEEEDaS12_S13_EUlS12_E_NS1_11comp_targetILNS1_3genE10ELNS1_11target_archE1200ELNS1_3gpuE4ELNS1_3repE0EEENS1_30default_config_static_selectorELNS0_4arch9wavefront6targetE1EEEvT1_
    .private_segment_fixed_size: 0
    .sgpr_count:     4
    .sgpr_spill_count: 0
    .symbol:         _ZN7rocprim17ROCPRIM_400000_NS6detail17trampoline_kernelINS0_14default_configENS1_25partition_config_selectorILNS1_17partition_subalgoE8EdNS0_10empty_typeEbEEZZNS1_14partition_implILS5_8ELb0ES3_jPKdPS6_PKS6_NS0_5tupleIJPdS6_EEENSE_IJSB_SB_EEENS0_18inequality_wrapperIN6hipcub16HIPCUB_304000_NS8EqualityEEEPlJS6_EEE10hipError_tPvRmT3_T4_T5_T6_T7_T9_mT8_P12ihipStream_tbDpT10_ENKUlT_T0_E_clISt17integral_constantIbLb0EES16_IbLb1EEEEDaS12_S13_EUlS12_E_NS1_11comp_targetILNS1_3genE10ELNS1_11target_archE1200ELNS1_3gpuE4ELNS1_3repE0EEENS1_30default_config_static_selectorELNS0_4arch9wavefront6targetE1EEEvT1_.kd
    .uniform_work_group_size: 1
    .uses_dynamic_stack: false
    .vgpr_count:     0
    .vgpr_spill_count: 0
    .wavefront_size: 64
  - .agpr_count:     0
    .args:
      - .offset:         0
        .size:           128
        .value_kind:     by_value
    .group_segment_fixed_size: 0
    .kernarg_segment_align: 8
    .kernarg_segment_size: 128
    .language:       OpenCL C
    .language_version:
      - 2
      - 0
    .max_flat_workgroup_size: 512
    .name:           _ZN7rocprim17ROCPRIM_400000_NS6detail17trampoline_kernelINS0_14default_configENS1_25partition_config_selectorILNS1_17partition_subalgoE8EdNS0_10empty_typeEbEEZZNS1_14partition_implILS5_8ELb0ES3_jPKdPS6_PKS6_NS0_5tupleIJPdS6_EEENSE_IJSB_SB_EEENS0_18inequality_wrapperIN6hipcub16HIPCUB_304000_NS8EqualityEEEPlJS6_EEE10hipError_tPvRmT3_T4_T5_T6_T7_T9_mT8_P12ihipStream_tbDpT10_ENKUlT_T0_E_clISt17integral_constantIbLb0EES16_IbLb1EEEEDaS12_S13_EUlS12_E_NS1_11comp_targetILNS1_3genE9ELNS1_11target_archE1100ELNS1_3gpuE3ELNS1_3repE0EEENS1_30default_config_static_selectorELNS0_4arch9wavefront6targetE1EEEvT1_
    .private_segment_fixed_size: 0
    .sgpr_count:     4
    .sgpr_spill_count: 0
    .symbol:         _ZN7rocprim17ROCPRIM_400000_NS6detail17trampoline_kernelINS0_14default_configENS1_25partition_config_selectorILNS1_17partition_subalgoE8EdNS0_10empty_typeEbEEZZNS1_14partition_implILS5_8ELb0ES3_jPKdPS6_PKS6_NS0_5tupleIJPdS6_EEENSE_IJSB_SB_EEENS0_18inequality_wrapperIN6hipcub16HIPCUB_304000_NS8EqualityEEEPlJS6_EEE10hipError_tPvRmT3_T4_T5_T6_T7_T9_mT8_P12ihipStream_tbDpT10_ENKUlT_T0_E_clISt17integral_constantIbLb0EES16_IbLb1EEEEDaS12_S13_EUlS12_E_NS1_11comp_targetILNS1_3genE9ELNS1_11target_archE1100ELNS1_3gpuE3ELNS1_3repE0EEENS1_30default_config_static_selectorELNS0_4arch9wavefront6targetE1EEEvT1_.kd
    .uniform_work_group_size: 1
    .uses_dynamic_stack: false
    .vgpr_count:     0
    .vgpr_spill_count: 0
    .wavefront_size: 64
  - .agpr_count:     0
    .args:
      - .offset:         0
        .size:           128
        .value_kind:     by_value
    .group_segment_fixed_size: 0
    .kernarg_segment_align: 8
    .kernarg_segment_size: 128
    .language:       OpenCL C
    .language_version:
      - 2
      - 0
    .max_flat_workgroup_size: 512
    .name:           _ZN7rocprim17ROCPRIM_400000_NS6detail17trampoline_kernelINS0_14default_configENS1_25partition_config_selectorILNS1_17partition_subalgoE8EdNS0_10empty_typeEbEEZZNS1_14partition_implILS5_8ELb0ES3_jPKdPS6_PKS6_NS0_5tupleIJPdS6_EEENSE_IJSB_SB_EEENS0_18inequality_wrapperIN6hipcub16HIPCUB_304000_NS8EqualityEEEPlJS6_EEE10hipError_tPvRmT3_T4_T5_T6_T7_T9_mT8_P12ihipStream_tbDpT10_ENKUlT_T0_E_clISt17integral_constantIbLb0EES16_IbLb1EEEEDaS12_S13_EUlS12_E_NS1_11comp_targetILNS1_3genE8ELNS1_11target_archE1030ELNS1_3gpuE2ELNS1_3repE0EEENS1_30default_config_static_selectorELNS0_4arch9wavefront6targetE1EEEvT1_
    .private_segment_fixed_size: 0
    .sgpr_count:     4
    .sgpr_spill_count: 0
    .symbol:         _ZN7rocprim17ROCPRIM_400000_NS6detail17trampoline_kernelINS0_14default_configENS1_25partition_config_selectorILNS1_17partition_subalgoE8EdNS0_10empty_typeEbEEZZNS1_14partition_implILS5_8ELb0ES3_jPKdPS6_PKS6_NS0_5tupleIJPdS6_EEENSE_IJSB_SB_EEENS0_18inequality_wrapperIN6hipcub16HIPCUB_304000_NS8EqualityEEEPlJS6_EEE10hipError_tPvRmT3_T4_T5_T6_T7_T9_mT8_P12ihipStream_tbDpT10_ENKUlT_T0_E_clISt17integral_constantIbLb0EES16_IbLb1EEEEDaS12_S13_EUlS12_E_NS1_11comp_targetILNS1_3genE8ELNS1_11target_archE1030ELNS1_3gpuE2ELNS1_3repE0EEENS1_30default_config_static_selectorELNS0_4arch9wavefront6targetE1EEEvT1_.kd
    .uniform_work_group_size: 1
    .uses_dynamic_stack: false
    .vgpr_count:     0
    .vgpr_spill_count: 0
    .wavefront_size: 64
  - .agpr_count:     0
    .args:
      - .offset:         0
        .size:           128
        .value_kind:     by_value
    .group_segment_fixed_size: 0
    .kernarg_segment_align: 8
    .kernarg_segment_size: 128
    .language:       OpenCL C
    .language_version:
      - 2
      - 0
    .max_flat_workgroup_size: 256
    .name:           _ZN7rocprim17ROCPRIM_400000_NS6detail17trampoline_kernelINS0_14default_configENS1_33run_length_encode_config_selectorIdjNS0_4plusIjEEEEZZNS1_33reduce_by_key_impl_wrapped_configILNS1_25lookback_scan_determinismE0ES3_S7_PKdNS0_17constant_iteratorIjlEEPdPlSF_S6_NS0_8equal_toIdEEEE10hipError_tPvRmT2_T3_mT4_T5_T6_T7_T8_P12ihipStream_tbENKUlT_T0_E_clISt17integral_constantIbLb0EESZ_EEDaSU_SV_EUlSU_E_NS1_11comp_targetILNS1_3genE0ELNS1_11target_archE4294967295ELNS1_3gpuE0ELNS1_3repE0EEENS1_30default_config_static_selectorELNS0_4arch9wavefront6targetE1EEEvT1_
    .private_segment_fixed_size: 0
    .sgpr_count:     4
    .sgpr_spill_count: 0
    .symbol:         _ZN7rocprim17ROCPRIM_400000_NS6detail17trampoline_kernelINS0_14default_configENS1_33run_length_encode_config_selectorIdjNS0_4plusIjEEEEZZNS1_33reduce_by_key_impl_wrapped_configILNS1_25lookback_scan_determinismE0ES3_S7_PKdNS0_17constant_iteratorIjlEEPdPlSF_S6_NS0_8equal_toIdEEEE10hipError_tPvRmT2_T3_mT4_T5_T6_T7_T8_P12ihipStream_tbENKUlT_T0_E_clISt17integral_constantIbLb0EESZ_EEDaSU_SV_EUlSU_E_NS1_11comp_targetILNS1_3genE0ELNS1_11target_archE4294967295ELNS1_3gpuE0ELNS1_3repE0EEENS1_30default_config_static_selectorELNS0_4arch9wavefront6targetE1EEEvT1_.kd
    .uniform_work_group_size: 1
    .uses_dynamic_stack: false
    .vgpr_count:     0
    .vgpr_spill_count: 0
    .wavefront_size: 64
  - .agpr_count:     0
    .args:
      - .offset:         0
        .size:           128
        .value_kind:     by_value
    .group_segment_fixed_size: 0
    .kernarg_segment_align: 8
    .kernarg_segment_size: 128
    .language:       OpenCL C
    .language_version:
      - 2
      - 0
    .max_flat_workgroup_size: 512
    .name:           _ZN7rocprim17ROCPRIM_400000_NS6detail17trampoline_kernelINS0_14default_configENS1_33run_length_encode_config_selectorIdjNS0_4plusIjEEEEZZNS1_33reduce_by_key_impl_wrapped_configILNS1_25lookback_scan_determinismE0ES3_S7_PKdNS0_17constant_iteratorIjlEEPdPlSF_S6_NS0_8equal_toIdEEEE10hipError_tPvRmT2_T3_mT4_T5_T6_T7_T8_P12ihipStream_tbENKUlT_T0_E_clISt17integral_constantIbLb0EESZ_EEDaSU_SV_EUlSU_E_NS1_11comp_targetILNS1_3genE5ELNS1_11target_archE942ELNS1_3gpuE9ELNS1_3repE0EEENS1_30default_config_static_selectorELNS0_4arch9wavefront6targetE1EEEvT1_
    .private_segment_fixed_size: 0
    .sgpr_count:     4
    .sgpr_spill_count: 0
    .symbol:         _ZN7rocprim17ROCPRIM_400000_NS6detail17trampoline_kernelINS0_14default_configENS1_33run_length_encode_config_selectorIdjNS0_4plusIjEEEEZZNS1_33reduce_by_key_impl_wrapped_configILNS1_25lookback_scan_determinismE0ES3_S7_PKdNS0_17constant_iteratorIjlEEPdPlSF_S6_NS0_8equal_toIdEEEE10hipError_tPvRmT2_T3_mT4_T5_T6_T7_T8_P12ihipStream_tbENKUlT_T0_E_clISt17integral_constantIbLb0EESZ_EEDaSU_SV_EUlSU_E_NS1_11comp_targetILNS1_3genE5ELNS1_11target_archE942ELNS1_3gpuE9ELNS1_3repE0EEENS1_30default_config_static_selectorELNS0_4arch9wavefront6targetE1EEEvT1_.kd
    .uniform_work_group_size: 1
    .uses_dynamic_stack: false
    .vgpr_count:     0
    .vgpr_spill_count: 0
    .wavefront_size: 64
  - .agpr_count:     0
    .args:
      - .offset:         0
        .size:           128
        .value_kind:     by_value
    .group_segment_fixed_size: 20480
    .kernarg_segment_align: 8
    .kernarg_segment_size: 128
    .language:       OpenCL C
    .language_version:
      - 2
      - 0
    .max_flat_workgroup_size: 256
    .name:           _ZN7rocprim17ROCPRIM_400000_NS6detail17trampoline_kernelINS0_14default_configENS1_33run_length_encode_config_selectorIdjNS0_4plusIjEEEEZZNS1_33reduce_by_key_impl_wrapped_configILNS1_25lookback_scan_determinismE0ES3_S7_PKdNS0_17constant_iteratorIjlEEPdPlSF_S6_NS0_8equal_toIdEEEE10hipError_tPvRmT2_T3_mT4_T5_T6_T7_T8_P12ihipStream_tbENKUlT_T0_E_clISt17integral_constantIbLb0EESZ_EEDaSU_SV_EUlSU_E_NS1_11comp_targetILNS1_3genE4ELNS1_11target_archE910ELNS1_3gpuE8ELNS1_3repE0EEENS1_30default_config_static_selectorELNS0_4arch9wavefront6targetE1EEEvT1_
    .private_segment_fixed_size: 0
    .sgpr_count:     58
    .sgpr_spill_count: 0
    .symbol:         _ZN7rocprim17ROCPRIM_400000_NS6detail17trampoline_kernelINS0_14default_configENS1_33run_length_encode_config_selectorIdjNS0_4plusIjEEEEZZNS1_33reduce_by_key_impl_wrapped_configILNS1_25lookback_scan_determinismE0ES3_S7_PKdNS0_17constant_iteratorIjlEEPdPlSF_S6_NS0_8equal_toIdEEEE10hipError_tPvRmT2_T3_mT4_T5_T6_T7_T8_P12ihipStream_tbENKUlT_T0_E_clISt17integral_constantIbLb0EESZ_EEDaSU_SV_EUlSU_E_NS1_11comp_targetILNS1_3genE4ELNS1_11target_archE910ELNS1_3gpuE8ELNS1_3repE0EEENS1_30default_config_static_selectorELNS0_4arch9wavefront6targetE1EEEvT1_.kd
    .uniform_work_group_size: 1
    .uses_dynamic_stack: false
    .vgpr_count:     68
    .vgpr_spill_count: 0
    .wavefront_size: 64
  - .agpr_count:     0
    .args:
      - .offset:         0
        .size:           128
        .value_kind:     by_value
    .group_segment_fixed_size: 0
    .kernarg_segment_align: 8
    .kernarg_segment_size: 128
    .language:       OpenCL C
    .language_version:
      - 2
      - 0
    .max_flat_workgroup_size: 256
    .name:           _ZN7rocprim17ROCPRIM_400000_NS6detail17trampoline_kernelINS0_14default_configENS1_33run_length_encode_config_selectorIdjNS0_4plusIjEEEEZZNS1_33reduce_by_key_impl_wrapped_configILNS1_25lookback_scan_determinismE0ES3_S7_PKdNS0_17constant_iteratorIjlEEPdPlSF_S6_NS0_8equal_toIdEEEE10hipError_tPvRmT2_T3_mT4_T5_T6_T7_T8_P12ihipStream_tbENKUlT_T0_E_clISt17integral_constantIbLb0EESZ_EEDaSU_SV_EUlSU_E_NS1_11comp_targetILNS1_3genE3ELNS1_11target_archE908ELNS1_3gpuE7ELNS1_3repE0EEENS1_30default_config_static_selectorELNS0_4arch9wavefront6targetE1EEEvT1_
    .private_segment_fixed_size: 0
    .sgpr_count:     4
    .sgpr_spill_count: 0
    .symbol:         _ZN7rocprim17ROCPRIM_400000_NS6detail17trampoline_kernelINS0_14default_configENS1_33run_length_encode_config_selectorIdjNS0_4plusIjEEEEZZNS1_33reduce_by_key_impl_wrapped_configILNS1_25lookback_scan_determinismE0ES3_S7_PKdNS0_17constant_iteratorIjlEEPdPlSF_S6_NS0_8equal_toIdEEEE10hipError_tPvRmT2_T3_mT4_T5_T6_T7_T8_P12ihipStream_tbENKUlT_T0_E_clISt17integral_constantIbLb0EESZ_EEDaSU_SV_EUlSU_E_NS1_11comp_targetILNS1_3genE3ELNS1_11target_archE908ELNS1_3gpuE7ELNS1_3repE0EEENS1_30default_config_static_selectorELNS0_4arch9wavefront6targetE1EEEvT1_.kd
    .uniform_work_group_size: 1
    .uses_dynamic_stack: false
    .vgpr_count:     0
    .vgpr_spill_count: 0
    .wavefront_size: 64
  - .agpr_count:     0
    .args:
      - .offset:         0
        .size:           128
        .value_kind:     by_value
    .group_segment_fixed_size: 0
    .kernarg_segment_align: 8
    .kernarg_segment_size: 128
    .language:       OpenCL C
    .language_version:
      - 2
      - 0
    .max_flat_workgroup_size: 256
    .name:           _ZN7rocprim17ROCPRIM_400000_NS6detail17trampoline_kernelINS0_14default_configENS1_33run_length_encode_config_selectorIdjNS0_4plusIjEEEEZZNS1_33reduce_by_key_impl_wrapped_configILNS1_25lookback_scan_determinismE0ES3_S7_PKdNS0_17constant_iteratorIjlEEPdPlSF_S6_NS0_8equal_toIdEEEE10hipError_tPvRmT2_T3_mT4_T5_T6_T7_T8_P12ihipStream_tbENKUlT_T0_E_clISt17integral_constantIbLb0EESZ_EEDaSU_SV_EUlSU_E_NS1_11comp_targetILNS1_3genE2ELNS1_11target_archE906ELNS1_3gpuE6ELNS1_3repE0EEENS1_30default_config_static_selectorELNS0_4arch9wavefront6targetE1EEEvT1_
    .private_segment_fixed_size: 0
    .sgpr_count:     4
    .sgpr_spill_count: 0
    .symbol:         _ZN7rocprim17ROCPRIM_400000_NS6detail17trampoline_kernelINS0_14default_configENS1_33run_length_encode_config_selectorIdjNS0_4plusIjEEEEZZNS1_33reduce_by_key_impl_wrapped_configILNS1_25lookback_scan_determinismE0ES3_S7_PKdNS0_17constant_iteratorIjlEEPdPlSF_S6_NS0_8equal_toIdEEEE10hipError_tPvRmT2_T3_mT4_T5_T6_T7_T8_P12ihipStream_tbENKUlT_T0_E_clISt17integral_constantIbLb0EESZ_EEDaSU_SV_EUlSU_E_NS1_11comp_targetILNS1_3genE2ELNS1_11target_archE906ELNS1_3gpuE6ELNS1_3repE0EEENS1_30default_config_static_selectorELNS0_4arch9wavefront6targetE1EEEvT1_.kd
    .uniform_work_group_size: 1
    .uses_dynamic_stack: false
    .vgpr_count:     0
    .vgpr_spill_count: 0
    .wavefront_size: 64
  - .agpr_count:     0
    .args:
      - .offset:         0
        .size:           128
        .value_kind:     by_value
    .group_segment_fixed_size: 0
    .kernarg_segment_align: 8
    .kernarg_segment_size: 128
    .language:       OpenCL C
    .language_version:
      - 2
      - 0
    .max_flat_workgroup_size: 512
    .name:           _ZN7rocprim17ROCPRIM_400000_NS6detail17trampoline_kernelINS0_14default_configENS1_33run_length_encode_config_selectorIdjNS0_4plusIjEEEEZZNS1_33reduce_by_key_impl_wrapped_configILNS1_25lookback_scan_determinismE0ES3_S7_PKdNS0_17constant_iteratorIjlEEPdPlSF_S6_NS0_8equal_toIdEEEE10hipError_tPvRmT2_T3_mT4_T5_T6_T7_T8_P12ihipStream_tbENKUlT_T0_E_clISt17integral_constantIbLb0EESZ_EEDaSU_SV_EUlSU_E_NS1_11comp_targetILNS1_3genE10ELNS1_11target_archE1201ELNS1_3gpuE5ELNS1_3repE0EEENS1_30default_config_static_selectorELNS0_4arch9wavefront6targetE1EEEvT1_
    .private_segment_fixed_size: 0
    .sgpr_count:     4
    .sgpr_spill_count: 0
    .symbol:         _ZN7rocprim17ROCPRIM_400000_NS6detail17trampoline_kernelINS0_14default_configENS1_33run_length_encode_config_selectorIdjNS0_4plusIjEEEEZZNS1_33reduce_by_key_impl_wrapped_configILNS1_25lookback_scan_determinismE0ES3_S7_PKdNS0_17constant_iteratorIjlEEPdPlSF_S6_NS0_8equal_toIdEEEE10hipError_tPvRmT2_T3_mT4_T5_T6_T7_T8_P12ihipStream_tbENKUlT_T0_E_clISt17integral_constantIbLb0EESZ_EEDaSU_SV_EUlSU_E_NS1_11comp_targetILNS1_3genE10ELNS1_11target_archE1201ELNS1_3gpuE5ELNS1_3repE0EEENS1_30default_config_static_selectorELNS0_4arch9wavefront6targetE1EEEvT1_.kd
    .uniform_work_group_size: 1
    .uses_dynamic_stack: false
    .vgpr_count:     0
    .vgpr_spill_count: 0
    .wavefront_size: 64
  - .agpr_count:     0
    .args:
      - .offset:         0
        .size:           128
        .value_kind:     by_value
    .group_segment_fixed_size: 0
    .kernarg_segment_align: 8
    .kernarg_segment_size: 128
    .language:       OpenCL C
    .language_version:
      - 2
      - 0
    .max_flat_workgroup_size: 512
    .name:           _ZN7rocprim17ROCPRIM_400000_NS6detail17trampoline_kernelINS0_14default_configENS1_33run_length_encode_config_selectorIdjNS0_4plusIjEEEEZZNS1_33reduce_by_key_impl_wrapped_configILNS1_25lookback_scan_determinismE0ES3_S7_PKdNS0_17constant_iteratorIjlEEPdPlSF_S6_NS0_8equal_toIdEEEE10hipError_tPvRmT2_T3_mT4_T5_T6_T7_T8_P12ihipStream_tbENKUlT_T0_E_clISt17integral_constantIbLb0EESZ_EEDaSU_SV_EUlSU_E_NS1_11comp_targetILNS1_3genE10ELNS1_11target_archE1200ELNS1_3gpuE4ELNS1_3repE0EEENS1_30default_config_static_selectorELNS0_4arch9wavefront6targetE1EEEvT1_
    .private_segment_fixed_size: 0
    .sgpr_count:     4
    .sgpr_spill_count: 0
    .symbol:         _ZN7rocprim17ROCPRIM_400000_NS6detail17trampoline_kernelINS0_14default_configENS1_33run_length_encode_config_selectorIdjNS0_4plusIjEEEEZZNS1_33reduce_by_key_impl_wrapped_configILNS1_25lookback_scan_determinismE0ES3_S7_PKdNS0_17constant_iteratorIjlEEPdPlSF_S6_NS0_8equal_toIdEEEE10hipError_tPvRmT2_T3_mT4_T5_T6_T7_T8_P12ihipStream_tbENKUlT_T0_E_clISt17integral_constantIbLb0EESZ_EEDaSU_SV_EUlSU_E_NS1_11comp_targetILNS1_3genE10ELNS1_11target_archE1200ELNS1_3gpuE4ELNS1_3repE0EEENS1_30default_config_static_selectorELNS0_4arch9wavefront6targetE1EEEvT1_.kd
    .uniform_work_group_size: 1
    .uses_dynamic_stack: false
    .vgpr_count:     0
    .vgpr_spill_count: 0
    .wavefront_size: 64
  - .agpr_count:     0
    .args:
      - .offset:         0
        .size:           128
        .value_kind:     by_value
    .group_segment_fixed_size: 0
    .kernarg_segment_align: 8
    .kernarg_segment_size: 128
    .language:       OpenCL C
    .language_version:
      - 2
      - 0
    .max_flat_workgroup_size: 512
    .name:           _ZN7rocprim17ROCPRIM_400000_NS6detail17trampoline_kernelINS0_14default_configENS1_33run_length_encode_config_selectorIdjNS0_4plusIjEEEEZZNS1_33reduce_by_key_impl_wrapped_configILNS1_25lookback_scan_determinismE0ES3_S7_PKdNS0_17constant_iteratorIjlEEPdPlSF_S6_NS0_8equal_toIdEEEE10hipError_tPvRmT2_T3_mT4_T5_T6_T7_T8_P12ihipStream_tbENKUlT_T0_E_clISt17integral_constantIbLb0EESZ_EEDaSU_SV_EUlSU_E_NS1_11comp_targetILNS1_3genE9ELNS1_11target_archE1100ELNS1_3gpuE3ELNS1_3repE0EEENS1_30default_config_static_selectorELNS0_4arch9wavefront6targetE1EEEvT1_
    .private_segment_fixed_size: 0
    .sgpr_count:     4
    .sgpr_spill_count: 0
    .symbol:         _ZN7rocprim17ROCPRIM_400000_NS6detail17trampoline_kernelINS0_14default_configENS1_33run_length_encode_config_selectorIdjNS0_4plusIjEEEEZZNS1_33reduce_by_key_impl_wrapped_configILNS1_25lookback_scan_determinismE0ES3_S7_PKdNS0_17constant_iteratorIjlEEPdPlSF_S6_NS0_8equal_toIdEEEE10hipError_tPvRmT2_T3_mT4_T5_T6_T7_T8_P12ihipStream_tbENKUlT_T0_E_clISt17integral_constantIbLb0EESZ_EEDaSU_SV_EUlSU_E_NS1_11comp_targetILNS1_3genE9ELNS1_11target_archE1100ELNS1_3gpuE3ELNS1_3repE0EEENS1_30default_config_static_selectorELNS0_4arch9wavefront6targetE1EEEvT1_.kd
    .uniform_work_group_size: 1
    .uses_dynamic_stack: false
    .vgpr_count:     0
    .vgpr_spill_count: 0
    .wavefront_size: 64
  - .agpr_count:     0
    .args:
      - .offset:         0
        .size:           128
        .value_kind:     by_value
    .group_segment_fixed_size: 0
    .kernarg_segment_align: 8
    .kernarg_segment_size: 128
    .language:       OpenCL C
    .language_version:
      - 2
      - 0
    .max_flat_workgroup_size: 512
    .name:           _ZN7rocprim17ROCPRIM_400000_NS6detail17trampoline_kernelINS0_14default_configENS1_33run_length_encode_config_selectorIdjNS0_4plusIjEEEEZZNS1_33reduce_by_key_impl_wrapped_configILNS1_25lookback_scan_determinismE0ES3_S7_PKdNS0_17constant_iteratorIjlEEPdPlSF_S6_NS0_8equal_toIdEEEE10hipError_tPvRmT2_T3_mT4_T5_T6_T7_T8_P12ihipStream_tbENKUlT_T0_E_clISt17integral_constantIbLb0EESZ_EEDaSU_SV_EUlSU_E_NS1_11comp_targetILNS1_3genE8ELNS1_11target_archE1030ELNS1_3gpuE2ELNS1_3repE0EEENS1_30default_config_static_selectorELNS0_4arch9wavefront6targetE1EEEvT1_
    .private_segment_fixed_size: 0
    .sgpr_count:     4
    .sgpr_spill_count: 0
    .symbol:         _ZN7rocprim17ROCPRIM_400000_NS6detail17trampoline_kernelINS0_14default_configENS1_33run_length_encode_config_selectorIdjNS0_4plusIjEEEEZZNS1_33reduce_by_key_impl_wrapped_configILNS1_25lookback_scan_determinismE0ES3_S7_PKdNS0_17constant_iteratorIjlEEPdPlSF_S6_NS0_8equal_toIdEEEE10hipError_tPvRmT2_T3_mT4_T5_T6_T7_T8_P12ihipStream_tbENKUlT_T0_E_clISt17integral_constantIbLb0EESZ_EEDaSU_SV_EUlSU_E_NS1_11comp_targetILNS1_3genE8ELNS1_11target_archE1030ELNS1_3gpuE2ELNS1_3repE0EEENS1_30default_config_static_selectorELNS0_4arch9wavefront6targetE1EEEvT1_.kd
    .uniform_work_group_size: 1
    .uses_dynamic_stack: false
    .vgpr_count:     0
    .vgpr_spill_count: 0
    .wavefront_size: 64
  - .agpr_count:     0
    .args:
      - .offset:         0
        .size:           128
        .value_kind:     by_value
    .group_segment_fixed_size: 0
    .kernarg_segment_align: 8
    .kernarg_segment_size: 128
    .language:       OpenCL C
    .language_version:
      - 2
      - 0
    .max_flat_workgroup_size: 256
    .name:           _ZN7rocprim17ROCPRIM_400000_NS6detail17trampoline_kernelINS0_14default_configENS1_33run_length_encode_config_selectorIdjNS0_4plusIjEEEEZZNS1_33reduce_by_key_impl_wrapped_configILNS1_25lookback_scan_determinismE0ES3_S7_PKdNS0_17constant_iteratorIjlEEPdPlSF_S6_NS0_8equal_toIdEEEE10hipError_tPvRmT2_T3_mT4_T5_T6_T7_T8_P12ihipStream_tbENKUlT_T0_E_clISt17integral_constantIbLb1EESZ_EEDaSU_SV_EUlSU_E_NS1_11comp_targetILNS1_3genE0ELNS1_11target_archE4294967295ELNS1_3gpuE0ELNS1_3repE0EEENS1_30default_config_static_selectorELNS0_4arch9wavefront6targetE1EEEvT1_
    .private_segment_fixed_size: 0
    .sgpr_count:     4
    .sgpr_spill_count: 0
    .symbol:         _ZN7rocprim17ROCPRIM_400000_NS6detail17trampoline_kernelINS0_14default_configENS1_33run_length_encode_config_selectorIdjNS0_4plusIjEEEEZZNS1_33reduce_by_key_impl_wrapped_configILNS1_25lookback_scan_determinismE0ES3_S7_PKdNS0_17constant_iteratorIjlEEPdPlSF_S6_NS0_8equal_toIdEEEE10hipError_tPvRmT2_T3_mT4_T5_T6_T7_T8_P12ihipStream_tbENKUlT_T0_E_clISt17integral_constantIbLb1EESZ_EEDaSU_SV_EUlSU_E_NS1_11comp_targetILNS1_3genE0ELNS1_11target_archE4294967295ELNS1_3gpuE0ELNS1_3repE0EEENS1_30default_config_static_selectorELNS0_4arch9wavefront6targetE1EEEvT1_.kd
    .uniform_work_group_size: 1
    .uses_dynamic_stack: false
    .vgpr_count:     0
    .vgpr_spill_count: 0
    .wavefront_size: 64
  - .agpr_count:     0
    .args:
      - .offset:         0
        .size:           128
        .value_kind:     by_value
    .group_segment_fixed_size: 0
    .kernarg_segment_align: 8
    .kernarg_segment_size: 128
    .language:       OpenCL C
    .language_version:
      - 2
      - 0
    .max_flat_workgroup_size: 512
    .name:           _ZN7rocprim17ROCPRIM_400000_NS6detail17trampoline_kernelINS0_14default_configENS1_33run_length_encode_config_selectorIdjNS0_4plusIjEEEEZZNS1_33reduce_by_key_impl_wrapped_configILNS1_25lookback_scan_determinismE0ES3_S7_PKdNS0_17constant_iteratorIjlEEPdPlSF_S6_NS0_8equal_toIdEEEE10hipError_tPvRmT2_T3_mT4_T5_T6_T7_T8_P12ihipStream_tbENKUlT_T0_E_clISt17integral_constantIbLb1EESZ_EEDaSU_SV_EUlSU_E_NS1_11comp_targetILNS1_3genE5ELNS1_11target_archE942ELNS1_3gpuE9ELNS1_3repE0EEENS1_30default_config_static_selectorELNS0_4arch9wavefront6targetE1EEEvT1_
    .private_segment_fixed_size: 0
    .sgpr_count:     4
    .sgpr_spill_count: 0
    .symbol:         _ZN7rocprim17ROCPRIM_400000_NS6detail17trampoline_kernelINS0_14default_configENS1_33run_length_encode_config_selectorIdjNS0_4plusIjEEEEZZNS1_33reduce_by_key_impl_wrapped_configILNS1_25lookback_scan_determinismE0ES3_S7_PKdNS0_17constant_iteratorIjlEEPdPlSF_S6_NS0_8equal_toIdEEEE10hipError_tPvRmT2_T3_mT4_T5_T6_T7_T8_P12ihipStream_tbENKUlT_T0_E_clISt17integral_constantIbLb1EESZ_EEDaSU_SV_EUlSU_E_NS1_11comp_targetILNS1_3genE5ELNS1_11target_archE942ELNS1_3gpuE9ELNS1_3repE0EEENS1_30default_config_static_selectorELNS0_4arch9wavefront6targetE1EEEvT1_.kd
    .uniform_work_group_size: 1
    .uses_dynamic_stack: false
    .vgpr_count:     0
    .vgpr_spill_count: 0
    .wavefront_size: 64
  - .agpr_count:     0
    .args:
      - .offset:         0
        .size:           128
        .value_kind:     by_value
    .group_segment_fixed_size: 20480
    .kernarg_segment_align: 8
    .kernarg_segment_size: 128
    .language:       OpenCL C
    .language_version:
      - 2
      - 0
    .max_flat_workgroup_size: 256
    .name:           _ZN7rocprim17ROCPRIM_400000_NS6detail17trampoline_kernelINS0_14default_configENS1_33run_length_encode_config_selectorIdjNS0_4plusIjEEEEZZNS1_33reduce_by_key_impl_wrapped_configILNS1_25lookback_scan_determinismE0ES3_S7_PKdNS0_17constant_iteratorIjlEEPdPlSF_S6_NS0_8equal_toIdEEEE10hipError_tPvRmT2_T3_mT4_T5_T6_T7_T8_P12ihipStream_tbENKUlT_T0_E_clISt17integral_constantIbLb1EESZ_EEDaSU_SV_EUlSU_E_NS1_11comp_targetILNS1_3genE4ELNS1_11target_archE910ELNS1_3gpuE8ELNS1_3repE0EEENS1_30default_config_static_selectorELNS0_4arch9wavefront6targetE1EEEvT1_
    .private_segment_fixed_size: 0
    .sgpr_count:     60
    .sgpr_spill_count: 0
    .symbol:         _ZN7rocprim17ROCPRIM_400000_NS6detail17trampoline_kernelINS0_14default_configENS1_33run_length_encode_config_selectorIdjNS0_4plusIjEEEEZZNS1_33reduce_by_key_impl_wrapped_configILNS1_25lookback_scan_determinismE0ES3_S7_PKdNS0_17constant_iteratorIjlEEPdPlSF_S6_NS0_8equal_toIdEEEE10hipError_tPvRmT2_T3_mT4_T5_T6_T7_T8_P12ihipStream_tbENKUlT_T0_E_clISt17integral_constantIbLb1EESZ_EEDaSU_SV_EUlSU_E_NS1_11comp_targetILNS1_3genE4ELNS1_11target_archE910ELNS1_3gpuE8ELNS1_3repE0EEENS1_30default_config_static_selectorELNS0_4arch9wavefront6targetE1EEEvT1_.kd
    .uniform_work_group_size: 1
    .uses_dynamic_stack: false
    .vgpr_count:     68
    .vgpr_spill_count: 0
    .wavefront_size: 64
  - .agpr_count:     0
    .args:
      - .offset:         0
        .size:           128
        .value_kind:     by_value
    .group_segment_fixed_size: 0
    .kernarg_segment_align: 8
    .kernarg_segment_size: 128
    .language:       OpenCL C
    .language_version:
      - 2
      - 0
    .max_flat_workgroup_size: 256
    .name:           _ZN7rocprim17ROCPRIM_400000_NS6detail17trampoline_kernelINS0_14default_configENS1_33run_length_encode_config_selectorIdjNS0_4plusIjEEEEZZNS1_33reduce_by_key_impl_wrapped_configILNS1_25lookback_scan_determinismE0ES3_S7_PKdNS0_17constant_iteratorIjlEEPdPlSF_S6_NS0_8equal_toIdEEEE10hipError_tPvRmT2_T3_mT4_T5_T6_T7_T8_P12ihipStream_tbENKUlT_T0_E_clISt17integral_constantIbLb1EESZ_EEDaSU_SV_EUlSU_E_NS1_11comp_targetILNS1_3genE3ELNS1_11target_archE908ELNS1_3gpuE7ELNS1_3repE0EEENS1_30default_config_static_selectorELNS0_4arch9wavefront6targetE1EEEvT1_
    .private_segment_fixed_size: 0
    .sgpr_count:     4
    .sgpr_spill_count: 0
    .symbol:         _ZN7rocprim17ROCPRIM_400000_NS6detail17trampoline_kernelINS0_14default_configENS1_33run_length_encode_config_selectorIdjNS0_4plusIjEEEEZZNS1_33reduce_by_key_impl_wrapped_configILNS1_25lookback_scan_determinismE0ES3_S7_PKdNS0_17constant_iteratorIjlEEPdPlSF_S6_NS0_8equal_toIdEEEE10hipError_tPvRmT2_T3_mT4_T5_T6_T7_T8_P12ihipStream_tbENKUlT_T0_E_clISt17integral_constantIbLb1EESZ_EEDaSU_SV_EUlSU_E_NS1_11comp_targetILNS1_3genE3ELNS1_11target_archE908ELNS1_3gpuE7ELNS1_3repE0EEENS1_30default_config_static_selectorELNS0_4arch9wavefront6targetE1EEEvT1_.kd
    .uniform_work_group_size: 1
    .uses_dynamic_stack: false
    .vgpr_count:     0
    .vgpr_spill_count: 0
    .wavefront_size: 64
  - .agpr_count:     0
    .args:
      - .offset:         0
        .size:           128
        .value_kind:     by_value
    .group_segment_fixed_size: 0
    .kernarg_segment_align: 8
    .kernarg_segment_size: 128
    .language:       OpenCL C
    .language_version:
      - 2
      - 0
    .max_flat_workgroup_size: 256
    .name:           _ZN7rocprim17ROCPRIM_400000_NS6detail17trampoline_kernelINS0_14default_configENS1_33run_length_encode_config_selectorIdjNS0_4plusIjEEEEZZNS1_33reduce_by_key_impl_wrapped_configILNS1_25lookback_scan_determinismE0ES3_S7_PKdNS0_17constant_iteratorIjlEEPdPlSF_S6_NS0_8equal_toIdEEEE10hipError_tPvRmT2_T3_mT4_T5_T6_T7_T8_P12ihipStream_tbENKUlT_T0_E_clISt17integral_constantIbLb1EESZ_EEDaSU_SV_EUlSU_E_NS1_11comp_targetILNS1_3genE2ELNS1_11target_archE906ELNS1_3gpuE6ELNS1_3repE0EEENS1_30default_config_static_selectorELNS0_4arch9wavefront6targetE1EEEvT1_
    .private_segment_fixed_size: 0
    .sgpr_count:     4
    .sgpr_spill_count: 0
    .symbol:         _ZN7rocprim17ROCPRIM_400000_NS6detail17trampoline_kernelINS0_14default_configENS1_33run_length_encode_config_selectorIdjNS0_4plusIjEEEEZZNS1_33reduce_by_key_impl_wrapped_configILNS1_25lookback_scan_determinismE0ES3_S7_PKdNS0_17constant_iteratorIjlEEPdPlSF_S6_NS0_8equal_toIdEEEE10hipError_tPvRmT2_T3_mT4_T5_T6_T7_T8_P12ihipStream_tbENKUlT_T0_E_clISt17integral_constantIbLb1EESZ_EEDaSU_SV_EUlSU_E_NS1_11comp_targetILNS1_3genE2ELNS1_11target_archE906ELNS1_3gpuE6ELNS1_3repE0EEENS1_30default_config_static_selectorELNS0_4arch9wavefront6targetE1EEEvT1_.kd
    .uniform_work_group_size: 1
    .uses_dynamic_stack: false
    .vgpr_count:     0
    .vgpr_spill_count: 0
    .wavefront_size: 64
  - .agpr_count:     0
    .args:
      - .offset:         0
        .size:           128
        .value_kind:     by_value
    .group_segment_fixed_size: 0
    .kernarg_segment_align: 8
    .kernarg_segment_size: 128
    .language:       OpenCL C
    .language_version:
      - 2
      - 0
    .max_flat_workgroup_size: 512
    .name:           _ZN7rocprim17ROCPRIM_400000_NS6detail17trampoline_kernelINS0_14default_configENS1_33run_length_encode_config_selectorIdjNS0_4plusIjEEEEZZNS1_33reduce_by_key_impl_wrapped_configILNS1_25lookback_scan_determinismE0ES3_S7_PKdNS0_17constant_iteratorIjlEEPdPlSF_S6_NS0_8equal_toIdEEEE10hipError_tPvRmT2_T3_mT4_T5_T6_T7_T8_P12ihipStream_tbENKUlT_T0_E_clISt17integral_constantIbLb1EESZ_EEDaSU_SV_EUlSU_E_NS1_11comp_targetILNS1_3genE10ELNS1_11target_archE1201ELNS1_3gpuE5ELNS1_3repE0EEENS1_30default_config_static_selectorELNS0_4arch9wavefront6targetE1EEEvT1_
    .private_segment_fixed_size: 0
    .sgpr_count:     4
    .sgpr_spill_count: 0
    .symbol:         _ZN7rocprim17ROCPRIM_400000_NS6detail17trampoline_kernelINS0_14default_configENS1_33run_length_encode_config_selectorIdjNS0_4plusIjEEEEZZNS1_33reduce_by_key_impl_wrapped_configILNS1_25lookback_scan_determinismE0ES3_S7_PKdNS0_17constant_iteratorIjlEEPdPlSF_S6_NS0_8equal_toIdEEEE10hipError_tPvRmT2_T3_mT4_T5_T6_T7_T8_P12ihipStream_tbENKUlT_T0_E_clISt17integral_constantIbLb1EESZ_EEDaSU_SV_EUlSU_E_NS1_11comp_targetILNS1_3genE10ELNS1_11target_archE1201ELNS1_3gpuE5ELNS1_3repE0EEENS1_30default_config_static_selectorELNS0_4arch9wavefront6targetE1EEEvT1_.kd
    .uniform_work_group_size: 1
    .uses_dynamic_stack: false
    .vgpr_count:     0
    .vgpr_spill_count: 0
    .wavefront_size: 64
  - .agpr_count:     0
    .args:
      - .offset:         0
        .size:           128
        .value_kind:     by_value
    .group_segment_fixed_size: 0
    .kernarg_segment_align: 8
    .kernarg_segment_size: 128
    .language:       OpenCL C
    .language_version:
      - 2
      - 0
    .max_flat_workgroup_size: 512
    .name:           _ZN7rocprim17ROCPRIM_400000_NS6detail17trampoline_kernelINS0_14default_configENS1_33run_length_encode_config_selectorIdjNS0_4plusIjEEEEZZNS1_33reduce_by_key_impl_wrapped_configILNS1_25lookback_scan_determinismE0ES3_S7_PKdNS0_17constant_iteratorIjlEEPdPlSF_S6_NS0_8equal_toIdEEEE10hipError_tPvRmT2_T3_mT4_T5_T6_T7_T8_P12ihipStream_tbENKUlT_T0_E_clISt17integral_constantIbLb1EESZ_EEDaSU_SV_EUlSU_E_NS1_11comp_targetILNS1_3genE10ELNS1_11target_archE1200ELNS1_3gpuE4ELNS1_3repE0EEENS1_30default_config_static_selectorELNS0_4arch9wavefront6targetE1EEEvT1_
    .private_segment_fixed_size: 0
    .sgpr_count:     4
    .sgpr_spill_count: 0
    .symbol:         _ZN7rocprim17ROCPRIM_400000_NS6detail17trampoline_kernelINS0_14default_configENS1_33run_length_encode_config_selectorIdjNS0_4plusIjEEEEZZNS1_33reduce_by_key_impl_wrapped_configILNS1_25lookback_scan_determinismE0ES3_S7_PKdNS0_17constant_iteratorIjlEEPdPlSF_S6_NS0_8equal_toIdEEEE10hipError_tPvRmT2_T3_mT4_T5_T6_T7_T8_P12ihipStream_tbENKUlT_T0_E_clISt17integral_constantIbLb1EESZ_EEDaSU_SV_EUlSU_E_NS1_11comp_targetILNS1_3genE10ELNS1_11target_archE1200ELNS1_3gpuE4ELNS1_3repE0EEENS1_30default_config_static_selectorELNS0_4arch9wavefront6targetE1EEEvT1_.kd
    .uniform_work_group_size: 1
    .uses_dynamic_stack: false
    .vgpr_count:     0
    .vgpr_spill_count: 0
    .wavefront_size: 64
  - .agpr_count:     0
    .args:
      - .offset:         0
        .size:           128
        .value_kind:     by_value
    .group_segment_fixed_size: 0
    .kernarg_segment_align: 8
    .kernarg_segment_size: 128
    .language:       OpenCL C
    .language_version:
      - 2
      - 0
    .max_flat_workgroup_size: 512
    .name:           _ZN7rocprim17ROCPRIM_400000_NS6detail17trampoline_kernelINS0_14default_configENS1_33run_length_encode_config_selectorIdjNS0_4plusIjEEEEZZNS1_33reduce_by_key_impl_wrapped_configILNS1_25lookback_scan_determinismE0ES3_S7_PKdNS0_17constant_iteratorIjlEEPdPlSF_S6_NS0_8equal_toIdEEEE10hipError_tPvRmT2_T3_mT4_T5_T6_T7_T8_P12ihipStream_tbENKUlT_T0_E_clISt17integral_constantIbLb1EESZ_EEDaSU_SV_EUlSU_E_NS1_11comp_targetILNS1_3genE9ELNS1_11target_archE1100ELNS1_3gpuE3ELNS1_3repE0EEENS1_30default_config_static_selectorELNS0_4arch9wavefront6targetE1EEEvT1_
    .private_segment_fixed_size: 0
    .sgpr_count:     4
    .sgpr_spill_count: 0
    .symbol:         _ZN7rocprim17ROCPRIM_400000_NS6detail17trampoline_kernelINS0_14default_configENS1_33run_length_encode_config_selectorIdjNS0_4plusIjEEEEZZNS1_33reduce_by_key_impl_wrapped_configILNS1_25lookback_scan_determinismE0ES3_S7_PKdNS0_17constant_iteratorIjlEEPdPlSF_S6_NS0_8equal_toIdEEEE10hipError_tPvRmT2_T3_mT4_T5_T6_T7_T8_P12ihipStream_tbENKUlT_T0_E_clISt17integral_constantIbLb1EESZ_EEDaSU_SV_EUlSU_E_NS1_11comp_targetILNS1_3genE9ELNS1_11target_archE1100ELNS1_3gpuE3ELNS1_3repE0EEENS1_30default_config_static_selectorELNS0_4arch9wavefront6targetE1EEEvT1_.kd
    .uniform_work_group_size: 1
    .uses_dynamic_stack: false
    .vgpr_count:     0
    .vgpr_spill_count: 0
    .wavefront_size: 64
  - .agpr_count:     0
    .args:
      - .offset:         0
        .size:           128
        .value_kind:     by_value
    .group_segment_fixed_size: 0
    .kernarg_segment_align: 8
    .kernarg_segment_size: 128
    .language:       OpenCL C
    .language_version:
      - 2
      - 0
    .max_flat_workgroup_size: 512
    .name:           _ZN7rocprim17ROCPRIM_400000_NS6detail17trampoline_kernelINS0_14default_configENS1_33run_length_encode_config_selectorIdjNS0_4plusIjEEEEZZNS1_33reduce_by_key_impl_wrapped_configILNS1_25lookback_scan_determinismE0ES3_S7_PKdNS0_17constant_iteratorIjlEEPdPlSF_S6_NS0_8equal_toIdEEEE10hipError_tPvRmT2_T3_mT4_T5_T6_T7_T8_P12ihipStream_tbENKUlT_T0_E_clISt17integral_constantIbLb1EESZ_EEDaSU_SV_EUlSU_E_NS1_11comp_targetILNS1_3genE8ELNS1_11target_archE1030ELNS1_3gpuE2ELNS1_3repE0EEENS1_30default_config_static_selectorELNS0_4arch9wavefront6targetE1EEEvT1_
    .private_segment_fixed_size: 0
    .sgpr_count:     4
    .sgpr_spill_count: 0
    .symbol:         _ZN7rocprim17ROCPRIM_400000_NS6detail17trampoline_kernelINS0_14default_configENS1_33run_length_encode_config_selectorIdjNS0_4plusIjEEEEZZNS1_33reduce_by_key_impl_wrapped_configILNS1_25lookback_scan_determinismE0ES3_S7_PKdNS0_17constant_iteratorIjlEEPdPlSF_S6_NS0_8equal_toIdEEEE10hipError_tPvRmT2_T3_mT4_T5_T6_T7_T8_P12ihipStream_tbENKUlT_T0_E_clISt17integral_constantIbLb1EESZ_EEDaSU_SV_EUlSU_E_NS1_11comp_targetILNS1_3genE8ELNS1_11target_archE1030ELNS1_3gpuE2ELNS1_3repE0EEENS1_30default_config_static_selectorELNS0_4arch9wavefront6targetE1EEEvT1_.kd
    .uniform_work_group_size: 1
    .uses_dynamic_stack: false
    .vgpr_count:     0
    .vgpr_spill_count: 0
    .wavefront_size: 64
  - .agpr_count:     0
    .args:
      - .offset:         0
        .size:           128
        .value_kind:     by_value
    .group_segment_fixed_size: 0
    .kernarg_segment_align: 8
    .kernarg_segment_size: 128
    .language:       OpenCL C
    .language_version:
      - 2
      - 0
    .max_flat_workgroup_size: 256
    .name:           _ZN7rocprim17ROCPRIM_400000_NS6detail17trampoline_kernelINS0_14default_configENS1_33run_length_encode_config_selectorIdjNS0_4plusIjEEEEZZNS1_33reduce_by_key_impl_wrapped_configILNS1_25lookback_scan_determinismE0ES3_S7_PKdNS0_17constant_iteratorIjlEEPdPlSF_S6_NS0_8equal_toIdEEEE10hipError_tPvRmT2_T3_mT4_T5_T6_T7_T8_P12ihipStream_tbENKUlT_T0_E_clISt17integral_constantIbLb1EESY_IbLb0EEEEDaSU_SV_EUlSU_E_NS1_11comp_targetILNS1_3genE0ELNS1_11target_archE4294967295ELNS1_3gpuE0ELNS1_3repE0EEENS1_30default_config_static_selectorELNS0_4arch9wavefront6targetE1EEEvT1_
    .private_segment_fixed_size: 0
    .sgpr_count:     4
    .sgpr_spill_count: 0
    .symbol:         _ZN7rocprim17ROCPRIM_400000_NS6detail17trampoline_kernelINS0_14default_configENS1_33run_length_encode_config_selectorIdjNS0_4plusIjEEEEZZNS1_33reduce_by_key_impl_wrapped_configILNS1_25lookback_scan_determinismE0ES3_S7_PKdNS0_17constant_iteratorIjlEEPdPlSF_S6_NS0_8equal_toIdEEEE10hipError_tPvRmT2_T3_mT4_T5_T6_T7_T8_P12ihipStream_tbENKUlT_T0_E_clISt17integral_constantIbLb1EESY_IbLb0EEEEDaSU_SV_EUlSU_E_NS1_11comp_targetILNS1_3genE0ELNS1_11target_archE4294967295ELNS1_3gpuE0ELNS1_3repE0EEENS1_30default_config_static_selectorELNS0_4arch9wavefront6targetE1EEEvT1_.kd
    .uniform_work_group_size: 1
    .uses_dynamic_stack: false
    .vgpr_count:     0
    .vgpr_spill_count: 0
    .wavefront_size: 64
  - .agpr_count:     0
    .args:
      - .offset:         0
        .size:           128
        .value_kind:     by_value
    .group_segment_fixed_size: 0
    .kernarg_segment_align: 8
    .kernarg_segment_size: 128
    .language:       OpenCL C
    .language_version:
      - 2
      - 0
    .max_flat_workgroup_size: 512
    .name:           _ZN7rocprim17ROCPRIM_400000_NS6detail17trampoline_kernelINS0_14default_configENS1_33run_length_encode_config_selectorIdjNS0_4plusIjEEEEZZNS1_33reduce_by_key_impl_wrapped_configILNS1_25lookback_scan_determinismE0ES3_S7_PKdNS0_17constant_iteratorIjlEEPdPlSF_S6_NS0_8equal_toIdEEEE10hipError_tPvRmT2_T3_mT4_T5_T6_T7_T8_P12ihipStream_tbENKUlT_T0_E_clISt17integral_constantIbLb1EESY_IbLb0EEEEDaSU_SV_EUlSU_E_NS1_11comp_targetILNS1_3genE5ELNS1_11target_archE942ELNS1_3gpuE9ELNS1_3repE0EEENS1_30default_config_static_selectorELNS0_4arch9wavefront6targetE1EEEvT1_
    .private_segment_fixed_size: 0
    .sgpr_count:     4
    .sgpr_spill_count: 0
    .symbol:         _ZN7rocprim17ROCPRIM_400000_NS6detail17trampoline_kernelINS0_14default_configENS1_33run_length_encode_config_selectorIdjNS0_4plusIjEEEEZZNS1_33reduce_by_key_impl_wrapped_configILNS1_25lookback_scan_determinismE0ES3_S7_PKdNS0_17constant_iteratorIjlEEPdPlSF_S6_NS0_8equal_toIdEEEE10hipError_tPvRmT2_T3_mT4_T5_T6_T7_T8_P12ihipStream_tbENKUlT_T0_E_clISt17integral_constantIbLb1EESY_IbLb0EEEEDaSU_SV_EUlSU_E_NS1_11comp_targetILNS1_3genE5ELNS1_11target_archE942ELNS1_3gpuE9ELNS1_3repE0EEENS1_30default_config_static_selectorELNS0_4arch9wavefront6targetE1EEEvT1_.kd
    .uniform_work_group_size: 1
    .uses_dynamic_stack: false
    .vgpr_count:     0
    .vgpr_spill_count: 0
    .wavefront_size: 64
  - .agpr_count:     0
    .args:
      - .offset:         0
        .size:           128
        .value_kind:     by_value
    .group_segment_fixed_size: 20480
    .kernarg_segment_align: 8
    .kernarg_segment_size: 128
    .language:       OpenCL C
    .language_version:
      - 2
      - 0
    .max_flat_workgroup_size: 256
    .name:           _ZN7rocprim17ROCPRIM_400000_NS6detail17trampoline_kernelINS0_14default_configENS1_33run_length_encode_config_selectorIdjNS0_4plusIjEEEEZZNS1_33reduce_by_key_impl_wrapped_configILNS1_25lookback_scan_determinismE0ES3_S7_PKdNS0_17constant_iteratorIjlEEPdPlSF_S6_NS0_8equal_toIdEEEE10hipError_tPvRmT2_T3_mT4_T5_T6_T7_T8_P12ihipStream_tbENKUlT_T0_E_clISt17integral_constantIbLb1EESY_IbLb0EEEEDaSU_SV_EUlSU_E_NS1_11comp_targetILNS1_3genE4ELNS1_11target_archE910ELNS1_3gpuE8ELNS1_3repE0EEENS1_30default_config_static_selectorELNS0_4arch9wavefront6targetE1EEEvT1_
    .private_segment_fixed_size: 0
    .sgpr_count:     58
    .sgpr_spill_count: 0
    .symbol:         _ZN7rocprim17ROCPRIM_400000_NS6detail17trampoline_kernelINS0_14default_configENS1_33run_length_encode_config_selectorIdjNS0_4plusIjEEEEZZNS1_33reduce_by_key_impl_wrapped_configILNS1_25lookback_scan_determinismE0ES3_S7_PKdNS0_17constant_iteratorIjlEEPdPlSF_S6_NS0_8equal_toIdEEEE10hipError_tPvRmT2_T3_mT4_T5_T6_T7_T8_P12ihipStream_tbENKUlT_T0_E_clISt17integral_constantIbLb1EESY_IbLb0EEEEDaSU_SV_EUlSU_E_NS1_11comp_targetILNS1_3genE4ELNS1_11target_archE910ELNS1_3gpuE8ELNS1_3repE0EEENS1_30default_config_static_selectorELNS0_4arch9wavefront6targetE1EEEvT1_.kd
    .uniform_work_group_size: 1
    .uses_dynamic_stack: false
    .vgpr_count:     68
    .vgpr_spill_count: 0
    .wavefront_size: 64
  - .agpr_count:     0
    .args:
      - .offset:         0
        .size:           128
        .value_kind:     by_value
    .group_segment_fixed_size: 0
    .kernarg_segment_align: 8
    .kernarg_segment_size: 128
    .language:       OpenCL C
    .language_version:
      - 2
      - 0
    .max_flat_workgroup_size: 256
    .name:           _ZN7rocprim17ROCPRIM_400000_NS6detail17trampoline_kernelINS0_14default_configENS1_33run_length_encode_config_selectorIdjNS0_4plusIjEEEEZZNS1_33reduce_by_key_impl_wrapped_configILNS1_25lookback_scan_determinismE0ES3_S7_PKdNS0_17constant_iteratorIjlEEPdPlSF_S6_NS0_8equal_toIdEEEE10hipError_tPvRmT2_T3_mT4_T5_T6_T7_T8_P12ihipStream_tbENKUlT_T0_E_clISt17integral_constantIbLb1EESY_IbLb0EEEEDaSU_SV_EUlSU_E_NS1_11comp_targetILNS1_3genE3ELNS1_11target_archE908ELNS1_3gpuE7ELNS1_3repE0EEENS1_30default_config_static_selectorELNS0_4arch9wavefront6targetE1EEEvT1_
    .private_segment_fixed_size: 0
    .sgpr_count:     4
    .sgpr_spill_count: 0
    .symbol:         _ZN7rocprim17ROCPRIM_400000_NS6detail17trampoline_kernelINS0_14default_configENS1_33run_length_encode_config_selectorIdjNS0_4plusIjEEEEZZNS1_33reduce_by_key_impl_wrapped_configILNS1_25lookback_scan_determinismE0ES3_S7_PKdNS0_17constant_iteratorIjlEEPdPlSF_S6_NS0_8equal_toIdEEEE10hipError_tPvRmT2_T3_mT4_T5_T6_T7_T8_P12ihipStream_tbENKUlT_T0_E_clISt17integral_constantIbLb1EESY_IbLb0EEEEDaSU_SV_EUlSU_E_NS1_11comp_targetILNS1_3genE3ELNS1_11target_archE908ELNS1_3gpuE7ELNS1_3repE0EEENS1_30default_config_static_selectorELNS0_4arch9wavefront6targetE1EEEvT1_.kd
    .uniform_work_group_size: 1
    .uses_dynamic_stack: false
    .vgpr_count:     0
    .vgpr_spill_count: 0
    .wavefront_size: 64
  - .agpr_count:     0
    .args:
      - .offset:         0
        .size:           128
        .value_kind:     by_value
    .group_segment_fixed_size: 0
    .kernarg_segment_align: 8
    .kernarg_segment_size: 128
    .language:       OpenCL C
    .language_version:
      - 2
      - 0
    .max_flat_workgroup_size: 256
    .name:           _ZN7rocprim17ROCPRIM_400000_NS6detail17trampoline_kernelINS0_14default_configENS1_33run_length_encode_config_selectorIdjNS0_4plusIjEEEEZZNS1_33reduce_by_key_impl_wrapped_configILNS1_25lookback_scan_determinismE0ES3_S7_PKdNS0_17constant_iteratorIjlEEPdPlSF_S6_NS0_8equal_toIdEEEE10hipError_tPvRmT2_T3_mT4_T5_T6_T7_T8_P12ihipStream_tbENKUlT_T0_E_clISt17integral_constantIbLb1EESY_IbLb0EEEEDaSU_SV_EUlSU_E_NS1_11comp_targetILNS1_3genE2ELNS1_11target_archE906ELNS1_3gpuE6ELNS1_3repE0EEENS1_30default_config_static_selectorELNS0_4arch9wavefront6targetE1EEEvT1_
    .private_segment_fixed_size: 0
    .sgpr_count:     4
    .sgpr_spill_count: 0
    .symbol:         _ZN7rocprim17ROCPRIM_400000_NS6detail17trampoline_kernelINS0_14default_configENS1_33run_length_encode_config_selectorIdjNS0_4plusIjEEEEZZNS1_33reduce_by_key_impl_wrapped_configILNS1_25lookback_scan_determinismE0ES3_S7_PKdNS0_17constant_iteratorIjlEEPdPlSF_S6_NS0_8equal_toIdEEEE10hipError_tPvRmT2_T3_mT4_T5_T6_T7_T8_P12ihipStream_tbENKUlT_T0_E_clISt17integral_constantIbLb1EESY_IbLb0EEEEDaSU_SV_EUlSU_E_NS1_11comp_targetILNS1_3genE2ELNS1_11target_archE906ELNS1_3gpuE6ELNS1_3repE0EEENS1_30default_config_static_selectorELNS0_4arch9wavefront6targetE1EEEvT1_.kd
    .uniform_work_group_size: 1
    .uses_dynamic_stack: false
    .vgpr_count:     0
    .vgpr_spill_count: 0
    .wavefront_size: 64
  - .agpr_count:     0
    .args:
      - .offset:         0
        .size:           128
        .value_kind:     by_value
    .group_segment_fixed_size: 0
    .kernarg_segment_align: 8
    .kernarg_segment_size: 128
    .language:       OpenCL C
    .language_version:
      - 2
      - 0
    .max_flat_workgroup_size: 512
    .name:           _ZN7rocprim17ROCPRIM_400000_NS6detail17trampoline_kernelINS0_14default_configENS1_33run_length_encode_config_selectorIdjNS0_4plusIjEEEEZZNS1_33reduce_by_key_impl_wrapped_configILNS1_25lookback_scan_determinismE0ES3_S7_PKdNS0_17constant_iteratorIjlEEPdPlSF_S6_NS0_8equal_toIdEEEE10hipError_tPvRmT2_T3_mT4_T5_T6_T7_T8_P12ihipStream_tbENKUlT_T0_E_clISt17integral_constantIbLb1EESY_IbLb0EEEEDaSU_SV_EUlSU_E_NS1_11comp_targetILNS1_3genE10ELNS1_11target_archE1201ELNS1_3gpuE5ELNS1_3repE0EEENS1_30default_config_static_selectorELNS0_4arch9wavefront6targetE1EEEvT1_
    .private_segment_fixed_size: 0
    .sgpr_count:     4
    .sgpr_spill_count: 0
    .symbol:         _ZN7rocprim17ROCPRIM_400000_NS6detail17trampoline_kernelINS0_14default_configENS1_33run_length_encode_config_selectorIdjNS0_4plusIjEEEEZZNS1_33reduce_by_key_impl_wrapped_configILNS1_25lookback_scan_determinismE0ES3_S7_PKdNS0_17constant_iteratorIjlEEPdPlSF_S6_NS0_8equal_toIdEEEE10hipError_tPvRmT2_T3_mT4_T5_T6_T7_T8_P12ihipStream_tbENKUlT_T0_E_clISt17integral_constantIbLb1EESY_IbLb0EEEEDaSU_SV_EUlSU_E_NS1_11comp_targetILNS1_3genE10ELNS1_11target_archE1201ELNS1_3gpuE5ELNS1_3repE0EEENS1_30default_config_static_selectorELNS0_4arch9wavefront6targetE1EEEvT1_.kd
    .uniform_work_group_size: 1
    .uses_dynamic_stack: false
    .vgpr_count:     0
    .vgpr_spill_count: 0
    .wavefront_size: 64
  - .agpr_count:     0
    .args:
      - .offset:         0
        .size:           128
        .value_kind:     by_value
    .group_segment_fixed_size: 0
    .kernarg_segment_align: 8
    .kernarg_segment_size: 128
    .language:       OpenCL C
    .language_version:
      - 2
      - 0
    .max_flat_workgroup_size: 512
    .name:           _ZN7rocprim17ROCPRIM_400000_NS6detail17trampoline_kernelINS0_14default_configENS1_33run_length_encode_config_selectorIdjNS0_4plusIjEEEEZZNS1_33reduce_by_key_impl_wrapped_configILNS1_25lookback_scan_determinismE0ES3_S7_PKdNS0_17constant_iteratorIjlEEPdPlSF_S6_NS0_8equal_toIdEEEE10hipError_tPvRmT2_T3_mT4_T5_T6_T7_T8_P12ihipStream_tbENKUlT_T0_E_clISt17integral_constantIbLb1EESY_IbLb0EEEEDaSU_SV_EUlSU_E_NS1_11comp_targetILNS1_3genE10ELNS1_11target_archE1200ELNS1_3gpuE4ELNS1_3repE0EEENS1_30default_config_static_selectorELNS0_4arch9wavefront6targetE1EEEvT1_
    .private_segment_fixed_size: 0
    .sgpr_count:     4
    .sgpr_spill_count: 0
    .symbol:         _ZN7rocprim17ROCPRIM_400000_NS6detail17trampoline_kernelINS0_14default_configENS1_33run_length_encode_config_selectorIdjNS0_4plusIjEEEEZZNS1_33reduce_by_key_impl_wrapped_configILNS1_25lookback_scan_determinismE0ES3_S7_PKdNS0_17constant_iteratorIjlEEPdPlSF_S6_NS0_8equal_toIdEEEE10hipError_tPvRmT2_T3_mT4_T5_T6_T7_T8_P12ihipStream_tbENKUlT_T0_E_clISt17integral_constantIbLb1EESY_IbLb0EEEEDaSU_SV_EUlSU_E_NS1_11comp_targetILNS1_3genE10ELNS1_11target_archE1200ELNS1_3gpuE4ELNS1_3repE0EEENS1_30default_config_static_selectorELNS0_4arch9wavefront6targetE1EEEvT1_.kd
    .uniform_work_group_size: 1
    .uses_dynamic_stack: false
    .vgpr_count:     0
    .vgpr_spill_count: 0
    .wavefront_size: 64
  - .agpr_count:     0
    .args:
      - .offset:         0
        .size:           128
        .value_kind:     by_value
    .group_segment_fixed_size: 0
    .kernarg_segment_align: 8
    .kernarg_segment_size: 128
    .language:       OpenCL C
    .language_version:
      - 2
      - 0
    .max_flat_workgroup_size: 512
    .name:           _ZN7rocprim17ROCPRIM_400000_NS6detail17trampoline_kernelINS0_14default_configENS1_33run_length_encode_config_selectorIdjNS0_4plusIjEEEEZZNS1_33reduce_by_key_impl_wrapped_configILNS1_25lookback_scan_determinismE0ES3_S7_PKdNS0_17constant_iteratorIjlEEPdPlSF_S6_NS0_8equal_toIdEEEE10hipError_tPvRmT2_T3_mT4_T5_T6_T7_T8_P12ihipStream_tbENKUlT_T0_E_clISt17integral_constantIbLb1EESY_IbLb0EEEEDaSU_SV_EUlSU_E_NS1_11comp_targetILNS1_3genE9ELNS1_11target_archE1100ELNS1_3gpuE3ELNS1_3repE0EEENS1_30default_config_static_selectorELNS0_4arch9wavefront6targetE1EEEvT1_
    .private_segment_fixed_size: 0
    .sgpr_count:     4
    .sgpr_spill_count: 0
    .symbol:         _ZN7rocprim17ROCPRIM_400000_NS6detail17trampoline_kernelINS0_14default_configENS1_33run_length_encode_config_selectorIdjNS0_4plusIjEEEEZZNS1_33reduce_by_key_impl_wrapped_configILNS1_25lookback_scan_determinismE0ES3_S7_PKdNS0_17constant_iteratorIjlEEPdPlSF_S6_NS0_8equal_toIdEEEE10hipError_tPvRmT2_T3_mT4_T5_T6_T7_T8_P12ihipStream_tbENKUlT_T0_E_clISt17integral_constantIbLb1EESY_IbLb0EEEEDaSU_SV_EUlSU_E_NS1_11comp_targetILNS1_3genE9ELNS1_11target_archE1100ELNS1_3gpuE3ELNS1_3repE0EEENS1_30default_config_static_selectorELNS0_4arch9wavefront6targetE1EEEvT1_.kd
    .uniform_work_group_size: 1
    .uses_dynamic_stack: false
    .vgpr_count:     0
    .vgpr_spill_count: 0
    .wavefront_size: 64
  - .agpr_count:     0
    .args:
      - .offset:         0
        .size:           128
        .value_kind:     by_value
    .group_segment_fixed_size: 0
    .kernarg_segment_align: 8
    .kernarg_segment_size: 128
    .language:       OpenCL C
    .language_version:
      - 2
      - 0
    .max_flat_workgroup_size: 512
    .name:           _ZN7rocprim17ROCPRIM_400000_NS6detail17trampoline_kernelINS0_14default_configENS1_33run_length_encode_config_selectorIdjNS0_4plusIjEEEEZZNS1_33reduce_by_key_impl_wrapped_configILNS1_25lookback_scan_determinismE0ES3_S7_PKdNS0_17constant_iteratorIjlEEPdPlSF_S6_NS0_8equal_toIdEEEE10hipError_tPvRmT2_T3_mT4_T5_T6_T7_T8_P12ihipStream_tbENKUlT_T0_E_clISt17integral_constantIbLb1EESY_IbLb0EEEEDaSU_SV_EUlSU_E_NS1_11comp_targetILNS1_3genE8ELNS1_11target_archE1030ELNS1_3gpuE2ELNS1_3repE0EEENS1_30default_config_static_selectorELNS0_4arch9wavefront6targetE1EEEvT1_
    .private_segment_fixed_size: 0
    .sgpr_count:     4
    .sgpr_spill_count: 0
    .symbol:         _ZN7rocprim17ROCPRIM_400000_NS6detail17trampoline_kernelINS0_14default_configENS1_33run_length_encode_config_selectorIdjNS0_4plusIjEEEEZZNS1_33reduce_by_key_impl_wrapped_configILNS1_25lookback_scan_determinismE0ES3_S7_PKdNS0_17constant_iteratorIjlEEPdPlSF_S6_NS0_8equal_toIdEEEE10hipError_tPvRmT2_T3_mT4_T5_T6_T7_T8_P12ihipStream_tbENKUlT_T0_E_clISt17integral_constantIbLb1EESY_IbLb0EEEEDaSU_SV_EUlSU_E_NS1_11comp_targetILNS1_3genE8ELNS1_11target_archE1030ELNS1_3gpuE2ELNS1_3repE0EEENS1_30default_config_static_selectorELNS0_4arch9wavefront6targetE1EEEvT1_.kd
    .uniform_work_group_size: 1
    .uses_dynamic_stack: false
    .vgpr_count:     0
    .vgpr_spill_count: 0
    .wavefront_size: 64
  - .agpr_count:     0
    .args:
      - .offset:         0
        .size:           128
        .value_kind:     by_value
    .group_segment_fixed_size: 0
    .kernarg_segment_align: 8
    .kernarg_segment_size: 128
    .language:       OpenCL C
    .language_version:
      - 2
      - 0
    .max_flat_workgroup_size: 256
    .name:           _ZN7rocprim17ROCPRIM_400000_NS6detail17trampoline_kernelINS0_14default_configENS1_33run_length_encode_config_selectorIdjNS0_4plusIjEEEEZZNS1_33reduce_by_key_impl_wrapped_configILNS1_25lookback_scan_determinismE0ES3_S7_PKdNS0_17constant_iteratorIjlEEPdPlSF_S6_NS0_8equal_toIdEEEE10hipError_tPvRmT2_T3_mT4_T5_T6_T7_T8_P12ihipStream_tbENKUlT_T0_E_clISt17integral_constantIbLb0EESY_IbLb1EEEEDaSU_SV_EUlSU_E_NS1_11comp_targetILNS1_3genE0ELNS1_11target_archE4294967295ELNS1_3gpuE0ELNS1_3repE0EEENS1_30default_config_static_selectorELNS0_4arch9wavefront6targetE1EEEvT1_
    .private_segment_fixed_size: 0
    .sgpr_count:     4
    .sgpr_spill_count: 0
    .symbol:         _ZN7rocprim17ROCPRIM_400000_NS6detail17trampoline_kernelINS0_14default_configENS1_33run_length_encode_config_selectorIdjNS0_4plusIjEEEEZZNS1_33reduce_by_key_impl_wrapped_configILNS1_25lookback_scan_determinismE0ES3_S7_PKdNS0_17constant_iteratorIjlEEPdPlSF_S6_NS0_8equal_toIdEEEE10hipError_tPvRmT2_T3_mT4_T5_T6_T7_T8_P12ihipStream_tbENKUlT_T0_E_clISt17integral_constantIbLb0EESY_IbLb1EEEEDaSU_SV_EUlSU_E_NS1_11comp_targetILNS1_3genE0ELNS1_11target_archE4294967295ELNS1_3gpuE0ELNS1_3repE0EEENS1_30default_config_static_selectorELNS0_4arch9wavefront6targetE1EEEvT1_.kd
    .uniform_work_group_size: 1
    .uses_dynamic_stack: false
    .vgpr_count:     0
    .vgpr_spill_count: 0
    .wavefront_size: 64
  - .agpr_count:     0
    .args:
      - .offset:         0
        .size:           128
        .value_kind:     by_value
    .group_segment_fixed_size: 0
    .kernarg_segment_align: 8
    .kernarg_segment_size: 128
    .language:       OpenCL C
    .language_version:
      - 2
      - 0
    .max_flat_workgroup_size: 512
    .name:           _ZN7rocprim17ROCPRIM_400000_NS6detail17trampoline_kernelINS0_14default_configENS1_33run_length_encode_config_selectorIdjNS0_4plusIjEEEEZZNS1_33reduce_by_key_impl_wrapped_configILNS1_25lookback_scan_determinismE0ES3_S7_PKdNS0_17constant_iteratorIjlEEPdPlSF_S6_NS0_8equal_toIdEEEE10hipError_tPvRmT2_T3_mT4_T5_T6_T7_T8_P12ihipStream_tbENKUlT_T0_E_clISt17integral_constantIbLb0EESY_IbLb1EEEEDaSU_SV_EUlSU_E_NS1_11comp_targetILNS1_3genE5ELNS1_11target_archE942ELNS1_3gpuE9ELNS1_3repE0EEENS1_30default_config_static_selectorELNS0_4arch9wavefront6targetE1EEEvT1_
    .private_segment_fixed_size: 0
    .sgpr_count:     4
    .sgpr_spill_count: 0
    .symbol:         _ZN7rocprim17ROCPRIM_400000_NS6detail17trampoline_kernelINS0_14default_configENS1_33run_length_encode_config_selectorIdjNS0_4plusIjEEEEZZNS1_33reduce_by_key_impl_wrapped_configILNS1_25lookback_scan_determinismE0ES3_S7_PKdNS0_17constant_iteratorIjlEEPdPlSF_S6_NS0_8equal_toIdEEEE10hipError_tPvRmT2_T3_mT4_T5_T6_T7_T8_P12ihipStream_tbENKUlT_T0_E_clISt17integral_constantIbLb0EESY_IbLb1EEEEDaSU_SV_EUlSU_E_NS1_11comp_targetILNS1_3genE5ELNS1_11target_archE942ELNS1_3gpuE9ELNS1_3repE0EEENS1_30default_config_static_selectorELNS0_4arch9wavefront6targetE1EEEvT1_.kd
    .uniform_work_group_size: 1
    .uses_dynamic_stack: false
    .vgpr_count:     0
    .vgpr_spill_count: 0
    .wavefront_size: 64
  - .agpr_count:     0
    .args:
      - .offset:         0
        .size:           128
        .value_kind:     by_value
    .group_segment_fixed_size: 20480
    .kernarg_segment_align: 8
    .kernarg_segment_size: 128
    .language:       OpenCL C
    .language_version:
      - 2
      - 0
    .max_flat_workgroup_size: 256
    .name:           _ZN7rocprim17ROCPRIM_400000_NS6detail17trampoline_kernelINS0_14default_configENS1_33run_length_encode_config_selectorIdjNS0_4plusIjEEEEZZNS1_33reduce_by_key_impl_wrapped_configILNS1_25lookback_scan_determinismE0ES3_S7_PKdNS0_17constant_iteratorIjlEEPdPlSF_S6_NS0_8equal_toIdEEEE10hipError_tPvRmT2_T3_mT4_T5_T6_T7_T8_P12ihipStream_tbENKUlT_T0_E_clISt17integral_constantIbLb0EESY_IbLb1EEEEDaSU_SV_EUlSU_E_NS1_11comp_targetILNS1_3genE4ELNS1_11target_archE910ELNS1_3gpuE8ELNS1_3repE0EEENS1_30default_config_static_selectorELNS0_4arch9wavefront6targetE1EEEvT1_
    .private_segment_fixed_size: 0
    .sgpr_count:     60
    .sgpr_spill_count: 0
    .symbol:         _ZN7rocprim17ROCPRIM_400000_NS6detail17trampoline_kernelINS0_14default_configENS1_33run_length_encode_config_selectorIdjNS0_4plusIjEEEEZZNS1_33reduce_by_key_impl_wrapped_configILNS1_25lookback_scan_determinismE0ES3_S7_PKdNS0_17constant_iteratorIjlEEPdPlSF_S6_NS0_8equal_toIdEEEE10hipError_tPvRmT2_T3_mT4_T5_T6_T7_T8_P12ihipStream_tbENKUlT_T0_E_clISt17integral_constantIbLb0EESY_IbLb1EEEEDaSU_SV_EUlSU_E_NS1_11comp_targetILNS1_3genE4ELNS1_11target_archE910ELNS1_3gpuE8ELNS1_3repE0EEENS1_30default_config_static_selectorELNS0_4arch9wavefront6targetE1EEEvT1_.kd
    .uniform_work_group_size: 1
    .uses_dynamic_stack: false
    .vgpr_count:     68
    .vgpr_spill_count: 0
    .wavefront_size: 64
  - .agpr_count:     0
    .args:
      - .offset:         0
        .size:           128
        .value_kind:     by_value
    .group_segment_fixed_size: 0
    .kernarg_segment_align: 8
    .kernarg_segment_size: 128
    .language:       OpenCL C
    .language_version:
      - 2
      - 0
    .max_flat_workgroup_size: 256
    .name:           _ZN7rocprim17ROCPRIM_400000_NS6detail17trampoline_kernelINS0_14default_configENS1_33run_length_encode_config_selectorIdjNS0_4plusIjEEEEZZNS1_33reduce_by_key_impl_wrapped_configILNS1_25lookback_scan_determinismE0ES3_S7_PKdNS0_17constant_iteratorIjlEEPdPlSF_S6_NS0_8equal_toIdEEEE10hipError_tPvRmT2_T3_mT4_T5_T6_T7_T8_P12ihipStream_tbENKUlT_T0_E_clISt17integral_constantIbLb0EESY_IbLb1EEEEDaSU_SV_EUlSU_E_NS1_11comp_targetILNS1_3genE3ELNS1_11target_archE908ELNS1_3gpuE7ELNS1_3repE0EEENS1_30default_config_static_selectorELNS0_4arch9wavefront6targetE1EEEvT1_
    .private_segment_fixed_size: 0
    .sgpr_count:     4
    .sgpr_spill_count: 0
    .symbol:         _ZN7rocprim17ROCPRIM_400000_NS6detail17trampoline_kernelINS0_14default_configENS1_33run_length_encode_config_selectorIdjNS0_4plusIjEEEEZZNS1_33reduce_by_key_impl_wrapped_configILNS1_25lookback_scan_determinismE0ES3_S7_PKdNS0_17constant_iteratorIjlEEPdPlSF_S6_NS0_8equal_toIdEEEE10hipError_tPvRmT2_T3_mT4_T5_T6_T7_T8_P12ihipStream_tbENKUlT_T0_E_clISt17integral_constantIbLb0EESY_IbLb1EEEEDaSU_SV_EUlSU_E_NS1_11comp_targetILNS1_3genE3ELNS1_11target_archE908ELNS1_3gpuE7ELNS1_3repE0EEENS1_30default_config_static_selectorELNS0_4arch9wavefront6targetE1EEEvT1_.kd
    .uniform_work_group_size: 1
    .uses_dynamic_stack: false
    .vgpr_count:     0
    .vgpr_spill_count: 0
    .wavefront_size: 64
  - .agpr_count:     0
    .args:
      - .offset:         0
        .size:           128
        .value_kind:     by_value
    .group_segment_fixed_size: 0
    .kernarg_segment_align: 8
    .kernarg_segment_size: 128
    .language:       OpenCL C
    .language_version:
      - 2
      - 0
    .max_flat_workgroup_size: 256
    .name:           _ZN7rocprim17ROCPRIM_400000_NS6detail17trampoline_kernelINS0_14default_configENS1_33run_length_encode_config_selectorIdjNS0_4plusIjEEEEZZNS1_33reduce_by_key_impl_wrapped_configILNS1_25lookback_scan_determinismE0ES3_S7_PKdNS0_17constant_iteratorIjlEEPdPlSF_S6_NS0_8equal_toIdEEEE10hipError_tPvRmT2_T3_mT4_T5_T6_T7_T8_P12ihipStream_tbENKUlT_T0_E_clISt17integral_constantIbLb0EESY_IbLb1EEEEDaSU_SV_EUlSU_E_NS1_11comp_targetILNS1_3genE2ELNS1_11target_archE906ELNS1_3gpuE6ELNS1_3repE0EEENS1_30default_config_static_selectorELNS0_4arch9wavefront6targetE1EEEvT1_
    .private_segment_fixed_size: 0
    .sgpr_count:     4
    .sgpr_spill_count: 0
    .symbol:         _ZN7rocprim17ROCPRIM_400000_NS6detail17trampoline_kernelINS0_14default_configENS1_33run_length_encode_config_selectorIdjNS0_4plusIjEEEEZZNS1_33reduce_by_key_impl_wrapped_configILNS1_25lookback_scan_determinismE0ES3_S7_PKdNS0_17constant_iteratorIjlEEPdPlSF_S6_NS0_8equal_toIdEEEE10hipError_tPvRmT2_T3_mT4_T5_T6_T7_T8_P12ihipStream_tbENKUlT_T0_E_clISt17integral_constantIbLb0EESY_IbLb1EEEEDaSU_SV_EUlSU_E_NS1_11comp_targetILNS1_3genE2ELNS1_11target_archE906ELNS1_3gpuE6ELNS1_3repE0EEENS1_30default_config_static_selectorELNS0_4arch9wavefront6targetE1EEEvT1_.kd
    .uniform_work_group_size: 1
    .uses_dynamic_stack: false
    .vgpr_count:     0
    .vgpr_spill_count: 0
    .wavefront_size: 64
  - .agpr_count:     0
    .args:
      - .offset:         0
        .size:           128
        .value_kind:     by_value
    .group_segment_fixed_size: 0
    .kernarg_segment_align: 8
    .kernarg_segment_size: 128
    .language:       OpenCL C
    .language_version:
      - 2
      - 0
    .max_flat_workgroup_size: 512
    .name:           _ZN7rocprim17ROCPRIM_400000_NS6detail17trampoline_kernelINS0_14default_configENS1_33run_length_encode_config_selectorIdjNS0_4plusIjEEEEZZNS1_33reduce_by_key_impl_wrapped_configILNS1_25lookback_scan_determinismE0ES3_S7_PKdNS0_17constant_iteratorIjlEEPdPlSF_S6_NS0_8equal_toIdEEEE10hipError_tPvRmT2_T3_mT4_T5_T6_T7_T8_P12ihipStream_tbENKUlT_T0_E_clISt17integral_constantIbLb0EESY_IbLb1EEEEDaSU_SV_EUlSU_E_NS1_11comp_targetILNS1_3genE10ELNS1_11target_archE1201ELNS1_3gpuE5ELNS1_3repE0EEENS1_30default_config_static_selectorELNS0_4arch9wavefront6targetE1EEEvT1_
    .private_segment_fixed_size: 0
    .sgpr_count:     4
    .sgpr_spill_count: 0
    .symbol:         _ZN7rocprim17ROCPRIM_400000_NS6detail17trampoline_kernelINS0_14default_configENS1_33run_length_encode_config_selectorIdjNS0_4plusIjEEEEZZNS1_33reduce_by_key_impl_wrapped_configILNS1_25lookback_scan_determinismE0ES3_S7_PKdNS0_17constant_iteratorIjlEEPdPlSF_S6_NS0_8equal_toIdEEEE10hipError_tPvRmT2_T3_mT4_T5_T6_T7_T8_P12ihipStream_tbENKUlT_T0_E_clISt17integral_constantIbLb0EESY_IbLb1EEEEDaSU_SV_EUlSU_E_NS1_11comp_targetILNS1_3genE10ELNS1_11target_archE1201ELNS1_3gpuE5ELNS1_3repE0EEENS1_30default_config_static_selectorELNS0_4arch9wavefront6targetE1EEEvT1_.kd
    .uniform_work_group_size: 1
    .uses_dynamic_stack: false
    .vgpr_count:     0
    .vgpr_spill_count: 0
    .wavefront_size: 64
  - .agpr_count:     0
    .args:
      - .offset:         0
        .size:           128
        .value_kind:     by_value
    .group_segment_fixed_size: 0
    .kernarg_segment_align: 8
    .kernarg_segment_size: 128
    .language:       OpenCL C
    .language_version:
      - 2
      - 0
    .max_flat_workgroup_size: 512
    .name:           _ZN7rocprim17ROCPRIM_400000_NS6detail17trampoline_kernelINS0_14default_configENS1_33run_length_encode_config_selectorIdjNS0_4plusIjEEEEZZNS1_33reduce_by_key_impl_wrapped_configILNS1_25lookback_scan_determinismE0ES3_S7_PKdNS0_17constant_iteratorIjlEEPdPlSF_S6_NS0_8equal_toIdEEEE10hipError_tPvRmT2_T3_mT4_T5_T6_T7_T8_P12ihipStream_tbENKUlT_T0_E_clISt17integral_constantIbLb0EESY_IbLb1EEEEDaSU_SV_EUlSU_E_NS1_11comp_targetILNS1_3genE10ELNS1_11target_archE1200ELNS1_3gpuE4ELNS1_3repE0EEENS1_30default_config_static_selectorELNS0_4arch9wavefront6targetE1EEEvT1_
    .private_segment_fixed_size: 0
    .sgpr_count:     4
    .sgpr_spill_count: 0
    .symbol:         _ZN7rocprim17ROCPRIM_400000_NS6detail17trampoline_kernelINS0_14default_configENS1_33run_length_encode_config_selectorIdjNS0_4plusIjEEEEZZNS1_33reduce_by_key_impl_wrapped_configILNS1_25lookback_scan_determinismE0ES3_S7_PKdNS0_17constant_iteratorIjlEEPdPlSF_S6_NS0_8equal_toIdEEEE10hipError_tPvRmT2_T3_mT4_T5_T6_T7_T8_P12ihipStream_tbENKUlT_T0_E_clISt17integral_constantIbLb0EESY_IbLb1EEEEDaSU_SV_EUlSU_E_NS1_11comp_targetILNS1_3genE10ELNS1_11target_archE1200ELNS1_3gpuE4ELNS1_3repE0EEENS1_30default_config_static_selectorELNS0_4arch9wavefront6targetE1EEEvT1_.kd
    .uniform_work_group_size: 1
    .uses_dynamic_stack: false
    .vgpr_count:     0
    .vgpr_spill_count: 0
    .wavefront_size: 64
  - .agpr_count:     0
    .args:
      - .offset:         0
        .size:           128
        .value_kind:     by_value
    .group_segment_fixed_size: 0
    .kernarg_segment_align: 8
    .kernarg_segment_size: 128
    .language:       OpenCL C
    .language_version:
      - 2
      - 0
    .max_flat_workgroup_size: 512
    .name:           _ZN7rocprim17ROCPRIM_400000_NS6detail17trampoline_kernelINS0_14default_configENS1_33run_length_encode_config_selectorIdjNS0_4plusIjEEEEZZNS1_33reduce_by_key_impl_wrapped_configILNS1_25lookback_scan_determinismE0ES3_S7_PKdNS0_17constant_iteratorIjlEEPdPlSF_S6_NS0_8equal_toIdEEEE10hipError_tPvRmT2_T3_mT4_T5_T6_T7_T8_P12ihipStream_tbENKUlT_T0_E_clISt17integral_constantIbLb0EESY_IbLb1EEEEDaSU_SV_EUlSU_E_NS1_11comp_targetILNS1_3genE9ELNS1_11target_archE1100ELNS1_3gpuE3ELNS1_3repE0EEENS1_30default_config_static_selectorELNS0_4arch9wavefront6targetE1EEEvT1_
    .private_segment_fixed_size: 0
    .sgpr_count:     4
    .sgpr_spill_count: 0
    .symbol:         _ZN7rocprim17ROCPRIM_400000_NS6detail17trampoline_kernelINS0_14default_configENS1_33run_length_encode_config_selectorIdjNS0_4plusIjEEEEZZNS1_33reduce_by_key_impl_wrapped_configILNS1_25lookback_scan_determinismE0ES3_S7_PKdNS0_17constant_iteratorIjlEEPdPlSF_S6_NS0_8equal_toIdEEEE10hipError_tPvRmT2_T3_mT4_T5_T6_T7_T8_P12ihipStream_tbENKUlT_T0_E_clISt17integral_constantIbLb0EESY_IbLb1EEEEDaSU_SV_EUlSU_E_NS1_11comp_targetILNS1_3genE9ELNS1_11target_archE1100ELNS1_3gpuE3ELNS1_3repE0EEENS1_30default_config_static_selectorELNS0_4arch9wavefront6targetE1EEEvT1_.kd
    .uniform_work_group_size: 1
    .uses_dynamic_stack: false
    .vgpr_count:     0
    .vgpr_spill_count: 0
    .wavefront_size: 64
  - .agpr_count:     0
    .args:
      - .offset:         0
        .size:           128
        .value_kind:     by_value
    .group_segment_fixed_size: 0
    .kernarg_segment_align: 8
    .kernarg_segment_size: 128
    .language:       OpenCL C
    .language_version:
      - 2
      - 0
    .max_flat_workgroup_size: 512
    .name:           _ZN7rocprim17ROCPRIM_400000_NS6detail17trampoline_kernelINS0_14default_configENS1_33run_length_encode_config_selectorIdjNS0_4plusIjEEEEZZNS1_33reduce_by_key_impl_wrapped_configILNS1_25lookback_scan_determinismE0ES3_S7_PKdNS0_17constant_iteratorIjlEEPdPlSF_S6_NS0_8equal_toIdEEEE10hipError_tPvRmT2_T3_mT4_T5_T6_T7_T8_P12ihipStream_tbENKUlT_T0_E_clISt17integral_constantIbLb0EESY_IbLb1EEEEDaSU_SV_EUlSU_E_NS1_11comp_targetILNS1_3genE8ELNS1_11target_archE1030ELNS1_3gpuE2ELNS1_3repE0EEENS1_30default_config_static_selectorELNS0_4arch9wavefront6targetE1EEEvT1_
    .private_segment_fixed_size: 0
    .sgpr_count:     4
    .sgpr_spill_count: 0
    .symbol:         _ZN7rocprim17ROCPRIM_400000_NS6detail17trampoline_kernelINS0_14default_configENS1_33run_length_encode_config_selectorIdjNS0_4plusIjEEEEZZNS1_33reduce_by_key_impl_wrapped_configILNS1_25lookback_scan_determinismE0ES3_S7_PKdNS0_17constant_iteratorIjlEEPdPlSF_S6_NS0_8equal_toIdEEEE10hipError_tPvRmT2_T3_mT4_T5_T6_T7_T8_P12ihipStream_tbENKUlT_T0_E_clISt17integral_constantIbLb0EESY_IbLb1EEEEDaSU_SV_EUlSU_E_NS1_11comp_targetILNS1_3genE8ELNS1_11target_archE1030ELNS1_3gpuE2ELNS1_3repE0EEENS1_30default_config_static_selectorELNS0_4arch9wavefront6targetE1EEEvT1_.kd
    .uniform_work_group_size: 1
    .uses_dynamic_stack: false
    .vgpr_count:     0
    .vgpr_spill_count: 0
    .wavefront_size: 64
  - .agpr_count:     0
    .args:
      - .offset:         0
        .size:           8
        .value_kind:     by_value
      - .address_space:  global
        .offset:         8
        .size:           8
        .value_kind:     global_buffer
      - .address_space:  global
        .offset:         16
        .size:           8
        .value_kind:     global_buffer
      - .offset:         24
        .size:           4
        .value_kind:     hidden_block_count_x
      - .offset:         28
        .size:           4
        .value_kind:     hidden_block_count_y
      - .offset:         32
        .size:           4
        .value_kind:     hidden_block_count_z
      - .offset:         36
        .size:           2
        .value_kind:     hidden_group_size_x
      - .offset:         38
        .size:           2
        .value_kind:     hidden_group_size_y
      - .offset:         40
        .size:           2
        .value_kind:     hidden_group_size_z
      - .offset:         42
        .size:           2
        .value_kind:     hidden_remainder_x
      - .offset:         44
        .size:           2
        .value_kind:     hidden_remainder_y
      - .offset:         46
        .size:           2
        .value_kind:     hidden_remainder_z
      - .offset:         64
        .size:           8
        .value_kind:     hidden_global_offset_x
      - .offset:         72
        .size:           8
        .value_kind:     hidden_global_offset_y
      - .offset:         80
        .size:           8
        .value_kind:     hidden_global_offset_z
      - .offset:         88
        .size:           2
        .value_kind:     hidden_grid_dims
    .group_segment_fixed_size: 0
    .kernarg_segment_align: 8
    .kernarg_segment_size: 280
    .language:       OpenCL C
    .language_version:
      - 2
      - 0
    .max_flat_workgroup_size: 1024
    .name:           _ZN2at6native8internal12_GLOBAL__N_126adjacent_difference_kernelIPKfEEvlT_Pi
    .private_segment_fixed_size: 0
    .sgpr_count:     18
    .sgpr_spill_count: 0
    .symbol:         _ZN2at6native8internal12_GLOBAL__N_126adjacent_difference_kernelIPKfEEvlT_Pi.kd
    .uniform_work_group_size: 1
    .uses_dynamic_stack: false
    .vgpr_count:     15
    .vgpr_spill_count: 0
    .wavefront_size: 64
  - .agpr_count:     0
    .args:
      - .offset:         0
        .size:           112
        .value_kind:     by_value
    .group_segment_fixed_size: 0
    .kernarg_segment_align: 8
    .kernarg_segment_size: 112
    .language:       OpenCL C
    .language_version:
      - 2
      - 0
    .max_flat_workgroup_size: 512
    .name:           _ZN7rocprim17ROCPRIM_400000_NS6detail17trampoline_kernelINS0_14default_configENS1_25partition_config_selectorILNS1_17partition_subalgoE8EfNS0_10empty_typeEbEEZZNS1_14partition_implILS5_8ELb0ES3_jPKfPS6_PKS6_NS0_5tupleIJPfS6_EEENSE_IJSB_SB_EEENS0_18inequality_wrapperIN6hipcub16HIPCUB_304000_NS8EqualityEEEPlJS6_EEE10hipError_tPvRmT3_T4_T5_T6_T7_T9_mT8_P12ihipStream_tbDpT10_ENKUlT_T0_E_clISt17integral_constantIbLb0EES17_EEDaS12_S13_EUlS12_E_NS1_11comp_targetILNS1_3genE0ELNS1_11target_archE4294967295ELNS1_3gpuE0ELNS1_3repE0EEENS1_30default_config_static_selectorELNS0_4arch9wavefront6targetE1EEEvT1_
    .private_segment_fixed_size: 0
    .sgpr_count:     4
    .sgpr_spill_count: 0
    .symbol:         _ZN7rocprim17ROCPRIM_400000_NS6detail17trampoline_kernelINS0_14default_configENS1_25partition_config_selectorILNS1_17partition_subalgoE8EfNS0_10empty_typeEbEEZZNS1_14partition_implILS5_8ELb0ES3_jPKfPS6_PKS6_NS0_5tupleIJPfS6_EEENSE_IJSB_SB_EEENS0_18inequality_wrapperIN6hipcub16HIPCUB_304000_NS8EqualityEEEPlJS6_EEE10hipError_tPvRmT3_T4_T5_T6_T7_T9_mT8_P12ihipStream_tbDpT10_ENKUlT_T0_E_clISt17integral_constantIbLb0EES17_EEDaS12_S13_EUlS12_E_NS1_11comp_targetILNS1_3genE0ELNS1_11target_archE4294967295ELNS1_3gpuE0ELNS1_3repE0EEENS1_30default_config_static_selectorELNS0_4arch9wavefront6targetE1EEEvT1_.kd
    .uniform_work_group_size: 1
    .uses_dynamic_stack: false
    .vgpr_count:     0
    .vgpr_spill_count: 0
    .wavefront_size: 64
  - .agpr_count:     0
    .args:
      - .offset:         0
        .size:           112
        .value_kind:     by_value
    .group_segment_fixed_size: 0
    .kernarg_segment_align: 8
    .kernarg_segment_size: 112
    .language:       OpenCL C
    .language_version:
      - 2
      - 0
    .max_flat_workgroup_size: 512
    .name:           _ZN7rocprim17ROCPRIM_400000_NS6detail17trampoline_kernelINS0_14default_configENS1_25partition_config_selectorILNS1_17partition_subalgoE8EfNS0_10empty_typeEbEEZZNS1_14partition_implILS5_8ELb0ES3_jPKfPS6_PKS6_NS0_5tupleIJPfS6_EEENSE_IJSB_SB_EEENS0_18inequality_wrapperIN6hipcub16HIPCUB_304000_NS8EqualityEEEPlJS6_EEE10hipError_tPvRmT3_T4_T5_T6_T7_T9_mT8_P12ihipStream_tbDpT10_ENKUlT_T0_E_clISt17integral_constantIbLb0EES17_EEDaS12_S13_EUlS12_E_NS1_11comp_targetILNS1_3genE5ELNS1_11target_archE942ELNS1_3gpuE9ELNS1_3repE0EEENS1_30default_config_static_selectorELNS0_4arch9wavefront6targetE1EEEvT1_
    .private_segment_fixed_size: 0
    .sgpr_count:     4
    .sgpr_spill_count: 0
    .symbol:         _ZN7rocprim17ROCPRIM_400000_NS6detail17trampoline_kernelINS0_14default_configENS1_25partition_config_selectorILNS1_17partition_subalgoE8EfNS0_10empty_typeEbEEZZNS1_14partition_implILS5_8ELb0ES3_jPKfPS6_PKS6_NS0_5tupleIJPfS6_EEENSE_IJSB_SB_EEENS0_18inequality_wrapperIN6hipcub16HIPCUB_304000_NS8EqualityEEEPlJS6_EEE10hipError_tPvRmT3_T4_T5_T6_T7_T9_mT8_P12ihipStream_tbDpT10_ENKUlT_T0_E_clISt17integral_constantIbLb0EES17_EEDaS12_S13_EUlS12_E_NS1_11comp_targetILNS1_3genE5ELNS1_11target_archE942ELNS1_3gpuE9ELNS1_3repE0EEENS1_30default_config_static_selectorELNS0_4arch9wavefront6targetE1EEEvT1_.kd
    .uniform_work_group_size: 1
    .uses_dynamic_stack: false
    .vgpr_count:     0
    .vgpr_spill_count: 0
    .wavefront_size: 64
  - .agpr_count:     0
    .args:
      - .offset:         0
        .size:           112
        .value_kind:     by_value
    .group_segment_fixed_size: 10248
    .kernarg_segment_align: 8
    .kernarg_segment_size: 112
    .language:       OpenCL C
    .language_version:
      - 2
      - 0
    .max_flat_workgroup_size: 256
    .name:           _ZN7rocprim17ROCPRIM_400000_NS6detail17trampoline_kernelINS0_14default_configENS1_25partition_config_selectorILNS1_17partition_subalgoE8EfNS0_10empty_typeEbEEZZNS1_14partition_implILS5_8ELb0ES3_jPKfPS6_PKS6_NS0_5tupleIJPfS6_EEENSE_IJSB_SB_EEENS0_18inequality_wrapperIN6hipcub16HIPCUB_304000_NS8EqualityEEEPlJS6_EEE10hipError_tPvRmT3_T4_T5_T6_T7_T9_mT8_P12ihipStream_tbDpT10_ENKUlT_T0_E_clISt17integral_constantIbLb0EES17_EEDaS12_S13_EUlS12_E_NS1_11comp_targetILNS1_3genE4ELNS1_11target_archE910ELNS1_3gpuE8ELNS1_3repE0EEENS1_30default_config_static_selectorELNS0_4arch9wavefront6targetE1EEEvT1_
    .private_segment_fixed_size: 0
    .sgpr_count:     44
    .sgpr_spill_count: 0
    .symbol:         _ZN7rocprim17ROCPRIM_400000_NS6detail17trampoline_kernelINS0_14default_configENS1_25partition_config_selectorILNS1_17partition_subalgoE8EfNS0_10empty_typeEbEEZZNS1_14partition_implILS5_8ELb0ES3_jPKfPS6_PKS6_NS0_5tupleIJPfS6_EEENSE_IJSB_SB_EEENS0_18inequality_wrapperIN6hipcub16HIPCUB_304000_NS8EqualityEEEPlJS6_EEE10hipError_tPvRmT3_T4_T5_T6_T7_T9_mT8_P12ihipStream_tbDpT10_ENKUlT_T0_E_clISt17integral_constantIbLb0EES17_EEDaS12_S13_EUlS12_E_NS1_11comp_targetILNS1_3genE4ELNS1_11target_archE910ELNS1_3gpuE8ELNS1_3repE0EEENS1_30default_config_static_selectorELNS0_4arch9wavefront6targetE1EEEvT1_.kd
    .uniform_work_group_size: 1
    .uses_dynamic_stack: false
    .vgpr_count:     56
    .vgpr_spill_count: 0
    .wavefront_size: 64
  - .agpr_count:     0
    .args:
      - .offset:         0
        .size:           112
        .value_kind:     by_value
    .group_segment_fixed_size: 0
    .kernarg_segment_align: 8
    .kernarg_segment_size: 112
    .language:       OpenCL C
    .language_version:
      - 2
      - 0
    .max_flat_workgroup_size: 512
    .name:           _ZN7rocprim17ROCPRIM_400000_NS6detail17trampoline_kernelINS0_14default_configENS1_25partition_config_selectorILNS1_17partition_subalgoE8EfNS0_10empty_typeEbEEZZNS1_14partition_implILS5_8ELb0ES3_jPKfPS6_PKS6_NS0_5tupleIJPfS6_EEENSE_IJSB_SB_EEENS0_18inequality_wrapperIN6hipcub16HIPCUB_304000_NS8EqualityEEEPlJS6_EEE10hipError_tPvRmT3_T4_T5_T6_T7_T9_mT8_P12ihipStream_tbDpT10_ENKUlT_T0_E_clISt17integral_constantIbLb0EES17_EEDaS12_S13_EUlS12_E_NS1_11comp_targetILNS1_3genE3ELNS1_11target_archE908ELNS1_3gpuE7ELNS1_3repE0EEENS1_30default_config_static_selectorELNS0_4arch9wavefront6targetE1EEEvT1_
    .private_segment_fixed_size: 0
    .sgpr_count:     4
    .sgpr_spill_count: 0
    .symbol:         _ZN7rocprim17ROCPRIM_400000_NS6detail17trampoline_kernelINS0_14default_configENS1_25partition_config_selectorILNS1_17partition_subalgoE8EfNS0_10empty_typeEbEEZZNS1_14partition_implILS5_8ELb0ES3_jPKfPS6_PKS6_NS0_5tupleIJPfS6_EEENSE_IJSB_SB_EEENS0_18inequality_wrapperIN6hipcub16HIPCUB_304000_NS8EqualityEEEPlJS6_EEE10hipError_tPvRmT3_T4_T5_T6_T7_T9_mT8_P12ihipStream_tbDpT10_ENKUlT_T0_E_clISt17integral_constantIbLb0EES17_EEDaS12_S13_EUlS12_E_NS1_11comp_targetILNS1_3genE3ELNS1_11target_archE908ELNS1_3gpuE7ELNS1_3repE0EEENS1_30default_config_static_selectorELNS0_4arch9wavefront6targetE1EEEvT1_.kd
    .uniform_work_group_size: 1
    .uses_dynamic_stack: false
    .vgpr_count:     0
    .vgpr_spill_count: 0
    .wavefront_size: 64
  - .agpr_count:     0
    .args:
      - .offset:         0
        .size:           112
        .value_kind:     by_value
    .group_segment_fixed_size: 0
    .kernarg_segment_align: 8
    .kernarg_segment_size: 112
    .language:       OpenCL C
    .language_version:
      - 2
      - 0
    .max_flat_workgroup_size: 256
    .name:           _ZN7rocprim17ROCPRIM_400000_NS6detail17trampoline_kernelINS0_14default_configENS1_25partition_config_selectorILNS1_17partition_subalgoE8EfNS0_10empty_typeEbEEZZNS1_14partition_implILS5_8ELb0ES3_jPKfPS6_PKS6_NS0_5tupleIJPfS6_EEENSE_IJSB_SB_EEENS0_18inequality_wrapperIN6hipcub16HIPCUB_304000_NS8EqualityEEEPlJS6_EEE10hipError_tPvRmT3_T4_T5_T6_T7_T9_mT8_P12ihipStream_tbDpT10_ENKUlT_T0_E_clISt17integral_constantIbLb0EES17_EEDaS12_S13_EUlS12_E_NS1_11comp_targetILNS1_3genE2ELNS1_11target_archE906ELNS1_3gpuE6ELNS1_3repE0EEENS1_30default_config_static_selectorELNS0_4arch9wavefront6targetE1EEEvT1_
    .private_segment_fixed_size: 0
    .sgpr_count:     4
    .sgpr_spill_count: 0
    .symbol:         _ZN7rocprim17ROCPRIM_400000_NS6detail17trampoline_kernelINS0_14default_configENS1_25partition_config_selectorILNS1_17partition_subalgoE8EfNS0_10empty_typeEbEEZZNS1_14partition_implILS5_8ELb0ES3_jPKfPS6_PKS6_NS0_5tupleIJPfS6_EEENSE_IJSB_SB_EEENS0_18inequality_wrapperIN6hipcub16HIPCUB_304000_NS8EqualityEEEPlJS6_EEE10hipError_tPvRmT3_T4_T5_T6_T7_T9_mT8_P12ihipStream_tbDpT10_ENKUlT_T0_E_clISt17integral_constantIbLb0EES17_EEDaS12_S13_EUlS12_E_NS1_11comp_targetILNS1_3genE2ELNS1_11target_archE906ELNS1_3gpuE6ELNS1_3repE0EEENS1_30default_config_static_selectorELNS0_4arch9wavefront6targetE1EEEvT1_.kd
    .uniform_work_group_size: 1
    .uses_dynamic_stack: false
    .vgpr_count:     0
    .vgpr_spill_count: 0
    .wavefront_size: 64
  - .agpr_count:     0
    .args:
      - .offset:         0
        .size:           112
        .value_kind:     by_value
    .group_segment_fixed_size: 0
    .kernarg_segment_align: 8
    .kernarg_segment_size: 112
    .language:       OpenCL C
    .language_version:
      - 2
      - 0
    .max_flat_workgroup_size: 384
    .name:           _ZN7rocprim17ROCPRIM_400000_NS6detail17trampoline_kernelINS0_14default_configENS1_25partition_config_selectorILNS1_17partition_subalgoE8EfNS0_10empty_typeEbEEZZNS1_14partition_implILS5_8ELb0ES3_jPKfPS6_PKS6_NS0_5tupleIJPfS6_EEENSE_IJSB_SB_EEENS0_18inequality_wrapperIN6hipcub16HIPCUB_304000_NS8EqualityEEEPlJS6_EEE10hipError_tPvRmT3_T4_T5_T6_T7_T9_mT8_P12ihipStream_tbDpT10_ENKUlT_T0_E_clISt17integral_constantIbLb0EES17_EEDaS12_S13_EUlS12_E_NS1_11comp_targetILNS1_3genE10ELNS1_11target_archE1200ELNS1_3gpuE4ELNS1_3repE0EEENS1_30default_config_static_selectorELNS0_4arch9wavefront6targetE1EEEvT1_
    .private_segment_fixed_size: 0
    .sgpr_count:     4
    .sgpr_spill_count: 0
    .symbol:         _ZN7rocprim17ROCPRIM_400000_NS6detail17trampoline_kernelINS0_14default_configENS1_25partition_config_selectorILNS1_17partition_subalgoE8EfNS0_10empty_typeEbEEZZNS1_14partition_implILS5_8ELb0ES3_jPKfPS6_PKS6_NS0_5tupleIJPfS6_EEENSE_IJSB_SB_EEENS0_18inequality_wrapperIN6hipcub16HIPCUB_304000_NS8EqualityEEEPlJS6_EEE10hipError_tPvRmT3_T4_T5_T6_T7_T9_mT8_P12ihipStream_tbDpT10_ENKUlT_T0_E_clISt17integral_constantIbLb0EES17_EEDaS12_S13_EUlS12_E_NS1_11comp_targetILNS1_3genE10ELNS1_11target_archE1200ELNS1_3gpuE4ELNS1_3repE0EEENS1_30default_config_static_selectorELNS0_4arch9wavefront6targetE1EEEvT1_.kd
    .uniform_work_group_size: 1
    .uses_dynamic_stack: false
    .vgpr_count:     0
    .vgpr_spill_count: 0
    .wavefront_size: 64
  - .agpr_count:     0
    .args:
      - .offset:         0
        .size:           112
        .value_kind:     by_value
    .group_segment_fixed_size: 0
    .kernarg_segment_align: 8
    .kernarg_segment_size: 112
    .language:       OpenCL C
    .language_version:
      - 2
      - 0
    .max_flat_workgroup_size: 128
    .name:           _ZN7rocprim17ROCPRIM_400000_NS6detail17trampoline_kernelINS0_14default_configENS1_25partition_config_selectorILNS1_17partition_subalgoE8EfNS0_10empty_typeEbEEZZNS1_14partition_implILS5_8ELb0ES3_jPKfPS6_PKS6_NS0_5tupleIJPfS6_EEENSE_IJSB_SB_EEENS0_18inequality_wrapperIN6hipcub16HIPCUB_304000_NS8EqualityEEEPlJS6_EEE10hipError_tPvRmT3_T4_T5_T6_T7_T9_mT8_P12ihipStream_tbDpT10_ENKUlT_T0_E_clISt17integral_constantIbLb0EES17_EEDaS12_S13_EUlS12_E_NS1_11comp_targetILNS1_3genE9ELNS1_11target_archE1100ELNS1_3gpuE3ELNS1_3repE0EEENS1_30default_config_static_selectorELNS0_4arch9wavefront6targetE1EEEvT1_
    .private_segment_fixed_size: 0
    .sgpr_count:     4
    .sgpr_spill_count: 0
    .symbol:         _ZN7rocprim17ROCPRIM_400000_NS6detail17trampoline_kernelINS0_14default_configENS1_25partition_config_selectorILNS1_17partition_subalgoE8EfNS0_10empty_typeEbEEZZNS1_14partition_implILS5_8ELb0ES3_jPKfPS6_PKS6_NS0_5tupleIJPfS6_EEENSE_IJSB_SB_EEENS0_18inequality_wrapperIN6hipcub16HIPCUB_304000_NS8EqualityEEEPlJS6_EEE10hipError_tPvRmT3_T4_T5_T6_T7_T9_mT8_P12ihipStream_tbDpT10_ENKUlT_T0_E_clISt17integral_constantIbLb0EES17_EEDaS12_S13_EUlS12_E_NS1_11comp_targetILNS1_3genE9ELNS1_11target_archE1100ELNS1_3gpuE3ELNS1_3repE0EEENS1_30default_config_static_selectorELNS0_4arch9wavefront6targetE1EEEvT1_.kd
    .uniform_work_group_size: 1
    .uses_dynamic_stack: false
    .vgpr_count:     0
    .vgpr_spill_count: 0
    .wavefront_size: 64
  - .agpr_count:     0
    .args:
      - .offset:         0
        .size:           112
        .value_kind:     by_value
    .group_segment_fixed_size: 0
    .kernarg_segment_align: 8
    .kernarg_segment_size: 112
    .language:       OpenCL C
    .language_version:
      - 2
      - 0
    .max_flat_workgroup_size: 512
    .name:           _ZN7rocprim17ROCPRIM_400000_NS6detail17trampoline_kernelINS0_14default_configENS1_25partition_config_selectorILNS1_17partition_subalgoE8EfNS0_10empty_typeEbEEZZNS1_14partition_implILS5_8ELb0ES3_jPKfPS6_PKS6_NS0_5tupleIJPfS6_EEENSE_IJSB_SB_EEENS0_18inequality_wrapperIN6hipcub16HIPCUB_304000_NS8EqualityEEEPlJS6_EEE10hipError_tPvRmT3_T4_T5_T6_T7_T9_mT8_P12ihipStream_tbDpT10_ENKUlT_T0_E_clISt17integral_constantIbLb0EES17_EEDaS12_S13_EUlS12_E_NS1_11comp_targetILNS1_3genE8ELNS1_11target_archE1030ELNS1_3gpuE2ELNS1_3repE0EEENS1_30default_config_static_selectorELNS0_4arch9wavefront6targetE1EEEvT1_
    .private_segment_fixed_size: 0
    .sgpr_count:     4
    .sgpr_spill_count: 0
    .symbol:         _ZN7rocprim17ROCPRIM_400000_NS6detail17trampoline_kernelINS0_14default_configENS1_25partition_config_selectorILNS1_17partition_subalgoE8EfNS0_10empty_typeEbEEZZNS1_14partition_implILS5_8ELb0ES3_jPKfPS6_PKS6_NS0_5tupleIJPfS6_EEENSE_IJSB_SB_EEENS0_18inequality_wrapperIN6hipcub16HIPCUB_304000_NS8EqualityEEEPlJS6_EEE10hipError_tPvRmT3_T4_T5_T6_T7_T9_mT8_P12ihipStream_tbDpT10_ENKUlT_T0_E_clISt17integral_constantIbLb0EES17_EEDaS12_S13_EUlS12_E_NS1_11comp_targetILNS1_3genE8ELNS1_11target_archE1030ELNS1_3gpuE2ELNS1_3repE0EEENS1_30default_config_static_selectorELNS0_4arch9wavefront6targetE1EEEvT1_.kd
    .uniform_work_group_size: 1
    .uses_dynamic_stack: false
    .vgpr_count:     0
    .vgpr_spill_count: 0
    .wavefront_size: 64
  - .agpr_count:     0
    .args:
      - .offset:         0
        .size:           128
        .value_kind:     by_value
    .group_segment_fixed_size: 0
    .kernarg_segment_align: 8
    .kernarg_segment_size: 128
    .language:       OpenCL C
    .language_version:
      - 2
      - 0
    .max_flat_workgroup_size: 512
    .name:           _ZN7rocprim17ROCPRIM_400000_NS6detail17trampoline_kernelINS0_14default_configENS1_25partition_config_selectorILNS1_17partition_subalgoE8EfNS0_10empty_typeEbEEZZNS1_14partition_implILS5_8ELb0ES3_jPKfPS6_PKS6_NS0_5tupleIJPfS6_EEENSE_IJSB_SB_EEENS0_18inequality_wrapperIN6hipcub16HIPCUB_304000_NS8EqualityEEEPlJS6_EEE10hipError_tPvRmT3_T4_T5_T6_T7_T9_mT8_P12ihipStream_tbDpT10_ENKUlT_T0_E_clISt17integral_constantIbLb1EES17_EEDaS12_S13_EUlS12_E_NS1_11comp_targetILNS1_3genE0ELNS1_11target_archE4294967295ELNS1_3gpuE0ELNS1_3repE0EEENS1_30default_config_static_selectorELNS0_4arch9wavefront6targetE1EEEvT1_
    .private_segment_fixed_size: 0
    .sgpr_count:     4
    .sgpr_spill_count: 0
    .symbol:         _ZN7rocprim17ROCPRIM_400000_NS6detail17trampoline_kernelINS0_14default_configENS1_25partition_config_selectorILNS1_17partition_subalgoE8EfNS0_10empty_typeEbEEZZNS1_14partition_implILS5_8ELb0ES3_jPKfPS6_PKS6_NS0_5tupleIJPfS6_EEENSE_IJSB_SB_EEENS0_18inequality_wrapperIN6hipcub16HIPCUB_304000_NS8EqualityEEEPlJS6_EEE10hipError_tPvRmT3_T4_T5_T6_T7_T9_mT8_P12ihipStream_tbDpT10_ENKUlT_T0_E_clISt17integral_constantIbLb1EES17_EEDaS12_S13_EUlS12_E_NS1_11comp_targetILNS1_3genE0ELNS1_11target_archE4294967295ELNS1_3gpuE0ELNS1_3repE0EEENS1_30default_config_static_selectorELNS0_4arch9wavefront6targetE1EEEvT1_.kd
    .uniform_work_group_size: 1
    .uses_dynamic_stack: false
    .vgpr_count:     0
    .vgpr_spill_count: 0
    .wavefront_size: 64
  - .agpr_count:     0
    .args:
      - .offset:         0
        .size:           128
        .value_kind:     by_value
    .group_segment_fixed_size: 0
    .kernarg_segment_align: 8
    .kernarg_segment_size: 128
    .language:       OpenCL C
    .language_version:
      - 2
      - 0
    .max_flat_workgroup_size: 512
    .name:           _ZN7rocprim17ROCPRIM_400000_NS6detail17trampoline_kernelINS0_14default_configENS1_25partition_config_selectorILNS1_17partition_subalgoE8EfNS0_10empty_typeEbEEZZNS1_14partition_implILS5_8ELb0ES3_jPKfPS6_PKS6_NS0_5tupleIJPfS6_EEENSE_IJSB_SB_EEENS0_18inequality_wrapperIN6hipcub16HIPCUB_304000_NS8EqualityEEEPlJS6_EEE10hipError_tPvRmT3_T4_T5_T6_T7_T9_mT8_P12ihipStream_tbDpT10_ENKUlT_T0_E_clISt17integral_constantIbLb1EES17_EEDaS12_S13_EUlS12_E_NS1_11comp_targetILNS1_3genE5ELNS1_11target_archE942ELNS1_3gpuE9ELNS1_3repE0EEENS1_30default_config_static_selectorELNS0_4arch9wavefront6targetE1EEEvT1_
    .private_segment_fixed_size: 0
    .sgpr_count:     4
    .sgpr_spill_count: 0
    .symbol:         _ZN7rocprim17ROCPRIM_400000_NS6detail17trampoline_kernelINS0_14default_configENS1_25partition_config_selectorILNS1_17partition_subalgoE8EfNS0_10empty_typeEbEEZZNS1_14partition_implILS5_8ELb0ES3_jPKfPS6_PKS6_NS0_5tupleIJPfS6_EEENSE_IJSB_SB_EEENS0_18inequality_wrapperIN6hipcub16HIPCUB_304000_NS8EqualityEEEPlJS6_EEE10hipError_tPvRmT3_T4_T5_T6_T7_T9_mT8_P12ihipStream_tbDpT10_ENKUlT_T0_E_clISt17integral_constantIbLb1EES17_EEDaS12_S13_EUlS12_E_NS1_11comp_targetILNS1_3genE5ELNS1_11target_archE942ELNS1_3gpuE9ELNS1_3repE0EEENS1_30default_config_static_selectorELNS0_4arch9wavefront6targetE1EEEvT1_.kd
    .uniform_work_group_size: 1
    .uses_dynamic_stack: false
    .vgpr_count:     0
    .vgpr_spill_count: 0
    .wavefront_size: 64
  - .agpr_count:     0
    .args:
      - .offset:         0
        .size:           128
        .value_kind:     by_value
    .group_segment_fixed_size: 10248
    .kernarg_segment_align: 8
    .kernarg_segment_size: 128
    .language:       OpenCL C
    .language_version:
      - 2
      - 0
    .max_flat_workgroup_size: 256
    .name:           _ZN7rocprim17ROCPRIM_400000_NS6detail17trampoline_kernelINS0_14default_configENS1_25partition_config_selectorILNS1_17partition_subalgoE8EfNS0_10empty_typeEbEEZZNS1_14partition_implILS5_8ELb0ES3_jPKfPS6_PKS6_NS0_5tupleIJPfS6_EEENSE_IJSB_SB_EEENS0_18inequality_wrapperIN6hipcub16HIPCUB_304000_NS8EqualityEEEPlJS6_EEE10hipError_tPvRmT3_T4_T5_T6_T7_T9_mT8_P12ihipStream_tbDpT10_ENKUlT_T0_E_clISt17integral_constantIbLb1EES17_EEDaS12_S13_EUlS12_E_NS1_11comp_targetILNS1_3genE4ELNS1_11target_archE910ELNS1_3gpuE8ELNS1_3repE0EEENS1_30default_config_static_selectorELNS0_4arch9wavefront6targetE1EEEvT1_
    .private_segment_fixed_size: 0
    .sgpr_count:     45
    .sgpr_spill_count: 0
    .symbol:         _ZN7rocprim17ROCPRIM_400000_NS6detail17trampoline_kernelINS0_14default_configENS1_25partition_config_selectorILNS1_17partition_subalgoE8EfNS0_10empty_typeEbEEZZNS1_14partition_implILS5_8ELb0ES3_jPKfPS6_PKS6_NS0_5tupleIJPfS6_EEENSE_IJSB_SB_EEENS0_18inequality_wrapperIN6hipcub16HIPCUB_304000_NS8EqualityEEEPlJS6_EEE10hipError_tPvRmT3_T4_T5_T6_T7_T9_mT8_P12ihipStream_tbDpT10_ENKUlT_T0_E_clISt17integral_constantIbLb1EES17_EEDaS12_S13_EUlS12_E_NS1_11comp_targetILNS1_3genE4ELNS1_11target_archE910ELNS1_3gpuE8ELNS1_3repE0EEENS1_30default_config_static_selectorELNS0_4arch9wavefront6targetE1EEEvT1_.kd
    .uniform_work_group_size: 1
    .uses_dynamic_stack: false
    .vgpr_count:     58
    .vgpr_spill_count: 0
    .wavefront_size: 64
  - .agpr_count:     0
    .args:
      - .offset:         0
        .size:           128
        .value_kind:     by_value
    .group_segment_fixed_size: 0
    .kernarg_segment_align: 8
    .kernarg_segment_size: 128
    .language:       OpenCL C
    .language_version:
      - 2
      - 0
    .max_flat_workgroup_size: 512
    .name:           _ZN7rocprim17ROCPRIM_400000_NS6detail17trampoline_kernelINS0_14default_configENS1_25partition_config_selectorILNS1_17partition_subalgoE8EfNS0_10empty_typeEbEEZZNS1_14partition_implILS5_8ELb0ES3_jPKfPS6_PKS6_NS0_5tupleIJPfS6_EEENSE_IJSB_SB_EEENS0_18inequality_wrapperIN6hipcub16HIPCUB_304000_NS8EqualityEEEPlJS6_EEE10hipError_tPvRmT3_T4_T5_T6_T7_T9_mT8_P12ihipStream_tbDpT10_ENKUlT_T0_E_clISt17integral_constantIbLb1EES17_EEDaS12_S13_EUlS12_E_NS1_11comp_targetILNS1_3genE3ELNS1_11target_archE908ELNS1_3gpuE7ELNS1_3repE0EEENS1_30default_config_static_selectorELNS0_4arch9wavefront6targetE1EEEvT1_
    .private_segment_fixed_size: 0
    .sgpr_count:     4
    .sgpr_spill_count: 0
    .symbol:         _ZN7rocprim17ROCPRIM_400000_NS6detail17trampoline_kernelINS0_14default_configENS1_25partition_config_selectorILNS1_17partition_subalgoE8EfNS0_10empty_typeEbEEZZNS1_14partition_implILS5_8ELb0ES3_jPKfPS6_PKS6_NS0_5tupleIJPfS6_EEENSE_IJSB_SB_EEENS0_18inequality_wrapperIN6hipcub16HIPCUB_304000_NS8EqualityEEEPlJS6_EEE10hipError_tPvRmT3_T4_T5_T6_T7_T9_mT8_P12ihipStream_tbDpT10_ENKUlT_T0_E_clISt17integral_constantIbLb1EES17_EEDaS12_S13_EUlS12_E_NS1_11comp_targetILNS1_3genE3ELNS1_11target_archE908ELNS1_3gpuE7ELNS1_3repE0EEENS1_30default_config_static_selectorELNS0_4arch9wavefront6targetE1EEEvT1_.kd
    .uniform_work_group_size: 1
    .uses_dynamic_stack: false
    .vgpr_count:     0
    .vgpr_spill_count: 0
    .wavefront_size: 64
  - .agpr_count:     0
    .args:
      - .offset:         0
        .size:           128
        .value_kind:     by_value
    .group_segment_fixed_size: 0
    .kernarg_segment_align: 8
    .kernarg_segment_size: 128
    .language:       OpenCL C
    .language_version:
      - 2
      - 0
    .max_flat_workgroup_size: 256
    .name:           _ZN7rocprim17ROCPRIM_400000_NS6detail17trampoline_kernelINS0_14default_configENS1_25partition_config_selectorILNS1_17partition_subalgoE8EfNS0_10empty_typeEbEEZZNS1_14partition_implILS5_8ELb0ES3_jPKfPS6_PKS6_NS0_5tupleIJPfS6_EEENSE_IJSB_SB_EEENS0_18inequality_wrapperIN6hipcub16HIPCUB_304000_NS8EqualityEEEPlJS6_EEE10hipError_tPvRmT3_T4_T5_T6_T7_T9_mT8_P12ihipStream_tbDpT10_ENKUlT_T0_E_clISt17integral_constantIbLb1EES17_EEDaS12_S13_EUlS12_E_NS1_11comp_targetILNS1_3genE2ELNS1_11target_archE906ELNS1_3gpuE6ELNS1_3repE0EEENS1_30default_config_static_selectorELNS0_4arch9wavefront6targetE1EEEvT1_
    .private_segment_fixed_size: 0
    .sgpr_count:     4
    .sgpr_spill_count: 0
    .symbol:         _ZN7rocprim17ROCPRIM_400000_NS6detail17trampoline_kernelINS0_14default_configENS1_25partition_config_selectorILNS1_17partition_subalgoE8EfNS0_10empty_typeEbEEZZNS1_14partition_implILS5_8ELb0ES3_jPKfPS6_PKS6_NS0_5tupleIJPfS6_EEENSE_IJSB_SB_EEENS0_18inequality_wrapperIN6hipcub16HIPCUB_304000_NS8EqualityEEEPlJS6_EEE10hipError_tPvRmT3_T4_T5_T6_T7_T9_mT8_P12ihipStream_tbDpT10_ENKUlT_T0_E_clISt17integral_constantIbLb1EES17_EEDaS12_S13_EUlS12_E_NS1_11comp_targetILNS1_3genE2ELNS1_11target_archE906ELNS1_3gpuE6ELNS1_3repE0EEENS1_30default_config_static_selectorELNS0_4arch9wavefront6targetE1EEEvT1_.kd
    .uniform_work_group_size: 1
    .uses_dynamic_stack: false
    .vgpr_count:     0
    .vgpr_spill_count: 0
    .wavefront_size: 64
  - .agpr_count:     0
    .args:
      - .offset:         0
        .size:           128
        .value_kind:     by_value
    .group_segment_fixed_size: 0
    .kernarg_segment_align: 8
    .kernarg_segment_size: 128
    .language:       OpenCL C
    .language_version:
      - 2
      - 0
    .max_flat_workgroup_size: 384
    .name:           _ZN7rocprim17ROCPRIM_400000_NS6detail17trampoline_kernelINS0_14default_configENS1_25partition_config_selectorILNS1_17partition_subalgoE8EfNS0_10empty_typeEbEEZZNS1_14partition_implILS5_8ELb0ES3_jPKfPS6_PKS6_NS0_5tupleIJPfS6_EEENSE_IJSB_SB_EEENS0_18inequality_wrapperIN6hipcub16HIPCUB_304000_NS8EqualityEEEPlJS6_EEE10hipError_tPvRmT3_T4_T5_T6_T7_T9_mT8_P12ihipStream_tbDpT10_ENKUlT_T0_E_clISt17integral_constantIbLb1EES17_EEDaS12_S13_EUlS12_E_NS1_11comp_targetILNS1_3genE10ELNS1_11target_archE1200ELNS1_3gpuE4ELNS1_3repE0EEENS1_30default_config_static_selectorELNS0_4arch9wavefront6targetE1EEEvT1_
    .private_segment_fixed_size: 0
    .sgpr_count:     4
    .sgpr_spill_count: 0
    .symbol:         _ZN7rocprim17ROCPRIM_400000_NS6detail17trampoline_kernelINS0_14default_configENS1_25partition_config_selectorILNS1_17partition_subalgoE8EfNS0_10empty_typeEbEEZZNS1_14partition_implILS5_8ELb0ES3_jPKfPS6_PKS6_NS0_5tupleIJPfS6_EEENSE_IJSB_SB_EEENS0_18inequality_wrapperIN6hipcub16HIPCUB_304000_NS8EqualityEEEPlJS6_EEE10hipError_tPvRmT3_T4_T5_T6_T7_T9_mT8_P12ihipStream_tbDpT10_ENKUlT_T0_E_clISt17integral_constantIbLb1EES17_EEDaS12_S13_EUlS12_E_NS1_11comp_targetILNS1_3genE10ELNS1_11target_archE1200ELNS1_3gpuE4ELNS1_3repE0EEENS1_30default_config_static_selectorELNS0_4arch9wavefront6targetE1EEEvT1_.kd
    .uniform_work_group_size: 1
    .uses_dynamic_stack: false
    .vgpr_count:     0
    .vgpr_spill_count: 0
    .wavefront_size: 64
  - .agpr_count:     0
    .args:
      - .offset:         0
        .size:           128
        .value_kind:     by_value
    .group_segment_fixed_size: 0
    .kernarg_segment_align: 8
    .kernarg_segment_size: 128
    .language:       OpenCL C
    .language_version:
      - 2
      - 0
    .max_flat_workgroup_size: 128
    .name:           _ZN7rocprim17ROCPRIM_400000_NS6detail17trampoline_kernelINS0_14default_configENS1_25partition_config_selectorILNS1_17partition_subalgoE8EfNS0_10empty_typeEbEEZZNS1_14partition_implILS5_8ELb0ES3_jPKfPS6_PKS6_NS0_5tupleIJPfS6_EEENSE_IJSB_SB_EEENS0_18inequality_wrapperIN6hipcub16HIPCUB_304000_NS8EqualityEEEPlJS6_EEE10hipError_tPvRmT3_T4_T5_T6_T7_T9_mT8_P12ihipStream_tbDpT10_ENKUlT_T0_E_clISt17integral_constantIbLb1EES17_EEDaS12_S13_EUlS12_E_NS1_11comp_targetILNS1_3genE9ELNS1_11target_archE1100ELNS1_3gpuE3ELNS1_3repE0EEENS1_30default_config_static_selectorELNS0_4arch9wavefront6targetE1EEEvT1_
    .private_segment_fixed_size: 0
    .sgpr_count:     4
    .sgpr_spill_count: 0
    .symbol:         _ZN7rocprim17ROCPRIM_400000_NS6detail17trampoline_kernelINS0_14default_configENS1_25partition_config_selectorILNS1_17partition_subalgoE8EfNS0_10empty_typeEbEEZZNS1_14partition_implILS5_8ELb0ES3_jPKfPS6_PKS6_NS0_5tupleIJPfS6_EEENSE_IJSB_SB_EEENS0_18inequality_wrapperIN6hipcub16HIPCUB_304000_NS8EqualityEEEPlJS6_EEE10hipError_tPvRmT3_T4_T5_T6_T7_T9_mT8_P12ihipStream_tbDpT10_ENKUlT_T0_E_clISt17integral_constantIbLb1EES17_EEDaS12_S13_EUlS12_E_NS1_11comp_targetILNS1_3genE9ELNS1_11target_archE1100ELNS1_3gpuE3ELNS1_3repE0EEENS1_30default_config_static_selectorELNS0_4arch9wavefront6targetE1EEEvT1_.kd
    .uniform_work_group_size: 1
    .uses_dynamic_stack: false
    .vgpr_count:     0
    .vgpr_spill_count: 0
    .wavefront_size: 64
  - .agpr_count:     0
    .args:
      - .offset:         0
        .size:           128
        .value_kind:     by_value
    .group_segment_fixed_size: 0
    .kernarg_segment_align: 8
    .kernarg_segment_size: 128
    .language:       OpenCL C
    .language_version:
      - 2
      - 0
    .max_flat_workgroup_size: 512
    .name:           _ZN7rocprim17ROCPRIM_400000_NS6detail17trampoline_kernelINS0_14default_configENS1_25partition_config_selectorILNS1_17partition_subalgoE8EfNS0_10empty_typeEbEEZZNS1_14partition_implILS5_8ELb0ES3_jPKfPS6_PKS6_NS0_5tupleIJPfS6_EEENSE_IJSB_SB_EEENS0_18inequality_wrapperIN6hipcub16HIPCUB_304000_NS8EqualityEEEPlJS6_EEE10hipError_tPvRmT3_T4_T5_T6_T7_T9_mT8_P12ihipStream_tbDpT10_ENKUlT_T0_E_clISt17integral_constantIbLb1EES17_EEDaS12_S13_EUlS12_E_NS1_11comp_targetILNS1_3genE8ELNS1_11target_archE1030ELNS1_3gpuE2ELNS1_3repE0EEENS1_30default_config_static_selectorELNS0_4arch9wavefront6targetE1EEEvT1_
    .private_segment_fixed_size: 0
    .sgpr_count:     4
    .sgpr_spill_count: 0
    .symbol:         _ZN7rocprim17ROCPRIM_400000_NS6detail17trampoline_kernelINS0_14default_configENS1_25partition_config_selectorILNS1_17partition_subalgoE8EfNS0_10empty_typeEbEEZZNS1_14partition_implILS5_8ELb0ES3_jPKfPS6_PKS6_NS0_5tupleIJPfS6_EEENSE_IJSB_SB_EEENS0_18inequality_wrapperIN6hipcub16HIPCUB_304000_NS8EqualityEEEPlJS6_EEE10hipError_tPvRmT3_T4_T5_T6_T7_T9_mT8_P12ihipStream_tbDpT10_ENKUlT_T0_E_clISt17integral_constantIbLb1EES17_EEDaS12_S13_EUlS12_E_NS1_11comp_targetILNS1_3genE8ELNS1_11target_archE1030ELNS1_3gpuE2ELNS1_3repE0EEENS1_30default_config_static_selectorELNS0_4arch9wavefront6targetE1EEEvT1_.kd
    .uniform_work_group_size: 1
    .uses_dynamic_stack: false
    .vgpr_count:     0
    .vgpr_spill_count: 0
    .wavefront_size: 64
  - .agpr_count:     0
    .args:
      - .offset:         0
        .size:           112
        .value_kind:     by_value
    .group_segment_fixed_size: 0
    .kernarg_segment_align: 8
    .kernarg_segment_size: 112
    .language:       OpenCL C
    .language_version:
      - 2
      - 0
    .max_flat_workgroup_size: 512
    .name:           _ZN7rocprim17ROCPRIM_400000_NS6detail17trampoline_kernelINS0_14default_configENS1_25partition_config_selectorILNS1_17partition_subalgoE8EfNS0_10empty_typeEbEEZZNS1_14partition_implILS5_8ELb0ES3_jPKfPS6_PKS6_NS0_5tupleIJPfS6_EEENSE_IJSB_SB_EEENS0_18inequality_wrapperIN6hipcub16HIPCUB_304000_NS8EqualityEEEPlJS6_EEE10hipError_tPvRmT3_T4_T5_T6_T7_T9_mT8_P12ihipStream_tbDpT10_ENKUlT_T0_E_clISt17integral_constantIbLb1EES16_IbLb0EEEEDaS12_S13_EUlS12_E_NS1_11comp_targetILNS1_3genE0ELNS1_11target_archE4294967295ELNS1_3gpuE0ELNS1_3repE0EEENS1_30default_config_static_selectorELNS0_4arch9wavefront6targetE1EEEvT1_
    .private_segment_fixed_size: 0
    .sgpr_count:     4
    .sgpr_spill_count: 0
    .symbol:         _ZN7rocprim17ROCPRIM_400000_NS6detail17trampoline_kernelINS0_14default_configENS1_25partition_config_selectorILNS1_17partition_subalgoE8EfNS0_10empty_typeEbEEZZNS1_14partition_implILS5_8ELb0ES3_jPKfPS6_PKS6_NS0_5tupleIJPfS6_EEENSE_IJSB_SB_EEENS0_18inequality_wrapperIN6hipcub16HIPCUB_304000_NS8EqualityEEEPlJS6_EEE10hipError_tPvRmT3_T4_T5_T6_T7_T9_mT8_P12ihipStream_tbDpT10_ENKUlT_T0_E_clISt17integral_constantIbLb1EES16_IbLb0EEEEDaS12_S13_EUlS12_E_NS1_11comp_targetILNS1_3genE0ELNS1_11target_archE4294967295ELNS1_3gpuE0ELNS1_3repE0EEENS1_30default_config_static_selectorELNS0_4arch9wavefront6targetE1EEEvT1_.kd
    .uniform_work_group_size: 1
    .uses_dynamic_stack: false
    .vgpr_count:     0
    .vgpr_spill_count: 0
    .wavefront_size: 64
  - .agpr_count:     0
    .args:
      - .offset:         0
        .size:           112
        .value_kind:     by_value
    .group_segment_fixed_size: 0
    .kernarg_segment_align: 8
    .kernarg_segment_size: 112
    .language:       OpenCL C
    .language_version:
      - 2
      - 0
    .max_flat_workgroup_size: 512
    .name:           _ZN7rocprim17ROCPRIM_400000_NS6detail17trampoline_kernelINS0_14default_configENS1_25partition_config_selectorILNS1_17partition_subalgoE8EfNS0_10empty_typeEbEEZZNS1_14partition_implILS5_8ELb0ES3_jPKfPS6_PKS6_NS0_5tupleIJPfS6_EEENSE_IJSB_SB_EEENS0_18inequality_wrapperIN6hipcub16HIPCUB_304000_NS8EqualityEEEPlJS6_EEE10hipError_tPvRmT3_T4_T5_T6_T7_T9_mT8_P12ihipStream_tbDpT10_ENKUlT_T0_E_clISt17integral_constantIbLb1EES16_IbLb0EEEEDaS12_S13_EUlS12_E_NS1_11comp_targetILNS1_3genE5ELNS1_11target_archE942ELNS1_3gpuE9ELNS1_3repE0EEENS1_30default_config_static_selectorELNS0_4arch9wavefront6targetE1EEEvT1_
    .private_segment_fixed_size: 0
    .sgpr_count:     4
    .sgpr_spill_count: 0
    .symbol:         _ZN7rocprim17ROCPRIM_400000_NS6detail17trampoline_kernelINS0_14default_configENS1_25partition_config_selectorILNS1_17partition_subalgoE8EfNS0_10empty_typeEbEEZZNS1_14partition_implILS5_8ELb0ES3_jPKfPS6_PKS6_NS0_5tupleIJPfS6_EEENSE_IJSB_SB_EEENS0_18inequality_wrapperIN6hipcub16HIPCUB_304000_NS8EqualityEEEPlJS6_EEE10hipError_tPvRmT3_T4_T5_T6_T7_T9_mT8_P12ihipStream_tbDpT10_ENKUlT_T0_E_clISt17integral_constantIbLb1EES16_IbLb0EEEEDaS12_S13_EUlS12_E_NS1_11comp_targetILNS1_3genE5ELNS1_11target_archE942ELNS1_3gpuE9ELNS1_3repE0EEENS1_30default_config_static_selectorELNS0_4arch9wavefront6targetE1EEEvT1_.kd
    .uniform_work_group_size: 1
    .uses_dynamic_stack: false
    .vgpr_count:     0
    .vgpr_spill_count: 0
    .wavefront_size: 64
  - .agpr_count:     0
    .args:
      - .offset:         0
        .size:           112
        .value_kind:     by_value
    .group_segment_fixed_size: 10248
    .kernarg_segment_align: 8
    .kernarg_segment_size: 112
    .language:       OpenCL C
    .language_version:
      - 2
      - 0
    .max_flat_workgroup_size: 256
    .name:           _ZN7rocprim17ROCPRIM_400000_NS6detail17trampoline_kernelINS0_14default_configENS1_25partition_config_selectorILNS1_17partition_subalgoE8EfNS0_10empty_typeEbEEZZNS1_14partition_implILS5_8ELb0ES3_jPKfPS6_PKS6_NS0_5tupleIJPfS6_EEENSE_IJSB_SB_EEENS0_18inequality_wrapperIN6hipcub16HIPCUB_304000_NS8EqualityEEEPlJS6_EEE10hipError_tPvRmT3_T4_T5_T6_T7_T9_mT8_P12ihipStream_tbDpT10_ENKUlT_T0_E_clISt17integral_constantIbLb1EES16_IbLb0EEEEDaS12_S13_EUlS12_E_NS1_11comp_targetILNS1_3genE4ELNS1_11target_archE910ELNS1_3gpuE8ELNS1_3repE0EEENS1_30default_config_static_selectorELNS0_4arch9wavefront6targetE1EEEvT1_
    .private_segment_fixed_size: 0
    .sgpr_count:     44
    .sgpr_spill_count: 0
    .symbol:         _ZN7rocprim17ROCPRIM_400000_NS6detail17trampoline_kernelINS0_14default_configENS1_25partition_config_selectorILNS1_17partition_subalgoE8EfNS0_10empty_typeEbEEZZNS1_14partition_implILS5_8ELb0ES3_jPKfPS6_PKS6_NS0_5tupleIJPfS6_EEENSE_IJSB_SB_EEENS0_18inequality_wrapperIN6hipcub16HIPCUB_304000_NS8EqualityEEEPlJS6_EEE10hipError_tPvRmT3_T4_T5_T6_T7_T9_mT8_P12ihipStream_tbDpT10_ENKUlT_T0_E_clISt17integral_constantIbLb1EES16_IbLb0EEEEDaS12_S13_EUlS12_E_NS1_11comp_targetILNS1_3genE4ELNS1_11target_archE910ELNS1_3gpuE8ELNS1_3repE0EEENS1_30default_config_static_selectorELNS0_4arch9wavefront6targetE1EEEvT1_.kd
    .uniform_work_group_size: 1
    .uses_dynamic_stack: false
    .vgpr_count:     56
    .vgpr_spill_count: 0
    .wavefront_size: 64
  - .agpr_count:     0
    .args:
      - .offset:         0
        .size:           112
        .value_kind:     by_value
    .group_segment_fixed_size: 0
    .kernarg_segment_align: 8
    .kernarg_segment_size: 112
    .language:       OpenCL C
    .language_version:
      - 2
      - 0
    .max_flat_workgroup_size: 512
    .name:           _ZN7rocprim17ROCPRIM_400000_NS6detail17trampoline_kernelINS0_14default_configENS1_25partition_config_selectorILNS1_17partition_subalgoE8EfNS0_10empty_typeEbEEZZNS1_14partition_implILS5_8ELb0ES3_jPKfPS6_PKS6_NS0_5tupleIJPfS6_EEENSE_IJSB_SB_EEENS0_18inequality_wrapperIN6hipcub16HIPCUB_304000_NS8EqualityEEEPlJS6_EEE10hipError_tPvRmT3_T4_T5_T6_T7_T9_mT8_P12ihipStream_tbDpT10_ENKUlT_T0_E_clISt17integral_constantIbLb1EES16_IbLb0EEEEDaS12_S13_EUlS12_E_NS1_11comp_targetILNS1_3genE3ELNS1_11target_archE908ELNS1_3gpuE7ELNS1_3repE0EEENS1_30default_config_static_selectorELNS0_4arch9wavefront6targetE1EEEvT1_
    .private_segment_fixed_size: 0
    .sgpr_count:     4
    .sgpr_spill_count: 0
    .symbol:         _ZN7rocprim17ROCPRIM_400000_NS6detail17trampoline_kernelINS0_14default_configENS1_25partition_config_selectorILNS1_17partition_subalgoE8EfNS0_10empty_typeEbEEZZNS1_14partition_implILS5_8ELb0ES3_jPKfPS6_PKS6_NS0_5tupleIJPfS6_EEENSE_IJSB_SB_EEENS0_18inequality_wrapperIN6hipcub16HIPCUB_304000_NS8EqualityEEEPlJS6_EEE10hipError_tPvRmT3_T4_T5_T6_T7_T9_mT8_P12ihipStream_tbDpT10_ENKUlT_T0_E_clISt17integral_constantIbLb1EES16_IbLb0EEEEDaS12_S13_EUlS12_E_NS1_11comp_targetILNS1_3genE3ELNS1_11target_archE908ELNS1_3gpuE7ELNS1_3repE0EEENS1_30default_config_static_selectorELNS0_4arch9wavefront6targetE1EEEvT1_.kd
    .uniform_work_group_size: 1
    .uses_dynamic_stack: false
    .vgpr_count:     0
    .vgpr_spill_count: 0
    .wavefront_size: 64
  - .agpr_count:     0
    .args:
      - .offset:         0
        .size:           112
        .value_kind:     by_value
    .group_segment_fixed_size: 0
    .kernarg_segment_align: 8
    .kernarg_segment_size: 112
    .language:       OpenCL C
    .language_version:
      - 2
      - 0
    .max_flat_workgroup_size: 256
    .name:           _ZN7rocprim17ROCPRIM_400000_NS6detail17trampoline_kernelINS0_14default_configENS1_25partition_config_selectorILNS1_17partition_subalgoE8EfNS0_10empty_typeEbEEZZNS1_14partition_implILS5_8ELb0ES3_jPKfPS6_PKS6_NS0_5tupleIJPfS6_EEENSE_IJSB_SB_EEENS0_18inequality_wrapperIN6hipcub16HIPCUB_304000_NS8EqualityEEEPlJS6_EEE10hipError_tPvRmT3_T4_T5_T6_T7_T9_mT8_P12ihipStream_tbDpT10_ENKUlT_T0_E_clISt17integral_constantIbLb1EES16_IbLb0EEEEDaS12_S13_EUlS12_E_NS1_11comp_targetILNS1_3genE2ELNS1_11target_archE906ELNS1_3gpuE6ELNS1_3repE0EEENS1_30default_config_static_selectorELNS0_4arch9wavefront6targetE1EEEvT1_
    .private_segment_fixed_size: 0
    .sgpr_count:     4
    .sgpr_spill_count: 0
    .symbol:         _ZN7rocprim17ROCPRIM_400000_NS6detail17trampoline_kernelINS0_14default_configENS1_25partition_config_selectorILNS1_17partition_subalgoE8EfNS0_10empty_typeEbEEZZNS1_14partition_implILS5_8ELb0ES3_jPKfPS6_PKS6_NS0_5tupleIJPfS6_EEENSE_IJSB_SB_EEENS0_18inequality_wrapperIN6hipcub16HIPCUB_304000_NS8EqualityEEEPlJS6_EEE10hipError_tPvRmT3_T4_T5_T6_T7_T9_mT8_P12ihipStream_tbDpT10_ENKUlT_T0_E_clISt17integral_constantIbLb1EES16_IbLb0EEEEDaS12_S13_EUlS12_E_NS1_11comp_targetILNS1_3genE2ELNS1_11target_archE906ELNS1_3gpuE6ELNS1_3repE0EEENS1_30default_config_static_selectorELNS0_4arch9wavefront6targetE1EEEvT1_.kd
    .uniform_work_group_size: 1
    .uses_dynamic_stack: false
    .vgpr_count:     0
    .vgpr_spill_count: 0
    .wavefront_size: 64
  - .agpr_count:     0
    .args:
      - .offset:         0
        .size:           112
        .value_kind:     by_value
    .group_segment_fixed_size: 0
    .kernarg_segment_align: 8
    .kernarg_segment_size: 112
    .language:       OpenCL C
    .language_version:
      - 2
      - 0
    .max_flat_workgroup_size: 384
    .name:           _ZN7rocprim17ROCPRIM_400000_NS6detail17trampoline_kernelINS0_14default_configENS1_25partition_config_selectorILNS1_17partition_subalgoE8EfNS0_10empty_typeEbEEZZNS1_14partition_implILS5_8ELb0ES3_jPKfPS6_PKS6_NS0_5tupleIJPfS6_EEENSE_IJSB_SB_EEENS0_18inequality_wrapperIN6hipcub16HIPCUB_304000_NS8EqualityEEEPlJS6_EEE10hipError_tPvRmT3_T4_T5_T6_T7_T9_mT8_P12ihipStream_tbDpT10_ENKUlT_T0_E_clISt17integral_constantIbLb1EES16_IbLb0EEEEDaS12_S13_EUlS12_E_NS1_11comp_targetILNS1_3genE10ELNS1_11target_archE1200ELNS1_3gpuE4ELNS1_3repE0EEENS1_30default_config_static_selectorELNS0_4arch9wavefront6targetE1EEEvT1_
    .private_segment_fixed_size: 0
    .sgpr_count:     4
    .sgpr_spill_count: 0
    .symbol:         _ZN7rocprim17ROCPRIM_400000_NS6detail17trampoline_kernelINS0_14default_configENS1_25partition_config_selectorILNS1_17partition_subalgoE8EfNS0_10empty_typeEbEEZZNS1_14partition_implILS5_8ELb0ES3_jPKfPS6_PKS6_NS0_5tupleIJPfS6_EEENSE_IJSB_SB_EEENS0_18inequality_wrapperIN6hipcub16HIPCUB_304000_NS8EqualityEEEPlJS6_EEE10hipError_tPvRmT3_T4_T5_T6_T7_T9_mT8_P12ihipStream_tbDpT10_ENKUlT_T0_E_clISt17integral_constantIbLb1EES16_IbLb0EEEEDaS12_S13_EUlS12_E_NS1_11comp_targetILNS1_3genE10ELNS1_11target_archE1200ELNS1_3gpuE4ELNS1_3repE0EEENS1_30default_config_static_selectorELNS0_4arch9wavefront6targetE1EEEvT1_.kd
    .uniform_work_group_size: 1
    .uses_dynamic_stack: false
    .vgpr_count:     0
    .vgpr_spill_count: 0
    .wavefront_size: 64
  - .agpr_count:     0
    .args:
      - .offset:         0
        .size:           112
        .value_kind:     by_value
    .group_segment_fixed_size: 0
    .kernarg_segment_align: 8
    .kernarg_segment_size: 112
    .language:       OpenCL C
    .language_version:
      - 2
      - 0
    .max_flat_workgroup_size: 128
    .name:           _ZN7rocprim17ROCPRIM_400000_NS6detail17trampoline_kernelINS0_14default_configENS1_25partition_config_selectorILNS1_17partition_subalgoE8EfNS0_10empty_typeEbEEZZNS1_14partition_implILS5_8ELb0ES3_jPKfPS6_PKS6_NS0_5tupleIJPfS6_EEENSE_IJSB_SB_EEENS0_18inequality_wrapperIN6hipcub16HIPCUB_304000_NS8EqualityEEEPlJS6_EEE10hipError_tPvRmT3_T4_T5_T6_T7_T9_mT8_P12ihipStream_tbDpT10_ENKUlT_T0_E_clISt17integral_constantIbLb1EES16_IbLb0EEEEDaS12_S13_EUlS12_E_NS1_11comp_targetILNS1_3genE9ELNS1_11target_archE1100ELNS1_3gpuE3ELNS1_3repE0EEENS1_30default_config_static_selectorELNS0_4arch9wavefront6targetE1EEEvT1_
    .private_segment_fixed_size: 0
    .sgpr_count:     4
    .sgpr_spill_count: 0
    .symbol:         _ZN7rocprim17ROCPRIM_400000_NS6detail17trampoline_kernelINS0_14default_configENS1_25partition_config_selectorILNS1_17partition_subalgoE8EfNS0_10empty_typeEbEEZZNS1_14partition_implILS5_8ELb0ES3_jPKfPS6_PKS6_NS0_5tupleIJPfS6_EEENSE_IJSB_SB_EEENS0_18inequality_wrapperIN6hipcub16HIPCUB_304000_NS8EqualityEEEPlJS6_EEE10hipError_tPvRmT3_T4_T5_T6_T7_T9_mT8_P12ihipStream_tbDpT10_ENKUlT_T0_E_clISt17integral_constantIbLb1EES16_IbLb0EEEEDaS12_S13_EUlS12_E_NS1_11comp_targetILNS1_3genE9ELNS1_11target_archE1100ELNS1_3gpuE3ELNS1_3repE0EEENS1_30default_config_static_selectorELNS0_4arch9wavefront6targetE1EEEvT1_.kd
    .uniform_work_group_size: 1
    .uses_dynamic_stack: false
    .vgpr_count:     0
    .vgpr_spill_count: 0
    .wavefront_size: 64
  - .agpr_count:     0
    .args:
      - .offset:         0
        .size:           112
        .value_kind:     by_value
    .group_segment_fixed_size: 0
    .kernarg_segment_align: 8
    .kernarg_segment_size: 112
    .language:       OpenCL C
    .language_version:
      - 2
      - 0
    .max_flat_workgroup_size: 512
    .name:           _ZN7rocprim17ROCPRIM_400000_NS6detail17trampoline_kernelINS0_14default_configENS1_25partition_config_selectorILNS1_17partition_subalgoE8EfNS0_10empty_typeEbEEZZNS1_14partition_implILS5_8ELb0ES3_jPKfPS6_PKS6_NS0_5tupleIJPfS6_EEENSE_IJSB_SB_EEENS0_18inequality_wrapperIN6hipcub16HIPCUB_304000_NS8EqualityEEEPlJS6_EEE10hipError_tPvRmT3_T4_T5_T6_T7_T9_mT8_P12ihipStream_tbDpT10_ENKUlT_T0_E_clISt17integral_constantIbLb1EES16_IbLb0EEEEDaS12_S13_EUlS12_E_NS1_11comp_targetILNS1_3genE8ELNS1_11target_archE1030ELNS1_3gpuE2ELNS1_3repE0EEENS1_30default_config_static_selectorELNS0_4arch9wavefront6targetE1EEEvT1_
    .private_segment_fixed_size: 0
    .sgpr_count:     4
    .sgpr_spill_count: 0
    .symbol:         _ZN7rocprim17ROCPRIM_400000_NS6detail17trampoline_kernelINS0_14default_configENS1_25partition_config_selectorILNS1_17partition_subalgoE8EfNS0_10empty_typeEbEEZZNS1_14partition_implILS5_8ELb0ES3_jPKfPS6_PKS6_NS0_5tupleIJPfS6_EEENSE_IJSB_SB_EEENS0_18inequality_wrapperIN6hipcub16HIPCUB_304000_NS8EqualityEEEPlJS6_EEE10hipError_tPvRmT3_T4_T5_T6_T7_T9_mT8_P12ihipStream_tbDpT10_ENKUlT_T0_E_clISt17integral_constantIbLb1EES16_IbLb0EEEEDaS12_S13_EUlS12_E_NS1_11comp_targetILNS1_3genE8ELNS1_11target_archE1030ELNS1_3gpuE2ELNS1_3repE0EEENS1_30default_config_static_selectorELNS0_4arch9wavefront6targetE1EEEvT1_.kd
    .uniform_work_group_size: 1
    .uses_dynamic_stack: false
    .vgpr_count:     0
    .vgpr_spill_count: 0
    .wavefront_size: 64
  - .agpr_count:     0
    .args:
      - .offset:         0
        .size:           128
        .value_kind:     by_value
    .group_segment_fixed_size: 0
    .kernarg_segment_align: 8
    .kernarg_segment_size: 128
    .language:       OpenCL C
    .language_version:
      - 2
      - 0
    .max_flat_workgroup_size: 512
    .name:           _ZN7rocprim17ROCPRIM_400000_NS6detail17trampoline_kernelINS0_14default_configENS1_25partition_config_selectorILNS1_17partition_subalgoE8EfNS0_10empty_typeEbEEZZNS1_14partition_implILS5_8ELb0ES3_jPKfPS6_PKS6_NS0_5tupleIJPfS6_EEENSE_IJSB_SB_EEENS0_18inequality_wrapperIN6hipcub16HIPCUB_304000_NS8EqualityEEEPlJS6_EEE10hipError_tPvRmT3_T4_T5_T6_T7_T9_mT8_P12ihipStream_tbDpT10_ENKUlT_T0_E_clISt17integral_constantIbLb0EES16_IbLb1EEEEDaS12_S13_EUlS12_E_NS1_11comp_targetILNS1_3genE0ELNS1_11target_archE4294967295ELNS1_3gpuE0ELNS1_3repE0EEENS1_30default_config_static_selectorELNS0_4arch9wavefront6targetE1EEEvT1_
    .private_segment_fixed_size: 0
    .sgpr_count:     4
    .sgpr_spill_count: 0
    .symbol:         _ZN7rocprim17ROCPRIM_400000_NS6detail17trampoline_kernelINS0_14default_configENS1_25partition_config_selectorILNS1_17partition_subalgoE8EfNS0_10empty_typeEbEEZZNS1_14partition_implILS5_8ELb0ES3_jPKfPS6_PKS6_NS0_5tupleIJPfS6_EEENSE_IJSB_SB_EEENS0_18inequality_wrapperIN6hipcub16HIPCUB_304000_NS8EqualityEEEPlJS6_EEE10hipError_tPvRmT3_T4_T5_T6_T7_T9_mT8_P12ihipStream_tbDpT10_ENKUlT_T0_E_clISt17integral_constantIbLb0EES16_IbLb1EEEEDaS12_S13_EUlS12_E_NS1_11comp_targetILNS1_3genE0ELNS1_11target_archE4294967295ELNS1_3gpuE0ELNS1_3repE0EEENS1_30default_config_static_selectorELNS0_4arch9wavefront6targetE1EEEvT1_.kd
    .uniform_work_group_size: 1
    .uses_dynamic_stack: false
    .vgpr_count:     0
    .vgpr_spill_count: 0
    .wavefront_size: 64
  - .agpr_count:     0
    .args:
      - .offset:         0
        .size:           128
        .value_kind:     by_value
    .group_segment_fixed_size: 0
    .kernarg_segment_align: 8
    .kernarg_segment_size: 128
    .language:       OpenCL C
    .language_version:
      - 2
      - 0
    .max_flat_workgroup_size: 512
    .name:           _ZN7rocprim17ROCPRIM_400000_NS6detail17trampoline_kernelINS0_14default_configENS1_25partition_config_selectorILNS1_17partition_subalgoE8EfNS0_10empty_typeEbEEZZNS1_14partition_implILS5_8ELb0ES3_jPKfPS6_PKS6_NS0_5tupleIJPfS6_EEENSE_IJSB_SB_EEENS0_18inequality_wrapperIN6hipcub16HIPCUB_304000_NS8EqualityEEEPlJS6_EEE10hipError_tPvRmT3_T4_T5_T6_T7_T9_mT8_P12ihipStream_tbDpT10_ENKUlT_T0_E_clISt17integral_constantIbLb0EES16_IbLb1EEEEDaS12_S13_EUlS12_E_NS1_11comp_targetILNS1_3genE5ELNS1_11target_archE942ELNS1_3gpuE9ELNS1_3repE0EEENS1_30default_config_static_selectorELNS0_4arch9wavefront6targetE1EEEvT1_
    .private_segment_fixed_size: 0
    .sgpr_count:     4
    .sgpr_spill_count: 0
    .symbol:         _ZN7rocprim17ROCPRIM_400000_NS6detail17trampoline_kernelINS0_14default_configENS1_25partition_config_selectorILNS1_17partition_subalgoE8EfNS0_10empty_typeEbEEZZNS1_14partition_implILS5_8ELb0ES3_jPKfPS6_PKS6_NS0_5tupleIJPfS6_EEENSE_IJSB_SB_EEENS0_18inequality_wrapperIN6hipcub16HIPCUB_304000_NS8EqualityEEEPlJS6_EEE10hipError_tPvRmT3_T4_T5_T6_T7_T9_mT8_P12ihipStream_tbDpT10_ENKUlT_T0_E_clISt17integral_constantIbLb0EES16_IbLb1EEEEDaS12_S13_EUlS12_E_NS1_11comp_targetILNS1_3genE5ELNS1_11target_archE942ELNS1_3gpuE9ELNS1_3repE0EEENS1_30default_config_static_selectorELNS0_4arch9wavefront6targetE1EEEvT1_.kd
    .uniform_work_group_size: 1
    .uses_dynamic_stack: false
    .vgpr_count:     0
    .vgpr_spill_count: 0
    .wavefront_size: 64
  - .agpr_count:     0
    .args:
      - .offset:         0
        .size:           128
        .value_kind:     by_value
    .group_segment_fixed_size: 10248
    .kernarg_segment_align: 8
    .kernarg_segment_size: 128
    .language:       OpenCL C
    .language_version:
      - 2
      - 0
    .max_flat_workgroup_size: 256
    .name:           _ZN7rocprim17ROCPRIM_400000_NS6detail17trampoline_kernelINS0_14default_configENS1_25partition_config_selectorILNS1_17partition_subalgoE8EfNS0_10empty_typeEbEEZZNS1_14partition_implILS5_8ELb0ES3_jPKfPS6_PKS6_NS0_5tupleIJPfS6_EEENSE_IJSB_SB_EEENS0_18inequality_wrapperIN6hipcub16HIPCUB_304000_NS8EqualityEEEPlJS6_EEE10hipError_tPvRmT3_T4_T5_T6_T7_T9_mT8_P12ihipStream_tbDpT10_ENKUlT_T0_E_clISt17integral_constantIbLb0EES16_IbLb1EEEEDaS12_S13_EUlS12_E_NS1_11comp_targetILNS1_3genE4ELNS1_11target_archE910ELNS1_3gpuE8ELNS1_3repE0EEENS1_30default_config_static_selectorELNS0_4arch9wavefront6targetE1EEEvT1_
    .private_segment_fixed_size: 0
    .sgpr_count:     45
    .sgpr_spill_count: 0
    .symbol:         _ZN7rocprim17ROCPRIM_400000_NS6detail17trampoline_kernelINS0_14default_configENS1_25partition_config_selectorILNS1_17partition_subalgoE8EfNS0_10empty_typeEbEEZZNS1_14partition_implILS5_8ELb0ES3_jPKfPS6_PKS6_NS0_5tupleIJPfS6_EEENSE_IJSB_SB_EEENS0_18inequality_wrapperIN6hipcub16HIPCUB_304000_NS8EqualityEEEPlJS6_EEE10hipError_tPvRmT3_T4_T5_T6_T7_T9_mT8_P12ihipStream_tbDpT10_ENKUlT_T0_E_clISt17integral_constantIbLb0EES16_IbLb1EEEEDaS12_S13_EUlS12_E_NS1_11comp_targetILNS1_3genE4ELNS1_11target_archE910ELNS1_3gpuE8ELNS1_3repE0EEENS1_30default_config_static_selectorELNS0_4arch9wavefront6targetE1EEEvT1_.kd
    .uniform_work_group_size: 1
    .uses_dynamic_stack: false
    .vgpr_count:     58
    .vgpr_spill_count: 0
    .wavefront_size: 64
  - .agpr_count:     0
    .args:
      - .offset:         0
        .size:           128
        .value_kind:     by_value
    .group_segment_fixed_size: 0
    .kernarg_segment_align: 8
    .kernarg_segment_size: 128
    .language:       OpenCL C
    .language_version:
      - 2
      - 0
    .max_flat_workgroup_size: 512
    .name:           _ZN7rocprim17ROCPRIM_400000_NS6detail17trampoline_kernelINS0_14default_configENS1_25partition_config_selectorILNS1_17partition_subalgoE8EfNS0_10empty_typeEbEEZZNS1_14partition_implILS5_8ELb0ES3_jPKfPS6_PKS6_NS0_5tupleIJPfS6_EEENSE_IJSB_SB_EEENS0_18inequality_wrapperIN6hipcub16HIPCUB_304000_NS8EqualityEEEPlJS6_EEE10hipError_tPvRmT3_T4_T5_T6_T7_T9_mT8_P12ihipStream_tbDpT10_ENKUlT_T0_E_clISt17integral_constantIbLb0EES16_IbLb1EEEEDaS12_S13_EUlS12_E_NS1_11comp_targetILNS1_3genE3ELNS1_11target_archE908ELNS1_3gpuE7ELNS1_3repE0EEENS1_30default_config_static_selectorELNS0_4arch9wavefront6targetE1EEEvT1_
    .private_segment_fixed_size: 0
    .sgpr_count:     4
    .sgpr_spill_count: 0
    .symbol:         _ZN7rocprim17ROCPRIM_400000_NS6detail17trampoline_kernelINS0_14default_configENS1_25partition_config_selectorILNS1_17partition_subalgoE8EfNS0_10empty_typeEbEEZZNS1_14partition_implILS5_8ELb0ES3_jPKfPS6_PKS6_NS0_5tupleIJPfS6_EEENSE_IJSB_SB_EEENS0_18inequality_wrapperIN6hipcub16HIPCUB_304000_NS8EqualityEEEPlJS6_EEE10hipError_tPvRmT3_T4_T5_T6_T7_T9_mT8_P12ihipStream_tbDpT10_ENKUlT_T0_E_clISt17integral_constantIbLb0EES16_IbLb1EEEEDaS12_S13_EUlS12_E_NS1_11comp_targetILNS1_3genE3ELNS1_11target_archE908ELNS1_3gpuE7ELNS1_3repE0EEENS1_30default_config_static_selectorELNS0_4arch9wavefront6targetE1EEEvT1_.kd
    .uniform_work_group_size: 1
    .uses_dynamic_stack: false
    .vgpr_count:     0
    .vgpr_spill_count: 0
    .wavefront_size: 64
  - .agpr_count:     0
    .args:
      - .offset:         0
        .size:           128
        .value_kind:     by_value
    .group_segment_fixed_size: 0
    .kernarg_segment_align: 8
    .kernarg_segment_size: 128
    .language:       OpenCL C
    .language_version:
      - 2
      - 0
    .max_flat_workgroup_size: 256
    .name:           _ZN7rocprim17ROCPRIM_400000_NS6detail17trampoline_kernelINS0_14default_configENS1_25partition_config_selectorILNS1_17partition_subalgoE8EfNS0_10empty_typeEbEEZZNS1_14partition_implILS5_8ELb0ES3_jPKfPS6_PKS6_NS0_5tupleIJPfS6_EEENSE_IJSB_SB_EEENS0_18inequality_wrapperIN6hipcub16HIPCUB_304000_NS8EqualityEEEPlJS6_EEE10hipError_tPvRmT3_T4_T5_T6_T7_T9_mT8_P12ihipStream_tbDpT10_ENKUlT_T0_E_clISt17integral_constantIbLb0EES16_IbLb1EEEEDaS12_S13_EUlS12_E_NS1_11comp_targetILNS1_3genE2ELNS1_11target_archE906ELNS1_3gpuE6ELNS1_3repE0EEENS1_30default_config_static_selectorELNS0_4arch9wavefront6targetE1EEEvT1_
    .private_segment_fixed_size: 0
    .sgpr_count:     4
    .sgpr_spill_count: 0
    .symbol:         _ZN7rocprim17ROCPRIM_400000_NS6detail17trampoline_kernelINS0_14default_configENS1_25partition_config_selectorILNS1_17partition_subalgoE8EfNS0_10empty_typeEbEEZZNS1_14partition_implILS5_8ELb0ES3_jPKfPS6_PKS6_NS0_5tupleIJPfS6_EEENSE_IJSB_SB_EEENS0_18inequality_wrapperIN6hipcub16HIPCUB_304000_NS8EqualityEEEPlJS6_EEE10hipError_tPvRmT3_T4_T5_T6_T7_T9_mT8_P12ihipStream_tbDpT10_ENKUlT_T0_E_clISt17integral_constantIbLb0EES16_IbLb1EEEEDaS12_S13_EUlS12_E_NS1_11comp_targetILNS1_3genE2ELNS1_11target_archE906ELNS1_3gpuE6ELNS1_3repE0EEENS1_30default_config_static_selectorELNS0_4arch9wavefront6targetE1EEEvT1_.kd
    .uniform_work_group_size: 1
    .uses_dynamic_stack: false
    .vgpr_count:     0
    .vgpr_spill_count: 0
    .wavefront_size: 64
  - .agpr_count:     0
    .args:
      - .offset:         0
        .size:           128
        .value_kind:     by_value
    .group_segment_fixed_size: 0
    .kernarg_segment_align: 8
    .kernarg_segment_size: 128
    .language:       OpenCL C
    .language_version:
      - 2
      - 0
    .max_flat_workgroup_size: 384
    .name:           _ZN7rocprim17ROCPRIM_400000_NS6detail17trampoline_kernelINS0_14default_configENS1_25partition_config_selectorILNS1_17partition_subalgoE8EfNS0_10empty_typeEbEEZZNS1_14partition_implILS5_8ELb0ES3_jPKfPS6_PKS6_NS0_5tupleIJPfS6_EEENSE_IJSB_SB_EEENS0_18inequality_wrapperIN6hipcub16HIPCUB_304000_NS8EqualityEEEPlJS6_EEE10hipError_tPvRmT3_T4_T5_T6_T7_T9_mT8_P12ihipStream_tbDpT10_ENKUlT_T0_E_clISt17integral_constantIbLb0EES16_IbLb1EEEEDaS12_S13_EUlS12_E_NS1_11comp_targetILNS1_3genE10ELNS1_11target_archE1200ELNS1_3gpuE4ELNS1_3repE0EEENS1_30default_config_static_selectorELNS0_4arch9wavefront6targetE1EEEvT1_
    .private_segment_fixed_size: 0
    .sgpr_count:     4
    .sgpr_spill_count: 0
    .symbol:         _ZN7rocprim17ROCPRIM_400000_NS6detail17trampoline_kernelINS0_14default_configENS1_25partition_config_selectorILNS1_17partition_subalgoE8EfNS0_10empty_typeEbEEZZNS1_14partition_implILS5_8ELb0ES3_jPKfPS6_PKS6_NS0_5tupleIJPfS6_EEENSE_IJSB_SB_EEENS0_18inequality_wrapperIN6hipcub16HIPCUB_304000_NS8EqualityEEEPlJS6_EEE10hipError_tPvRmT3_T4_T5_T6_T7_T9_mT8_P12ihipStream_tbDpT10_ENKUlT_T0_E_clISt17integral_constantIbLb0EES16_IbLb1EEEEDaS12_S13_EUlS12_E_NS1_11comp_targetILNS1_3genE10ELNS1_11target_archE1200ELNS1_3gpuE4ELNS1_3repE0EEENS1_30default_config_static_selectorELNS0_4arch9wavefront6targetE1EEEvT1_.kd
    .uniform_work_group_size: 1
    .uses_dynamic_stack: false
    .vgpr_count:     0
    .vgpr_spill_count: 0
    .wavefront_size: 64
  - .agpr_count:     0
    .args:
      - .offset:         0
        .size:           128
        .value_kind:     by_value
    .group_segment_fixed_size: 0
    .kernarg_segment_align: 8
    .kernarg_segment_size: 128
    .language:       OpenCL C
    .language_version:
      - 2
      - 0
    .max_flat_workgroup_size: 128
    .name:           _ZN7rocprim17ROCPRIM_400000_NS6detail17trampoline_kernelINS0_14default_configENS1_25partition_config_selectorILNS1_17partition_subalgoE8EfNS0_10empty_typeEbEEZZNS1_14partition_implILS5_8ELb0ES3_jPKfPS6_PKS6_NS0_5tupleIJPfS6_EEENSE_IJSB_SB_EEENS0_18inequality_wrapperIN6hipcub16HIPCUB_304000_NS8EqualityEEEPlJS6_EEE10hipError_tPvRmT3_T4_T5_T6_T7_T9_mT8_P12ihipStream_tbDpT10_ENKUlT_T0_E_clISt17integral_constantIbLb0EES16_IbLb1EEEEDaS12_S13_EUlS12_E_NS1_11comp_targetILNS1_3genE9ELNS1_11target_archE1100ELNS1_3gpuE3ELNS1_3repE0EEENS1_30default_config_static_selectorELNS0_4arch9wavefront6targetE1EEEvT1_
    .private_segment_fixed_size: 0
    .sgpr_count:     4
    .sgpr_spill_count: 0
    .symbol:         _ZN7rocprim17ROCPRIM_400000_NS6detail17trampoline_kernelINS0_14default_configENS1_25partition_config_selectorILNS1_17partition_subalgoE8EfNS0_10empty_typeEbEEZZNS1_14partition_implILS5_8ELb0ES3_jPKfPS6_PKS6_NS0_5tupleIJPfS6_EEENSE_IJSB_SB_EEENS0_18inequality_wrapperIN6hipcub16HIPCUB_304000_NS8EqualityEEEPlJS6_EEE10hipError_tPvRmT3_T4_T5_T6_T7_T9_mT8_P12ihipStream_tbDpT10_ENKUlT_T0_E_clISt17integral_constantIbLb0EES16_IbLb1EEEEDaS12_S13_EUlS12_E_NS1_11comp_targetILNS1_3genE9ELNS1_11target_archE1100ELNS1_3gpuE3ELNS1_3repE0EEENS1_30default_config_static_selectorELNS0_4arch9wavefront6targetE1EEEvT1_.kd
    .uniform_work_group_size: 1
    .uses_dynamic_stack: false
    .vgpr_count:     0
    .vgpr_spill_count: 0
    .wavefront_size: 64
  - .agpr_count:     0
    .args:
      - .offset:         0
        .size:           128
        .value_kind:     by_value
    .group_segment_fixed_size: 0
    .kernarg_segment_align: 8
    .kernarg_segment_size: 128
    .language:       OpenCL C
    .language_version:
      - 2
      - 0
    .max_flat_workgroup_size: 512
    .name:           _ZN7rocprim17ROCPRIM_400000_NS6detail17trampoline_kernelINS0_14default_configENS1_25partition_config_selectorILNS1_17partition_subalgoE8EfNS0_10empty_typeEbEEZZNS1_14partition_implILS5_8ELb0ES3_jPKfPS6_PKS6_NS0_5tupleIJPfS6_EEENSE_IJSB_SB_EEENS0_18inequality_wrapperIN6hipcub16HIPCUB_304000_NS8EqualityEEEPlJS6_EEE10hipError_tPvRmT3_T4_T5_T6_T7_T9_mT8_P12ihipStream_tbDpT10_ENKUlT_T0_E_clISt17integral_constantIbLb0EES16_IbLb1EEEEDaS12_S13_EUlS12_E_NS1_11comp_targetILNS1_3genE8ELNS1_11target_archE1030ELNS1_3gpuE2ELNS1_3repE0EEENS1_30default_config_static_selectorELNS0_4arch9wavefront6targetE1EEEvT1_
    .private_segment_fixed_size: 0
    .sgpr_count:     4
    .sgpr_spill_count: 0
    .symbol:         _ZN7rocprim17ROCPRIM_400000_NS6detail17trampoline_kernelINS0_14default_configENS1_25partition_config_selectorILNS1_17partition_subalgoE8EfNS0_10empty_typeEbEEZZNS1_14partition_implILS5_8ELb0ES3_jPKfPS6_PKS6_NS0_5tupleIJPfS6_EEENSE_IJSB_SB_EEENS0_18inequality_wrapperIN6hipcub16HIPCUB_304000_NS8EqualityEEEPlJS6_EEE10hipError_tPvRmT3_T4_T5_T6_T7_T9_mT8_P12ihipStream_tbDpT10_ENKUlT_T0_E_clISt17integral_constantIbLb0EES16_IbLb1EEEEDaS12_S13_EUlS12_E_NS1_11comp_targetILNS1_3genE8ELNS1_11target_archE1030ELNS1_3gpuE2ELNS1_3repE0EEENS1_30default_config_static_selectorELNS0_4arch9wavefront6targetE1EEEvT1_.kd
    .uniform_work_group_size: 1
    .uses_dynamic_stack: false
    .vgpr_count:     0
    .vgpr_spill_count: 0
    .wavefront_size: 64
  - .agpr_count:     0
    .args:
      - .offset:         0
        .size:           128
        .value_kind:     by_value
    .group_segment_fixed_size: 0
    .kernarg_segment_align: 8
    .kernarg_segment_size: 128
    .language:       OpenCL C
    .language_version:
      - 2
      - 0
    .max_flat_workgroup_size: 256
    .name:           _ZN7rocprim17ROCPRIM_400000_NS6detail17trampoline_kernelINS0_14default_configENS1_33run_length_encode_config_selectorIfjNS0_4plusIjEEEEZZNS1_33reduce_by_key_impl_wrapped_configILNS1_25lookback_scan_determinismE0ES3_S7_PKfNS0_17constant_iteratorIjlEEPfPlSF_S6_NS0_8equal_toIfEEEE10hipError_tPvRmT2_T3_mT4_T5_T6_T7_T8_P12ihipStream_tbENKUlT_T0_E_clISt17integral_constantIbLb0EESZ_EEDaSU_SV_EUlSU_E_NS1_11comp_targetILNS1_3genE0ELNS1_11target_archE4294967295ELNS1_3gpuE0ELNS1_3repE0EEENS1_30default_config_static_selectorELNS0_4arch9wavefront6targetE1EEEvT1_
    .private_segment_fixed_size: 0
    .sgpr_count:     4
    .sgpr_spill_count: 0
    .symbol:         _ZN7rocprim17ROCPRIM_400000_NS6detail17trampoline_kernelINS0_14default_configENS1_33run_length_encode_config_selectorIfjNS0_4plusIjEEEEZZNS1_33reduce_by_key_impl_wrapped_configILNS1_25lookback_scan_determinismE0ES3_S7_PKfNS0_17constant_iteratorIjlEEPfPlSF_S6_NS0_8equal_toIfEEEE10hipError_tPvRmT2_T3_mT4_T5_T6_T7_T8_P12ihipStream_tbENKUlT_T0_E_clISt17integral_constantIbLb0EESZ_EEDaSU_SV_EUlSU_E_NS1_11comp_targetILNS1_3genE0ELNS1_11target_archE4294967295ELNS1_3gpuE0ELNS1_3repE0EEENS1_30default_config_static_selectorELNS0_4arch9wavefront6targetE1EEEvT1_.kd
    .uniform_work_group_size: 1
    .uses_dynamic_stack: false
    .vgpr_count:     0
    .vgpr_spill_count: 0
    .wavefront_size: 64
  - .agpr_count:     0
    .args:
      - .offset:         0
        .size:           128
        .value_kind:     by_value
    .group_segment_fixed_size: 0
    .kernarg_segment_align: 8
    .kernarg_segment_size: 128
    .language:       OpenCL C
    .language_version:
      - 2
      - 0
    .max_flat_workgroup_size: 512
    .name:           _ZN7rocprim17ROCPRIM_400000_NS6detail17trampoline_kernelINS0_14default_configENS1_33run_length_encode_config_selectorIfjNS0_4plusIjEEEEZZNS1_33reduce_by_key_impl_wrapped_configILNS1_25lookback_scan_determinismE0ES3_S7_PKfNS0_17constant_iteratorIjlEEPfPlSF_S6_NS0_8equal_toIfEEEE10hipError_tPvRmT2_T3_mT4_T5_T6_T7_T8_P12ihipStream_tbENKUlT_T0_E_clISt17integral_constantIbLb0EESZ_EEDaSU_SV_EUlSU_E_NS1_11comp_targetILNS1_3genE5ELNS1_11target_archE942ELNS1_3gpuE9ELNS1_3repE0EEENS1_30default_config_static_selectorELNS0_4arch9wavefront6targetE1EEEvT1_
    .private_segment_fixed_size: 0
    .sgpr_count:     4
    .sgpr_spill_count: 0
    .symbol:         _ZN7rocprim17ROCPRIM_400000_NS6detail17trampoline_kernelINS0_14default_configENS1_33run_length_encode_config_selectorIfjNS0_4plusIjEEEEZZNS1_33reduce_by_key_impl_wrapped_configILNS1_25lookback_scan_determinismE0ES3_S7_PKfNS0_17constant_iteratorIjlEEPfPlSF_S6_NS0_8equal_toIfEEEE10hipError_tPvRmT2_T3_mT4_T5_T6_T7_T8_P12ihipStream_tbENKUlT_T0_E_clISt17integral_constantIbLb0EESZ_EEDaSU_SV_EUlSU_E_NS1_11comp_targetILNS1_3genE5ELNS1_11target_archE942ELNS1_3gpuE9ELNS1_3repE0EEENS1_30default_config_static_selectorELNS0_4arch9wavefront6targetE1EEEvT1_.kd
    .uniform_work_group_size: 1
    .uses_dynamic_stack: false
    .vgpr_count:     0
    .vgpr_spill_count: 0
    .wavefront_size: 64
  - .agpr_count:     0
    .args:
      - .offset:         0
        .size:           128
        .value_kind:     by_value
    .group_segment_fixed_size: 15360
    .kernarg_segment_align: 8
    .kernarg_segment_size: 128
    .language:       OpenCL C
    .language_version:
      - 2
      - 0
    .max_flat_workgroup_size: 256
    .name:           _ZN7rocprim17ROCPRIM_400000_NS6detail17trampoline_kernelINS0_14default_configENS1_33run_length_encode_config_selectorIfjNS0_4plusIjEEEEZZNS1_33reduce_by_key_impl_wrapped_configILNS1_25lookback_scan_determinismE0ES3_S7_PKfNS0_17constant_iteratorIjlEEPfPlSF_S6_NS0_8equal_toIfEEEE10hipError_tPvRmT2_T3_mT4_T5_T6_T7_T8_P12ihipStream_tbENKUlT_T0_E_clISt17integral_constantIbLb0EESZ_EEDaSU_SV_EUlSU_E_NS1_11comp_targetILNS1_3genE4ELNS1_11target_archE910ELNS1_3gpuE8ELNS1_3repE0EEENS1_30default_config_static_selectorELNS0_4arch9wavefront6targetE1EEEvT1_
    .private_segment_fixed_size: 0
    .sgpr_count:     68
    .sgpr_spill_count: 0
    .symbol:         _ZN7rocprim17ROCPRIM_400000_NS6detail17trampoline_kernelINS0_14default_configENS1_33run_length_encode_config_selectorIfjNS0_4plusIjEEEEZZNS1_33reduce_by_key_impl_wrapped_configILNS1_25lookback_scan_determinismE0ES3_S7_PKfNS0_17constant_iteratorIjlEEPfPlSF_S6_NS0_8equal_toIfEEEE10hipError_tPvRmT2_T3_mT4_T5_T6_T7_T8_P12ihipStream_tbENKUlT_T0_E_clISt17integral_constantIbLb0EESZ_EEDaSU_SV_EUlSU_E_NS1_11comp_targetILNS1_3genE4ELNS1_11target_archE910ELNS1_3gpuE8ELNS1_3repE0EEENS1_30default_config_static_selectorELNS0_4arch9wavefront6targetE1EEEvT1_.kd
    .uniform_work_group_size: 1
    .uses_dynamic_stack: false
    .vgpr_count:     104
    .vgpr_spill_count: 0
    .wavefront_size: 64
  - .agpr_count:     0
    .args:
      - .offset:         0
        .size:           128
        .value_kind:     by_value
    .group_segment_fixed_size: 0
    .kernarg_segment_align: 8
    .kernarg_segment_size: 128
    .language:       OpenCL C
    .language_version:
      - 2
      - 0
    .max_flat_workgroup_size: 256
    .name:           _ZN7rocprim17ROCPRIM_400000_NS6detail17trampoline_kernelINS0_14default_configENS1_33run_length_encode_config_selectorIfjNS0_4plusIjEEEEZZNS1_33reduce_by_key_impl_wrapped_configILNS1_25lookback_scan_determinismE0ES3_S7_PKfNS0_17constant_iteratorIjlEEPfPlSF_S6_NS0_8equal_toIfEEEE10hipError_tPvRmT2_T3_mT4_T5_T6_T7_T8_P12ihipStream_tbENKUlT_T0_E_clISt17integral_constantIbLb0EESZ_EEDaSU_SV_EUlSU_E_NS1_11comp_targetILNS1_3genE3ELNS1_11target_archE908ELNS1_3gpuE7ELNS1_3repE0EEENS1_30default_config_static_selectorELNS0_4arch9wavefront6targetE1EEEvT1_
    .private_segment_fixed_size: 0
    .sgpr_count:     4
    .sgpr_spill_count: 0
    .symbol:         _ZN7rocprim17ROCPRIM_400000_NS6detail17trampoline_kernelINS0_14default_configENS1_33run_length_encode_config_selectorIfjNS0_4plusIjEEEEZZNS1_33reduce_by_key_impl_wrapped_configILNS1_25lookback_scan_determinismE0ES3_S7_PKfNS0_17constant_iteratorIjlEEPfPlSF_S6_NS0_8equal_toIfEEEE10hipError_tPvRmT2_T3_mT4_T5_T6_T7_T8_P12ihipStream_tbENKUlT_T0_E_clISt17integral_constantIbLb0EESZ_EEDaSU_SV_EUlSU_E_NS1_11comp_targetILNS1_3genE3ELNS1_11target_archE908ELNS1_3gpuE7ELNS1_3repE0EEENS1_30default_config_static_selectorELNS0_4arch9wavefront6targetE1EEEvT1_.kd
    .uniform_work_group_size: 1
    .uses_dynamic_stack: false
    .vgpr_count:     0
    .vgpr_spill_count: 0
    .wavefront_size: 64
  - .agpr_count:     0
    .args:
      - .offset:         0
        .size:           128
        .value_kind:     by_value
    .group_segment_fixed_size: 0
    .kernarg_segment_align: 8
    .kernarg_segment_size: 128
    .language:       OpenCL C
    .language_version:
      - 2
      - 0
    .max_flat_workgroup_size: 256
    .name:           _ZN7rocprim17ROCPRIM_400000_NS6detail17trampoline_kernelINS0_14default_configENS1_33run_length_encode_config_selectorIfjNS0_4plusIjEEEEZZNS1_33reduce_by_key_impl_wrapped_configILNS1_25lookback_scan_determinismE0ES3_S7_PKfNS0_17constant_iteratorIjlEEPfPlSF_S6_NS0_8equal_toIfEEEE10hipError_tPvRmT2_T3_mT4_T5_T6_T7_T8_P12ihipStream_tbENKUlT_T0_E_clISt17integral_constantIbLb0EESZ_EEDaSU_SV_EUlSU_E_NS1_11comp_targetILNS1_3genE2ELNS1_11target_archE906ELNS1_3gpuE6ELNS1_3repE0EEENS1_30default_config_static_selectorELNS0_4arch9wavefront6targetE1EEEvT1_
    .private_segment_fixed_size: 0
    .sgpr_count:     4
    .sgpr_spill_count: 0
    .symbol:         _ZN7rocprim17ROCPRIM_400000_NS6detail17trampoline_kernelINS0_14default_configENS1_33run_length_encode_config_selectorIfjNS0_4plusIjEEEEZZNS1_33reduce_by_key_impl_wrapped_configILNS1_25lookback_scan_determinismE0ES3_S7_PKfNS0_17constant_iteratorIjlEEPfPlSF_S6_NS0_8equal_toIfEEEE10hipError_tPvRmT2_T3_mT4_T5_T6_T7_T8_P12ihipStream_tbENKUlT_T0_E_clISt17integral_constantIbLb0EESZ_EEDaSU_SV_EUlSU_E_NS1_11comp_targetILNS1_3genE2ELNS1_11target_archE906ELNS1_3gpuE6ELNS1_3repE0EEENS1_30default_config_static_selectorELNS0_4arch9wavefront6targetE1EEEvT1_.kd
    .uniform_work_group_size: 1
    .uses_dynamic_stack: false
    .vgpr_count:     0
    .vgpr_spill_count: 0
    .wavefront_size: 64
  - .agpr_count:     0
    .args:
      - .offset:         0
        .size:           128
        .value_kind:     by_value
    .group_segment_fixed_size: 0
    .kernarg_segment_align: 8
    .kernarg_segment_size: 128
    .language:       OpenCL C
    .language_version:
      - 2
      - 0
    .max_flat_workgroup_size: 384
    .name:           _ZN7rocprim17ROCPRIM_400000_NS6detail17trampoline_kernelINS0_14default_configENS1_33run_length_encode_config_selectorIfjNS0_4plusIjEEEEZZNS1_33reduce_by_key_impl_wrapped_configILNS1_25lookback_scan_determinismE0ES3_S7_PKfNS0_17constant_iteratorIjlEEPfPlSF_S6_NS0_8equal_toIfEEEE10hipError_tPvRmT2_T3_mT4_T5_T6_T7_T8_P12ihipStream_tbENKUlT_T0_E_clISt17integral_constantIbLb0EESZ_EEDaSU_SV_EUlSU_E_NS1_11comp_targetILNS1_3genE10ELNS1_11target_archE1201ELNS1_3gpuE5ELNS1_3repE0EEENS1_30default_config_static_selectorELNS0_4arch9wavefront6targetE1EEEvT1_
    .private_segment_fixed_size: 0
    .sgpr_count:     4
    .sgpr_spill_count: 0
    .symbol:         _ZN7rocprim17ROCPRIM_400000_NS6detail17trampoline_kernelINS0_14default_configENS1_33run_length_encode_config_selectorIfjNS0_4plusIjEEEEZZNS1_33reduce_by_key_impl_wrapped_configILNS1_25lookback_scan_determinismE0ES3_S7_PKfNS0_17constant_iteratorIjlEEPfPlSF_S6_NS0_8equal_toIfEEEE10hipError_tPvRmT2_T3_mT4_T5_T6_T7_T8_P12ihipStream_tbENKUlT_T0_E_clISt17integral_constantIbLb0EESZ_EEDaSU_SV_EUlSU_E_NS1_11comp_targetILNS1_3genE10ELNS1_11target_archE1201ELNS1_3gpuE5ELNS1_3repE0EEENS1_30default_config_static_selectorELNS0_4arch9wavefront6targetE1EEEvT1_.kd
    .uniform_work_group_size: 1
    .uses_dynamic_stack: false
    .vgpr_count:     0
    .vgpr_spill_count: 0
    .wavefront_size: 64
  - .agpr_count:     0
    .args:
      - .offset:         0
        .size:           128
        .value_kind:     by_value
    .group_segment_fixed_size: 0
    .kernarg_segment_align: 8
    .kernarg_segment_size: 128
    .language:       OpenCL C
    .language_version:
      - 2
      - 0
    .max_flat_workgroup_size: 256
    .name:           _ZN7rocprim17ROCPRIM_400000_NS6detail17trampoline_kernelINS0_14default_configENS1_33run_length_encode_config_selectorIfjNS0_4plusIjEEEEZZNS1_33reduce_by_key_impl_wrapped_configILNS1_25lookback_scan_determinismE0ES3_S7_PKfNS0_17constant_iteratorIjlEEPfPlSF_S6_NS0_8equal_toIfEEEE10hipError_tPvRmT2_T3_mT4_T5_T6_T7_T8_P12ihipStream_tbENKUlT_T0_E_clISt17integral_constantIbLb0EESZ_EEDaSU_SV_EUlSU_E_NS1_11comp_targetILNS1_3genE10ELNS1_11target_archE1200ELNS1_3gpuE4ELNS1_3repE0EEENS1_30default_config_static_selectorELNS0_4arch9wavefront6targetE1EEEvT1_
    .private_segment_fixed_size: 0
    .sgpr_count:     4
    .sgpr_spill_count: 0
    .symbol:         _ZN7rocprim17ROCPRIM_400000_NS6detail17trampoline_kernelINS0_14default_configENS1_33run_length_encode_config_selectorIfjNS0_4plusIjEEEEZZNS1_33reduce_by_key_impl_wrapped_configILNS1_25lookback_scan_determinismE0ES3_S7_PKfNS0_17constant_iteratorIjlEEPfPlSF_S6_NS0_8equal_toIfEEEE10hipError_tPvRmT2_T3_mT4_T5_T6_T7_T8_P12ihipStream_tbENKUlT_T0_E_clISt17integral_constantIbLb0EESZ_EEDaSU_SV_EUlSU_E_NS1_11comp_targetILNS1_3genE10ELNS1_11target_archE1200ELNS1_3gpuE4ELNS1_3repE0EEENS1_30default_config_static_selectorELNS0_4arch9wavefront6targetE1EEEvT1_.kd
    .uniform_work_group_size: 1
    .uses_dynamic_stack: false
    .vgpr_count:     0
    .vgpr_spill_count: 0
    .wavefront_size: 64
  - .agpr_count:     0
    .args:
      - .offset:         0
        .size:           128
        .value_kind:     by_value
    .group_segment_fixed_size: 0
    .kernarg_segment_align: 8
    .kernarg_segment_size: 128
    .language:       OpenCL C
    .language_version:
      - 2
      - 0
    .max_flat_workgroup_size: 512
    .name:           _ZN7rocprim17ROCPRIM_400000_NS6detail17trampoline_kernelINS0_14default_configENS1_33run_length_encode_config_selectorIfjNS0_4plusIjEEEEZZNS1_33reduce_by_key_impl_wrapped_configILNS1_25lookback_scan_determinismE0ES3_S7_PKfNS0_17constant_iteratorIjlEEPfPlSF_S6_NS0_8equal_toIfEEEE10hipError_tPvRmT2_T3_mT4_T5_T6_T7_T8_P12ihipStream_tbENKUlT_T0_E_clISt17integral_constantIbLb0EESZ_EEDaSU_SV_EUlSU_E_NS1_11comp_targetILNS1_3genE9ELNS1_11target_archE1100ELNS1_3gpuE3ELNS1_3repE0EEENS1_30default_config_static_selectorELNS0_4arch9wavefront6targetE1EEEvT1_
    .private_segment_fixed_size: 0
    .sgpr_count:     4
    .sgpr_spill_count: 0
    .symbol:         _ZN7rocprim17ROCPRIM_400000_NS6detail17trampoline_kernelINS0_14default_configENS1_33run_length_encode_config_selectorIfjNS0_4plusIjEEEEZZNS1_33reduce_by_key_impl_wrapped_configILNS1_25lookback_scan_determinismE0ES3_S7_PKfNS0_17constant_iteratorIjlEEPfPlSF_S6_NS0_8equal_toIfEEEE10hipError_tPvRmT2_T3_mT4_T5_T6_T7_T8_P12ihipStream_tbENKUlT_T0_E_clISt17integral_constantIbLb0EESZ_EEDaSU_SV_EUlSU_E_NS1_11comp_targetILNS1_3genE9ELNS1_11target_archE1100ELNS1_3gpuE3ELNS1_3repE0EEENS1_30default_config_static_selectorELNS0_4arch9wavefront6targetE1EEEvT1_.kd
    .uniform_work_group_size: 1
    .uses_dynamic_stack: false
    .vgpr_count:     0
    .vgpr_spill_count: 0
    .wavefront_size: 64
  - .agpr_count:     0
    .args:
      - .offset:         0
        .size:           128
        .value_kind:     by_value
    .group_segment_fixed_size: 0
    .kernarg_segment_align: 8
    .kernarg_segment_size: 128
    .language:       OpenCL C
    .language_version:
      - 2
      - 0
    .max_flat_workgroup_size: 192
    .name:           _ZN7rocprim17ROCPRIM_400000_NS6detail17trampoline_kernelINS0_14default_configENS1_33run_length_encode_config_selectorIfjNS0_4plusIjEEEEZZNS1_33reduce_by_key_impl_wrapped_configILNS1_25lookback_scan_determinismE0ES3_S7_PKfNS0_17constant_iteratorIjlEEPfPlSF_S6_NS0_8equal_toIfEEEE10hipError_tPvRmT2_T3_mT4_T5_T6_T7_T8_P12ihipStream_tbENKUlT_T0_E_clISt17integral_constantIbLb0EESZ_EEDaSU_SV_EUlSU_E_NS1_11comp_targetILNS1_3genE8ELNS1_11target_archE1030ELNS1_3gpuE2ELNS1_3repE0EEENS1_30default_config_static_selectorELNS0_4arch9wavefront6targetE1EEEvT1_
    .private_segment_fixed_size: 0
    .sgpr_count:     4
    .sgpr_spill_count: 0
    .symbol:         _ZN7rocprim17ROCPRIM_400000_NS6detail17trampoline_kernelINS0_14default_configENS1_33run_length_encode_config_selectorIfjNS0_4plusIjEEEEZZNS1_33reduce_by_key_impl_wrapped_configILNS1_25lookback_scan_determinismE0ES3_S7_PKfNS0_17constant_iteratorIjlEEPfPlSF_S6_NS0_8equal_toIfEEEE10hipError_tPvRmT2_T3_mT4_T5_T6_T7_T8_P12ihipStream_tbENKUlT_T0_E_clISt17integral_constantIbLb0EESZ_EEDaSU_SV_EUlSU_E_NS1_11comp_targetILNS1_3genE8ELNS1_11target_archE1030ELNS1_3gpuE2ELNS1_3repE0EEENS1_30default_config_static_selectorELNS0_4arch9wavefront6targetE1EEEvT1_.kd
    .uniform_work_group_size: 1
    .uses_dynamic_stack: false
    .vgpr_count:     0
    .vgpr_spill_count: 0
    .wavefront_size: 64
  - .agpr_count:     0
    .args:
      - .offset:         0
        .size:           128
        .value_kind:     by_value
    .group_segment_fixed_size: 0
    .kernarg_segment_align: 8
    .kernarg_segment_size: 128
    .language:       OpenCL C
    .language_version:
      - 2
      - 0
    .max_flat_workgroup_size: 256
    .name:           _ZN7rocprim17ROCPRIM_400000_NS6detail17trampoline_kernelINS0_14default_configENS1_33run_length_encode_config_selectorIfjNS0_4plusIjEEEEZZNS1_33reduce_by_key_impl_wrapped_configILNS1_25lookback_scan_determinismE0ES3_S7_PKfNS0_17constant_iteratorIjlEEPfPlSF_S6_NS0_8equal_toIfEEEE10hipError_tPvRmT2_T3_mT4_T5_T6_T7_T8_P12ihipStream_tbENKUlT_T0_E_clISt17integral_constantIbLb1EESZ_EEDaSU_SV_EUlSU_E_NS1_11comp_targetILNS1_3genE0ELNS1_11target_archE4294967295ELNS1_3gpuE0ELNS1_3repE0EEENS1_30default_config_static_selectorELNS0_4arch9wavefront6targetE1EEEvT1_
    .private_segment_fixed_size: 0
    .sgpr_count:     4
    .sgpr_spill_count: 0
    .symbol:         _ZN7rocprim17ROCPRIM_400000_NS6detail17trampoline_kernelINS0_14default_configENS1_33run_length_encode_config_selectorIfjNS0_4plusIjEEEEZZNS1_33reduce_by_key_impl_wrapped_configILNS1_25lookback_scan_determinismE0ES3_S7_PKfNS0_17constant_iteratorIjlEEPfPlSF_S6_NS0_8equal_toIfEEEE10hipError_tPvRmT2_T3_mT4_T5_T6_T7_T8_P12ihipStream_tbENKUlT_T0_E_clISt17integral_constantIbLb1EESZ_EEDaSU_SV_EUlSU_E_NS1_11comp_targetILNS1_3genE0ELNS1_11target_archE4294967295ELNS1_3gpuE0ELNS1_3repE0EEENS1_30default_config_static_selectorELNS0_4arch9wavefront6targetE1EEEvT1_.kd
    .uniform_work_group_size: 1
    .uses_dynamic_stack: false
    .vgpr_count:     0
    .vgpr_spill_count: 0
    .wavefront_size: 64
  - .agpr_count:     0
    .args:
      - .offset:         0
        .size:           128
        .value_kind:     by_value
    .group_segment_fixed_size: 0
    .kernarg_segment_align: 8
    .kernarg_segment_size: 128
    .language:       OpenCL C
    .language_version:
      - 2
      - 0
    .max_flat_workgroup_size: 512
    .name:           _ZN7rocprim17ROCPRIM_400000_NS6detail17trampoline_kernelINS0_14default_configENS1_33run_length_encode_config_selectorIfjNS0_4plusIjEEEEZZNS1_33reduce_by_key_impl_wrapped_configILNS1_25lookback_scan_determinismE0ES3_S7_PKfNS0_17constant_iteratorIjlEEPfPlSF_S6_NS0_8equal_toIfEEEE10hipError_tPvRmT2_T3_mT4_T5_T6_T7_T8_P12ihipStream_tbENKUlT_T0_E_clISt17integral_constantIbLb1EESZ_EEDaSU_SV_EUlSU_E_NS1_11comp_targetILNS1_3genE5ELNS1_11target_archE942ELNS1_3gpuE9ELNS1_3repE0EEENS1_30default_config_static_selectorELNS0_4arch9wavefront6targetE1EEEvT1_
    .private_segment_fixed_size: 0
    .sgpr_count:     4
    .sgpr_spill_count: 0
    .symbol:         _ZN7rocprim17ROCPRIM_400000_NS6detail17trampoline_kernelINS0_14default_configENS1_33run_length_encode_config_selectorIfjNS0_4plusIjEEEEZZNS1_33reduce_by_key_impl_wrapped_configILNS1_25lookback_scan_determinismE0ES3_S7_PKfNS0_17constant_iteratorIjlEEPfPlSF_S6_NS0_8equal_toIfEEEE10hipError_tPvRmT2_T3_mT4_T5_T6_T7_T8_P12ihipStream_tbENKUlT_T0_E_clISt17integral_constantIbLb1EESZ_EEDaSU_SV_EUlSU_E_NS1_11comp_targetILNS1_3genE5ELNS1_11target_archE942ELNS1_3gpuE9ELNS1_3repE0EEENS1_30default_config_static_selectorELNS0_4arch9wavefront6targetE1EEEvT1_.kd
    .uniform_work_group_size: 1
    .uses_dynamic_stack: false
    .vgpr_count:     0
    .vgpr_spill_count: 0
    .wavefront_size: 64
  - .agpr_count:     0
    .args:
      - .offset:         0
        .size:           128
        .value_kind:     by_value
    .group_segment_fixed_size: 15360
    .kernarg_segment_align: 8
    .kernarg_segment_size: 128
    .language:       OpenCL C
    .language_version:
      - 2
      - 0
    .max_flat_workgroup_size: 256
    .name:           _ZN7rocprim17ROCPRIM_400000_NS6detail17trampoline_kernelINS0_14default_configENS1_33run_length_encode_config_selectorIfjNS0_4plusIjEEEEZZNS1_33reduce_by_key_impl_wrapped_configILNS1_25lookback_scan_determinismE0ES3_S7_PKfNS0_17constant_iteratorIjlEEPfPlSF_S6_NS0_8equal_toIfEEEE10hipError_tPvRmT2_T3_mT4_T5_T6_T7_T8_P12ihipStream_tbENKUlT_T0_E_clISt17integral_constantIbLb1EESZ_EEDaSU_SV_EUlSU_E_NS1_11comp_targetILNS1_3genE4ELNS1_11target_archE910ELNS1_3gpuE8ELNS1_3repE0EEENS1_30default_config_static_selectorELNS0_4arch9wavefront6targetE1EEEvT1_
    .private_segment_fixed_size: 0
    .sgpr_count:     70
    .sgpr_spill_count: 0
    .symbol:         _ZN7rocprim17ROCPRIM_400000_NS6detail17trampoline_kernelINS0_14default_configENS1_33run_length_encode_config_selectorIfjNS0_4plusIjEEEEZZNS1_33reduce_by_key_impl_wrapped_configILNS1_25lookback_scan_determinismE0ES3_S7_PKfNS0_17constant_iteratorIjlEEPfPlSF_S6_NS0_8equal_toIfEEEE10hipError_tPvRmT2_T3_mT4_T5_T6_T7_T8_P12ihipStream_tbENKUlT_T0_E_clISt17integral_constantIbLb1EESZ_EEDaSU_SV_EUlSU_E_NS1_11comp_targetILNS1_3genE4ELNS1_11target_archE910ELNS1_3gpuE8ELNS1_3repE0EEENS1_30default_config_static_selectorELNS0_4arch9wavefront6targetE1EEEvT1_.kd
    .uniform_work_group_size: 1
    .uses_dynamic_stack: false
    .vgpr_count:     104
    .vgpr_spill_count: 0
    .wavefront_size: 64
  - .agpr_count:     0
    .args:
      - .offset:         0
        .size:           128
        .value_kind:     by_value
    .group_segment_fixed_size: 0
    .kernarg_segment_align: 8
    .kernarg_segment_size: 128
    .language:       OpenCL C
    .language_version:
      - 2
      - 0
    .max_flat_workgroup_size: 256
    .name:           _ZN7rocprim17ROCPRIM_400000_NS6detail17trampoline_kernelINS0_14default_configENS1_33run_length_encode_config_selectorIfjNS0_4plusIjEEEEZZNS1_33reduce_by_key_impl_wrapped_configILNS1_25lookback_scan_determinismE0ES3_S7_PKfNS0_17constant_iteratorIjlEEPfPlSF_S6_NS0_8equal_toIfEEEE10hipError_tPvRmT2_T3_mT4_T5_T6_T7_T8_P12ihipStream_tbENKUlT_T0_E_clISt17integral_constantIbLb1EESZ_EEDaSU_SV_EUlSU_E_NS1_11comp_targetILNS1_3genE3ELNS1_11target_archE908ELNS1_3gpuE7ELNS1_3repE0EEENS1_30default_config_static_selectorELNS0_4arch9wavefront6targetE1EEEvT1_
    .private_segment_fixed_size: 0
    .sgpr_count:     4
    .sgpr_spill_count: 0
    .symbol:         _ZN7rocprim17ROCPRIM_400000_NS6detail17trampoline_kernelINS0_14default_configENS1_33run_length_encode_config_selectorIfjNS0_4plusIjEEEEZZNS1_33reduce_by_key_impl_wrapped_configILNS1_25lookback_scan_determinismE0ES3_S7_PKfNS0_17constant_iteratorIjlEEPfPlSF_S6_NS0_8equal_toIfEEEE10hipError_tPvRmT2_T3_mT4_T5_T6_T7_T8_P12ihipStream_tbENKUlT_T0_E_clISt17integral_constantIbLb1EESZ_EEDaSU_SV_EUlSU_E_NS1_11comp_targetILNS1_3genE3ELNS1_11target_archE908ELNS1_3gpuE7ELNS1_3repE0EEENS1_30default_config_static_selectorELNS0_4arch9wavefront6targetE1EEEvT1_.kd
    .uniform_work_group_size: 1
    .uses_dynamic_stack: false
    .vgpr_count:     0
    .vgpr_spill_count: 0
    .wavefront_size: 64
  - .agpr_count:     0
    .args:
      - .offset:         0
        .size:           128
        .value_kind:     by_value
    .group_segment_fixed_size: 0
    .kernarg_segment_align: 8
    .kernarg_segment_size: 128
    .language:       OpenCL C
    .language_version:
      - 2
      - 0
    .max_flat_workgroup_size: 256
    .name:           _ZN7rocprim17ROCPRIM_400000_NS6detail17trampoline_kernelINS0_14default_configENS1_33run_length_encode_config_selectorIfjNS0_4plusIjEEEEZZNS1_33reduce_by_key_impl_wrapped_configILNS1_25lookback_scan_determinismE0ES3_S7_PKfNS0_17constant_iteratorIjlEEPfPlSF_S6_NS0_8equal_toIfEEEE10hipError_tPvRmT2_T3_mT4_T5_T6_T7_T8_P12ihipStream_tbENKUlT_T0_E_clISt17integral_constantIbLb1EESZ_EEDaSU_SV_EUlSU_E_NS1_11comp_targetILNS1_3genE2ELNS1_11target_archE906ELNS1_3gpuE6ELNS1_3repE0EEENS1_30default_config_static_selectorELNS0_4arch9wavefront6targetE1EEEvT1_
    .private_segment_fixed_size: 0
    .sgpr_count:     4
    .sgpr_spill_count: 0
    .symbol:         _ZN7rocprim17ROCPRIM_400000_NS6detail17trampoline_kernelINS0_14default_configENS1_33run_length_encode_config_selectorIfjNS0_4plusIjEEEEZZNS1_33reduce_by_key_impl_wrapped_configILNS1_25lookback_scan_determinismE0ES3_S7_PKfNS0_17constant_iteratorIjlEEPfPlSF_S6_NS0_8equal_toIfEEEE10hipError_tPvRmT2_T3_mT4_T5_T6_T7_T8_P12ihipStream_tbENKUlT_T0_E_clISt17integral_constantIbLb1EESZ_EEDaSU_SV_EUlSU_E_NS1_11comp_targetILNS1_3genE2ELNS1_11target_archE906ELNS1_3gpuE6ELNS1_3repE0EEENS1_30default_config_static_selectorELNS0_4arch9wavefront6targetE1EEEvT1_.kd
    .uniform_work_group_size: 1
    .uses_dynamic_stack: false
    .vgpr_count:     0
    .vgpr_spill_count: 0
    .wavefront_size: 64
  - .agpr_count:     0
    .args:
      - .offset:         0
        .size:           128
        .value_kind:     by_value
    .group_segment_fixed_size: 0
    .kernarg_segment_align: 8
    .kernarg_segment_size: 128
    .language:       OpenCL C
    .language_version:
      - 2
      - 0
    .max_flat_workgroup_size: 384
    .name:           _ZN7rocprim17ROCPRIM_400000_NS6detail17trampoline_kernelINS0_14default_configENS1_33run_length_encode_config_selectorIfjNS0_4plusIjEEEEZZNS1_33reduce_by_key_impl_wrapped_configILNS1_25lookback_scan_determinismE0ES3_S7_PKfNS0_17constant_iteratorIjlEEPfPlSF_S6_NS0_8equal_toIfEEEE10hipError_tPvRmT2_T3_mT4_T5_T6_T7_T8_P12ihipStream_tbENKUlT_T0_E_clISt17integral_constantIbLb1EESZ_EEDaSU_SV_EUlSU_E_NS1_11comp_targetILNS1_3genE10ELNS1_11target_archE1201ELNS1_3gpuE5ELNS1_3repE0EEENS1_30default_config_static_selectorELNS0_4arch9wavefront6targetE1EEEvT1_
    .private_segment_fixed_size: 0
    .sgpr_count:     4
    .sgpr_spill_count: 0
    .symbol:         _ZN7rocprim17ROCPRIM_400000_NS6detail17trampoline_kernelINS0_14default_configENS1_33run_length_encode_config_selectorIfjNS0_4plusIjEEEEZZNS1_33reduce_by_key_impl_wrapped_configILNS1_25lookback_scan_determinismE0ES3_S7_PKfNS0_17constant_iteratorIjlEEPfPlSF_S6_NS0_8equal_toIfEEEE10hipError_tPvRmT2_T3_mT4_T5_T6_T7_T8_P12ihipStream_tbENKUlT_T0_E_clISt17integral_constantIbLb1EESZ_EEDaSU_SV_EUlSU_E_NS1_11comp_targetILNS1_3genE10ELNS1_11target_archE1201ELNS1_3gpuE5ELNS1_3repE0EEENS1_30default_config_static_selectorELNS0_4arch9wavefront6targetE1EEEvT1_.kd
    .uniform_work_group_size: 1
    .uses_dynamic_stack: false
    .vgpr_count:     0
    .vgpr_spill_count: 0
    .wavefront_size: 64
  - .agpr_count:     0
    .args:
      - .offset:         0
        .size:           128
        .value_kind:     by_value
    .group_segment_fixed_size: 0
    .kernarg_segment_align: 8
    .kernarg_segment_size: 128
    .language:       OpenCL C
    .language_version:
      - 2
      - 0
    .max_flat_workgroup_size: 256
    .name:           _ZN7rocprim17ROCPRIM_400000_NS6detail17trampoline_kernelINS0_14default_configENS1_33run_length_encode_config_selectorIfjNS0_4plusIjEEEEZZNS1_33reduce_by_key_impl_wrapped_configILNS1_25lookback_scan_determinismE0ES3_S7_PKfNS0_17constant_iteratorIjlEEPfPlSF_S6_NS0_8equal_toIfEEEE10hipError_tPvRmT2_T3_mT4_T5_T6_T7_T8_P12ihipStream_tbENKUlT_T0_E_clISt17integral_constantIbLb1EESZ_EEDaSU_SV_EUlSU_E_NS1_11comp_targetILNS1_3genE10ELNS1_11target_archE1200ELNS1_3gpuE4ELNS1_3repE0EEENS1_30default_config_static_selectorELNS0_4arch9wavefront6targetE1EEEvT1_
    .private_segment_fixed_size: 0
    .sgpr_count:     4
    .sgpr_spill_count: 0
    .symbol:         _ZN7rocprim17ROCPRIM_400000_NS6detail17trampoline_kernelINS0_14default_configENS1_33run_length_encode_config_selectorIfjNS0_4plusIjEEEEZZNS1_33reduce_by_key_impl_wrapped_configILNS1_25lookback_scan_determinismE0ES3_S7_PKfNS0_17constant_iteratorIjlEEPfPlSF_S6_NS0_8equal_toIfEEEE10hipError_tPvRmT2_T3_mT4_T5_T6_T7_T8_P12ihipStream_tbENKUlT_T0_E_clISt17integral_constantIbLb1EESZ_EEDaSU_SV_EUlSU_E_NS1_11comp_targetILNS1_3genE10ELNS1_11target_archE1200ELNS1_3gpuE4ELNS1_3repE0EEENS1_30default_config_static_selectorELNS0_4arch9wavefront6targetE1EEEvT1_.kd
    .uniform_work_group_size: 1
    .uses_dynamic_stack: false
    .vgpr_count:     0
    .vgpr_spill_count: 0
    .wavefront_size: 64
  - .agpr_count:     0
    .args:
      - .offset:         0
        .size:           128
        .value_kind:     by_value
    .group_segment_fixed_size: 0
    .kernarg_segment_align: 8
    .kernarg_segment_size: 128
    .language:       OpenCL C
    .language_version:
      - 2
      - 0
    .max_flat_workgroup_size: 512
    .name:           _ZN7rocprim17ROCPRIM_400000_NS6detail17trampoline_kernelINS0_14default_configENS1_33run_length_encode_config_selectorIfjNS0_4plusIjEEEEZZNS1_33reduce_by_key_impl_wrapped_configILNS1_25lookback_scan_determinismE0ES3_S7_PKfNS0_17constant_iteratorIjlEEPfPlSF_S6_NS0_8equal_toIfEEEE10hipError_tPvRmT2_T3_mT4_T5_T6_T7_T8_P12ihipStream_tbENKUlT_T0_E_clISt17integral_constantIbLb1EESZ_EEDaSU_SV_EUlSU_E_NS1_11comp_targetILNS1_3genE9ELNS1_11target_archE1100ELNS1_3gpuE3ELNS1_3repE0EEENS1_30default_config_static_selectorELNS0_4arch9wavefront6targetE1EEEvT1_
    .private_segment_fixed_size: 0
    .sgpr_count:     4
    .sgpr_spill_count: 0
    .symbol:         _ZN7rocprim17ROCPRIM_400000_NS6detail17trampoline_kernelINS0_14default_configENS1_33run_length_encode_config_selectorIfjNS0_4plusIjEEEEZZNS1_33reduce_by_key_impl_wrapped_configILNS1_25lookback_scan_determinismE0ES3_S7_PKfNS0_17constant_iteratorIjlEEPfPlSF_S6_NS0_8equal_toIfEEEE10hipError_tPvRmT2_T3_mT4_T5_T6_T7_T8_P12ihipStream_tbENKUlT_T0_E_clISt17integral_constantIbLb1EESZ_EEDaSU_SV_EUlSU_E_NS1_11comp_targetILNS1_3genE9ELNS1_11target_archE1100ELNS1_3gpuE3ELNS1_3repE0EEENS1_30default_config_static_selectorELNS0_4arch9wavefront6targetE1EEEvT1_.kd
    .uniform_work_group_size: 1
    .uses_dynamic_stack: false
    .vgpr_count:     0
    .vgpr_spill_count: 0
    .wavefront_size: 64
  - .agpr_count:     0
    .args:
      - .offset:         0
        .size:           128
        .value_kind:     by_value
    .group_segment_fixed_size: 0
    .kernarg_segment_align: 8
    .kernarg_segment_size: 128
    .language:       OpenCL C
    .language_version:
      - 2
      - 0
    .max_flat_workgroup_size: 192
    .name:           _ZN7rocprim17ROCPRIM_400000_NS6detail17trampoline_kernelINS0_14default_configENS1_33run_length_encode_config_selectorIfjNS0_4plusIjEEEEZZNS1_33reduce_by_key_impl_wrapped_configILNS1_25lookback_scan_determinismE0ES3_S7_PKfNS0_17constant_iteratorIjlEEPfPlSF_S6_NS0_8equal_toIfEEEE10hipError_tPvRmT2_T3_mT4_T5_T6_T7_T8_P12ihipStream_tbENKUlT_T0_E_clISt17integral_constantIbLb1EESZ_EEDaSU_SV_EUlSU_E_NS1_11comp_targetILNS1_3genE8ELNS1_11target_archE1030ELNS1_3gpuE2ELNS1_3repE0EEENS1_30default_config_static_selectorELNS0_4arch9wavefront6targetE1EEEvT1_
    .private_segment_fixed_size: 0
    .sgpr_count:     4
    .sgpr_spill_count: 0
    .symbol:         _ZN7rocprim17ROCPRIM_400000_NS6detail17trampoline_kernelINS0_14default_configENS1_33run_length_encode_config_selectorIfjNS0_4plusIjEEEEZZNS1_33reduce_by_key_impl_wrapped_configILNS1_25lookback_scan_determinismE0ES3_S7_PKfNS0_17constant_iteratorIjlEEPfPlSF_S6_NS0_8equal_toIfEEEE10hipError_tPvRmT2_T3_mT4_T5_T6_T7_T8_P12ihipStream_tbENKUlT_T0_E_clISt17integral_constantIbLb1EESZ_EEDaSU_SV_EUlSU_E_NS1_11comp_targetILNS1_3genE8ELNS1_11target_archE1030ELNS1_3gpuE2ELNS1_3repE0EEENS1_30default_config_static_selectorELNS0_4arch9wavefront6targetE1EEEvT1_.kd
    .uniform_work_group_size: 1
    .uses_dynamic_stack: false
    .vgpr_count:     0
    .vgpr_spill_count: 0
    .wavefront_size: 64
  - .agpr_count:     0
    .args:
      - .offset:         0
        .size:           128
        .value_kind:     by_value
    .group_segment_fixed_size: 0
    .kernarg_segment_align: 8
    .kernarg_segment_size: 128
    .language:       OpenCL C
    .language_version:
      - 2
      - 0
    .max_flat_workgroup_size: 256
    .name:           _ZN7rocprim17ROCPRIM_400000_NS6detail17trampoline_kernelINS0_14default_configENS1_33run_length_encode_config_selectorIfjNS0_4plusIjEEEEZZNS1_33reduce_by_key_impl_wrapped_configILNS1_25lookback_scan_determinismE0ES3_S7_PKfNS0_17constant_iteratorIjlEEPfPlSF_S6_NS0_8equal_toIfEEEE10hipError_tPvRmT2_T3_mT4_T5_T6_T7_T8_P12ihipStream_tbENKUlT_T0_E_clISt17integral_constantIbLb1EESY_IbLb0EEEEDaSU_SV_EUlSU_E_NS1_11comp_targetILNS1_3genE0ELNS1_11target_archE4294967295ELNS1_3gpuE0ELNS1_3repE0EEENS1_30default_config_static_selectorELNS0_4arch9wavefront6targetE1EEEvT1_
    .private_segment_fixed_size: 0
    .sgpr_count:     4
    .sgpr_spill_count: 0
    .symbol:         _ZN7rocprim17ROCPRIM_400000_NS6detail17trampoline_kernelINS0_14default_configENS1_33run_length_encode_config_selectorIfjNS0_4plusIjEEEEZZNS1_33reduce_by_key_impl_wrapped_configILNS1_25lookback_scan_determinismE0ES3_S7_PKfNS0_17constant_iteratorIjlEEPfPlSF_S6_NS0_8equal_toIfEEEE10hipError_tPvRmT2_T3_mT4_T5_T6_T7_T8_P12ihipStream_tbENKUlT_T0_E_clISt17integral_constantIbLb1EESY_IbLb0EEEEDaSU_SV_EUlSU_E_NS1_11comp_targetILNS1_3genE0ELNS1_11target_archE4294967295ELNS1_3gpuE0ELNS1_3repE0EEENS1_30default_config_static_selectorELNS0_4arch9wavefront6targetE1EEEvT1_.kd
    .uniform_work_group_size: 1
    .uses_dynamic_stack: false
    .vgpr_count:     0
    .vgpr_spill_count: 0
    .wavefront_size: 64
  - .agpr_count:     0
    .args:
      - .offset:         0
        .size:           128
        .value_kind:     by_value
    .group_segment_fixed_size: 0
    .kernarg_segment_align: 8
    .kernarg_segment_size: 128
    .language:       OpenCL C
    .language_version:
      - 2
      - 0
    .max_flat_workgroup_size: 512
    .name:           _ZN7rocprim17ROCPRIM_400000_NS6detail17trampoline_kernelINS0_14default_configENS1_33run_length_encode_config_selectorIfjNS0_4plusIjEEEEZZNS1_33reduce_by_key_impl_wrapped_configILNS1_25lookback_scan_determinismE0ES3_S7_PKfNS0_17constant_iteratorIjlEEPfPlSF_S6_NS0_8equal_toIfEEEE10hipError_tPvRmT2_T3_mT4_T5_T6_T7_T8_P12ihipStream_tbENKUlT_T0_E_clISt17integral_constantIbLb1EESY_IbLb0EEEEDaSU_SV_EUlSU_E_NS1_11comp_targetILNS1_3genE5ELNS1_11target_archE942ELNS1_3gpuE9ELNS1_3repE0EEENS1_30default_config_static_selectorELNS0_4arch9wavefront6targetE1EEEvT1_
    .private_segment_fixed_size: 0
    .sgpr_count:     4
    .sgpr_spill_count: 0
    .symbol:         _ZN7rocprim17ROCPRIM_400000_NS6detail17trampoline_kernelINS0_14default_configENS1_33run_length_encode_config_selectorIfjNS0_4plusIjEEEEZZNS1_33reduce_by_key_impl_wrapped_configILNS1_25lookback_scan_determinismE0ES3_S7_PKfNS0_17constant_iteratorIjlEEPfPlSF_S6_NS0_8equal_toIfEEEE10hipError_tPvRmT2_T3_mT4_T5_T6_T7_T8_P12ihipStream_tbENKUlT_T0_E_clISt17integral_constantIbLb1EESY_IbLb0EEEEDaSU_SV_EUlSU_E_NS1_11comp_targetILNS1_3genE5ELNS1_11target_archE942ELNS1_3gpuE9ELNS1_3repE0EEENS1_30default_config_static_selectorELNS0_4arch9wavefront6targetE1EEEvT1_.kd
    .uniform_work_group_size: 1
    .uses_dynamic_stack: false
    .vgpr_count:     0
    .vgpr_spill_count: 0
    .wavefront_size: 64
  - .agpr_count:     0
    .args:
      - .offset:         0
        .size:           128
        .value_kind:     by_value
    .group_segment_fixed_size: 15360
    .kernarg_segment_align: 8
    .kernarg_segment_size: 128
    .language:       OpenCL C
    .language_version:
      - 2
      - 0
    .max_flat_workgroup_size: 256
    .name:           _ZN7rocprim17ROCPRIM_400000_NS6detail17trampoline_kernelINS0_14default_configENS1_33run_length_encode_config_selectorIfjNS0_4plusIjEEEEZZNS1_33reduce_by_key_impl_wrapped_configILNS1_25lookback_scan_determinismE0ES3_S7_PKfNS0_17constant_iteratorIjlEEPfPlSF_S6_NS0_8equal_toIfEEEE10hipError_tPvRmT2_T3_mT4_T5_T6_T7_T8_P12ihipStream_tbENKUlT_T0_E_clISt17integral_constantIbLb1EESY_IbLb0EEEEDaSU_SV_EUlSU_E_NS1_11comp_targetILNS1_3genE4ELNS1_11target_archE910ELNS1_3gpuE8ELNS1_3repE0EEENS1_30default_config_static_selectorELNS0_4arch9wavefront6targetE1EEEvT1_
    .private_segment_fixed_size: 0
    .sgpr_count:     68
    .sgpr_spill_count: 0
    .symbol:         _ZN7rocprim17ROCPRIM_400000_NS6detail17trampoline_kernelINS0_14default_configENS1_33run_length_encode_config_selectorIfjNS0_4plusIjEEEEZZNS1_33reduce_by_key_impl_wrapped_configILNS1_25lookback_scan_determinismE0ES3_S7_PKfNS0_17constant_iteratorIjlEEPfPlSF_S6_NS0_8equal_toIfEEEE10hipError_tPvRmT2_T3_mT4_T5_T6_T7_T8_P12ihipStream_tbENKUlT_T0_E_clISt17integral_constantIbLb1EESY_IbLb0EEEEDaSU_SV_EUlSU_E_NS1_11comp_targetILNS1_3genE4ELNS1_11target_archE910ELNS1_3gpuE8ELNS1_3repE0EEENS1_30default_config_static_selectorELNS0_4arch9wavefront6targetE1EEEvT1_.kd
    .uniform_work_group_size: 1
    .uses_dynamic_stack: false
    .vgpr_count:     104
    .vgpr_spill_count: 0
    .wavefront_size: 64
  - .agpr_count:     0
    .args:
      - .offset:         0
        .size:           128
        .value_kind:     by_value
    .group_segment_fixed_size: 0
    .kernarg_segment_align: 8
    .kernarg_segment_size: 128
    .language:       OpenCL C
    .language_version:
      - 2
      - 0
    .max_flat_workgroup_size: 256
    .name:           _ZN7rocprim17ROCPRIM_400000_NS6detail17trampoline_kernelINS0_14default_configENS1_33run_length_encode_config_selectorIfjNS0_4plusIjEEEEZZNS1_33reduce_by_key_impl_wrapped_configILNS1_25lookback_scan_determinismE0ES3_S7_PKfNS0_17constant_iteratorIjlEEPfPlSF_S6_NS0_8equal_toIfEEEE10hipError_tPvRmT2_T3_mT4_T5_T6_T7_T8_P12ihipStream_tbENKUlT_T0_E_clISt17integral_constantIbLb1EESY_IbLb0EEEEDaSU_SV_EUlSU_E_NS1_11comp_targetILNS1_3genE3ELNS1_11target_archE908ELNS1_3gpuE7ELNS1_3repE0EEENS1_30default_config_static_selectorELNS0_4arch9wavefront6targetE1EEEvT1_
    .private_segment_fixed_size: 0
    .sgpr_count:     4
    .sgpr_spill_count: 0
    .symbol:         _ZN7rocprim17ROCPRIM_400000_NS6detail17trampoline_kernelINS0_14default_configENS1_33run_length_encode_config_selectorIfjNS0_4plusIjEEEEZZNS1_33reduce_by_key_impl_wrapped_configILNS1_25lookback_scan_determinismE0ES3_S7_PKfNS0_17constant_iteratorIjlEEPfPlSF_S6_NS0_8equal_toIfEEEE10hipError_tPvRmT2_T3_mT4_T5_T6_T7_T8_P12ihipStream_tbENKUlT_T0_E_clISt17integral_constantIbLb1EESY_IbLb0EEEEDaSU_SV_EUlSU_E_NS1_11comp_targetILNS1_3genE3ELNS1_11target_archE908ELNS1_3gpuE7ELNS1_3repE0EEENS1_30default_config_static_selectorELNS0_4arch9wavefront6targetE1EEEvT1_.kd
    .uniform_work_group_size: 1
    .uses_dynamic_stack: false
    .vgpr_count:     0
    .vgpr_spill_count: 0
    .wavefront_size: 64
  - .agpr_count:     0
    .args:
      - .offset:         0
        .size:           128
        .value_kind:     by_value
    .group_segment_fixed_size: 0
    .kernarg_segment_align: 8
    .kernarg_segment_size: 128
    .language:       OpenCL C
    .language_version:
      - 2
      - 0
    .max_flat_workgroup_size: 256
    .name:           _ZN7rocprim17ROCPRIM_400000_NS6detail17trampoline_kernelINS0_14default_configENS1_33run_length_encode_config_selectorIfjNS0_4plusIjEEEEZZNS1_33reduce_by_key_impl_wrapped_configILNS1_25lookback_scan_determinismE0ES3_S7_PKfNS0_17constant_iteratorIjlEEPfPlSF_S6_NS0_8equal_toIfEEEE10hipError_tPvRmT2_T3_mT4_T5_T6_T7_T8_P12ihipStream_tbENKUlT_T0_E_clISt17integral_constantIbLb1EESY_IbLb0EEEEDaSU_SV_EUlSU_E_NS1_11comp_targetILNS1_3genE2ELNS1_11target_archE906ELNS1_3gpuE6ELNS1_3repE0EEENS1_30default_config_static_selectorELNS0_4arch9wavefront6targetE1EEEvT1_
    .private_segment_fixed_size: 0
    .sgpr_count:     4
    .sgpr_spill_count: 0
    .symbol:         _ZN7rocprim17ROCPRIM_400000_NS6detail17trampoline_kernelINS0_14default_configENS1_33run_length_encode_config_selectorIfjNS0_4plusIjEEEEZZNS1_33reduce_by_key_impl_wrapped_configILNS1_25lookback_scan_determinismE0ES3_S7_PKfNS0_17constant_iteratorIjlEEPfPlSF_S6_NS0_8equal_toIfEEEE10hipError_tPvRmT2_T3_mT4_T5_T6_T7_T8_P12ihipStream_tbENKUlT_T0_E_clISt17integral_constantIbLb1EESY_IbLb0EEEEDaSU_SV_EUlSU_E_NS1_11comp_targetILNS1_3genE2ELNS1_11target_archE906ELNS1_3gpuE6ELNS1_3repE0EEENS1_30default_config_static_selectorELNS0_4arch9wavefront6targetE1EEEvT1_.kd
    .uniform_work_group_size: 1
    .uses_dynamic_stack: false
    .vgpr_count:     0
    .vgpr_spill_count: 0
    .wavefront_size: 64
  - .agpr_count:     0
    .args:
      - .offset:         0
        .size:           128
        .value_kind:     by_value
    .group_segment_fixed_size: 0
    .kernarg_segment_align: 8
    .kernarg_segment_size: 128
    .language:       OpenCL C
    .language_version:
      - 2
      - 0
    .max_flat_workgroup_size: 384
    .name:           _ZN7rocprim17ROCPRIM_400000_NS6detail17trampoline_kernelINS0_14default_configENS1_33run_length_encode_config_selectorIfjNS0_4plusIjEEEEZZNS1_33reduce_by_key_impl_wrapped_configILNS1_25lookback_scan_determinismE0ES3_S7_PKfNS0_17constant_iteratorIjlEEPfPlSF_S6_NS0_8equal_toIfEEEE10hipError_tPvRmT2_T3_mT4_T5_T6_T7_T8_P12ihipStream_tbENKUlT_T0_E_clISt17integral_constantIbLb1EESY_IbLb0EEEEDaSU_SV_EUlSU_E_NS1_11comp_targetILNS1_3genE10ELNS1_11target_archE1201ELNS1_3gpuE5ELNS1_3repE0EEENS1_30default_config_static_selectorELNS0_4arch9wavefront6targetE1EEEvT1_
    .private_segment_fixed_size: 0
    .sgpr_count:     4
    .sgpr_spill_count: 0
    .symbol:         _ZN7rocprim17ROCPRIM_400000_NS6detail17trampoline_kernelINS0_14default_configENS1_33run_length_encode_config_selectorIfjNS0_4plusIjEEEEZZNS1_33reduce_by_key_impl_wrapped_configILNS1_25lookback_scan_determinismE0ES3_S7_PKfNS0_17constant_iteratorIjlEEPfPlSF_S6_NS0_8equal_toIfEEEE10hipError_tPvRmT2_T3_mT4_T5_T6_T7_T8_P12ihipStream_tbENKUlT_T0_E_clISt17integral_constantIbLb1EESY_IbLb0EEEEDaSU_SV_EUlSU_E_NS1_11comp_targetILNS1_3genE10ELNS1_11target_archE1201ELNS1_3gpuE5ELNS1_3repE0EEENS1_30default_config_static_selectorELNS0_4arch9wavefront6targetE1EEEvT1_.kd
    .uniform_work_group_size: 1
    .uses_dynamic_stack: false
    .vgpr_count:     0
    .vgpr_spill_count: 0
    .wavefront_size: 64
  - .agpr_count:     0
    .args:
      - .offset:         0
        .size:           128
        .value_kind:     by_value
    .group_segment_fixed_size: 0
    .kernarg_segment_align: 8
    .kernarg_segment_size: 128
    .language:       OpenCL C
    .language_version:
      - 2
      - 0
    .max_flat_workgroup_size: 256
    .name:           _ZN7rocprim17ROCPRIM_400000_NS6detail17trampoline_kernelINS0_14default_configENS1_33run_length_encode_config_selectorIfjNS0_4plusIjEEEEZZNS1_33reduce_by_key_impl_wrapped_configILNS1_25lookback_scan_determinismE0ES3_S7_PKfNS0_17constant_iteratorIjlEEPfPlSF_S6_NS0_8equal_toIfEEEE10hipError_tPvRmT2_T3_mT4_T5_T6_T7_T8_P12ihipStream_tbENKUlT_T0_E_clISt17integral_constantIbLb1EESY_IbLb0EEEEDaSU_SV_EUlSU_E_NS1_11comp_targetILNS1_3genE10ELNS1_11target_archE1200ELNS1_3gpuE4ELNS1_3repE0EEENS1_30default_config_static_selectorELNS0_4arch9wavefront6targetE1EEEvT1_
    .private_segment_fixed_size: 0
    .sgpr_count:     4
    .sgpr_spill_count: 0
    .symbol:         _ZN7rocprim17ROCPRIM_400000_NS6detail17trampoline_kernelINS0_14default_configENS1_33run_length_encode_config_selectorIfjNS0_4plusIjEEEEZZNS1_33reduce_by_key_impl_wrapped_configILNS1_25lookback_scan_determinismE0ES3_S7_PKfNS0_17constant_iteratorIjlEEPfPlSF_S6_NS0_8equal_toIfEEEE10hipError_tPvRmT2_T3_mT4_T5_T6_T7_T8_P12ihipStream_tbENKUlT_T0_E_clISt17integral_constantIbLb1EESY_IbLb0EEEEDaSU_SV_EUlSU_E_NS1_11comp_targetILNS1_3genE10ELNS1_11target_archE1200ELNS1_3gpuE4ELNS1_3repE0EEENS1_30default_config_static_selectorELNS0_4arch9wavefront6targetE1EEEvT1_.kd
    .uniform_work_group_size: 1
    .uses_dynamic_stack: false
    .vgpr_count:     0
    .vgpr_spill_count: 0
    .wavefront_size: 64
  - .agpr_count:     0
    .args:
      - .offset:         0
        .size:           128
        .value_kind:     by_value
    .group_segment_fixed_size: 0
    .kernarg_segment_align: 8
    .kernarg_segment_size: 128
    .language:       OpenCL C
    .language_version:
      - 2
      - 0
    .max_flat_workgroup_size: 512
    .name:           _ZN7rocprim17ROCPRIM_400000_NS6detail17trampoline_kernelINS0_14default_configENS1_33run_length_encode_config_selectorIfjNS0_4plusIjEEEEZZNS1_33reduce_by_key_impl_wrapped_configILNS1_25lookback_scan_determinismE0ES3_S7_PKfNS0_17constant_iteratorIjlEEPfPlSF_S6_NS0_8equal_toIfEEEE10hipError_tPvRmT2_T3_mT4_T5_T6_T7_T8_P12ihipStream_tbENKUlT_T0_E_clISt17integral_constantIbLb1EESY_IbLb0EEEEDaSU_SV_EUlSU_E_NS1_11comp_targetILNS1_3genE9ELNS1_11target_archE1100ELNS1_3gpuE3ELNS1_3repE0EEENS1_30default_config_static_selectorELNS0_4arch9wavefront6targetE1EEEvT1_
    .private_segment_fixed_size: 0
    .sgpr_count:     4
    .sgpr_spill_count: 0
    .symbol:         _ZN7rocprim17ROCPRIM_400000_NS6detail17trampoline_kernelINS0_14default_configENS1_33run_length_encode_config_selectorIfjNS0_4plusIjEEEEZZNS1_33reduce_by_key_impl_wrapped_configILNS1_25lookback_scan_determinismE0ES3_S7_PKfNS0_17constant_iteratorIjlEEPfPlSF_S6_NS0_8equal_toIfEEEE10hipError_tPvRmT2_T3_mT4_T5_T6_T7_T8_P12ihipStream_tbENKUlT_T0_E_clISt17integral_constantIbLb1EESY_IbLb0EEEEDaSU_SV_EUlSU_E_NS1_11comp_targetILNS1_3genE9ELNS1_11target_archE1100ELNS1_3gpuE3ELNS1_3repE0EEENS1_30default_config_static_selectorELNS0_4arch9wavefront6targetE1EEEvT1_.kd
    .uniform_work_group_size: 1
    .uses_dynamic_stack: false
    .vgpr_count:     0
    .vgpr_spill_count: 0
    .wavefront_size: 64
  - .agpr_count:     0
    .args:
      - .offset:         0
        .size:           128
        .value_kind:     by_value
    .group_segment_fixed_size: 0
    .kernarg_segment_align: 8
    .kernarg_segment_size: 128
    .language:       OpenCL C
    .language_version:
      - 2
      - 0
    .max_flat_workgroup_size: 192
    .name:           _ZN7rocprim17ROCPRIM_400000_NS6detail17trampoline_kernelINS0_14default_configENS1_33run_length_encode_config_selectorIfjNS0_4plusIjEEEEZZNS1_33reduce_by_key_impl_wrapped_configILNS1_25lookback_scan_determinismE0ES3_S7_PKfNS0_17constant_iteratorIjlEEPfPlSF_S6_NS0_8equal_toIfEEEE10hipError_tPvRmT2_T3_mT4_T5_T6_T7_T8_P12ihipStream_tbENKUlT_T0_E_clISt17integral_constantIbLb1EESY_IbLb0EEEEDaSU_SV_EUlSU_E_NS1_11comp_targetILNS1_3genE8ELNS1_11target_archE1030ELNS1_3gpuE2ELNS1_3repE0EEENS1_30default_config_static_selectorELNS0_4arch9wavefront6targetE1EEEvT1_
    .private_segment_fixed_size: 0
    .sgpr_count:     4
    .sgpr_spill_count: 0
    .symbol:         _ZN7rocprim17ROCPRIM_400000_NS6detail17trampoline_kernelINS0_14default_configENS1_33run_length_encode_config_selectorIfjNS0_4plusIjEEEEZZNS1_33reduce_by_key_impl_wrapped_configILNS1_25lookback_scan_determinismE0ES3_S7_PKfNS0_17constant_iteratorIjlEEPfPlSF_S6_NS0_8equal_toIfEEEE10hipError_tPvRmT2_T3_mT4_T5_T6_T7_T8_P12ihipStream_tbENKUlT_T0_E_clISt17integral_constantIbLb1EESY_IbLb0EEEEDaSU_SV_EUlSU_E_NS1_11comp_targetILNS1_3genE8ELNS1_11target_archE1030ELNS1_3gpuE2ELNS1_3repE0EEENS1_30default_config_static_selectorELNS0_4arch9wavefront6targetE1EEEvT1_.kd
    .uniform_work_group_size: 1
    .uses_dynamic_stack: false
    .vgpr_count:     0
    .vgpr_spill_count: 0
    .wavefront_size: 64
  - .agpr_count:     0
    .args:
      - .offset:         0
        .size:           128
        .value_kind:     by_value
    .group_segment_fixed_size: 0
    .kernarg_segment_align: 8
    .kernarg_segment_size: 128
    .language:       OpenCL C
    .language_version:
      - 2
      - 0
    .max_flat_workgroup_size: 256
    .name:           _ZN7rocprim17ROCPRIM_400000_NS6detail17trampoline_kernelINS0_14default_configENS1_33run_length_encode_config_selectorIfjNS0_4plusIjEEEEZZNS1_33reduce_by_key_impl_wrapped_configILNS1_25lookback_scan_determinismE0ES3_S7_PKfNS0_17constant_iteratorIjlEEPfPlSF_S6_NS0_8equal_toIfEEEE10hipError_tPvRmT2_T3_mT4_T5_T6_T7_T8_P12ihipStream_tbENKUlT_T0_E_clISt17integral_constantIbLb0EESY_IbLb1EEEEDaSU_SV_EUlSU_E_NS1_11comp_targetILNS1_3genE0ELNS1_11target_archE4294967295ELNS1_3gpuE0ELNS1_3repE0EEENS1_30default_config_static_selectorELNS0_4arch9wavefront6targetE1EEEvT1_
    .private_segment_fixed_size: 0
    .sgpr_count:     4
    .sgpr_spill_count: 0
    .symbol:         _ZN7rocprim17ROCPRIM_400000_NS6detail17trampoline_kernelINS0_14default_configENS1_33run_length_encode_config_selectorIfjNS0_4plusIjEEEEZZNS1_33reduce_by_key_impl_wrapped_configILNS1_25lookback_scan_determinismE0ES3_S7_PKfNS0_17constant_iteratorIjlEEPfPlSF_S6_NS0_8equal_toIfEEEE10hipError_tPvRmT2_T3_mT4_T5_T6_T7_T8_P12ihipStream_tbENKUlT_T0_E_clISt17integral_constantIbLb0EESY_IbLb1EEEEDaSU_SV_EUlSU_E_NS1_11comp_targetILNS1_3genE0ELNS1_11target_archE4294967295ELNS1_3gpuE0ELNS1_3repE0EEENS1_30default_config_static_selectorELNS0_4arch9wavefront6targetE1EEEvT1_.kd
    .uniform_work_group_size: 1
    .uses_dynamic_stack: false
    .vgpr_count:     0
    .vgpr_spill_count: 0
    .wavefront_size: 64
  - .agpr_count:     0
    .args:
      - .offset:         0
        .size:           128
        .value_kind:     by_value
    .group_segment_fixed_size: 0
    .kernarg_segment_align: 8
    .kernarg_segment_size: 128
    .language:       OpenCL C
    .language_version:
      - 2
      - 0
    .max_flat_workgroup_size: 512
    .name:           _ZN7rocprim17ROCPRIM_400000_NS6detail17trampoline_kernelINS0_14default_configENS1_33run_length_encode_config_selectorIfjNS0_4plusIjEEEEZZNS1_33reduce_by_key_impl_wrapped_configILNS1_25lookback_scan_determinismE0ES3_S7_PKfNS0_17constant_iteratorIjlEEPfPlSF_S6_NS0_8equal_toIfEEEE10hipError_tPvRmT2_T3_mT4_T5_T6_T7_T8_P12ihipStream_tbENKUlT_T0_E_clISt17integral_constantIbLb0EESY_IbLb1EEEEDaSU_SV_EUlSU_E_NS1_11comp_targetILNS1_3genE5ELNS1_11target_archE942ELNS1_3gpuE9ELNS1_3repE0EEENS1_30default_config_static_selectorELNS0_4arch9wavefront6targetE1EEEvT1_
    .private_segment_fixed_size: 0
    .sgpr_count:     4
    .sgpr_spill_count: 0
    .symbol:         _ZN7rocprim17ROCPRIM_400000_NS6detail17trampoline_kernelINS0_14default_configENS1_33run_length_encode_config_selectorIfjNS0_4plusIjEEEEZZNS1_33reduce_by_key_impl_wrapped_configILNS1_25lookback_scan_determinismE0ES3_S7_PKfNS0_17constant_iteratorIjlEEPfPlSF_S6_NS0_8equal_toIfEEEE10hipError_tPvRmT2_T3_mT4_T5_T6_T7_T8_P12ihipStream_tbENKUlT_T0_E_clISt17integral_constantIbLb0EESY_IbLb1EEEEDaSU_SV_EUlSU_E_NS1_11comp_targetILNS1_3genE5ELNS1_11target_archE942ELNS1_3gpuE9ELNS1_3repE0EEENS1_30default_config_static_selectorELNS0_4arch9wavefront6targetE1EEEvT1_.kd
    .uniform_work_group_size: 1
    .uses_dynamic_stack: false
    .vgpr_count:     0
    .vgpr_spill_count: 0
    .wavefront_size: 64
  - .agpr_count:     0
    .args:
      - .offset:         0
        .size:           128
        .value_kind:     by_value
    .group_segment_fixed_size: 15360
    .kernarg_segment_align: 8
    .kernarg_segment_size: 128
    .language:       OpenCL C
    .language_version:
      - 2
      - 0
    .max_flat_workgroup_size: 256
    .name:           _ZN7rocprim17ROCPRIM_400000_NS6detail17trampoline_kernelINS0_14default_configENS1_33run_length_encode_config_selectorIfjNS0_4plusIjEEEEZZNS1_33reduce_by_key_impl_wrapped_configILNS1_25lookback_scan_determinismE0ES3_S7_PKfNS0_17constant_iteratorIjlEEPfPlSF_S6_NS0_8equal_toIfEEEE10hipError_tPvRmT2_T3_mT4_T5_T6_T7_T8_P12ihipStream_tbENKUlT_T0_E_clISt17integral_constantIbLb0EESY_IbLb1EEEEDaSU_SV_EUlSU_E_NS1_11comp_targetILNS1_3genE4ELNS1_11target_archE910ELNS1_3gpuE8ELNS1_3repE0EEENS1_30default_config_static_selectorELNS0_4arch9wavefront6targetE1EEEvT1_
    .private_segment_fixed_size: 0
    .sgpr_count:     70
    .sgpr_spill_count: 0
    .symbol:         _ZN7rocprim17ROCPRIM_400000_NS6detail17trampoline_kernelINS0_14default_configENS1_33run_length_encode_config_selectorIfjNS0_4plusIjEEEEZZNS1_33reduce_by_key_impl_wrapped_configILNS1_25lookback_scan_determinismE0ES3_S7_PKfNS0_17constant_iteratorIjlEEPfPlSF_S6_NS0_8equal_toIfEEEE10hipError_tPvRmT2_T3_mT4_T5_T6_T7_T8_P12ihipStream_tbENKUlT_T0_E_clISt17integral_constantIbLb0EESY_IbLb1EEEEDaSU_SV_EUlSU_E_NS1_11comp_targetILNS1_3genE4ELNS1_11target_archE910ELNS1_3gpuE8ELNS1_3repE0EEENS1_30default_config_static_selectorELNS0_4arch9wavefront6targetE1EEEvT1_.kd
    .uniform_work_group_size: 1
    .uses_dynamic_stack: false
    .vgpr_count:     104
    .vgpr_spill_count: 0
    .wavefront_size: 64
  - .agpr_count:     0
    .args:
      - .offset:         0
        .size:           128
        .value_kind:     by_value
    .group_segment_fixed_size: 0
    .kernarg_segment_align: 8
    .kernarg_segment_size: 128
    .language:       OpenCL C
    .language_version:
      - 2
      - 0
    .max_flat_workgroup_size: 256
    .name:           _ZN7rocprim17ROCPRIM_400000_NS6detail17trampoline_kernelINS0_14default_configENS1_33run_length_encode_config_selectorIfjNS0_4plusIjEEEEZZNS1_33reduce_by_key_impl_wrapped_configILNS1_25lookback_scan_determinismE0ES3_S7_PKfNS0_17constant_iteratorIjlEEPfPlSF_S6_NS0_8equal_toIfEEEE10hipError_tPvRmT2_T3_mT4_T5_T6_T7_T8_P12ihipStream_tbENKUlT_T0_E_clISt17integral_constantIbLb0EESY_IbLb1EEEEDaSU_SV_EUlSU_E_NS1_11comp_targetILNS1_3genE3ELNS1_11target_archE908ELNS1_3gpuE7ELNS1_3repE0EEENS1_30default_config_static_selectorELNS0_4arch9wavefront6targetE1EEEvT1_
    .private_segment_fixed_size: 0
    .sgpr_count:     4
    .sgpr_spill_count: 0
    .symbol:         _ZN7rocprim17ROCPRIM_400000_NS6detail17trampoline_kernelINS0_14default_configENS1_33run_length_encode_config_selectorIfjNS0_4plusIjEEEEZZNS1_33reduce_by_key_impl_wrapped_configILNS1_25lookback_scan_determinismE0ES3_S7_PKfNS0_17constant_iteratorIjlEEPfPlSF_S6_NS0_8equal_toIfEEEE10hipError_tPvRmT2_T3_mT4_T5_T6_T7_T8_P12ihipStream_tbENKUlT_T0_E_clISt17integral_constantIbLb0EESY_IbLb1EEEEDaSU_SV_EUlSU_E_NS1_11comp_targetILNS1_3genE3ELNS1_11target_archE908ELNS1_3gpuE7ELNS1_3repE0EEENS1_30default_config_static_selectorELNS0_4arch9wavefront6targetE1EEEvT1_.kd
    .uniform_work_group_size: 1
    .uses_dynamic_stack: false
    .vgpr_count:     0
    .vgpr_spill_count: 0
    .wavefront_size: 64
  - .agpr_count:     0
    .args:
      - .offset:         0
        .size:           128
        .value_kind:     by_value
    .group_segment_fixed_size: 0
    .kernarg_segment_align: 8
    .kernarg_segment_size: 128
    .language:       OpenCL C
    .language_version:
      - 2
      - 0
    .max_flat_workgroup_size: 256
    .name:           _ZN7rocprim17ROCPRIM_400000_NS6detail17trampoline_kernelINS0_14default_configENS1_33run_length_encode_config_selectorIfjNS0_4plusIjEEEEZZNS1_33reduce_by_key_impl_wrapped_configILNS1_25lookback_scan_determinismE0ES3_S7_PKfNS0_17constant_iteratorIjlEEPfPlSF_S6_NS0_8equal_toIfEEEE10hipError_tPvRmT2_T3_mT4_T5_T6_T7_T8_P12ihipStream_tbENKUlT_T0_E_clISt17integral_constantIbLb0EESY_IbLb1EEEEDaSU_SV_EUlSU_E_NS1_11comp_targetILNS1_3genE2ELNS1_11target_archE906ELNS1_3gpuE6ELNS1_3repE0EEENS1_30default_config_static_selectorELNS0_4arch9wavefront6targetE1EEEvT1_
    .private_segment_fixed_size: 0
    .sgpr_count:     4
    .sgpr_spill_count: 0
    .symbol:         _ZN7rocprim17ROCPRIM_400000_NS6detail17trampoline_kernelINS0_14default_configENS1_33run_length_encode_config_selectorIfjNS0_4plusIjEEEEZZNS1_33reduce_by_key_impl_wrapped_configILNS1_25lookback_scan_determinismE0ES3_S7_PKfNS0_17constant_iteratorIjlEEPfPlSF_S6_NS0_8equal_toIfEEEE10hipError_tPvRmT2_T3_mT4_T5_T6_T7_T8_P12ihipStream_tbENKUlT_T0_E_clISt17integral_constantIbLb0EESY_IbLb1EEEEDaSU_SV_EUlSU_E_NS1_11comp_targetILNS1_3genE2ELNS1_11target_archE906ELNS1_3gpuE6ELNS1_3repE0EEENS1_30default_config_static_selectorELNS0_4arch9wavefront6targetE1EEEvT1_.kd
    .uniform_work_group_size: 1
    .uses_dynamic_stack: false
    .vgpr_count:     0
    .vgpr_spill_count: 0
    .wavefront_size: 64
  - .agpr_count:     0
    .args:
      - .offset:         0
        .size:           128
        .value_kind:     by_value
    .group_segment_fixed_size: 0
    .kernarg_segment_align: 8
    .kernarg_segment_size: 128
    .language:       OpenCL C
    .language_version:
      - 2
      - 0
    .max_flat_workgroup_size: 384
    .name:           _ZN7rocprim17ROCPRIM_400000_NS6detail17trampoline_kernelINS0_14default_configENS1_33run_length_encode_config_selectorIfjNS0_4plusIjEEEEZZNS1_33reduce_by_key_impl_wrapped_configILNS1_25lookback_scan_determinismE0ES3_S7_PKfNS0_17constant_iteratorIjlEEPfPlSF_S6_NS0_8equal_toIfEEEE10hipError_tPvRmT2_T3_mT4_T5_T6_T7_T8_P12ihipStream_tbENKUlT_T0_E_clISt17integral_constantIbLb0EESY_IbLb1EEEEDaSU_SV_EUlSU_E_NS1_11comp_targetILNS1_3genE10ELNS1_11target_archE1201ELNS1_3gpuE5ELNS1_3repE0EEENS1_30default_config_static_selectorELNS0_4arch9wavefront6targetE1EEEvT1_
    .private_segment_fixed_size: 0
    .sgpr_count:     4
    .sgpr_spill_count: 0
    .symbol:         _ZN7rocprim17ROCPRIM_400000_NS6detail17trampoline_kernelINS0_14default_configENS1_33run_length_encode_config_selectorIfjNS0_4plusIjEEEEZZNS1_33reduce_by_key_impl_wrapped_configILNS1_25lookback_scan_determinismE0ES3_S7_PKfNS0_17constant_iteratorIjlEEPfPlSF_S6_NS0_8equal_toIfEEEE10hipError_tPvRmT2_T3_mT4_T5_T6_T7_T8_P12ihipStream_tbENKUlT_T0_E_clISt17integral_constantIbLb0EESY_IbLb1EEEEDaSU_SV_EUlSU_E_NS1_11comp_targetILNS1_3genE10ELNS1_11target_archE1201ELNS1_3gpuE5ELNS1_3repE0EEENS1_30default_config_static_selectorELNS0_4arch9wavefront6targetE1EEEvT1_.kd
    .uniform_work_group_size: 1
    .uses_dynamic_stack: false
    .vgpr_count:     0
    .vgpr_spill_count: 0
    .wavefront_size: 64
  - .agpr_count:     0
    .args:
      - .offset:         0
        .size:           128
        .value_kind:     by_value
    .group_segment_fixed_size: 0
    .kernarg_segment_align: 8
    .kernarg_segment_size: 128
    .language:       OpenCL C
    .language_version:
      - 2
      - 0
    .max_flat_workgroup_size: 256
    .name:           _ZN7rocprim17ROCPRIM_400000_NS6detail17trampoline_kernelINS0_14default_configENS1_33run_length_encode_config_selectorIfjNS0_4plusIjEEEEZZNS1_33reduce_by_key_impl_wrapped_configILNS1_25lookback_scan_determinismE0ES3_S7_PKfNS0_17constant_iteratorIjlEEPfPlSF_S6_NS0_8equal_toIfEEEE10hipError_tPvRmT2_T3_mT4_T5_T6_T7_T8_P12ihipStream_tbENKUlT_T0_E_clISt17integral_constantIbLb0EESY_IbLb1EEEEDaSU_SV_EUlSU_E_NS1_11comp_targetILNS1_3genE10ELNS1_11target_archE1200ELNS1_3gpuE4ELNS1_3repE0EEENS1_30default_config_static_selectorELNS0_4arch9wavefront6targetE1EEEvT1_
    .private_segment_fixed_size: 0
    .sgpr_count:     4
    .sgpr_spill_count: 0
    .symbol:         _ZN7rocprim17ROCPRIM_400000_NS6detail17trampoline_kernelINS0_14default_configENS1_33run_length_encode_config_selectorIfjNS0_4plusIjEEEEZZNS1_33reduce_by_key_impl_wrapped_configILNS1_25lookback_scan_determinismE0ES3_S7_PKfNS0_17constant_iteratorIjlEEPfPlSF_S6_NS0_8equal_toIfEEEE10hipError_tPvRmT2_T3_mT4_T5_T6_T7_T8_P12ihipStream_tbENKUlT_T0_E_clISt17integral_constantIbLb0EESY_IbLb1EEEEDaSU_SV_EUlSU_E_NS1_11comp_targetILNS1_3genE10ELNS1_11target_archE1200ELNS1_3gpuE4ELNS1_3repE0EEENS1_30default_config_static_selectorELNS0_4arch9wavefront6targetE1EEEvT1_.kd
    .uniform_work_group_size: 1
    .uses_dynamic_stack: false
    .vgpr_count:     0
    .vgpr_spill_count: 0
    .wavefront_size: 64
  - .agpr_count:     0
    .args:
      - .offset:         0
        .size:           128
        .value_kind:     by_value
    .group_segment_fixed_size: 0
    .kernarg_segment_align: 8
    .kernarg_segment_size: 128
    .language:       OpenCL C
    .language_version:
      - 2
      - 0
    .max_flat_workgroup_size: 512
    .name:           _ZN7rocprim17ROCPRIM_400000_NS6detail17trampoline_kernelINS0_14default_configENS1_33run_length_encode_config_selectorIfjNS0_4plusIjEEEEZZNS1_33reduce_by_key_impl_wrapped_configILNS1_25lookback_scan_determinismE0ES3_S7_PKfNS0_17constant_iteratorIjlEEPfPlSF_S6_NS0_8equal_toIfEEEE10hipError_tPvRmT2_T3_mT4_T5_T6_T7_T8_P12ihipStream_tbENKUlT_T0_E_clISt17integral_constantIbLb0EESY_IbLb1EEEEDaSU_SV_EUlSU_E_NS1_11comp_targetILNS1_3genE9ELNS1_11target_archE1100ELNS1_3gpuE3ELNS1_3repE0EEENS1_30default_config_static_selectorELNS0_4arch9wavefront6targetE1EEEvT1_
    .private_segment_fixed_size: 0
    .sgpr_count:     4
    .sgpr_spill_count: 0
    .symbol:         _ZN7rocprim17ROCPRIM_400000_NS6detail17trampoline_kernelINS0_14default_configENS1_33run_length_encode_config_selectorIfjNS0_4plusIjEEEEZZNS1_33reduce_by_key_impl_wrapped_configILNS1_25lookback_scan_determinismE0ES3_S7_PKfNS0_17constant_iteratorIjlEEPfPlSF_S6_NS0_8equal_toIfEEEE10hipError_tPvRmT2_T3_mT4_T5_T6_T7_T8_P12ihipStream_tbENKUlT_T0_E_clISt17integral_constantIbLb0EESY_IbLb1EEEEDaSU_SV_EUlSU_E_NS1_11comp_targetILNS1_3genE9ELNS1_11target_archE1100ELNS1_3gpuE3ELNS1_3repE0EEENS1_30default_config_static_selectorELNS0_4arch9wavefront6targetE1EEEvT1_.kd
    .uniform_work_group_size: 1
    .uses_dynamic_stack: false
    .vgpr_count:     0
    .vgpr_spill_count: 0
    .wavefront_size: 64
  - .agpr_count:     0
    .args:
      - .offset:         0
        .size:           128
        .value_kind:     by_value
    .group_segment_fixed_size: 0
    .kernarg_segment_align: 8
    .kernarg_segment_size: 128
    .language:       OpenCL C
    .language_version:
      - 2
      - 0
    .max_flat_workgroup_size: 192
    .name:           _ZN7rocprim17ROCPRIM_400000_NS6detail17trampoline_kernelINS0_14default_configENS1_33run_length_encode_config_selectorIfjNS0_4plusIjEEEEZZNS1_33reduce_by_key_impl_wrapped_configILNS1_25lookback_scan_determinismE0ES3_S7_PKfNS0_17constant_iteratorIjlEEPfPlSF_S6_NS0_8equal_toIfEEEE10hipError_tPvRmT2_T3_mT4_T5_T6_T7_T8_P12ihipStream_tbENKUlT_T0_E_clISt17integral_constantIbLb0EESY_IbLb1EEEEDaSU_SV_EUlSU_E_NS1_11comp_targetILNS1_3genE8ELNS1_11target_archE1030ELNS1_3gpuE2ELNS1_3repE0EEENS1_30default_config_static_selectorELNS0_4arch9wavefront6targetE1EEEvT1_
    .private_segment_fixed_size: 0
    .sgpr_count:     4
    .sgpr_spill_count: 0
    .symbol:         _ZN7rocprim17ROCPRIM_400000_NS6detail17trampoline_kernelINS0_14default_configENS1_33run_length_encode_config_selectorIfjNS0_4plusIjEEEEZZNS1_33reduce_by_key_impl_wrapped_configILNS1_25lookback_scan_determinismE0ES3_S7_PKfNS0_17constant_iteratorIjlEEPfPlSF_S6_NS0_8equal_toIfEEEE10hipError_tPvRmT2_T3_mT4_T5_T6_T7_T8_P12ihipStream_tbENKUlT_T0_E_clISt17integral_constantIbLb0EESY_IbLb1EEEEDaSU_SV_EUlSU_E_NS1_11comp_targetILNS1_3genE8ELNS1_11target_archE1030ELNS1_3gpuE2ELNS1_3repE0EEENS1_30default_config_static_selectorELNS0_4arch9wavefront6targetE1EEEvT1_.kd
    .uniform_work_group_size: 1
    .uses_dynamic_stack: false
    .vgpr_count:     0
    .vgpr_spill_count: 0
    .wavefront_size: 64
  - .agpr_count:     0
    .args:
      - .offset:         0
        .size:           8
        .value_kind:     by_value
      - .address_space:  global
        .offset:         8
        .size:           8
        .value_kind:     global_buffer
      - .address_space:  global
        .offset:         16
        .size:           8
        .value_kind:     global_buffer
      - .offset:         24
        .size:           4
        .value_kind:     hidden_block_count_x
      - .offset:         28
        .size:           4
        .value_kind:     hidden_block_count_y
      - .offset:         32
        .size:           4
        .value_kind:     hidden_block_count_z
      - .offset:         36
        .size:           2
        .value_kind:     hidden_group_size_x
      - .offset:         38
        .size:           2
        .value_kind:     hidden_group_size_y
      - .offset:         40
        .size:           2
        .value_kind:     hidden_group_size_z
      - .offset:         42
        .size:           2
        .value_kind:     hidden_remainder_x
      - .offset:         44
        .size:           2
        .value_kind:     hidden_remainder_y
      - .offset:         46
        .size:           2
        .value_kind:     hidden_remainder_z
      - .offset:         64
        .size:           8
        .value_kind:     hidden_global_offset_x
      - .offset:         72
        .size:           8
        .value_kind:     hidden_global_offset_y
      - .offset:         80
        .size:           8
        .value_kind:     hidden_global_offset_z
      - .offset:         88
        .size:           2
        .value_kind:     hidden_grid_dims
    .group_segment_fixed_size: 0
    .kernarg_segment_align: 8
    .kernarg_segment_size: 280
    .language:       OpenCL C
    .language_version:
      - 2
      - 0
    .max_flat_workgroup_size: 1024
    .name:           _ZN2at6native8internal12_GLOBAL__N_126adjacent_difference_kernelIPKiEEvlT_Pi
    .private_segment_fixed_size: 0
    .sgpr_count:     18
    .sgpr_spill_count: 0
    .symbol:         _ZN2at6native8internal12_GLOBAL__N_126adjacent_difference_kernelIPKiEEvlT_Pi.kd
    .uniform_work_group_size: 1
    .uses_dynamic_stack: false
    .vgpr_count:     15
    .vgpr_spill_count: 0
    .wavefront_size: 64
  - .agpr_count:     0
    .args:
      - .offset:         0
        .size:           112
        .value_kind:     by_value
    .group_segment_fixed_size: 0
    .kernarg_segment_align: 8
    .kernarg_segment_size: 112
    .language:       OpenCL C
    .language_version:
      - 2
      - 0
    .max_flat_workgroup_size: 512
    .name:           _ZN7rocprim17ROCPRIM_400000_NS6detail17trampoline_kernelINS0_14default_configENS1_25partition_config_selectorILNS1_17partition_subalgoE8EiNS0_10empty_typeEbEEZZNS1_14partition_implILS5_8ELb0ES3_jPKiPS6_PKS6_NS0_5tupleIJPiS6_EEENSE_IJSB_SB_EEENS0_18inequality_wrapperIN6hipcub16HIPCUB_304000_NS8EqualityEEEPlJS6_EEE10hipError_tPvRmT3_T4_T5_T6_T7_T9_mT8_P12ihipStream_tbDpT10_ENKUlT_T0_E_clISt17integral_constantIbLb0EES17_EEDaS12_S13_EUlS12_E_NS1_11comp_targetILNS1_3genE0ELNS1_11target_archE4294967295ELNS1_3gpuE0ELNS1_3repE0EEENS1_30default_config_static_selectorELNS0_4arch9wavefront6targetE1EEEvT1_
    .private_segment_fixed_size: 0
    .sgpr_count:     4
    .sgpr_spill_count: 0
    .symbol:         _ZN7rocprim17ROCPRIM_400000_NS6detail17trampoline_kernelINS0_14default_configENS1_25partition_config_selectorILNS1_17partition_subalgoE8EiNS0_10empty_typeEbEEZZNS1_14partition_implILS5_8ELb0ES3_jPKiPS6_PKS6_NS0_5tupleIJPiS6_EEENSE_IJSB_SB_EEENS0_18inequality_wrapperIN6hipcub16HIPCUB_304000_NS8EqualityEEEPlJS6_EEE10hipError_tPvRmT3_T4_T5_T6_T7_T9_mT8_P12ihipStream_tbDpT10_ENKUlT_T0_E_clISt17integral_constantIbLb0EES17_EEDaS12_S13_EUlS12_E_NS1_11comp_targetILNS1_3genE0ELNS1_11target_archE4294967295ELNS1_3gpuE0ELNS1_3repE0EEENS1_30default_config_static_selectorELNS0_4arch9wavefront6targetE1EEEvT1_.kd
    .uniform_work_group_size: 1
    .uses_dynamic_stack: false
    .vgpr_count:     0
    .vgpr_spill_count: 0
    .wavefront_size: 64
  - .agpr_count:     0
    .args:
      - .offset:         0
        .size:           112
        .value_kind:     by_value
    .group_segment_fixed_size: 0
    .kernarg_segment_align: 8
    .kernarg_segment_size: 112
    .language:       OpenCL C
    .language_version:
      - 2
      - 0
    .max_flat_workgroup_size: 512
    .name:           _ZN7rocprim17ROCPRIM_400000_NS6detail17trampoline_kernelINS0_14default_configENS1_25partition_config_selectorILNS1_17partition_subalgoE8EiNS0_10empty_typeEbEEZZNS1_14partition_implILS5_8ELb0ES3_jPKiPS6_PKS6_NS0_5tupleIJPiS6_EEENSE_IJSB_SB_EEENS0_18inequality_wrapperIN6hipcub16HIPCUB_304000_NS8EqualityEEEPlJS6_EEE10hipError_tPvRmT3_T4_T5_T6_T7_T9_mT8_P12ihipStream_tbDpT10_ENKUlT_T0_E_clISt17integral_constantIbLb0EES17_EEDaS12_S13_EUlS12_E_NS1_11comp_targetILNS1_3genE5ELNS1_11target_archE942ELNS1_3gpuE9ELNS1_3repE0EEENS1_30default_config_static_selectorELNS0_4arch9wavefront6targetE1EEEvT1_
    .private_segment_fixed_size: 0
    .sgpr_count:     4
    .sgpr_spill_count: 0
    .symbol:         _ZN7rocprim17ROCPRIM_400000_NS6detail17trampoline_kernelINS0_14default_configENS1_25partition_config_selectorILNS1_17partition_subalgoE8EiNS0_10empty_typeEbEEZZNS1_14partition_implILS5_8ELb0ES3_jPKiPS6_PKS6_NS0_5tupleIJPiS6_EEENSE_IJSB_SB_EEENS0_18inequality_wrapperIN6hipcub16HIPCUB_304000_NS8EqualityEEEPlJS6_EEE10hipError_tPvRmT3_T4_T5_T6_T7_T9_mT8_P12ihipStream_tbDpT10_ENKUlT_T0_E_clISt17integral_constantIbLb0EES17_EEDaS12_S13_EUlS12_E_NS1_11comp_targetILNS1_3genE5ELNS1_11target_archE942ELNS1_3gpuE9ELNS1_3repE0EEENS1_30default_config_static_selectorELNS0_4arch9wavefront6targetE1EEEvT1_.kd
    .uniform_work_group_size: 1
    .uses_dynamic_stack: false
    .vgpr_count:     0
    .vgpr_spill_count: 0
    .wavefront_size: 64
  - .agpr_count:     0
    .args:
      - .offset:         0
        .size:           112
        .value_kind:     by_value
    .group_segment_fixed_size: 10248
    .kernarg_segment_align: 8
    .kernarg_segment_size: 112
    .language:       OpenCL C
    .language_version:
      - 2
      - 0
    .max_flat_workgroup_size: 256
    .name:           _ZN7rocprim17ROCPRIM_400000_NS6detail17trampoline_kernelINS0_14default_configENS1_25partition_config_selectorILNS1_17partition_subalgoE8EiNS0_10empty_typeEbEEZZNS1_14partition_implILS5_8ELb0ES3_jPKiPS6_PKS6_NS0_5tupleIJPiS6_EEENSE_IJSB_SB_EEENS0_18inequality_wrapperIN6hipcub16HIPCUB_304000_NS8EqualityEEEPlJS6_EEE10hipError_tPvRmT3_T4_T5_T6_T7_T9_mT8_P12ihipStream_tbDpT10_ENKUlT_T0_E_clISt17integral_constantIbLb0EES17_EEDaS12_S13_EUlS12_E_NS1_11comp_targetILNS1_3genE4ELNS1_11target_archE910ELNS1_3gpuE8ELNS1_3repE0EEENS1_30default_config_static_selectorELNS0_4arch9wavefront6targetE1EEEvT1_
    .private_segment_fixed_size: 0
    .sgpr_count:     44
    .sgpr_spill_count: 0
    .symbol:         _ZN7rocprim17ROCPRIM_400000_NS6detail17trampoline_kernelINS0_14default_configENS1_25partition_config_selectorILNS1_17partition_subalgoE8EiNS0_10empty_typeEbEEZZNS1_14partition_implILS5_8ELb0ES3_jPKiPS6_PKS6_NS0_5tupleIJPiS6_EEENSE_IJSB_SB_EEENS0_18inequality_wrapperIN6hipcub16HIPCUB_304000_NS8EqualityEEEPlJS6_EEE10hipError_tPvRmT3_T4_T5_T6_T7_T9_mT8_P12ihipStream_tbDpT10_ENKUlT_T0_E_clISt17integral_constantIbLb0EES17_EEDaS12_S13_EUlS12_E_NS1_11comp_targetILNS1_3genE4ELNS1_11target_archE910ELNS1_3gpuE8ELNS1_3repE0EEENS1_30default_config_static_selectorELNS0_4arch9wavefront6targetE1EEEvT1_.kd
    .uniform_work_group_size: 1
    .uses_dynamic_stack: false
    .vgpr_count:     56
    .vgpr_spill_count: 0
    .wavefront_size: 64
  - .agpr_count:     0
    .args:
      - .offset:         0
        .size:           112
        .value_kind:     by_value
    .group_segment_fixed_size: 0
    .kernarg_segment_align: 8
    .kernarg_segment_size: 112
    .language:       OpenCL C
    .language_version:
      - 2
      - 0
    .max_flat_workgroup_size: 512
    .name:           _ZN7rocprim17ROCPRIM_400000_NS6detail17trampoline_kernelINS0_14default_configENS1_25partition_config_selectorILNS1_17partition_subalgoE8EiNS0_10empty_typeEbEEZZNS1_14partition_implILS5_8ELb0ES3_jPKiPS6_PKS6_NS0_5tupleIJPiS6_EEENSE_IJSB_SB_EEENS0_18inequality_wrapperIN6hipcub16HIPCUB_304000_NS8EqualityEEEPlJS6_EEE10hipError_tPvRmT3_T4_T5_T6_T7_T9_mT8_P12ihipStream_tbDpT10_ENKUlT_T0_E_clISt17integral_constantIbLb0EES17_EEDaS12_S13_EUlS12_E_NS1_11comp_targetILNS1_3genE3ELNS1_11target_archE908ELNS1_3gpuE7ELNS1_3repE0EEENS1_30default_config_static_selectorELNS0_4arch9wavefront6targetE1EEEvT1_
    .private_segment_fixed_size: 0
    .sgpr_count:     4
    .sgpr_spill_count: 0
    .symbol:         _ZN7rocprim17ROCPRIM_400000_NS6detail17trampoline_kernelINS0_14default_configENS1_25partition_config_selectorILNS1_17partition_subalgoE8EiNS0_10empty_typeEbEEZZNS1_14partition_implILS5_8ELb0ES3_jPKiPS6_PKS6_NS0_5tupleIJPiS6_EEENSE_IJSB_SB_EEENS0_18inequality_wrapperIN6hipcub16HIPCUB_304000_NS8EqualityEEEPlJS6_EEE10hipError_tPvRmT3_T4_T5_T6_T7_T9_mT8_P12ihipStream_tbDpT10_ENKUlT_T0_E_clISt17integral_constantIbLb0EES17_EEDaS12_S13_EUlS12_E_NS1_11comp_targetILNS1_3genE3ELNS1_11target_archE908ELNS1_3gpuE7ELNS1_3repE0EEENS1_30default_config_static_selectorELNS0_4arch9wavefront6targetE1EEEvT1_.kd
    .uniform_work_group_size: 1
    .uses_dynamic_stack: false
    .vgpr_count:     0
    .vgpr_spill_count: 0
    .wavefront_size: 64
  - .agpr_count:     0
    .args:
      - .offset:         0
        .size:           112
        .value_kind:     by_value
    .group_segment_fixed_size: 0
    .kernarg_segment_align: 8
    .kernarg_segment_size: 112
    .language:       OpenCL C
    .language_version:
      - 2
      - 0
    .max_flat_workgroup_size: 256
    .name:           _ZN7rocprim17ROCPRIM_400000_NS6detail17trampoline_kernelINS0_14default_configENS1_25partition_config_selectorILNS1_17partition_subalgoE8EiNS0_10empty_typeEbEEZZNS1_14partition_implILS5_8ELb0ES3_jPKiPS6_PKS6_NS0_5tupleIJPiS6_EEENSE_IJSB_SB_EEENS0_18inequality_wrapperIN6hipcub16HIPCUB_304000_NS8EqualityEEEPlJS6_EEE10hipError_tPvRmT3_T4_T5_T6_T7_T9_mT8_P12ihipStream_tbDpT10_ENKUlT_T0_E_clISt17integral_constantIbLb0EES17_EEDaS12_S13_EUlS12_E_NS1_11comp_targetILNS1_3genE2ELNS1_11target_archE906ELNS1_3gpuE6ELNS1_3repE0EEENS1_30default_config_static_selectorELNS0_4arch9wavefront6targetE1EEEvT1_
    .private_segment_fixed_size: 0
    .sgpr_count:     4
    .sgpr_spill_count: 0
    .symbol:         _ZN7rocprim17ROCPRIM_400000_NS6detail17trampoline_kernelINS0_14default_configENS1_25partition_config_selectorILNS1_17partition_subalgoE8EiNS0_10empty_typeEbEEZZNS1_14partition_implILS5_8ELb0ES3_jPKiPS6_PKS6_NS0_5tupleIJPiS6_EEENSE_IJSB_SB_EEENS0_18inequality_wrapperIN6hipcub16HIPCUB_304000_NS8EqualityEEEPlJS6_EEE10hipError_tPvRmT3_T4_T5_T6_T7_T9_mT8_P12ihipStream_tbDpT10_ENKUlT_T0_E_clISt17integral_constantIbLb0EES17_EEDaS12_S13_EUlS12_E_NS1_11comp_targetILNS1_3genE2ELNS1_11target_archE906ELNS1_3gpuE6ELNS1_3repE0EEENS1_30default_config_static_selectorELNS0_4arch9wavefront6targetE1EEEvT1_.kd
    .uniform_work_group_size: 1
    .uses_dynamic_stack: false
    .vgpr_count:     0
    .vgpr_spill_count: 0
    .wavefront_size: 64
  - .agpr_count:     0
    .args:
      - .offset:         0
        .size:           112
        .value_kind:     by_value
    .group_segment_fixed_size: 0
    .kernarg_segment_align: 8
    .kernarg_segment_size: 112
    .language:       OpenCL C
    .language_version:
      - 2
      - 0
    .max_flat_workgroup_size: 384
    .name:           _ZN7rocprim17ROCPRIM_400000_NS6detail17trampoline_kernelINS0_14default_configENS1_25partition_config_selectorILNS1_17partition_subalgoE8EiNS0_10empty_typeEbEEZZNS1_14partition_implILS5_8ELb0ES3_jPKiPS6_PKS6_NS0_5tupleIJPiS6_EEENSE_IJSB_SB_EEENS0_18inequality_wrapperIN6hipcub16HIPCUB_304000_NS8EqualityEEEPlJS6_EEE10hipError_tPvRmT3_T4_T5_T6_T7_T9_mT8_P12ihipStream_tbDpT10_ENKUlT_T0_E_clISt17integral_constantIbLb0EES17_EEDaS12_S13_EUlS12_E_NS1_11comp_targetILNS1_3genE10ELNS1_11target_archE1200ELNS1_3gpuE4ELNS1_3repE0EEENS1_30default_config_static_selectorELNS0_4arch9wavefront6targetE1EEEvT1_
    .private_segment_fixed_size: 0
    .sgpr_count:     4
    .sgpr_spill_count: 0
    .symbol:         _ZN7rocprim17ROCPRIM_400000_NS6detail17trampoline_kernelINS0_14default_configENS1_25partition_config_selectorILNS1_17partition_subalgoE8EiNS0_10empty_typeEbEEZZNS1_14partition_implILS5_8ELb0ES3_jPKiPS6_PKS6_NS0_5tupleIJPiS6_EEENSE_IJSB_SB_EEENS0_18inequality_wrapperIN6hipcub16HIPCUB_304000_NS8EqualityEEEPlJS6_EEE10hipError_tPvRmT3_T4_T5_T6_T7_T9_mT8_P12ihipStream_tbDpT10_ENKUlT_T0_E_clISt17integral_constantIbLb0EES17_EEDaS12_S13_EUlS12_E_NS1_11comp_targetILNS1_3genE10ELNS1_11target_archE1200ELNS1_3gpuE4ELNS1_3repE0EEENS1_30default_config_static_selectorELNS0_4arch9wavefront6targetE1EEEvT1_.kd
    .uniform_work_group_size: 1
    .uses_dynamic_stack: false
    .vgpr_count:     0
    .vgpr_spill_count: 0
    .wavefront_size: 64
  - .agpr_count:     0
    .args:
      - .offset:         0
        .size:           112
        .value_kind:     by_value
    .group_segment_fixed_size: 0
    .kernarg_segment_align: 8
    .kernarg_segment_size: 112
    .language:       OpenCL C
    .language_version:
      - 2
      - 0
    .max_flat_workgroup_size: 384
    .name:           _ZN7rocprim17ROCPRIM_400000_NS6detail17trampoline_kernelINS0_14default_configENS1_25partition_config_selectorILNS1_17partition_subalgoE8EiNS0_10empty_typeEbEEZZNS1_14partition_implILS5_8ELb0ES3_jPKiPS6_PKS6_NS0_5tupleIJPiS6_EEENSE_IJSB_SB_EEENS0_18inequality_wrapperIN6hipcub16HIPCUB_304000_NS8EqualityEEEPlJS6_EEE10hipError_tPvRmT3_T4_T5_T6_T7_T9_mT8_P12ihipStream_tbDpT10_ENKUlT_T0_E_clISt17integral_constantIbLb0EES17_EEDaS12_S13_EUlS12_E_NS1_11comp_targetILNS1_3genE9ELNS1_11target_archE1100ELNS1_3gpuE3ELNS1_3repE0EEENS1_30default_config_static_selectorELNS0_4arch9wavefront6targetE1EEEvT1_
    .private_segment_fixed_size: 0
    .sgpr_count:     4
    .sgpr_spill_count: 0
    .symbol:         _ZN7rocprim17ROCPRIM_400000_NS6detail17trampoline_kernelINS0_14default_configENS1_25partition_config_selectorILNS1_17partition_subalgoE8EiNS0_10empty_typeEbEEZZNS1_14partition_implILS5_8ELb0ES3_jPKiPS6_PKS6_NS0_5tupleIJPiS6_EEENSE_IJSB_SB_EEENS0_18inequality_wrapperIN6hipcub16HIPCUB_304000_NS8EqualityEEEPlJS6_EEE10hipError_tPvRmT3_T4_T5_T6_T7_T9_mT8_P12ihipStream_tbDpT10_ENKUlT_T0_E_clISt17integral_constantIbLb0EES17_EEDaS12_S13_EUlS12_E_NS1_11comp_targetILNS1_3genE9ELNS1_11target_archE1100ELNS1_3gpuE3ELNS1_3repE0EEENS1_30default_config_static_selectorELNS0_4arch9wavefront6targetE1EEEvT1_.kd
    .uniform_work_group_size: 1
    .uses_dynamic_stack: false
    .vgpr_count:     0
    .vgpr_spill_count: 0
    .wavefront_size: 64
  - .agpr_count:     0
    .args:
      - .offset:         0
        .size:           112
        .value_kind:     by_value
    .group_segment_fixed_size: 0
    .kernarg_segment_align: 8
    .kernarg_segment_size: 112
    .language:       OpenCL C
    .language_version:
      - 2
      - 0
    .max_flat_workgroup_size: 512
    .name:           _ZN7rocprim17ROCPRIM_400000_NS6detail17trampoline_kernelINS0_14default_configENS1_25partition_config_selectorILNS1_17partition_subalgoE8EiNS0_10empty_typeEbEEZZNS1_14partition_implILS5_8ELb0ES3_jPKiPS6_PKS6_NS0_5tupleIJPiS6_EEENSE_IJSB_SB_EEENS0_18inequality_wrapperIN6hipcub16HIPCUB_304000_NS8EqualityEEEPlJS6_EEE10hipError_tPvRmT3_T4_T5_T6_T7_T9_mT8_P12ihipStream_tbDpT10_ENKUlT_T0_E_clISt17integral_constantIbLb0EES17_EEDaS12_S13_EUlS12_E_NS1_11comp_targetILNS1_3genE8ELNS1_11target_archE1030ELNS1_3gpuE2ELNS1_3repE0EEENS1_30default_config_static_selectorELNS0_4arch9wavefront6targetE1EEEvT1_
    .private_segment_fixed_size: 0
    .sgpr_count:     4
    .sgpr_spill_count: 0
    .symbol:         _ZN7rocprim17ROCPRIM_400000_NS6detail17trampoline_kernelINS0_14default_configENS1_25partition_config_selectorILNS1_17partition_subalgoE8EiNS0_10empty_typeEbEEZZNS1_14partition_implILS5_8ELb0ES3_jPKiPS6_PKS6_NS0_5tupleIJPiS6_EEENSE_IJSB_SB_EEENS0_18inequality_wrapperIN6hipcub16HIPCUB_304000_NS8EqualityEEEPlJS6_EEE10hipError_tPvRmT3_T4_T5_T6_T7_T9_mT8_P12ihipStream_tbDpT10_ENKUlT_T0_E_clISt17integral_constantIbLb0EES17_EEDaS12_S13_EUlS12_E_NS1_11comp_targetILNS1_3genE8ELNS1_11target_archE1030ELNS1_3gpuE2ELNS1_3repE0EEENS1_30default_config_static_selectorELNS0_4arch9wavefront6targetE1EEEvT1_.kd
    .uniform_work_group_size: 1
    .uses_dynamic_stack: false
    .vgpr_count:     0
    .vgpr_spill_count: 0
    .wavefront_size: 64
  - .agpr_count:     0
    .args:
      - .offset:         0
        .size:           128
        .value_kind:     by_value
    .group_segment_fixed_size: 0
    .kernarg_segment_align: 8
    .kernarg_segment_size: 128
    .language:       OpenCL C
    .language_version:
      - 2
      - 0
    .max_flat_workgroup_size: 512
    .name:           _ZN7rocprim17ROCPRIM_400000_NS6detail17trampoline_kernelINS0_14default_configENS1_25partition_config_selectorILNS1_17partition_subalgoE8EiNS0_10empty_typeEbEEZZNS1_14partition_implILS5_8ELb0ES3_jPKiPS6_PKS6_NS0_5tupleIJPiS6_EEENSE_IJSB_SB_EEENS0_18inequality_wrapperIN6hipcub16HIPCUB_304000_NS8EqualityEEEPlJS6_EEE10hipError_tPvRmT3_T4_T5_T6_T7_T9_mT8_P12ihipStream_tbDpT10_ENKUlT_T0_E_clISt17integral_constantIbLb1EES17_EEDaS12_S13_EUlS12_E_NS1_11comp_targetILNS1_3genE0ELNS1_11target_archE4294967295ELNS1_3gpuE0ELNS1_3repE0EEENS1_30default_config_static_selectorELNS0_4arch9wavefront6targetE1EEEvT1_
    .private_segment_fixed_size: 0
    .sgpr_count:     4
    .sgpr_spill_count: 0
    .symbol:         _ZN7rocprim17ROCPRIM_400000_NS6detail17trampoline_kernelINS0_14default_configENS1_25partition_config_selectorILNS1_17partition_subalgoE8EiNS0_10empty_typeEbEEZZNS1_14partition_implILS5_8ELb0ES3_jPKiPS6_PKS6_NS0_5tupleIJPiS6_EEENSE_IJSB_SB_EEENS0_18inequality_wrapperIN6hipcub16HIPCUB_304000_NS8EqualityEEEPlJS6_EEE10hipError_tPvRmT3_T4_T5_T6_T7_T9_mT8_P12ihipStream_tbDpT10_ENKUlT_T0_E_clISt17integral_constantIbLb1EES17_EEDaS12_S13_EUlS12_E_NS1_11comp_targetILNS1_3genE0ELNS1_11target_archE4294967295ELNS1_3gpuE0ELNS1_3repE0EEENS1_30default_config_static_selectorELNS0_4arch9wavefront6targetE1EEEvT1_.kd
    .uniform_work_group_size: 1
    .uses_dynamic_stack: false
    .vgpr_count:     0
    .vgpr_spill_count: 0
    .wavefront_size: 64
  - .agpr_count:     0
    .args:
      - .offset:         0
        .size:           128
        .value_kind:     by_value
    .group_segment_fixed_size: 0
    .kernarg_segment_align: 8
    .kernarg_segment_size: 128
    .language:       OpenCL C
    .language_version:
      - 2
      - 0
    .max_flat_workgroup_size: 512
    .name:           _ZN7rocprim17ROCPRIM_400000_NS6detail17trampoline_kernelINS0_14default_configENS1_25partition_config_selectorILNS1_17partition_subalgoE8EiNS0_10empty_typeEbEEZZNS1_14partition_implILS5_8ELb0ES3_jPKiPS6_PKS6_NS0_5tupleIJPiS6_EEENSE_IJSB_SB_EEENS0_18inequality_wrapperIN6hipcub16HIPCUB_304000_NS8EqualityEEEPlJS6_EEE10hipError_tPvRmT3_T4_T5_T6_T7_T9_mT8_P12ihipStream_tbDpT10_ENKUlT_T0_E_clISt17integral_constantIbLb1EES17_EEDaS12_S13_EUlS12_E_NS1_11comp_targetILNS1_3genE5ELNS1_11target_archE942ELNS1_3gpuE9ELNS1_3repE0EEENS1_30default_config_static_selectorELNS0_4arch9wavefront6targetE1EEEvT1_
    .private_segment_fixed_size: 0
    .sgpr_count:     4
    .sgpr_spill_count: 0
    .symbol:         _ZN7rocprim17ROCPRIM_400000_NS6detail17trampoline_kernelINS0_14default_configENS1_25partition_config_selectorILNS1_17partition_subalgoE8EiNS0_10empty_typeEbEEZZNS1_14partition_implILS5_8ELb0ES3_jPKiPS6_PKS6_NS0_5tupleIJPiS6_EEENSE_IJSB_SB_EEENS0_18inequality_wrapperIN6hipcub16HIPCUB_304000_NS8EqualityEEEPlJS6_EEE10hipError_tPvRmT3_T4_T5_T6_T7_T9_mT8_P12ihipStream_tbDpT10_ENKUlT_T0_E_clISt17integral_constantIbLb1EES17_EEDaS12_S13_EUlS12_E_NS1_11comp_targetILNS1_3genE5ELNS1_11target_archE942ELNS1_3gpuE9ELNS1_3repE0EEENS1_30default_config_static_selectorELNS0_4arch9wavefront6targetE1EEEvT1_.kd
    .uniform_work_group_size: 1
    .uses_dynamic_stack: false
    .vgpr_count:     0
    .vgpr_spill_count: 0
    .wavefront_size: 64
  - .agpr_count:     0
    .args:
      - .offset:         0
        .size:           128
        .value_kind:     by_value
    .group_segment_fixed_size: 10248
    .kernarg_segment_align: 8
    .kernarg_segment_size: 128
    .language:       OpenCL C
    .language_version:
      - 2
      - 0
    .max_flat_workgroup_size: 256
    .name:           _ZN7rocprim17ROCPRIM_400000_NS6detail17trampoline_kernelINS0_14default_configENS1_25partition_config_selectorILNS1_17partition_subalgoE8EiNS0_10empty_typeEbEEZZNS1_14partition_implILS5_8ELb0ES3_jPKiPS6_PKS6_NS0_5tupleIJPiS6_EEENSE_IJSB_SB_EEENS0_18inequality_wrapperIN6hipcub16HIPCUB_304000_NS8EqualityEEEPlJS6_EEE10hipError_tPvRmT3_T4_T5_T6_T7_T9_mT8_P12ihipStream_tbDpT10_ENKUlT_T0_E_clISt17integral_constantIbLb1EES17_EEDaS12_S13_EUlS12_E_NS1_11comp_targetILNS1_3genE4ELNS1_11target_archE910ELNS1_3gpuE8ELNS1_3repE0EEENS1_30default_config_static_selectorELNS0_4arch9wavefront6targetE1EEEvT1_
    .private_segment_fixed_size: 0
    .sgpr_count:     45
    .sgpr_spill_count: 0
    .symbol:         _ZN7rocprim17ROCPRIM_400000_NS6detail17trampoline_kernelINS0_14default_configENS1_25partition_config_selectorILNS1_17partition_subalgoE8EiNS0_10empty_typeEbEEZZNS1_14partition_implILS5_8ELb0ES3_jPKiPS6_PKS6_NS0_5tupleIJPiS6_EEENSE_IJSB_SB_EEENS0_18inequality_wrapperIN6hipcub16HIPCUB_304000_NS8EqualityEEEPlJS6_EEE10hipError_tPvRmT3_T4_T5_T6_T7_T9_mT8_P12ihipStream_tbDpT10_ENKUlT_T0_E_clISt17integral_constantIbLb1EES17_EEDaS12_S13_EUlS12_E_NS1_11comp_targetILNS1_3genE4ELNS1_11target_archE910ELNS1_3gpuE8ELNS1_3repE0EEENS1_30default_config_static_selectorELNS0_4arch9wavefront6targetE1EEEvT1_.kd
    .uniform_work_group_size: 1
    .uses_dynamic_stack: false
    .vgpr_count:     58
    .vgpr_spill_count: 0
    .wavefront_size: 64
  - .agpr_count:     0
    .args:
      - .offset:         0
        .size:           128
        .value_kind:     by_value
    .group_segment_fixed_size: 0
    .kernarg_segment_align: 8
    .kernarg_segment_size: 128
    .language:       OpenCL C
    .language_version:
      - 2
      - 0
    .max_flat_workgroup_size: 512
    .name:           _ZN7rocprim17ROCPRIM_400000_NS6detail17trampoline_kernelINS0_14default_configENS1_25partition_config_selectorILNS1_17partition_subalgoE8EiNS0_10empty_typeEbEEZZNS1_14partition_implILS5_8ELb0ES3_jPKiPS6_PKS6_NS0_5tupleIJPiS6_EEENSE_IJSB_SB_EEENS0_18inequality_wrapperIN6hipcub16HIPCUB_304000_NS8EqualityEEEPlJS6_EEE10hipError_tPvRmT3_T4_T5_T6_T7_T9_mT8_P12ihipStream_tbDpT10_ENKUlT_T0_E_clISt17integral_constantIbLb1EES17_EEDaS12_S13_EUlS12_E_NS1_11comp_targetILNS1_3genE3ELNS1_11target_archE908ELNS1_3gpuE7ELNS1_3repE0EEENS1_30default_config_static_selectorELNS0_4arch9wavefront6targetE1EEEvT1_
    .private_segment_fixed_size: 0
    .sgpr_count:     4
    .sgpr_spill_count: 0
    .symbol:         _ZN7rocprim17ROCPRIM_400000_NS6detail17trampoline_kernelINS0_14default_configENS1_25partition_config_selectorILNS1_17partition_subalgoE8EiNS0_10empty_typeEbEEZZNS1_14partition_implILS5_8ELb0ES3_jPKiPS6_PKS6_NS0_5tupleIJPiS6_EEENSE_IJSB_SB_EEENS0_18inequality_wrapperIN6hipcub16HIPCUB_304000_NS8EqualityEEEPlJS6_EEE10hipError_tPvRmT3_T4_T5_T6_T7_T9_mT8_P12ihipStream_tbDpT10_ENKUlT_T0_E_clISt17integral_constantIbLb1EES17_EEDaS12_S13_EUlS12_E_NS1_11comp_targetILNS1_3genE3ELNS1_11target_archE908ELNS1_3gpuE7ELNS1_3repE0EEENS1_30default_config_static_selectorELNS0_4arch9wavefront6targetE1EEEvT1_.kd
    .uniform_work_group_size: 1
    .uses_dynamic_stack: false
    .vgpr_count:     0
    .vgpr_spill_count: 0
    .wavefront_size: 64
  - .agpr_count:     0
    .args:
      - .offset:         0
        .size:           128
        .value_kind:     by_value
    .group_segment_fixed_size: 0
    .kernarg_segment_align: 8
    .kernarg_segment_size: 128
    .language:       OpenCL C
    .language_version:
      - 2
      - 0
    .max_flat_workgroup_size: 256
    .name:           _ZN7rocprim17ROCPRIM_400000_NS6detail17trampoline_kernelINS0_14default_configENS1_25partition_config_selectorILNS1_17partition_subalgoE8EiNS0_10empty_typeEbEEZZNS1_14partition_implILS5_8ELb0ES3_jPKiPS6_PKS6_NS0_5tupleIJPiS6_EEENSE_IJSB_SB_EEENS0_18inequality_wrapperIN6hipcub16HIPCUB_304000_NS8EqualityEEEPlJS6_EEE10hipError_tPvRmT3_T4_T5_T6_T7_T9_mT8_P12ihipStream_tbDpT10_ENKUlT_T0_E_clISt17integral_constantIbLb1EES17_EEDaS12_S13_EUlS12_E_NS1_11comp_targetILNS1_3genE2ELNS1_11target_archE906ELNS1_3gpuE6ELNS1_3repE0EEENS1_30default_config_static_selectorELNS0_4arch9wavefront6targetE1EEEvT1_
    .private_segment_fixed_size: 0
    .sgpr_count:     4
    .sgpr_spill_count: 0
    .symbol:         _ZN7rocprim17ROCPRIM_400000_NS6detail17trampoline_kernelINS0_14default_configENS1_25partition_config_selectorILNS1_17partition_subalgoE8EiNS0_10empty_typeEbEEZZNS1_14partition_implILS5_8ELb0ES3_jPKiPS6_PKS6_NS0_5tupleIJPiS6_EEENSE_IJSB_SB_EEENS0_18inequality_wrapperIN6hipcub16HIPCUB_304000_NS8EqualityEEEPlJS6_EEE10hipError_tPvRmT3_T4_T5_T6_T7_T9_mT8_P12ihipStream_tbDpT10_ENKUlT_T0_E_clISt17integral_constantIbLb1EES17_EEDaS12_S13_EUlS12_E_NS1_11comp_targetILNS1_3genE2ELNS1_11target_archE906ELNS1_3gpuE6ELNS1_3repE0EEENS1_30default_config_static_selectorELNS0_4arch9wavefront6targetE1EEEvT1_.kd
    .uniform_work_group_size: 1
    .uses_dynamic_stack: false
    .vgpr_count:     0
    .vgpr_spill_count: 0
    .wavefront_size: 64
  - .agpr_count:     0
    .args:
      - .offset:         0
        .size:           128
        .value_kind:     by_value
    .group_segment_fixed_size: 0
    .kernarg_segment_align: 8
    .kernarg_segment_size: 128
    .language:       OpenCL C
    .language_version:
      - 2
      - 0
    .max_flat_workgroup_size: 384
    .name:           _ZN7rocprim17ROCPRIM_400000_NS6detail17trampoline_kernelINS0_14default_configENS1_25partition_config_selectorILNS1_17partition_subalgoE8EiNS0_10empty_typeEbEEZZNS1_14partition_implILS5_8ELb0ES3_jPKiPS6_PKS6_NS0_5tupleIJPiS6_EEENSE_IJSB_SB_EEENS0_18inequality_wrapperIN6hipcub16HIPCUB_304000_NS8EqualityEEEPlJS6_EEE10hipError_tPvRmT3_T4_T5_T6_T7_T9_mT8_P12ihipStream_tbDpT10_ENKUlT_T0_E_clISt17integral_constantIbLb1EES17_EEDaS12_S13_EUlS12_E_NS1_11comp_targetILNS1_3genE10ELNS1_11target_archE1200ELNS1_3gpuE4ELNS1_3repE0EEENS1_30default_config_static_selectorELNS0_4arch9wavefront6targetE1EEEvT1_
    .private_segment_fixed_size: 0
    .sgpr_count:     4
    .sgpr_spill_count: 0
    .symbol:         _ZN7rocprim17ROCPRIM_400000_NS6detail17trampoline_kernelINS0_14default_configENS1_25partition_config_selectorILNS1_17partition_subalgoE8EiNS0_10empty_typeEbEEZZNS1_14partition_implILS5_8ELb0ES3_jPKiPS6_PKS6_NS0_5tupleIJPiS6_EEENSE_IJSB_SB_EEENS0_18inequality_wrapperIN6hipcub16HIPCUB_304000_NS8EqualityEEEPlJS6_EEE10hipError_tPvRmT3_T4_T5_T6_T7_T9_mT8_P12ihipStream_tbDpT10_ENKUlT_T0_E_clISt17integral_constantIbLb1EES17_EEDaS12_S13_EUlS12_E_NS1_11comp_targetILNS1_3genE10ELNS1_11target_archE1200ELNS1_3gpuE4ELNS1_3repE0EEENS1_30default_config_static_selectorELNS0_4arch9wavefront6targetE1EEEvT1_.kd
    .uniform_work_group_size: 1
    .uses_dynamic_stack: false
    .vgpr_count:     0
    .vgpr_spill_count: 0
    .wavefront_size: 64
  - .agpr_count:     0
    .args:
      - .offset:         0
        .size:           128
        .value_kind:     by_value
    .group_segment_fixed_size: 0
    .kernarg_segment_align: 8
    .kernarg_segment_size: 128
    .language:       OpenCL C
    .language_version:
      - 2
      - 0
    .max_flat_workgroup_size: 384
    .name:           _ZN7rocprim17ROCPRIM_400000_NS6detail17trampoline_kernelINS0_14default_configENS1_25partition_config_selectorILNS1_17partition_subalgoE8EiNS0_10empty_typeEbEEZZNS1_14partition_implILS5_8ELb0ES3_jPKiPS6_PKS6_NS0_5tupleIJPiS6_EEENSE_IJSB_SB_EEENS0_18inequality_wrapperIN6hipcub16HIPCUB_304000_NS8EqualityEEEPlJS6_EEE10hipError_tPvRmT3_T4_T5_T6_T7_T9_mT8_P12ihipStream_tbDpT10_ENKUlT_T0_E_clISt17integral_constantIbLb1EES17_EEDaS12_S13_EUlS12_E_NS1_11comp_targetILNS1_3genE9ELNS1_11target_archE1100ELNS1_3gpuE3ELNS1_3repE0EEENS1_30default_config_static_selectorELNS0_4arch9wavefront6targetE1EEEvT1_
    .private_segment_fixed_size: 0
    .sgpr_count:     4
    .sgpr_spill_count: 0
    .symbol:         _ZN7rocprim17ROCPRIM_400000_NS6detail17trampoline_kernelINS0_14default_configENS1_25partition_config_selectorILNS1_17partition_subalgoE8EiNS0_10empty_typeEbEEZZNS1_14partition_implILS5_8ELb0ES3_jPKiPS6_PKS6_NS0_5tupleIJPiS6_EEENSE_IJSB_SB_EEENS0_18inequality_wrapperIN6hipcub16HIPCUB_304000_NS8EqualityEEEPlJS6_EEE10hipError_tPvRmT3_T4_T5_T6_T7_T9_mT8_P12ihipStream_tbDpT10_ENKUlT_T0_E_clISt17integral_constantIbLb1EES17_EEDaS12_S13_EUlS12_E_NS1_11comp_targetILNS1_3genE9ELNS1_11target_archE1100ELNS1_3gpuE3ELNS1_3repE0EEENS1_30default_config_static_selectorELNS0_4arch9wavefront6targetE1EEEvT1_.kd
    .uniform_work_group_size: 1
    .uses_dynamic_stack: false
    .vgpr_count:     0
    .vgpr_spill_count: 0
    .wavefront_size: 64
  - .agpr_count:     0
    .args:
      - .offset:         0
        .size:           128
        .value_kind:     by_value
    .group_segment_fixed_size: 0
    .kernarg_segment_align: 8
    .kernarg_segment_size: 128
    .language:       OpenCL C
    .language_version:
      - 2
      - 0
    .max_flat_workgroup_size: 512
    .name:           _ZN7rocprim17ROCPRIM_400000_NS6detail17trampoline_kernelINS0_14default_configENS1_25partition_config_selectorILNS1_17partition_subalgoE8EiNS0_10empty_typeEbEEZZNS1_14partition_implILS5_8ELb0ES3_jPKiPS6_PKS6_NS0_5tupleIJPiS6_EEENSE_IJSB_SB_EEENS0_18inequality_wrapperIN6hipcub16HIPCUB_304000_NS8EqualityEEEPlJS6_EEE10hipError_tPvRmT3_T4_T5_T6_T7_T9_mT8_P12ihipStream_tbDpT10_ENKUlT_T0_E_clISt17integral_constantIbLb1EES17_EEDaS12_S13_EUlS12_E_NS1_11comp_targetILNS1_3genE8ELNS1_11target_archE1030ELNS1_3gpuE2ELNS1_3repE0EEENS1_30default_config_static_selectorELNS0_4arch9wavefront6targetE1EEEvT1_
    .private_segment_fixed_size: 0
    .sgpr_count:     4
    .sgpr_spill_count: 0
    .symbol:         _ZN7rocprim17ROCPRIM_400000_NS6detail17trampoline_kernelINS0_14default_configENS1_25partition_config_selectorILNS1_17partition_subalgoE8EiNS0_10empty_typeEbEEZZNS1_14partition_implILS5_8ELb0ES3_jPKiPS6_PKS6_NS0_5tupleIJPiS6_EEENSE_IJSB_SB_EEENS0_18inequality_wrapperIN6hipcub16HIPCUB_304000_NS8EqualityEEEPlJS6_EEE10hipError_tPvRmT3_T4_T5_T6_T7_T9_mT8_P12ihipStream_tbDpT10_ENKUlT_T0_E_clISt17integral_constantIbLb1EES17_EEDaS12_S13_EUlS12_E_NS1_11comp_targetILNS1_3genE8ELNS1_11target_archE1030ELNS1_3gpuE2ELNS1_3repE0EEENS1_30default_config_static_selectorELNS0_4arch9wavefront6targetE1EEEvT1_.kd
    .uniform_work_group_size: 1
    .uses_dynamic_stack: false
    .vgpr_count:     0
    .vgpr_spill_count: 0
    .wavefront_size: 64
  - .agpr_count:     0
    .args:
      - .offset:         0
        .size:           112
        .value_kind:     by_value
    .group_segment_fixed_size: 0
    .kernarg_segment_align: 8
    .kernarg_segment_size: 112
    .language:       OpenCL C
    .language_version:
      - 2
      - 0
    .max_flat_workgroup_size: 512
    .name:           _ZN7rocprim17ROCPRIM_400000_NS6detail17trampoline_kernelINS0_14default_configENS1_25partition_config_selectorILNS1_17partition_subalgoE8EiNS0_10empty_typeEbEEZZNS1_14partition_implILS5_8ELb0ES3_jPKiPS6_PKS6_NS0_5tupleIJPiS6_EEENSE_IJSB_SB_EEENS0_18inequality_wrapperIN6hipcub16HIPCUB_304000_NS8EqualityEEEPlJS6_EEE10hipError_tPvRmT3_T4_T5_T6_T7_T9_mT8_P12ihipStream_tbDpT10_ENKUlT_T0_E_clISt17integral_constantIbLb1EES16_IbLb0EEEEDaS12_S13_EUlS12_E_NS1_11comp_targetILNS1_3genE0ELNS1_11target_archE4294967295ELNS1_3gpuE0ELNS1_3repE0EEENS1_30default_config_static_selectorELNS0_4arch9wavefront6targetE1EEEvT1_
    .private_segment_fixed_size: 0
    .sgpr_count:     4
    .sgpr_spill_count: 0
    .symbol:         _ZN7rocprim17ROCPRIM_400000_NS6detail17trampoline_kernelINS0_14default_configENS1_25partition_config_selectorILNS1_17partition_subalgoE8EiNS0_10empty_typeEbEEZZNS1_14partition_implILS5_8ELb0ES3_jPKiPS6_PKS6_NS0_5tupleIJPiS6_EEENSE_IJSB_SB_EEENS0_18inequality_wrapperIN6hipcub16HIPCUB_304000_NS8EqualityEEEPlJS6_EEE10hipError_tPvRmT3_T4_T5_T6_T7_T9_mT8_P12ihipStream_tbDpT10_ENKUlT_T0_E_clISt17integral_constantIbLb1EES16_IbLb0EEEEDaS12_S13_EUlS12_E_NS1_11comp_targetILNS1_3genE0ELNS1_11target_archE4294967295ELNS1_3gpuE0ELNS1_3repE0EEENS1_30default_config_static_selectorELNS0_4arch9wavefront6targetE1EEEvT1_.kd
    .uniform_work_group_size: 1
    .uses_dynamic_stack: false
    .vgpr_count:     0
    .vgpr_spill_count: 0
    .wavefront_size: 64
  - .agpr_count:     0
    .args:
      - .offset:         0
        .size:           112
        .value_kind:     by_value
    .group_segment_fixed_size: 0
    .kernarg_segment_align: 8
    .kernarg_segment_size: 112
    .language:       OpenCL C
    .language_version:
      - 2
      - 0
    .max_flat_workgroup_size: 512
    .name:           _ZN7rocprim17ROCPRIM_400000_NS6detail17trampoline_kernelINS0_14default_configENS1_25partition_config_selectorILNS1_17partition_subalgoE8EiNS0_10empty_typeEbEEZZNS1_14partition_implILS5_8ELb0ES3_jPKiPS6_PKS6_NS0_5tupleIJPiS6_EEENSE_IJSB_SB_EEENS0_18inequality_wrapperIN6hipcub16HIPCUB_304000_NS8EqualityEEEPlJS6_EEE10hipError_tPvRmT3_T4_T5_T6_T7_T9_mT8_P12ihipStream_tbDpT10_ENKUlT_T0_E_clISt17integral_constantIbLb1EES16_IbLb0EEEEDaS12_S13_EUlS12_E_NS1_11comp_targetILNS1_3genE5ELNS1_11target_archE942ELNS1_3gpuE9ELNS1_3repE0EEENS1_30default_config_static_selectorELNS0_4arch9wavefront6targetE1EEEvT1_
    .private_segment_fixed_size: 0
    .sgpr_count:     4
    .sgpr_spill_count: 0
    .symbol:         _ZN7rocprim17ROCPRIM_400000_NS6detail17trampoline_kernelINS0_14default_configENS1_25partition_config_selectorILNS1_17partition_subalgoE8EiNS0_10empty_typeEbEEZZNS1_14partition_implILS5_8ELb0ES3_jPKiPS6_PKS6_NS0_5tupleIJPiS6_EEENSE_IJSB_SB_EEENS0_18inequality_wrapperIN6hipcub16HIPCUB_304000_NS8EqualityEEEPlJS6_EEE10hipError_tPvRmT3_T4_T5_T6_T7_T9_mT8_P12ihipStream_tbDpT10_ENKUlT_T0_E_clISt17integral_constantIbLb1EES16_IbLb0EEEEDaS12_S13_EUlS12_E_NS1_11comp_targetILNS1_3genE5ELNS1_11target_archE942ELNS1_3gpuE9ELNS1_3repE0EEENS1_30default_config_static_selectorELNS0_4arch9wavefront6targetE1EEEvT1_.kd
    .uniform_work_group_size: 1
    .uses_dynamic_stack: false
    .vgpr_count:     0
    .vgpr_spill_count: 0
    .wavefront_size: 64
  - .agpr_count:     0
    .args:
      - .offset:         0
        .size:           112
        .value_kind:     by_value
    .group_segment_fixed_size: 10248
    .kernarg_segment_align: 8
    .kernarg_segment_size: 112
    .language:       OpenCL C
    .language_version:
      - 2
      - 0
    .max_flat_workgroup_size: 256
    .name:           _ZN7rocprim17ROCPRIM_400000_NS6detail17trampoline_kernelINS0_14default_configENS1_25partition_config_selectorILNS1_17partition_subalgoE8EiNS0_10empty_typeEbEEZZNS1_14partition_implILS5_8ELb0ES3_jPKiPS6_PKS6_NS0_5tupleIJPiS6_EEENSE_IJSB_SB_EEENS0_18inequality_wrapperIN6hipcub16HIPCUB_304000_NS8EqualityEEEPlJS6_EEE10hipError_tPvRmT3_T4_T5_T6_T7_T9_mT8_P12ihipStream_tbDpT10_ENKUlT_T0_E_clISt17integral_constantIbLb1EES16_IbLb0EEEEDaS12_S13_EUlS12_E_NS1_11comp_targetILNS1_3genE4ELNS1_11target_archE910ELNS1_3gpuE8ELNS1_3repE0EEENS1_30default_config_static_selectorELNS0_4arch9wavefront6targetE1EEEvT1_
    .private_segment_fixed_size: 0
    .sgpr_count:     44
    .sgpr_spill_count: 0
    .symbol:         _ZN7rocprim17ROCPRIM_400000_NS6detail17trampoline_kernelINS0_14default_configENS1_25partition_config_selectorILNS1_17partition_subalgoE8EiNS0_10empty_typeEbEEZZNS1_14partition_implILS5_8ELb0ES3_jPKiPS6_PKS6_NS0_5tupleIJPiS6_EEENSE_IJSB_SB_EEENS0_18inequality_wrapperIN6hipcub16HIPCUB_304000_NS8EqualityEEEPlJS6_EEE10hipError_tPvRmT3_T4_T5_T6_T7_T9_mT8_P12ihipStream_tbDpT10_ENKUlT_T0_E_clISt17integral_constantIbLb1EES16_IbLb0EEEEDaS12_S13_EUlS12_E_NS1_11comp_targetILNS1_3genE4ELNS1_11target_archE910ELNS1_3gpuE8ELNS1_3repE0EEENS1_30default_config_static_selectorELNS0_4arch9wavefront6targetE1EEEvT1_.kd
    .uniform_work_group_size: 1
    .uses_dynamic_stack: false
    .vgpr_count:     56
    .vgpr_spill_count: 0
    .wavefront_size: 64
  - .agpr_count:     0
    .args:
      - .offset:         0
        .size:           112
        .value_kind:     by_value
    .group_segment_fixed_size: 0
    .kernarg_segment_align: 8
    .kernarg_segment_size: 112
    .language:       OpenCL C
    .language_version:
      - 2
      - 0
    .max_flat_workgroup_size: 512
    .name:           _ZN7rocprim17ROCPRIM_400000_NS6detail17trampoline_kernelINS0_14default_configENS1_25partition_config_selectorILNS1_17partition_subalgoE8EiNS0_10empty_typeEbEEZZNS1_14partition_implILS5_8ELb0ES3_jPKiPS6_PKS6_NS0_5tupleIJPiS6_EEENSE_IJSB_SB_EEENS0_18inequality_wrapperIN6hipcub16HIPCUB_304000_NS8EqualityEEEPlJS6_EEE10hipError_tPvRmT3_T4_T5_T6_T7_T9_mT8_P12ihipStream_tbDpT10_ENKUlT_T0_E_clISt17integral_constantIbLb1EES16_IbLb0EEEEDaS12_S13_EUlS12_E_NS1_11comp_targetILNS1_3genE3ELNS1_11target_archE908ELNS1_3gpuE7ELNS1_3repE0EEENS1_30default_config_static_selectorELNS0_4arch9wavefront6targetE1EEEvT1_
    .private_segment_fixed_size: 0
    .sgpr_count:     4
    .sgpr_spill_count: 0
    .symbol:         _ZN7rocprim17ROCPRIM_400000_NS6detail17trampoline_kernelINS0_14default_configENS1_25partition_config_selectorILNS1_17partition_subalgoE8EiNS0_10empty_typeEbEEZZNS1_14partition_implILS5_8ELb0ES3_jPKiPS6_PKS6_NS0_5tupleIJPiS6_EEENSE_IJSB_SB_EEENS0_18inequality_wrapperIN6hipcub16HIPCUB_304000_NS8EqualityEEEPlJS6_EEE10hipError_tPvRmT3_T4_T5_T6_T7_T9_mT8_P12ihipStream_tbDpT10_ENKUlT_T0_E_clISt17integral_constantIbLb1EES16_IbLb0EEEEDaS12_S13_EUlS12_E_NS1_11comp_targetILNS1_3genE3ELNS1_11target_archE908ELNS1_3gpuE7ELNS1_3repE0EEENS1_30default_config_static_selectorELNS0_4arch9wavefront6targetE1EEEvT1_.kd
    .uniform_work_group_size: 1
    .uses_dynamic_stack: false
    .vgpr_count:     0
    .vgpr_spill_count: 0
    .wavefront_size: 64
  - .agpr_count:     0
    .args:
      - .offset:         0
        .size:           112
        .value_kind:     by_value
    .group_segment_fixed_size: 0
    .kernarg_segment_align: 8
    .kernarg_segment_size: 112
    .language:       OpenCL C
    .language_version:
      - 2
      - 0
    .max_flat_workgroup_size: 256
    .name:           _ZN7rocprim17ROCPRIM_400000_NS6detail17trampoline_kernelINS0_14default_configENS1_25partition_config_selectorILNS1_17partition_subalgoE8EiNS0_10empty_typeEbEEZZNS1_14partition_implILS5_8ELb0ES3_jPKiPS6_PKS6_NS0_5tupleIJPiS6_EEENSE_IJSB_SB_EEENS0_18inequality_wrapperIN6hipcub16HIPCUB_304000_NS8EqualityEEEPlJS6_EEE10hipError_tPvRmT3_T4_T5_T6_T7_T9_mT8_P12ihipStream_tbDpT10_ENKUlT_T0_E_clISt17integral_constantIbLb1EES16_IbLb0EEEEDaS12_S13_EUlS12_E_NS1_11comp_targetILNS1_3genE2ELNS1_11target_archE906ELNS1_3gpuE6ELNS1_3repE0EEENS1_30default_config_static_selectorELNS0_4arch9wavefront6targetE1EEEvT1_
    .private_segment_fixed_size: 0
    .sgpr_count:     4
    .sgpr_spill_count: 0
    .symbol:         _ZN7rocprim17ROCPRIM_400000_NS6detail17trampoline_kernelINS0_14default_configENS1_25partition_config_selectorILNS1_17partition_subalgoE8EiNS0_10empty_typeEbEEZZNS1_14partition_implILS5_8ELb0ES3_jPKiPS6_PKS6_NS0_5tupleIJPiS6_EEENSE_IJSB_SB_EEENS0_18inequality_wrapperIN6hipcub16HIPCUB_304000_NS8EqualityEEEPlJS6_EEE10hipError_tPvRmT3_T4_T5_T6_T7_T9_mT8_P12ihipStream_tbDpT10_ENKUlT_T0_E_clISt17integral_constantIbLb1EES16_IbLb0EEEEDaS12_S13_EUlS12_E_NS1_11comp_targetILNS1_3genE2ELNS1_11target_archE906ELNS1_3gpuE6ELNS1_3repE0EEENS1_30default_config_static_selectorELNS0_4arch9wavefront6targetE1EEEvT1_.kd
    .uniform_work_group_size: 1
    .uses_dynamic_stack: false
    .vgpr_count:     0
    .vgpr_spill_count: 0
    .wavefront_size: 64
  - .agpr_count:     0
    .args:
      - .offset:         0
        .size:           112
        .value_kind:     by_value
    .group_segment_fixed_size: 0
    .kernarg_segment_align: 8
    .kernarg_segment_size: 112
    .language:       OpenCL C
    .language_version:
      - 2
      - 0
    .max_flat_workgroup_size: 384
    .name:           _ZN7rocprim17ROCPRIM_400000_NS6detail17trampoline_kernelINS0_14default_configENS1_25partition_config_selectorILNS1_17partition_subalgoE8EiNS0_10empty_typeEbEEZZNS1_14partition_implILS5_8ELb0ES3_jPKiPS6_PKS6_NS0_5tupleIJPiS6_EEENSE_IJSB_SB_EEENS0_18inequality_wrapperIN6hipcub16HIPCUB_304000_NS8EqualityEEEPlJS6_EEE10hipError_tPvRmT3_T4_T5_T6_T7_T9_mT8_P12ihipStream_tbDpT10_ENKUlT_T0_E_clISt17integral_constantIbLb1EES16_IbLb0EEEEDaS12_S13_EUlS12_E_NS1_11comp_targetILNS1_3genE10ELNS1_11target_archE1200ELNS1_3gpuE4ELNS1_3repE0EEENS1_30default_config_static_selectorELNS0_4arch9wavefront6targetE1EEEvT1_
    .private_segment_fixed_size: 0
    .sgpr_count:     4
    .sgpr_spill_count: 0
    .symbol:         _ZN7rocprim17ROCPRIM_400000_NS6detail17trampoline_kernelINS0_14default_configENS1_25partition_config_selectorILNS1_17partition_subalgoE8EiNS0_10empty_typeEbEEZZNS1_14partition_implILS5_8ELb0ES3_jPKiPS6_PKS6_NS0_5tupleIJPiS6_EEENSE_IJSB_SB_EEENS0_18inequality_wrapperIN6hipcub16HIPCUB_304000_NS8EqualityEEEPlJS6_EEE10hipError_tPvRmT3_T4_T5_T6_T7_T9_mT8_P12ihipStream_tbDpT10_ENKUlT_T0_E_clISt17integral_constantIbLb1EES16_IbLb0EEEEDaS12_S13_EUlS12_E_NS1_11comp_targetILNS1_3genE10ELNS1_11target_archE1200ELNS1_3gpuE4ELNS1_3repE0EEENS1_30default_config_static_selectorELNS0_4arch9wavefront6targetE1EEEvT1_.kd
    .uniform_work_group_size: 1
    .uses_dynamic_stack: false
    .vgpr_count:     0
    .vgpr_spill_count: 0
    .wavefront_size: 64
  - .agpr_count:     0
    .args:
      - .offset:         0
        .size:           112
        .value_kind:     by_value
    .group_segment_fixed_size: 0
    .kernarg_segment_align: 8
    .kernarg_segment_size: 112
    .language:       OpenCL C
    .language_version:
      - 2
      - 0
    .max_flat_workgroup_size: 384
    .name:           _ZN7rocprim17ROCPRIM_400000_NS6detail17trampoline_kernelINS0_14default_configENS1_25partition_config_selectorILNS1_17partition_subalgoE8EiNS0_10empty_typeEbEEZZNS1_14partition_implILS5_8ELb0ES3_jPKiPS6_PKS6_NS0_5tupleIJPiS6_EEENSE_IJSB_SB_EEENS0_18inequality_wrapperIN6hipcub16HIPCUB_304000_NS8EqualityEEEPlJS6_EEE10hipError_tPvRmT3_T4_T5_T6_T7_T9_mT8_P12ihipStream_tbDpT10_ENKUlT_T0_E_clISt17integral_constantIbLb1EES16_IbLb0EEEEDaS12_S13_EUlS12_E_NS1_11comp_targetILNS1_3genE9ELNS1_11target_archE1100ELNS1_3gpuE3ELNS1_3repE0EEENS1_30default_config_static_selectorELNS0_4arch9wavefront6targetE1EEEvT1_
    .private_segment_fixed_size: 0
    .sgpr_count:     4
    .sgpr_spill_count: 0
    .symbol:         _ZN7rocprim17ROCPRIM_400000_NS6detail17trampoline_kernelINS0_14default_configENS1_25partition_config_selectorILNS1_17partition_subalgoE8EiNS0_10empty_typeEbEEZZNS1_14partition_implILS5_8ELb0ES3_jPKiPS6_PKS6_NS0_5tupleIJPiS6_EEENSE_IJSB_SB_EEENS0_18inequality_wrapperIN6hipcub16HIPCUB_304000_NS8EqualityEEEPlJS6_EEE10hipError_tPvRmT3_T4_T5_T6_T7_T9_mT8_P12ihipStream_tbDpT10_ENKUlT_T0_E_clISt17integral_constantIbLb1EES16_IbLb0EEEEDaS12_S13_EUlS12_E_NS1_11comp_targetILNS1_3genE9ELNS1_11target_archE1100ELNS1_3gpuE3ELNS1_3repE0EEENS1_30default_config_static_selectorELNS0_4arch9wavefront6targetE1EEEvT1_.kd
    .uniform_work_group_size: 1
    .uses_dynamic_stack: false
    .vgpr_count:     0
    .vgpr_spill_count: 0
    .wavefront_size: 64
  - .agpr_count:     0
    .args:
      - .offset:         0
        .size:           112
        .value_kind:     by_value
    .group_segment_fixed_size: 0
    .kernarg_segment_align: 8
    .kernarg_segment_size: 112
    .language:       OpenCL C
    .language_version:
      - 2
      - 0
    .max_flat_workgroup_size: 512
    .name:           _ZN7rocprim17ROCPRIM_400000_NS6detail17trampoline_kernelINS0_14default_configENS1_25partition_config_selectorILNS1_17partition_subalgoE8EiNS0_10empty_typeEbEEZZNS1_14partition_implILS5_8ELb0ES3_jPKiPS6_PKS6_NS0_5tupleIJPiS6_EEENSE_IJSB_SB_EEENS0_18inequality_wrapperIN6hipcub16HIPCUB_304000_NS8EqualityEEEPlJS6_EEE10hipError_tPvRmT3_T4_T5_T6_T7_T9_mT8_P12ihipStream_tbDpT10_ENKUlT_T0_E_clISt17integral_constantIbLb1EES16_IbLb0EEEEDaS12_S13_EUlS12_E_NS1_11comp_targetILNS1_3genE8ELNS1_11target_archE1030ELNS1_3gpuE2ELNS1_3repE0EEENS1_30default_config_static_selectorELNS0_4arch9wavefront6targetE1EEEvT1_
    .private_segment_fixed_size: 0
    .sgpr_count:     4
    .sgpr_spill_count: 0
    .symbol:         _ZN7rocprim17ROCPRIM_400000_NS6detail17trampoline_kernelINS0_14default_configENS1_25partition_config_selectorILNS1_17partition_subalgoE8EiNS0_10empty_typeEbEEZZNS1_14partition_implILS5_8ELb0ES3_jPKiPS6_PKS6_NS0_5tupleIJPiS6_EEENSE_IJSB_SB_EEENS0_18inequality_wrapperIN6hipcub16HIPCUB_304000_NS8EqualityEEEPlJS6_EEE10hipError_tPvRmT3_T4_T5_T6_T7_T9_mT8_P12ihipStream_tbDpT10_ENKUlT_T0_E_clISt17integral_constantIbLb1EES16_IbLb0EEEEDaS12_S13_EUlS12_E_NS1_11comp_targetILNS1_3genE8ELNS1_11target_archE1030ELNS1_3gpuE2ELNS1_3repE0EEENS1_30default_config_static_selectorELNS0_4arch9wavefront6targetE1EEEvT1_.kd
    .uniform_work_group_size: 1
    .uses_dynamic_stack: false
    .vgpr_count:     0
    .vgpr_spill_count: 0
    .wavefront_size: 64
  - .agpr_count:     0
    .args:
      - .offset:         0
        .size:           128
        .value_kind:     by_value
    .group_segment_fixed_size: 0
    .kernarg_segment_align: 8
    .kernarg_segment_size: 128
    .language:       OpenCL C
    .language_version:
      - 2
      - 0
    .max_flat_workgroup_size: 512
    .name:           _ZN7rocprim17ROCPRIM_400000_NS6detail17trampoline_kernelINS0_14default_configENS1_25partition_config_selectorILNS1_17partition_subalgoE8EiNS0_10empty_typeEbEEZZNS1_14partition_implILS5_8ELb0ES3_jPKiPS6_PKS6_NS0_5tupleIJPiS6_EEENSE_IJSB_SB_EEENS0_18inequality_wrapperIN6hipcub16HIPCUB_304000_NS8EqualityEEEPlJS6_EEE10hipError_tPvRmT3_T4_T5_T6_T7_T9_mT8_P12ihipStream_tbDpT10_ENKUlT_T0_E_clISt17integral_constantIbLb0EES16_IbLb1EEEEDaS12_S13_EUlS12_E_NS1_11comp_targetILNS1_3genE0ELNS1_11target_archE4294967295ELNS1_3gpuE0ELNS1_3repE0EEENS1_30default_config_static_selectorELNS0_4arch9wavefront6targetE1EEEvT1_
    .private_segment_fixed_size: 0
    .sgpr_count:     4
    .sgpr_spill_count: 0
    .symbol:         _ZN7rocprim17ROCPRIM_400000_NS6detail17trampoline_kernelINS0_14default_configENS1_25partition_config_selectorILNS1_17partition_subalgoE8EiNS0_10empty_typeEbEEZZNS1_14partition_implILS5_8ELb0ES3_jPKiPS6_PKS6_NS0_5tupleIJPiS6_EEENSE_IJSB_SB_EEENS0_18inequality_wrapperIN6hipcub16HIPCUB_304000_NS8EqualityEEEPlJS6_EEE10hipError_tPvRmT3_T4_T5_T6_T7_T9_mT8_P12ihipStream_tbDpT10_ENKUlT_T0_E_clISt17integral_constantIbLb0EES16_IbLb1EEEEDaS12_S13_EUlS12_E_NS1_11comp_targetILNS1_3genE0ELNS1_11target_archE4294967295ELNS1_3gpuE0ELNS1_3repE0EEENS1_30default_config_static_selectorELNS0_4arch9wavefront6targetE1EEEvT1_.kd
    .uniform_work_group_size: 1
    .uses_dynamic_stack: false
    .vgpr_count:     0
    .vgpr_spill_count: 0
    .wavefront_size: 64
  - .agpr_count:     0
    .args:
      - .offset:         0
        .size:           128
        .value_kind:     by_value
    .group_segment_fixed_size: 0
    .kernarg_segment_align: 8
    .kernarg_segment_size: 128
    .language:       OpenCL C
    .language_version:
      - 2
      - 0
    .max_flat_workgroup_size: 512
    .name:           _ZN7rocprim17ROCPRIM_400000_NS6detail17trampoline_kernelINS0_14default_configENS1_25partition_config_selectorILNS1_17partition_subalgoE8EiNS0_10empty_typeEbEEZZNS1_14partition_implILS5_8ELb0ES3_jPKiPS6_PKS6_NS0_5tupleIJPiS6_EEENSE_IJSB_SB_EEENS0_18inequality_wrapperIN6hipcub16HIPCUB_304000_NS8EqualityEEEPlJS6_EEE10hipError_tPvRmT3_T4_T5_T6_T7_T9_mT8_P12ihipStream_tbDpT10_ENKUlT_T0_E_clISt17integral_constantIbLb0EES16_IbLb1EEEEDaS12_S13_EUlS12_E_NS1_11comp_targetILNS1_3genE5ELNS1_11target_archE942ELNS1_3gpuE9ELNS1_3repE0EEENS1_30default_config_static_selectorELNS0_4arch9wavefront6targetE1EEEvT1_
    .private_segment_fixed_size: 0
    .sgpr_count:     4
    .sgpr_spill_count: 0
    .symbol:         _ZN7rocprim17ROCPRIM_400000_NS6detail17trampoline_kernelINS0_14default_configENS1_25partition_config_selectorILNS1_17partition_subalgoE8EiNS0_10empty_typeEbEEZZNS1_14partition_implILS5_8ELb0ES3_jPKiPS6_PKS6_NS0_5tupleIJPiS6_EEENSE_IJSB_SB_EEENS0_18inequality_wrapperIN6hipcub16HIPCUB_304000_NS8EqualityEEEPlJS6_EEE10hipError_tPvRmT3_T4_T5_T6_T7_T9_mT8_P12ihipStream_tbDpT10_ENKUlT_T0_E_clISt17integral_constantIbLb0EES16_IbLb1EEEEDaS12_S13_EUlS12_E_NS1_11comp_targetILNS1_3genE5ELNS1_11target_archE942ELNS1_3gpuE9ELNS1_3repE0EEENS1_30default_config_static_selectorELNS0_4arch9wavefront6targetE1EEEvT1_.kd
    .uniform_work_group_size: 1
    .uses_dynamic_stack: false
    .vgpr_count:     0
    .vgpr_spill_count: 0
    .wavefront_size: 64
  - .agpr_count:     0
    .args:
      - .offset:         0
        .size:           128
        .value_kind:     by_value
    .group_segment_fixed_size: 10248
    .kernarg_segment_align: 8
    .kernarg_segment_size: 128
    .language:       OpenCL C
    .language_version:
      - 2
      - 0
    .max_flat_workgroup_size: 256
    .name:           _ZN7rocprim17ROCPRIM_400000_NS6detail17trampoline_kernelINS0_14default_configENS1_25partition_config_selectorILNS1_17partition_subalgoE8EiNS0_10empty_typeEbEEZZNS1_14partition_implILS5_8ELb0ES3_jPKiPS6_PKS6_NS0_5tupleIJPiS6_EEENSE_IJSB_SB_EEENS0_18inequality_wrapperIN6hipcub16HIPCUB_304000_NS8EqualityEEEPlJS6_EEE10hipError_tPvRmT3_T4_T5_T6_T7_T9_mT8_P12ihipStream_tbDpT10_ENKUlT_T0_E_clISt17integral_constantIbLb0EES16_IbLb1EEEEDaS12_S13_EUlS12_E_NS1_11comp_targetILNS1_3genE4ELNS1_11target_archE910ELNS1_3gpuE8ELNS1_3repE0EEENS1_30default_config_static_selectorELNS0_4arch9wavefront6targetE1EEEvT1_
    .private_segment_fixed_size: 0
    .sgpr_count:     45
    .sgpr_spill_count: 0
    .symbol:         _ZN7rocprim17ROCPRIM_400000_NS6detail17trampoline_kernelINS0_14default_configENS1_25partition_config_selectorILNS1_17partition_subalgoE8EiNS0_10empty_typeEbEEZZNS1_14partition_implILS5_8ELb0ES3_jPKiPS6_PKS6_NS0_5tupleIJPiS6_EEENSE_IJSB_SB_EEENS0_18inequality_wrapperIN6hipcub16HIPCUB_304000_NS8EqualityEEEPlJS6_EEE10hipError_tPvRmT3_T4_T5_T6_T7_T9_mT8_P12ihipStream_tbDpT10_ENKUlT_T0_E_clISt17integral_constantIbLb0EES16_IbLb1EEEEDaS12_S13_EUlS12_E_NS1_11comp_targetILNS1_3genE4ELNS1_11target_archE910ELNS1_3gpuE8ELNS1_3repE0EEENS1_30default_config_static_selectorELNS0_4arch9wavefront6targetE1EEEvT1_.kd
    .uniform_work_group_size: 1
    .uses_dynamic_stack: false
    .vgpr_count:     58
    .vgpr_spill_count: 0
    .wavefront_size: 64
  - .agpr_count:     0
    .args:
      - .offset:         0
        .size:           128
        .value_kind:     by_value
    .group_segment_fixed_size: 0
    .kernarg_segment_align: 8
    .kernarg_segment_size: 128
    .language:       OpenCL C
    .language_version:
      - 2
      - 0
    .max_flat_workgroup_size: 512
    .name:           _ZN7rocprim17ROCPRIM_400000_NS6detail17trampoline_kernelINS0_14default_configENS1_25partition_config_selectorILNS1_17partition_subalgoE8EiNS0_10empty_typeEbEEZZNS1_14partition_implILS5_8ELb0ES3_jPKiPS6_PKS6_NS0_5tupleIJPiS6_EEENSE_IJSB_SB_EEENS0_18inequality_wrapperIN6hipcub16HIPCUB_304000_NS8EqualityEEEPlJS6_EEE10hipError_tPvRmT3_T4_T5_T6_T7_T9_mT8_P12ihipStream_tbDpT10_ENKUlT_T0_E_clISt17integral_constantIbLb0EES16_IbLb1EEEEDaS12_S13_EUlS12_E_NS1_11comp_targetILNS1_3genE3ELNS1_11target_archE908ELNS1_3gpuE7ELNS1_3repE0EEENS1_30default_config_static_selectorELNS0_4arch9wavefront6targetE1EEEvT1_
    .private_segment_fixed_size: 0
    .sgpr_count:     4
    .sgpr_spill_count: 0
    .symbol:         _ZN7rocprim17ROCPRIM_400000_NS6detail17trampoline_kernelINS0_14default_configENS1_25partition_config_selectorILNS1_17partition_subalgoE8EiNS0_10empty_typeEbEEZZNS1_14partition_implILS5_8ELb0ES3_jPKiPS6_PKS6_NS0_5tupleIJPiS6_EEENSE_IJSB_SB_EEENS0_18inequality_wrapperIN6hipcub16HIPCUB_304000_NS8EqualityEEEPlJS6_EEE10hipError_tPvRmT3_T4_T5_T6_T7_T9_mT8_P12ihipStream_tbDpT10_ENKUlT_T0_E_clISt17integral_constantIbLb0EES16_IbLb1EEEEDaS12_S13_EUlS12_E_NS1_11comp_targetILNS1_3genE3ELNS1_11target_archE908ELNS1_3gpuE7ELNS1_3repE0EEENS1_30default_config_static_selectorELNS0_4arch9wavefront6targetE1EEEvT1_.kd
    .uniform_work_group_size: 1
    .uses_dynamic_stack: false
    .vgpr_count:     0
    .vgpr_spill_count: 0
    .wavefront_size: 64
  - .agpr_count:     0
    .args:
      - .offset:         0
        .size:           128
        .value_kind:     by_value
    .group_segment_fixed_size: 0
    .kernarg_segment_align: 8
    .kernarg_segment_size: 128
    .language:       OpenCL C
    .language_version:
      - 2
      - 0
    .max_flat_workgroup_size: 256
    .name:           _ZN7rocprim17ROCPRIM_400000_NS6detail17trampoline_kernelINS0_14default_configENS1_25partition_config_selectorILNS1_17partition_subalgoE8EiNS0_10empty_typeEbEEZZNS1_14partition_implILS5_8ELb0ES3_jPKiPS6_PKS6_NS0_5tupleIJPiS6_EEENSE_IJSB_SB_EEENS0_18inequality_wrapperIN6hipcub16HIPCUB_304000_NS8EqualityEEEPlJS6_EEE10hipError_tPvRmT3_T4_T5_T6_T7_T9_mT8_P12ihipStream_tbDpT10_ENKUlT_T0_E_clISt17integral_constantIbLb0EES16_IbLb1EEEEDaS12_S13_EUlS12_E_NS1_11comp_targetILNS1_3genE2ELNS1_11target_archE906ELNS1_3gpuE6ELNS1_3repE0EEENS1_30default_config_static_selectorELNS0_4arch9wavefront6targetE1EEEvT1_
    .private_segment_fixed_size: 0
    .sgpr_count:     4
    .sgpr_spill_count: 0
    .symbol:         _ZN7rocprim17ROCPRIM_400000_NS6detail17trampoline_kernelINS0_14default_configENS1_25partition_config_selectorILNS1_17partition_subalgoE8EiNS0_10empty_typeEbEEZZNS1_14partition_implILS5_8ELb0ES3_jPKiPS6_PKS6_NS0_5tupleIJPiS6_EEENSE_IJSB_SB_EEENS0_18inequality_wrapperIN6hipcub16HIPCUB_304000_NS8EqualityEEEPlJS6_EEE10hipError_tPvRmT3_T4_T5_T6_T7_T9_mT8_P12ihipStream_tbDpT10_ENKUlT_T0_E_clISt17integral_constantIbLb0EES16_IbLb1EEEEDaS12_S13_EUlS12_E_NS1_11comp_targetILNS1_3genE2ELNS1_11target_archE906ELNS1_3gpuE6ELNS1_3repE0EEENS1_30default_config_static_selectorELNS0_4arch9wavefront6targetE1EEEvT1_.kd
    .uniform_work_group_size: 1
    .uses_dynamic_stack: false
    .vgpr_count:     0
    .vgpr_spill_count: 0
    .wavefront_size: 64
  - .agpr_count:     0
    .args:
      - .offset:         0
        .size:           128
        .value_kind:     by_value
    .group_segment_fixed_size: 0
    .kernarg_segment_align: 8
    .kernarg_segment_size: 128
    .language:       OpenCL C
    .language_version:
      - 2
      - 0
    .max_flat_workgroup_size: 384
    .name:           _ZN7rocprim17ROCPRIM_400000_NS6detail17trampoline_kernelINS0_14default_configENS1_25partition_config_selectorILNS1_17partition_subalgoE8EiNS0_10empty_typeEbEEZZNS1_14partition_implILS5_8ELb0ES3_jPKiPS6_PKS6_NS0_5tupleIJPiS6_EEENSE_IJSB_SB_EEENS0_18inequality_wrapperIN6hipcub16HIPCUB_304000_NS8EqualityEEEPlJS6_EEE10hipError_tPvRmT3_T4_T5_T6_T7_T9_mT8_P12ihipStream_tbDpT10_ENKUlT_T0_E_clISt17integral_constantIbLb0EES16_IbLb1EEEEDaS12_S13_EUlS12_E_NS1_11comp_targetILNS1_3genE10ELNS1_11target_archE1200ELNS1_3gpuE4ELNS1_3repE0EEENS1_30default_config_static_selectorELNS0_4arch9wavefront6targetE1EEEvT1_
    .private_segment_fixed_size: 0
    .sgpr_count:     4
    .sgpr_spill_count: 0
    .symbol:         _ZN7rocprim17ROCPRIM_400000_NS6detail17trampoline_kernelINS0_14default_configENS1_25partition_config_selectorILNS1_17partition_subalgoE8EiNS0_10empty_typeEbEEZZNS1_14partition_implILS5_8ELb0ES3_jPKiPS6_PKS6_NS0_5tupleIJPiS6_EEENSE_IJSB_SB_EEENS0_18inequality_wrapperIN6hipcub16HIPCUB_304000_NS8EqualityEEEPlJS6_EEE10hipError_tPvRmT3_T4_T5_T6_T7_T9_mT8_P12ihipStream_tbDpT10_ENKUlT_T0_E_clISt17integral_constantIbLb0EES16_IbLb1EEEEDaS12_S13_EUlS12_E_NS1_11comp_targetILNS1_3genE10ELNS1_11target_archE1200ELNS1_3gpuE4ELNS1_3repE0EEENS1_30default_config_static_selectorELNS0_4arch9wavefront6targetE1EEEvT1_.kd
    .uniform_work_group_size: 1
    .uses_dynamic_stack: false
    .vgpr_count:     0
    .vgpr_spill_count: 0
    .wavefront_size: 64
  - .agpr_count:     0
    .args:
      - .offset:         0
        .size:           128
        .value_kind:     by_value
    .group_segment_fixed_size: 0
    .kernarg_segment_align: 8
    .kernarg_segment_size: 128
    .language:       OpenCL C
    .language_version:
      - 2
      - 0
    .max_flat_workgroup_size: 384
    .name:           _ZN7rocprim17ROCPRIM_400000_NS6detail17trampoline_kernelINS0_14default_configENS1_25partition_config_selectorILNS1_17partition_subalgoE8EiNS0_10empty_typeEbEEZZNS1_14partition_implILS5_8ELb0ES3_jPKiPS6_PKS6_NS0_5tupleIJPiS6_EEENSE_IJSB_SB_EEENS0_18inequality_wrapperIN6hipcub16HIPCUB_304000_NS8EqualityEEEPlJS6_EEE10hipError_tPvRmT3_T4_T5_T6_T7_T9_mT8_P12ihipStream_tbDpT10_ENKUlT_T0_E_clISt17integral_constantIbLb0EES16_IbLb1EEEEDaS12_S13_EUlS12_E_NS1_11comp_targetILNS1_3genE9ELNS1_11target_archE1100ELNS1_3gpuE3ELNS1_3repE0EEENS1_30default_config_static_selectorELNS0_4arch9wavefront6targetE1EEEvT1_
    .private_segment_fixed_size: 0
    .sgpr_count:     4
    .sgpr_spill_count: 0
    .symbol:         _ZN7rocprim17ROCPRIM_400000_NS6detail17trampoline_kernelINS0_14default_configENS1_25partition_config_selectorILNS1_17partition_subalgoE8EiNS0_10empty_typeEbEEZZNS1_14partition_implILS5_8ELb0ES3_jPKiPS6_PKS6_NS0_5tupleIJPiS6_EEENSE_IJSB_SB_EEENS0_18inequality_wrapperIN6hipcub16HIPCUB_304000_NS8EqualityEEEPlJS6_EEE10hipError_tPvRmT3_T4_T5_T6_T7_T9_mT8_P12ihipStream_tbDpT10_ENKUlT_T0_E_clISt17integral_constantIbLb0EES16_IbLb1EEEEDaS12_S13_EUlS12_E_NS1_11comp_targetILNS1_3genE9ELNS1_11target_archE1100ELNS1_3gpuE3ELNS1_3repE0EEENS1_30default_config_static_selectorELNS0_4arch9wavefront6targetE1EEEvT1_.kd
    .uniform_work_group_size: 1
    .uses_dynamic_stack: false
    .vgpr_count:     0
    .vgpr_spill_count: 0
    .wavefront_size: 64
  - .agpr_count:     0
    .args:
      - .offset:         0
        .size:           128
        .value_kind:     by_value
    .group_segment_fixed_size: 0
    .kernarg_segment_align: 8
    .kernarg_segment_size: 128
    .language:       OpenCL C
    .language_version:
      - 2
      - 0
    .max_flat_workgroup_size: 512
    .name:           _ZN7rocprim17ROCPRIM_400000_NS6detail17trampoline_kernelINS0_14default_configENS1_25partition_config_selectorILNS1_17partition_subalgoE8EiNS0_10empty_typeEbEEZZNS1_14partition_implILS5_8ELb0ES3_jPKiPS6_PKS6_NS0_5tupleIJPiS6_EEENSE_IJSB_SB_EEENS0_18inequality_wrapperIN6hipcub16HIPCUB_304000_NS8EqualityEEEPlJS6_EEE10hipError_tPvRmT3_T4_T5_T6_T7_T9_mT8_P12ihipStream_tbDpT10_ENKUlT_T0_E_clISt17integral_constantIbLb0EES16_IbLb1EEEEDaS12_S13_EUlS12_E_NS1_11comp_targetILNS1_3genE8ELNS1_11target_archE1030ELNS1_3gpuE2ELNS1_3repE0EEENS1_30default_config_static_selectorELNS0_4arch9wavefront6targetE1EEEvT1_
    .private_segment_fixed_size: 0
    .sgpr_count:     4
    .sgpr_spill_count: 0
    .symbol:         _ZN7rocprim17ROCPRIM_400000_NS6detail17trampoline_kernelINS0_14default_configENS1_25partition_config_selectorILNS1_17partition_subalgoE8EiNS0_10empty_typeEbEEZZNS1_14partition_implILS5_8ELb0ES3_jPKiPS6_PKS6_NS0_5tupleIJPiS6_EEENSE_IJSB_SB_EEENS0_18inequality_wrapperIN6hipcub16HIPCUB_304000_NS8EqualityEEEPlJS6_EEE10hipError_tPvRmT3_T4_T5_T6_T7_T9_mT8_P12ihipStream_tbDpT10_ENKUlT_T0_E_clISt17integral_constantIbLb0EES16_IbLb1EEEEDaS12_S13_EUlS12_E_NS1_11comp_targetILNS1_3genE8ELNS1_11target_archE1030ELNS1_3gpuE2ELNS1_3repE0EEENS1_30default_config_static_selectorELNS0_4arch9wavefront6targetE1EEEvT1_.kd
    .uniform_work_group_size: 1
    .uses_dynamic_stack: false
    .vgpr_count:     0
    .vgpr_spill_count: 0
    .wavefront_size: 64
  - .agpr_count:     0
    .args:
      - .offset:         0
        .size:           128
        .value_kind:     by_value
    .group_segment_fixed_size: 0
    .kernarg_segment_align: 8
    .kernarg_segment_size: 128
    .language:       OpenCL C
    .language_version:
      - 2
      - 0
    .max_flat_workgroup_size: 256
    .name:           _ZN7rocprim17ROCPRIM_400000_NS6detail17trampoline_kernelINS0_14default_configENS1_33run_length_encode_config_selectorIijNS0_4plusIjEEEEZZNS1_33reduce_by_key_impl_wrapped_configILNS1_25lookback_scan_determinismE0ES3_S7_PKiNS0_17constant_iteratorIjlEEPiPlSF_S6_NS0_8equal_toIiEEEE10hipError_tPvRmT2_T3_mT4_T5_T6_T7_T8_P12ihipStream_tbENKUlT_T0_E_clISt17integral_constantIbLb0EESZ_EEDaSU_SV_EUlSU_E_NS1_11comp_targetILNS1_3genE0ELNS1_11target_archE4294967295ELNS1_3gpuE0ELNS1_3repE0EEENS1_30default_config_static_selectorELNS0_4arch9wavefront6targetE1EEEvT1_
    .private_segment_fixed_size: 0
    .sgpr_count:     4
    .sgpr_spill_count: 0
    .symbol:         _ZN7rocprim17ROCPRIM_400000_NS6detail17trampoline_kernelINS0_14default_configENS1_33run_length_encode_config_selectorIijNS0_4plusIjEEEEZZNS1_33reduce_by_key_impl_wrapped_configILNS1_25lookback_scan_determinismE0ES3_S7_PKiNS0_17constant_iteratorIjlEEPiPlSF_S6_NS0_8equal_toIiEEEE10hipError_tPvRmT2_T3_mT4_T5_T6_T7_T8_P12ihipStream_tbENKUlT_T0_E_clISt17integral_constantIbLb0EESZ_EEDaSU_SV_EUlSU_E_NS1_11comp_targetILNS1_3genE0ELNS1_11target_archE4294967295ELNS1_3gpuE0ELNS1_3repE0EEENS1_30default_config_static_selectorELNS0_4arch9wavefront6targetE1EEEvT1_.kd
    .uniform_work_group_size: 1
    .uses_dynamic_stack: false
    .vgpr_count:     0
    .vgpr_spill_count: 0
    .wavefront_size: 64
  - .agpr_count:     0
    .args:
      - .offset:         0
        .size:           128
        .value_kind:     by_value
    .group_segment_fixed_size: 0
    .kernarg_segment_align: 8
    .kernarg_segment_size: 128
    .language:       OpenCL C
    .language_version:
      - 2
      - 0
    .max_flat_workgroup_size: 512
    .name:           _ZN7rocprim17ROCPRIM_400000_NS6detail17trampoline_kernelINS0_14default_configENS1_33run_length_encode_config_selectorIijNS0_4plusIjEEEEZZNS1_33reduce_by_key_impl_wrapped_configILNS1_25lookback_scan_determinismE0ES3_S7_PKiNS0_17constant_iteratorIjlEEPiPlSF_S6_NS0_8equal_toIiEEEE10hipError_tPvRmT2_T3_mT4_T5_T6_T7_T8_P12ihipStream_tbENKUlT_T0_E_clISt17integral_constantIbLb0EESZ_EEDaSU_SV_EUlSU_E_NS1_11comp_targetILNS1_3genE5ELNS1_11target_archE942ELNS1_3gpuE9ELNS1_3repE0EEENS1_30default_config_static_selectorELNS0_4arch9wavefront6targetE1EEEvT1_
    .private_segment_fixed_size: 0
    .sgpr_count:     4
    .sgpr_spill_count: 0
    .symbol:         _ZN7rocprim17ROCPRIM_400000_NS6detail17trampoline_kernelINS0_14default_configENS1_33run_length_encode_config_selectorIijNS0_4plusIjEEEEZZNS1_33reduce_by_key_impl_wrapped_configILNS1_25lookback_scan_determinismE0ES3_S7_PKiNS0_17constant_iteratorIjlEEPiPlSF_S6_NS0_8equal_toIiEEEE10hipError_tPvRmT2_T3_mT4_T5_T6_T7_T8_P12ihipStream_tbENKUlT_T0_E_clISt17integral_constantIbLb0EESZ_EEDaSU_SV_EUlSU_E_NS1_11comp_targetILNS1_3genE5ELNS1_11target_archE942ELNS1_3gpuE9ELNS1_3repE0EEENS1_30default_config_static_selectorELNS0_4arch9wavefront6targetE1EEEvT1_.kd
    .uniform_work_group_size: 1
    .uses_dynamic_stack: false
    .vgpr_count:     0
    .vgpr_spill_count: 0
    .wavefront_size: 64
  - .agpr_count:     0
    .args:
      - .offset:         0
        .size:           128
        .value_kind:     by_value
    .group_segment_fixed_size: 15360
    .kernarg_segment_align: 8
    .kernarg_segment_size: 128
    .language:       OpenCL C
    .language_version:
      - 2
      - 0
    .max_flat_workgroup_size: 256
    .name:           _ZN7rocprim17ROCPRIM_400000_NS6detail17trampoline_kernelINS0_14default_configENS1_33run_length_encode_config_selectorIijNS0_4plusIjEEEEZZNS1_33reduce_by_key_impl_wrapped_configILNS1_25lookback_scan_determinismE0ES3_S7_PKiNS0_17constant_iteratorIjlEEPiPlSF_S6_NS0_8equal_toIiEEEE10hipError_tPvRmT2_T3_mT4_T5_T6_T7_T8_P12ihipStream_tbENKUlT_T0_E_clISt17integral_constantIbLb0EESZ_EEDaSU_SV_EUlSU_E_NS1_11comp_targetILNS1_3genE4ELNS1_11target_archE910ELNS1_3gpuE8ELNS1_3repE0EEENS1_30default_config_static_selectorELNS0_4arch9wavefront6targetE1EEEvT1_
    .private_segment_fixed_size: 0
    .sgpr_count:     68
    .sgpr_spill_count: 0
    .symbol:         _ZN7rocprim17ROCPRIM_400000_NS6detail17trampoline_kernelINS0_14default_configENS1_33run_length_encode_config_selectorIijNS0_4plusIjEEEEZZNS1_33reduce_by_key_impl_wrapped_configILNS1_25lookback_scan_determinismE0ES3_S7_PKiNS0_17constant_iteratorIjlEEPiPlSF_S6_NS0_8equal_toIiEEEE10hipError_tPvRmT2_T3_mT4_T5_T6_T7_T8_P12ihipStream_tbENKUlT_T0_E_clISt17integral_constantIbLb0EESZ_EEDaSU_SV_EUlSU_E_NS1_11comp_targetILNS1_3genE4ELNS1_11target_archE910ELNS1_3gpuE8ELNS1_3repE0EEENS1_30default_config_static_selectorELNS0_4arch9wavefront6targetE1EEEvT1_.kd
    .uniform_work_group_size: 1
    .uses_dynamic_stack: false
    .vgpr_count:     104
    .vgpr_spill_count: 0
    .wavefront_size: 64
  - .agpr_count:     0
    .args:
      - .offset:         0
        .size:           128
        .value_kind:     by_value
    .group_segment_fixed_size: 0
    .kernarg_segment_align: 8
    .kernarg_segment_size: 128
    .language:       OpenCL C
    .language_version:
      - 2
      - 0
    .max_flat_workgroup_size: 256
    .name:           _ZN7rocprim17ROCPRIM_400000_NS6detail17trampoline_kernelINS0_14default_configENS1_33run_length_encode_config_selectorIijNS0_4plusIjEEEEZZNS1_33reduce_by_key_impl_wrapped_configILNS1_25lookback_scan_determinismE0ES3_S7_PKiNS0_17constant_iteratorIjlEEPiPlSF_S6_NS0_8equal_toIiEEEE10hipError_tPvRmT2_T3_mT4_T5_T6_T7_T8_P12ihipStream_tbENKUlT_T0_E_clISt17integral_constantIbLb0EESZ_EEDaSU_SV_EUlSU_E_NS1_11comp_targetILNS1_3genE3ELNS1_11target_archE908ELNS1_3gpuE7ELNS1_3repE0EEENS1_30default_config_static_selectorELNS0_4arch9wavefront6targetE1EEEvT1_
    .private_segment_fixed_size: 0
    .sgpr_count:     4
    .sgpr_spill_count: 0
    .symbol:         _ZN7rocprim17ROCPRIM_400000_NS6detail17trampoline_kernelINS0_14default_configENS1_33run_length_encode_config_selectorIijNS0_4plusIjEEEEZZNS1_33reduce_by_key_impl_wrapped_configILNS1_25lookback_scan_determinismE0ES3_S7_PKiNS0_17constant_iteratorIjlEEPiPlSF_S6_NS0_8equal_toIiEEEE10hipError_tPvRmT2_T3_mT4_T5_T6_T7_T8_P12ihipStream_tbENKUlT_T0_E_clISt17integral_constantIbLb0EESZ_EEDaSU_SV_EUlSU_E_NS1_11comp_targetILNS1_3genE3ELNS1_11target_archE908ELNS1_3gpuE7ELNS1_3repE0EEENS1_30default_config_static_selectorELNS0_4arch9wavefront6targetE1EEEvT1_.kd
    .uniform_work_group_size: 1
    .uses_dynamic_stack: false
    .vgpr_count:     0
    .vgpr_spill_count: 0
    .wavefront_size: 64
  - .agpr_count:     0
    .args:
      - .offset:         0
        .size:           128
        .value_kind:     by_value
    .group_segment_fixed_size: 0
    .kernarg_segment_align: 8
    .kernarg_segment_size: 128
    .language:       OpenCL C
    .language_version:
      - 2
      - 0
    .max_flat_workgroup_size: 256
    .name:           _ZN7rocprim17ROCPRIM_400000_NS6detail17trampoline_kernelINS0_14default_configENS1_33run_length_encode_config_selectorIijNS0_4plusIjEEEEZZNS1_33reduce_by_key_impl_wrapped_configILNS1_25lookback_scan_determinismE0ES3_S7_PKiNS0_17constant_iteratorIjlEEPiPlSF_S6_NS0_8equal_toIiEEEE10hipError_tPvRmT2_T3_mT4_T5_T6_T7_T8_P12ihipStream_tbENKUlT_T0_E_clISt17integral_constantIbLb0EESZ_EEDaSU_SV_EUlSU_E_NS1_11comp_targetILNS1_3genE2ELNS1_11target_archE906ELNS1_3gpuE6ELNS1_3repE0EEENS1_30default_config_static_selectorELNS0_4arch9wavefront6targetE1EEEvT1_
    .private_segment_fixed_size: 0
    .sgpr_count:     4
    .sgpr_spill_count: 0
    .symbol:         _ZN7rocprim17ROCPRIM_400000_NS6detail17trampoline_kernelINS0_14default_configENS1_33run_length_encode_config_selectorIijNS0_4plusIjEEEEZZNS1_33reduce_by_key_impl_wrapped_configILNS1_25lookback_scan_determinismE0ES3_S7_PKiNS0_17constant_iteratorIjlEEPiPlSF_S6_NS0_8equal_toIiEEEE10hipError_tPvRmT2_T3_mT4_T5_T6_T7_T8_P12ihipStream_tbENKUlT_T0_E_clISt17integral_constantIbLb0EESZ_EEDaSU_SV_EUlSU_E_NS1_11comp_targetILNS1_3genE2ELNS1_11target_archE906ELNS1_3gpuE6ELNS1_3repE0EEENS1_30default_config_static_selectorELNS0_4arch9wavefront6targetE1EEEvT1_.kd
    .uniform_work_group_size: 1
    .uses_dynamic_stack: false
    .vgpr_count:     0
    .vgpr_spill_count: 0
    .wavefront_size: 64
  - .agpr_count:     0
    .args:
      - .offset:         0
        .size:           128
        .value_kind:     by_value
    .group_segment_fixed_size: 0
    .kernarg_segment_align: 8
    .kernarg_segment_size: 128
    .language:       OpenCL C
    .language_version:
      - 2
      - 0
    .max_flat_workgroup_size: 384
    .name:           _ZN7rocprim17ROCPRIM_400000_NS6detail17trampoline_kernelINS0_14default_configENS1_33run_length_encode_config_selectorIijNS0_4plusIjEEEEZZNS1_33reduce_by_key_impl_wrapped_configILNS1_25lookback_scan_determinismE0ES3_S7_PKiNS0_17constant_iteratorIjlEEPiPlSF_S6_NS0_8equal_toIiEEEE10hipError_tPvRmT2_T3_mT4_T5_T6_T7_T8_P12ihipStream_tbENKUlT_T0_E_clISt17integral_constantIbLb0EESZ_EEDaSU_SV_EUlSU_E_NS1_11comp_targetILNS1_3genE10ELNS1_11target_archE1201ELNS1_3gpuE5ELNS1_3repE0EEENS1_30default_config_static_selectorELNS0_4arch9wavefront6targetE1EEEvT1_
    .private_segment_fixed_size: 0
    .sgpr_count:     4
    .sgpr_spill_count: 0
    .symbol:         _ZN7rocprim17ROCPRIM_400000_NS6detail17trampoline_kernelINS0_14default_configENS1_33run_length_encode_config_selectorIijNS0_4plusIjEEEEZZNS1_33reduce_by_key_impl_wrapped_configILNS1_25lookback_scan_determinismE0ES3_S7_PKiNS0_17constant_iteratorIjlEEPiPlSF_S6_NS0_8equal_toIiEEEE10hipError_tPvRmT2_T3_mT4_T5_T6_T7_T8_P12ihipStream_tbENKUlT_T0_E_clISt17integral_constantIbLb0EESZ_EEDaSU_SV_EUlSU_E_NS1_11comp_targetILNS1_3genE10ELNS1_11target_archE1201ELNS1_3gpuE5ELNS1_3repE0EEENS1_30default_config_static_selectorELNS0_4arch9wavefront6targetE1EEEvT1_.kd
    .uniform_work_group_size: 1
    .uses_dynamic_stack: false
    .vgpr_count:     0
    .vgpr_spill_count: 0
    .wavefront_size: 64
  - .agpr_count:     0
    .args:
      - .offset:         0
        .size:           128
        .value_kind:     by_value
    .group_segment_fixed_size: 0
    .kernarg_segment_align: 8
    .kernarg_segment_size: 128
    .language:       OpenCL C
    .language_version:
      - 2
      - 0
    .max_flat_workgroup_size: 256
    .name:           _ZN7rocprim17ROCPRIM_400000_NS6detail17trampoline_kernelINS0_14default_configENS1_33run_length_encode_config_selectorIijNS0_4plusIjEEEEZZNS1_33reduce_by_key_impl_wrapped_configILNS1_25lookback_scan_determinismE0ES3_S7_PKiNS0_17constant_iteratorIjlEEPiPlSF_S6_NS0_8equal_toIiEEEE10hipError_tPvRmT2_T3_mT4_T5_T6_T7_T8_P12ihipStream_tbENKUlT_T0_E_clISt17integral_constantIbLb0EESZ_EEDaSU_SV_EUlSU_E_NS1_11comp_targetILNS1_3genE10ELNS1_11target_archE1200ELNS1_3gpuE4ELNS1_3repE0EEENS1_30default_config_static_selectorELNS0_4arch9wavefront6targetE1EEEvT1_
    .private_segment_fixed_size: 0
    .sgpr_count:     4
    .sgpr_spill_count: 0
    .symbol:         _ZN7rocprim17ROCPRIM_400000_NS6detail17trampoline_kernelINS0_14default_configENS1_33run_length_encode_config_selectorIijNS0_4plusIjEEEEZZNS1_33reduce_by_key_impl_wrapped_configILNS1_25lookback_scan_determinismE0ES3_S7_PKiNS0_17constant_iteratorIjlEEPiPlSF_S6_NS0_8equal_toIiEEEE10hipError_tPvRmT2_T3_mT4_T5_T6_T7_T8_P12ihipStream_tbENKUlT_T0_E_clISt17integral_constantIbLb0EESZ_EEDaSU_SV_EUlSU_E_NS1_11comp_targetILNS1_3genE10ELNS1_11target_archE1200ELNS1_3gpuE4ELNS1_3repE0EEENS1_30default_config_static_selectorELNS0_4arch9wavefront6targetE1EEEvT1_.kd
    .uniform_work_group_size: 1
    .uses_dynamic_stack: false
    .vgpr_count:     0
    .vgpr_spill_count: 0
    .wavefront_size: 64
  - .agpr_count:     0
    .args:
      - .offset:         0
        .size:           128
        .value_kind:     by_value
    .group_segment_fixed_size: 0
    .kernarg_segment_align: 8
    .kernarg_segment_size: 128
    .language:       OpenCL C
    .language_version:
      - 2
      - 0
    .max_flat_workgroup_size: 512
    .name:           _ZN7rocprim17ROCPRIM_400000_NS6detail17trampoline_kernelINS0_14default_configENS1_33run_length_encode_config_selectorIijNS0_4plusIjEEEEZZNS1_33reduce_by_key_impl_wrapped_configILNS1_25lookback_scan_determinismE0ES3_S7_PKiNS0_17constant_iteratorIjlEEPiPlSF_S6_NS0_8equal_toIiEEEE10hipError_tPvRmT2_T3_mT4_T5_T6_T7_T8_P12ihipStream_tbENKUlT_T0_E_clISt17integral_constantIbLb0EESZ_EEDaSU_SV_EUlSU_E_NS1_11comp_targetILNS1_3genE9ELNS1_11target_archE1100ELNS1_3gpuE3ELNS1_3repE0EEENS1_30default_config_static_selectorELNS0_4arch9wavefront6targetE1EEEvT1_
    .private_segment_fixed_size: 0
    .sgpr_count:     4
    .sgpr_spill_count: 0
    .symbol:         _ZN7rocprim17ROCPRIM_400000_NS6detail17trampoline_kernelINS0_14default_configENS1_33run_length_encode_config_selectorIijNS0_4plusIjEEEEZZNS1_33reduce_by_key_impl_wrapped_configILNS1_25lookback_scan_determinismE0ES3_S7_PKiNS0_17constant_iteratorIjlEEPiPlSF_S6_NS0_8equal_toIiEEEE10hipError_tPvRmT2_T3_mT4_T5_T6_T7_T8_P12ihipStream_tbENKUlT_T0_E_clISt17integral_constantIbLb0EESZ_EEDaSU_SV_EUlSU_E_NS1_11comp_targetILNS1_3genE9ELNS1_11target_archE1100ELNS1_3gpuE3ELNS1_3repE0EEENS1_30default_config_static_selectorELNS0_4arch9wavefront6targetE1EEEvT1_.kd
    .uniform_work_group_size: 1
    .uses_dynamic_stack: false
    .vgpr_count:     0
    .vgpr_spill_count: 0
    .wavefront_size: 64
  - .agpr_count:     0
    .args:
      - .offset:         0
        .size:           128
        .value_kind:     by_value
    .group_segment_fixed_size: 0
    .kernarg_segment_align: 8
    .kernarg_segment_size: 128
    .language:       OpenCL C
    .language_version:
      - 2
      - 0
    .max_flat_workgroup_size: 192
    .name:           _ZN7rocprim17ROCPRIM_400000_NS6detail17trampoline_kernelINS0_14default_configENS1_33run_length_encode_config_selectorIijNS0_4plusIjEEEEZZNS1_33reduce_by_key_impl_wrapped_configILNS1_25lookback_scan_determinismE0ES3_S7_PKiNS0_17constant_iteratorIjlEEPiPlSF_S6_NS0_8equal_toIiEEEE10hipError_tPvRmT2_T3_mT4_T5_T6_T7_T8_P12ihipStream_tbENKUlT_T0_E_clISt17integral_constantIbLb0EESZ_EEDaSU_SV_EUlSU_E_NS1_11comp_targetILNS1_3genE8ELNS1_11target_archE1030ELNS1_3gpuE2ELNS1_3repE0EEENS1_30default_config_static_selectorELNS0_4arch9wavefront6targetE1EEEvT1_
    .private_segment_fixed_size: 0
    .sgpr_count:     4
    .sgpr_spill_count: 0
    .symbol:         _ZN7rocprim17ROCPRIM_400000_NS6detail17trampoline_kernelINS0_14default_configENS1_33run_length_encode_config_selectorIijNS0_4plusIjEEEEZZNS1_33reduce_by_key_impl_wrapped_configILNS1_25lookback_scan_determinismE0ES3_S7_PKiNS0_17constant_iteratorIjlEEPiPlSF_S6_NS0_8equal_toIiEEEE10hipError_tPvRmT2_T3_mT4_T5_T6_T7_T8_P12ihipStream_tbENKUlT_T0_E_clISt17integral_constantIbLb0EESZ_EEDaSU_SV_EUlSU_E_NS1_11comp_targetILNS1_3genE8ELNS1_11target_archE1030ELNS1_3gpuE2ELNS1_3repE0EEENS1_30default_config_static_selectorELNS0_4arch9wavefront6targetE1EEEvT1_.kd
    .uniform_work_group_size: 1
    .uses_dynamic_stack: false
    .vgpr_count:     0
    .vgpr_spill_count: 0
    .wavefront_size: 64
  - .agpr_count:     0
    .args:
      - .offset:         0
        .size:           128
        .value_kind:     by_value
    .group_segment_fixed_size: 0
    .kernarg_segment_align: 8
    .kernarg_segment_size: 128
    .language:       OpenCL C
    .language_version:
      - 2
      - 0
    .max_flat_workgroup_size: 256
    .name:           _ZN7rocprim17ROCPRIM_400000_NS6detail17trampoline_kernelINS0_14default_configENS1_33run_length_encode_config_selectorIijNS0_4plusIjEEEEZZNS1_33reduce_by_key_impl_wrapped_configILNS1_25lookback_scan_determinismE0ES3_S7_PKiNS0_17constant_iteratorIjlEEPiPlSF_S6_NS0_8equal_toIiEEEE10hipError_tPvRmT2_T3_mT4_T5_T6_T7_T8_P12ihipStream_tbENKUlT_T0_E_clISt17integral_constantIbLb1EESZ_EEDaSU_SV_EUlSU_E_NS1_11comp_targetILNS1_3genE0ELNS1_11target_archE4294967295ELNS1_3gpuE0ELNS1_3repE0EEENS1_30default_config_static_selectorELNS0_4arch9wavefront6targetE1EEEvT1_
    .private_segment_fixed_size: 0
    .sgpr_count:     4
    .sgpr_spill_count: 0
    .symbol:         _ZN7rocprim17ROCPRIM_400000_NS6detail17trampoline_kernelINS0_14default_configENS1_33run_length_encode_config_selectorIijNS0_4plusIjEEEEZZNS1_33reduce_by_key_impl_wrapped_configILNS1_25lookback_scan_determinismE0ES3_S7_PKiNS0_17constant_iteratorIjlEEPiPlSF_S6_NS0_8equal_toIiEEEE10hipError_tPvRmT2_T3_mT4_T5_T6_T7_T8_P12ihipStream_tbENKUlT_T0_E_clISt17integral_constantIbLb1EESZ_EEDaSU_SV_EUlSU_E_NS1_11comp_targetILNS1_3genE0ELNS1_11target_archE4294967295ELNS1_3gpuE0ELNS1_3repE0EEENS1_30default_config_static_selectorELNS0_4arch9wavefront6targetE1EEEvT1_.kd
    .uniform_work_group_size: 1
    .uses_dynamic_stack: false
    .vgpr_count:     0
    .vgpr_spill_count: 0
    .wavefront_size: 64
  - .agpr_count:     0
    .args:
      - .offset:         0
        .size:           128
        .value_kind:     by_value
    .group_segment_fixed_size: 0
    .kernarg_segment_align: 8
    .kernarg_segment_size: 128
    .language:       OpenCL C
    .language_version:
      - 2
      - 0
    .max_flat_workgroup_size: 512
    .name:           _ZN7rocprim17ROCPRIM_400000_NS6detail17trampoline_kernelINS0_14default_configENS1_33run_length_encode_config_selectorIijNS0_4plusIjEEEEZZNS1_33reduce_by_key_impl_wrapped_configILNS1_25lookback_scan_determinismE0ES3_S7_PKiNS0_17constant_iteratorIjlEEPiPlSF_S6_NS0_8equal_toIiEEEE10hipError_tPvRmT2_T3_mT4_T5_T6_T7_T8_P12ihipStream_tbENKUlT_T0_E_clISt17integral_constantIbLb1EESZ_EEDaSU_SV_EUlSU_E_NS1_11comp_targetILNS1_3genE5ELNS1_11target_archE942ELNS1_3gpuE9ELNS1_3repE0EEENS1_30default_config_static_selectorELNS0_4arch9wavefront6targetE1EEEvT1_
    .private_segment_fixed_size: 0
    .sgpr_count:     4
    .sgpr_spill_count: 0
    .symbol:         _ZN7rocprim17ROCPRIM_400000_NS6detail17trampoline_kernelINS0_14default_configENS1_33run_length_encode_config_selectorIijNS0_4plusIjEEEEZZNS1_33reduce_by_key_impl_wrapped_configILNS1_25lookback_scan_determinismE0ES3_S7_PKiNS0_17constant_iteratorIjlEEPiPlSF_S6_NS0_8equal_toIiEEEE10hipError_tPvRmT2_T3_mT4_T5_T6_T7_T8_P12ihipStream_tbENKUlT_T0_E_clISt17integral_constantIbLb1EESZ_EEDaSU_SV_EUlSU_E_NS1_11comp_targetILNS1_3genE5ELNS1_11target_archE942ELNS1_3gpuE9ELNS1_3repE0EEENS1_30default_config_static_selectorELNS0_4arch9wavefront6targetE1EEEvT1_.kd
    .uniform_work_group_size: 1
    .uses_dynamic_stack: false
    .vgpr_count:     0
    .vgpr_spill_count: 0
    .wavefront_size: 64
  - .agpr_count:     0
    .args:
      - .offset:         0
        .size:           128
        .value_kind:     by_value
    .group_segment_fixed_size: 15360
    .kernarg_segment_align: 8
    .kernarg_segment_size: 128
    .language:       OpenCL C
    .language_version:
      - 2
      - 0
    .max_flat_workgroup_size: 256
    .name:           _ZN7rocprim17ROCPRIM_400000_NS6detail17trampoline_kernelINS0_14default_configENS1_33run_length_encode_config_selectorIijNS0_4plusIjEEEEZZNS1_33reduce_by_key_impl_wrapped_configILNS1_25lookback_scan_determinismE0ES3_S7_PKiNS0_17constant_iteratorIjlEEPiPlSF_S6_NS0_8equal_toIiEEEE10hipError_tPvRmT2_T3_mT4_T5_T6_T7_T8_P12ihipStream_tbENKUlT_T0_E_clISt17integral_constantIbLb1EESZ_EEDaSU_SV_EUlSU_E_NS1_11comp_targetILNS1_3genE4ELNS1_11target_archE910ELNS1_3gpuE8ELNS1_3repE0EEENS1_30default_config_static_selectorELNS0_4arch9wavefront6targetE1EEEvT1_
    .private_segment_fixed_size: 0
    .sgpr_count:     70
    .sgpr_spill_count: 0
    .symbol:         _ZN7rocprim17ROCPRIM_400000_NS6detail17trampoline_kernelINS0_14default_configENS1_33run_length_encode_config_selectorIijNS0_4plusIjEEEEZZNS1_33reduce_by_key_impl_wrapped_configILNS1_25lookback_scan_determinismE0ES3_S7_PKiNS0_17constant_iteratorIjlEEPiPlSF_S6_NS0_8equal_toIiEEEE10hipError_tPvRmT2_T3_mT4_T5_T6_T7_T8_P12ihipStream_tbENKUlT_T0_E_clISt17integral_constantIbLb1EESZ_EEDaSU_SV_EUlSU_E_NS1_11comp_targetILNS1_3genE4ELNS1_11target_archE910ELNS1_3gpuE8ELNS1_3repE0EEENS1_30default_config_static_selectorELNS0_4arch9wavefront6targetE1EEEvT1_.kd
    .uniform_work_group_size: 1
    .uses_dynamic_stack: false
    .vgpr_count:     104
    .vgpr_spill_count: 0
    .wavefront_size: 64
  - .agpr_count:     0
    .args:
      - .offset:         0
        .size:           128
        .value_kind:     by_value
    .group_segment_fixed_size: 0
    .kernarg_segment_align: 8
    .kernarg_segment_size: 128
    .language:       OpenCL C
    .language_version:
      - 2
      - 0
    .max_flat_workgroup_size: 256
    .name:           _ZN7rocprim17ROCPRIM_400000_NS6detail17trampoline_kernelINS0_14default_configENS1_33run_length_encode_config_selectorIijNS0_4plusIjEEEEZZNS1_33reduce_by_key_impl_wrapped_configILNS1_25lookback_scan_determinismE0ES3_S7_PKiNS0_17constant_iteratorIjlEEPiPlSF_S6_NS0_8equal_toIiEEEE10hipError_tPvRmT2_T3_mT4_T5_T6_T7_T8_P12ihipStream_tbENKUlT_T0_E_clISt17integral_constantIbLb1EESZ_EEDaSU_SV_EUlSU_E_NS1_11comp_targetILNS1_3genE3ELNS1_11target_archE908ELNS1_3gpuE7ELNS1_3repE0EEENS1_30default_config_static_selectorELNS0_4arch9wavefront6targetE1EEEvT1_
    .private_segment_fixed_size: 0
    .sgpr_count:     4
    .sgpr_spill_count: 0
    .symbol:         _ZN7rocprim17ROCPRIM_400000_NS6detail17trampoline_kernelINS0_14default_configENS1_33run_length_encode_config_selectorIijNS0_4plusIjEEEEZZNS1_33reduce_by_key_impl_wrapped_configILNS1_25lookback_scan_determinismE0ES3_S7_PKiNS0_17constant_iteratorIjlEEPiPlSF_S6_NS0_8equal_toIiEEEE10hipError_tPvRmT2_T3_mT4_T5_T6_T7_T8_P12ihipStream_tbENKUlT_T0_E_clISt17integral_constantIbLb1EESZ_EEDaSU_SV_EUlSU_E_NS1_11comp_targetILNS1_3genE3ELNS1_11target_archE908ELNS1_3gpuE7ELNS1_3repE0EEENS1_30default_config_static_selectorELNS0_4arch9wavefront6targetE1EEEvT1_.kd
    .uniform_work_group_size: 1
    .uses_dynamic_stack: false
    .vgpr_count:     0
    .vgpr_spill_count: 0
    .wavefront_size: 64
  - .agpr_count:     0
    .args:
      - .offset:         0
        .size:           128
        .value_kind:     by_value
    .group_segment_fixed_size: 0
    .kernarg_segment_align: 8
    .kernarg_segment_size: 128
    .language:       OpenCL C
    .language_version:
      - 2
      - 0
    .max_flat_workgroup_size: 256
    .name:           _ZN7rocprim17ROCPRIM_400000_NS6detail17trampoline_kernelINS0_14default_configENS1_33run_length_encode_config_selectorIijNS0_4plusIjEEEEZZNS1_33reduce_by_key_impl_wrapped_configILNS1_25lookback_scan_determinismE0ES3_S7_PKiNS0_17constant_iteratorIjlEEPiPlSF_S6_NS0_8equal_toIiEEEE10hipError_tPvRmT2_T3_mT4_T5_T6_T7_T8_P12ihipStream_tbENKUlT_T0_E_clISt17integral_constantIbLb1EESZ_EEDaSU_SV_EUlSU_E_NS1_11comp_targetILNS1_3genE2ELNS1_11target_archE906ELNS1_3gpuE6ELNS1_3repE0EEENS1_30default_config_static_selectorELNS0_4arch9wavefront6targetE1EEEvT1_
    .private_segment_fixed_size: 0
    .sgpr_count:     4
    .sgpr_spill_count: 0
    .symbol:         _ZN7rocprim17ROCPRIM_400000_NS6detail17trampoline_kernelINS0_14default_configENS1_33run_length_encode_config_selectorIijNS0_4plusIjEEEEZZNS1_33reduce_by_key_impl_wrapped_configILNS1_25lookback_scan_determinismE0ES3_S7_PKiNS0_17constant_iteratorIjlEEPiPlSF_S6_NS0_8equal_toIiEEEE10hipError_tPvRmT2_T3_mT4_T5_T6_T7_T8_P12ihipStream_tbENKUlT_T0_E_clISt17integral_constantIbLb1EESZ_EEDaSU_SV_EUlSU_E_NS1_11comp_targetILNS1_3genE2ELNS1_11target_archE906ELNS1_3gpuE6ELNS1_3repE0EEENS1_30default_config_static_selectorELNS0_4arch9wavefront6targetE1EEEvT1_.kd
    .uniform_work_group_size: 1
    .uses_dynamic_stack: false
    .vgpr_count:     0
    .vgpr_spill_count: 0
    .wavefront_size: 64
  - .agpr_count:     0
    .args:
      - .offset:         0
        .size:           128
        .value_kind:     by_value
    .group_segment_fixed_size: 0
    .kernarg_segment_align: 8
    .kernarg_segment_size: 128
    .language:       OpenCL C
    .language_version:
      - 2
      - 0
    .max_flat_workgroup_size: 384
    .name:           _ZN7rocprim17ROCPRIM_400000_NS6detail17trampoline_kernelINS0_14default_configENS1_33run_length_encode_config_selectorIijNS0_4plusIjEEEEZZNS1_33reduce_by_key_impl_wrapped_configILNS1_25lookback_scan_determinismE0ES3_S7_PKiNS0_17constant_iteratorIjlEEPiPlSF_S6_NS0_8equal_toIiEEEE10hipError_tPvRmT2_T3_mT4_T5_T6_T7_T8_P12ihipStream_tbENKUlT_T0_E_clISt17integral_constantIbLb1EESZ_EEDaSU_SV_EUlSU_E_NS1_11comp_targetILNS1_3genE10ELNS1_11target_archE1201ELNS1_3gpuE5ELNS1_3repE0EEENS1_30default_config_static_selectorELNS0_4arch9wavefront6targetE1EEEvT1_
    .private_segment_fixed_size: 0
    .sgpr_count:     4
    .sgpr_spill_count: 0
    .symbol:         _ZN7rocprim17ROCPRIM_400000_NS6detail17trampoline_kernelINS0_14default_configENS1_33run_length_encode_config_selectorIijNS0_4plusIjEEEEZZNS1_33reduce_by_key_impl_wrapped_configILNS1_25lookback_scan_determinismE0ES3_S7_PKiNS0_17constant_iteratorIjlEEPiPlSF_S6_NS0_8equal_toIiEEEE10hipError_tPvRmT2_T3_mT4_T5_T6_T7_T8_P12ihipStream_tbENKUlT_T0_E_clISt17integral_constantIbLb1EESZ_EEDaSU_SV_EUlSU_E_NS1_11comp_targetILNS1_3genE10ELNS1_11target_archE1201ELNS1_3gpuE5ELNS1_3repE0EEENS1_30default_config_static_selectorELNS0_4arch9wavefront6targetE1EEEvT1_.kd
    .uniform_work_group_size: 1
    .uses_dynamic_stack: false
    .vgpr_count:     0
    .vgpr_spill_count: 0
    .wavefront_size: 64
  - .agpr_count:     0
    .args:
      - .offset:         0
        .size:           128
        .value_kind:     by_value
    .group_segment_fixed_size: 0
    .kernarg_segment_align: 8
    .kernarg_segment_size: 128
    .language:       OpenCL C
    .language_version:
      - 2
      - 0
    .max_flat_workgroup_size: 256
    .name:           _ZN7rocprim17ROCPRIM_400000_NS6detail17trampoline_kernelINS0_14default_configENS1_33run_length_encode_config_selectorIijNS0_4plusIjEEEEZZNS1_33reduce_by_key_impl_wrapped_configILNS1_25lookback_scan_determinismE0ES3_S7_PKiNS0_17constant_iteratorIjlEEPiPlSF_S6_NS0_8equal_toIiEEEE10hipError_tPvRmT2_T3_mT4_T5_T6_T7_T8_P12ihipStream_tbENKUlT_T0_E_clISt17integral_constantIbLb1EESZ_EEDaSU_SV_EUlSU_E_NS1_11comp_targetILNS1_3genE10ELNS1_11target_archE1200ELNS1_3gpuE4ELNS1_3repE0EEENS1_30default_config_static_selectorELNS0_4arch9wavefront6targetE1EEEvT1_
    .private_segment_fixed_size: 0
    .sgpr_count:     4
    .sgpr_spill_count: 0
    .symbol:         _ZN7rocprim17ROCPRIM_400000_NS6detail17trampoline_kernelINS0_14default_configENS1_33run_length_encode_config_selectorIijNS0_4plusIjEEEEZZNS1_33reduce_by_key_impl_wrapped_configILNS1_25lookback_scan_determinismE0ES3_S7_PKiNS0_17constant_iteratorIjlEEPiPlSF_S6_NS0_8equal_toIiEEEE10hipError_tPvRmT2_T3_mT4_T5_T6_T7_T8_P12ihipStream_tbENKUlT_T0_E_clISt17integral_constantIbLb1EESZ_EEDaSU_SV_EUlSU_E_NS1_11comp_targetILNS1_3genE10ELNS1_11target_archE1200ELNS1_3gpuE4ELNS1_3repE0EEENS1_30default_config_static_selectorELNS0_4arch9wavefront6targetE1EEEvT1_.kd
    .uniform_work_group_size: 1
    .uses_dynamic_stack: false
    .vgpr_count:     0
    .vgpr_spill_count: 0
    .wavefront_size: 64
  - .agpr_count:     0
    .args:
      - .offset:         0
        .size:           128
        .value_kind:     by_value
    .group_segment_fixed_size: 0
    .kernarg_segment_align: 8
    .kernarg_segment_size: 128
    .language:       OpenCL C
    .language_version:
      - 2
      - 0
    .max_flat_workgroup_size: 512
    .name:           _ZN7rocprim17ROCPRIM_400000_NS6detail17trampoline_kernelINS0_14default_configENS1_33run_length_encode_config_selectorIijNS0_4plusIjEEEEZZNS1_33reduce_by_key_impl_wrapped_configILNS1_25lookback_scan_determinismE0ES3_S7_PKiNS0_17constant_iteratorIjlEEPiPlSF_S6_NS0_8equal_toIiEEEE10hipError_tPvRmT2_T3_mT4_T5_T6_T7_T8_P12ihipStream_tbENKUlT_T0_E_clISt17integral_constantIbLb1EESZ_EEDaSU_SV_EUlSU_E_NS1_11comp_targetILNS1_3genE9ELNS1_11target_archE1100ELNS1_3gpuE3ELNS1_3repE0EEENS1_30default_config_static_selectorELNS0_4arch9wavefront6targetE1EEEvT1_
    .private_segment_fixed_size: 0
    .sgpr_count:     4
    .sgpr_spill_count: 0
    .symbol:         _ZN7rocprim17ROCPRIM_400000_NS6detail17trampoline_kernelINS0_14default_configENS1_33run_length_encode_config_selectorIijNS0_4plusIjEEEEZZNS1_33reduce_by_key_impl_wrapped_configILNS1_25lookback_scan_determinismE0ES3_S7_PKiNS0_17constant_iteratorIjlEEPiPlSF_S6_NS0_8equal_toIiEEEE10hipError_tPvRmT2_T3_mT4_T5_T6_T7_T8_P12ihipStream_tbENKUlT_T0_E_clISt17integral_constantIbLb1EESZ_EEDaSU_SV_EUlSU_E_NS1_11comp_targetILNS1_3genE9ELNS1_11target_archE1100ELNS1_3gpuE3ELNS1_3repE0EEENS1_30default_config_static_selectorELNS0_4arch9wavefront6targetE1EEEvT1_.kd
    .uniform_work_group_size: 1
    .uses_dynamic_stack: false
    .vgpr_count:     0
    .vgpr_spill_count: 0
    .wavefront_size: 64
  - .agpr_count:     0
    .args:
      - .offset:         0
        .size:           128
        .value_kind:     by_value
    .group_segment_fixed_size: 0
    .kernarg_segment_align: 8
    .kernarg_segment_size: 128
    .language:       OpenCL C
    .language_version:
      - 2
      - 0
    .max_flat_workgroup_size: 192
    .name:           _ZN7rocprim17ROCPRIM_400000_NS6detail17trampoline_kernelINS0_14default_configENS1_33run_length_encode_config_selectorIijNS0_4plusIjEEEEZZNS1_33reduce_by_key_impl_wrapped_configILNS1_25lookback_scan_determinismE0ES3_S7_PKiNS0_17constant_iteratorIjlEEPiPlSF_S6_NS0_8equal_toIiEEEE10hipError_tPvRmT2_T3_mT4_T5_T6_T7_T8_P12ihipStream_tbENKUlT_T0_E_clISt17integral_constantIbLb1EESZ_EEDaSU_SV_EUlSU_E_NS1_11comp_targetILNS1_3genE8ELNS1_11target_archE1030ELNS1_3gpuE2ELNS1_3repE0EEENS1_30default_config_static_selectorELNS0_4arch9wavefront6targetE1EEEvT1_
    .private_segment_fixed_size: 0
    .sgpr_count:     4
    .sgpr_spill_count: 0
    .symbol:         _ZN7rocprim17ROCPRIM_400000_NS6detail17trampoline_kernelINS0_14default_configENS1_33run_length_encode_config_selectorIijNS0_4plusIjEEEEZZNS1_33reduce_by_key_impl_wrapped_configILNS1_25lookback_scan_determinismE0ES3_S7_PKiNS0_17constant_iteratorIjlEEPiPlSF_S6_NS0_8equal_toIiEEEE10hipError_tPvRmT2_T3_mT4_T5_T6_T7_T8_P12ihipStream_tbENKUlT_T0_E_clISt17integral_constantIbLb1EESZ_EEDaSU_SV_EUlSU_E_NS1_11comp_targetILNS1_3genE8ELNS1_11target_archE1030ELNS1_3gpuE2ELNS1_3repE0EEENS1_30default_config_static_selectorELNS0_4arch9wavefront6targetE1EEEvT1_.kd
    .uniform_work_group_size: 1
    .uses_dynamic_stack: false
    .vgpr_count:     0
    .vgpr_spill_count: 0
    .wavefront_size: 64
  - .agpr_count:     0
    .args:
      - .offset:         0
        .size:           128
        .value_kind:     by_value
    .group_segment_fixed_size: 0
    .kernarg_segment_align: 8
    .kernarg_segment_size: 128
    .language:       OpenCL C
    .language_version:
      - 2
      - 0
    .max_flat_workgroup_size: 256
    .name:           _ZN7rocprim17ROCPRIM_400000_NS6detail17trampoline_kernelINS0_14default_configENS1_33run_length_encode_config_selectorIijNS0_4plusIjEEEEZZNS1_33reduce_by_key_impl_wrapped_configILNS1_25lookback_scan_determinismE0ES3_S7_PKiNS0_17constant_iteratorIjlEEPiPlSF_S6_NS0_8equal_toIiEEEE10hipError_tPvRmT2_T3_mT4_T5_T6_T7_T8_P12ihipStream_tbENKUlT_T0_E_clISt17integral_constantIbLb1EESY_IbLb0EEEEDaSU_SV_EUlSU_E_NS1_11comp_targetILNS1_3genE0ELNS1_11target_archE4294967295ELNS1_3gpuE0ELNS1_3repE0EEENS1_30default_config_static_selectorELNS0_4arch9wavefront6targetE1EEEvT1_
    .private_segment_fixed_size: 0
    .sgpr_count:     4
    .sgpr_spill_count: 0
    .symbol:         _ZN7rocprim17ROCPRIM_400000_NS6detail17trampoline_kernelINS0_14default_configENS1_33run_length_encode_config_selectorIijNS0_4plusIjEEEEZZNS1_33reduce_by_key_impl_wrapped_configILNS1_25lookback_scan_determinismE0ES3_S7_PKiNS0_17constant_iteratorIjlEEPiPlSF_S6_NS0_8equal_toIiEEEE10hipError_tPvRmT2_T3_mT4_T5_T6_T7_T8_P12ihipStream_tbENKUlT_T0_E_clISt17integral_constantIbLb1EESY_IbLb0EEEEDaSU_SV_EUlSU_E_NS1_11comp_targetILNS1_3genE0ELNS1_11target_archE4294967295ELNS1_3gpuE0ELNS1_3repE0EEENS1_30default_config_static_selectorELNS0_4arch9wavefront6targetE1EEEvT1_.kd
    .uniform_work_group_size: 1
    .uses_dynamic_stack: false
    .vgpr_count:     0
    .vgpr_spill_count: 0
    .wavefront_size: 64
  - .agpr_count:     0
    .args:
      - .offset:         0
        .size:           128
        .value_kind:     by_value
    .group_segment_fixed_size: 0
    .kernarg_segment_align: 8
    .kernarg_segment_size: 128
    .language:       OpenCL C
    .language_version:
      - 2
      - 0
    .max_flat_workgroup_size: 512
    .name:           _ZN7rocprim17ROCPRIM_400000_NS6detail17trampoline_kernelINS0_14default_configENS1_33run_length_encode_config_selectorIijNS0_4plusIjEEEEZZNS1_33reduce_by_key_impl_wrapped_configILNS1_25lookback_scan_determinismE0ES3_S7_PKiNS0_17constant_iteratorIjlEEPiPlSF_S6_NS0_8equal_toIiEEEE10hipError_tPvRmT2_T3_mT4_T5_T6_T7_T8_P12ihipStream_tbENKUlT_T0_E_clISt17integral_constantIbLb1EESY_IbLb0EEEEDaSU_SV_EUlSU_E_NS1_11comp_targetILNS1_3genE5ELNS1_11target_archE942ELNS1_3gpuE9ELNS1_3repE0EEENS1_30default_config_static_selectorELNS0_4arch9wavefront6targetE1EEEvT1_
    .private_segment_fixed_size: 0
    .sgpr_count:     4
    .sgpr_spill_count: 0
    .symbol:         _ZN7rocprim17ROCPRIM_400000_NS6detail17trampoline_kernelINS0_14default_configENS1_33run_length_encode_config_selectorIijNS0_4plusIjEEEEZZNS1_33reduce_by_key_impl_wrapped_configILNS1_25lookback_scan_determinismE0ES3_S7_PKiNS0_17constant_iteratorIjlEEPiPlSF_S6_NS0_8equal_toIiEEEE10hipError_tPvRmT2_T3_mT4_T5_T6_T7_T8_P12ihipStream_tbENKUlT_T0_E_clISt17integral_constantIbLb1EESY_IbLb0EEEEDaSU_SV_EUlSU_E_NS1_11comp_targetILNS1_3genE5ELNS1_11target_archE942ELNS1_3gpuE9ELNS1_3repE0EEENS1_30default_config_static_selectorELNS0_4arch9wavefront6targetE1EEEvT1_.kd
    .uniform_work_group_size: 1
    .uses_dynamic_stack: false
    .vgpr_count:     0
    .vgpr_spill_count: 0
    .wavefront_size: 64
  - .agpr_count:     0
    .args:
      - .offset:         0
        .size:           128
        .value_kind:     by_value
    .group_segment_fixed_size: 15360
    .kernarg_segment_align: 8
    .kernarg_segment_size: 128
    .language:       OpenCL C
    .language_version:
      - 2
      - 0
    .max_flat_workgroup_size: 256
    .name:           _ZN7rocprim17ROCPRIM_400000_NS6detail17trampoline_kernelINS0_14default_configENS1_33run_length_encode_config_selectorIijNS0_4plusIjEEEEZZNS1_33reduce_by_key_impl_wrapped_configILNS1_25lookback_scan_determinismE0ES3_S7_PKiNS0_17constant_iteratorIjlEEPiPlSF_S6_NS0_8equal_toIiEEEE10hipError_tPvRmT2_T3_mT4_T5_T6_T7_T8_P12ihipStream_tbENKUlT_T0_E_clISt17integral_constantIbLb1EESY_IbLb0EEEEDaSU_SV_EUlSU_E_NS1_11comp_targetILNS1_3genE4ELNS1_11target_archE910ELNS1_3gpuE8ELNS1_3repE0EEENS1_30default_config_static_selectorELNS0_4arch9wavefront6targetE1EEEvT1_
    .private_segment_fixed_size: 0
    .sgpr_count:     68
    .sgpr_spill_count: 0
    .symbol:         _ZN7rocprim17ROCPRIM_400000_NS6detail17trampoline_kernelINS0_14default_configENS1_33run_length_encode_config_selectorIijNS0_4plusIjEEEEZZNS1_33reduce_by_key_impl_wrapped_configILNS1_25lookback_scan_determinismE0ES3_S7_PKiNS0_17constant_iteratorIjlEEPiPlSF_S6_NS0_8equal_toIiEEEE10hipError_tPvRmT2_T3_mT4_T5_T6_T7_T8_P12ihipStream_tbENKUlT_T0_E_clISt17integral_constantIbLb1EESY_IbLb0EEEEDaSU_SV_EUlSU_E_NS1_11comp_targetILNS1_3genE4ELNS1_11target_archE910ELNS1_3gpuE8ELNS1_3repE0EEENS1_30default_config_static_selectorELNS0_4arch9wavefront6targetE1EEEvT1_.kd
    .uniform_work_group_size: 1
    .uses_dynamic_stack: false
    .vgpr_count:     104
    .vgpr_spill_count: 0
    .wavefront_size: 64
  - .agpr_count:     0
    .args:
      - .offset:         0
        .size:           128
        .value_kind:     by_value
    .group_segment_fixed_size: 0
    .kernarg_segment_align: 8
    .kernarg_segment_size: 128
    .language:       OpenCL C
    .language_version:
      - 2
      - 0
    .max_flat_workgroup_size: 256
    .name:           _ZN7rocprim17ROCPRIM_400000_NS6detail17trampoline_kernelINS0_14default_configENS1_33run_length_encode_config_selectorIijNS0_4plusIjEEEEZZNS1_33reduce_by_key_impl_wrapped_configILNS1_25lookback_scan_determinismE0ES3_S7_PKiNS0_17constant_iteratorIjlEEPiPlSF_S6_NS0_8equal_toIiEEEE10hipError_tPvRmT2_T3_mT4_T5_T6_T7_T8_P12ihipStream_tbENKUlT_T0_E_clISt17integral_constantIbLb1EESY_IbLb0EEEEDaSU_SV_EUlSU_E_NS1_11comp_targetILNS1_3genE3ELNS1_11target_archE908ELNS1_3gpuE7ELNS1_3repE0EEENS1_30default_config_static_selectorELNS0_4arch9wavefront6targetE1EEEvT1_
    .private_segment_fixed_size: 0
    .sgpr_count:     4
    .sgpr_spill_count: 0
    .symbol:         _ZN7rocprim17ROCPRIM_400000_NS6detail17trampoline_kernelINS0_14default_configENS1_33run_length_encode_config_selectorIijNS0_4plusIjEEEEZZNS1_33reduce_by_key_impl_wrapped_configILNS1_25lookback_scan_determinismE0ES3_S7_PKiNS0_17constant_iteratorIjlEEPiPlSF_S6_NS0_8equal_toIiEEEE10hipError_tPvRmT2_T3_mT4_T5_T6_T7_T8_P12ihipStream_tbENKUlT_T0_E_clISt17integral_constantIbLb1EESY_IbLb0EEEEDaSU_SV_EUlSU_E_NS1_11comp_targetILNS1_3genE3ELNS1_11target_archE908ELNS1_3gpuE7ELNS1_3repE0EEENS1_30default_config_static_selectorELNS0_4arch9wavefront6targetE1EEEvT1_.kd
    .uniform_work_group_size: 1
    .uses_dynamic_stack: false
    .vgpr_count:     0
    .vgpr_spill_count: 0
    .wavefront_size: 64
  - .agpr_count:     0
    .args:
      - .offset:         0
        .size:           128
        .value_kind:     by_value
    .group_segment_fixed_size: 0
    .kernarg_segment_align: 8
    .kernarg_segment_size: 128
    .language:       OpenCL C
    .language_version:
      - 2
      - 0
    .max_flat_workgroup_size: 256
    .name:           _ZN7rocprim17ROCPRIM_400000_NS6detail17trampoline_kernelINS0_14default_configENS1_33run_length_encode_config_selectorIijNS0_4plusIjEEEEZZNS1_33reduce_by_key_impl_wrapped_configILNS1_25lookback_scan_determinismE0ES3_S7_PKiNS0_17constant_iteratorIjlEEPiPlSF_S6_NS0_8equal_toIiEEEE10hipError_tPvRmT2_T3_mT4_T5_T6_T7_T8_P12ihipStream_tbENKUlT_T0_E_clISt17integral_constantIbLb1EESY_IbLb0EEEEDaSU_SV_EUlSU_E_NS1_11comp_targetILNS1_3genE2ELNS1_11target_archE906ELNS1_3gpuE6ELNS1_3repE0EEENS1_30default_config_static_selectorELNS0_4arch9wavefront6targetE1EEEvT1_
    .private_segment_fixed_size: 0
    .sgpr_count:     4
    .sgpr_spill_count: 0
    .symbol:         _ZN7rocprim17ROCPRIM_400000_NS6detail17trampoline_kernelINS0_14default_configENS1_33run_length_encode_config_selectorIijNS0_4plusIjEEEEZZNS1_33reduce_by_key_impl_wrapped_configILNS1_25lookback_scan_determinismE0ES3_S7_PKiNS0_17constant_iteratorIjlEEPiPlSF_S6_NS0_8equal_toIiEEEE10hipError_tPvRmT2_T3_mT4_T5_T6_T7_T8_P12ihipStream_tbENKUlT_T0_E_clISt17integral_constantIbLb1EESY_IbLb0EEEEDaSU_SV_EUlSU_E_NS1_11comp_targetILNS1_3genE2ELNS1_11target_archE906ELNS1_3gpuE6ELNS1_3repE0EEENS1_30default_config_static_selectorELNS0_4arch9wavefront6targetE1EEEvT1_.kd
    .uniform_work_group_size: 1
    .uses_dynamic_stack: false
    .vgpr_count:     0
    .vgpr_spill_count: 0
    .wavefront_size: 64
  - .agpr_count:     0
    .args:
      - .offset:         0
        .size:           128
        .value_kind:     by_value
    .group_segment_fixed_size: 0
    .kernarg_segment_align: 8
    .kernarg_segment_size: 128
    .language:       OpenCL C
    .language_version:
      - 2
      - 0
    .max_flat_workgroup_size: 384
    .name:           _ZN7rocprim17ROCPRIM_400000_NS6detail17trampoline_kernelINS0_14default_configENS1_33run_length_encode_config_selectorIijNS0_4plusIjEEEEZZNS1_33reduce_by_key_impl_wrapped_configILNS1_25lookback_scan_determinismE0ES3_S7_PKiNS0_17constant_iteratorIjlEEPiPlSF_S6_NS0_8equal_toIiEEEE10hipError_tPvRmT2_T3_mT4_T5_T6_T7_T8_P12ihipStream_tbENKUlT_T0_E_clISt17integral_constantIbLb1EESY_IbLb0EEEEDaSU_SV_EUlSU_E_NS1_11comp_targetILNS1_3genE10ELNS1_11target_archE1201ELNS1_3gpuE5ELNS1_3repE0EEENS1_30default_config_static_selectorELNS0_4arch9wavefront6targetE1EEEvT1_
    .private_segment_fixed_size: 0
    .sgpr_count:     4
    .sgpr_spill_count: 0
    .symbol:         _ZN7rocprim17ROCPRIM_400000_NS6detail17trampoline_kernelINS0_14default_configENS1_33run_length_encode_config_selectorIijNS0_4plusIjEEEEZZNS1_33reduce_by_key_impl_wrapped_configILNS1_25lookback_scan_determinismE0ES3_S7_PKiNS0_17constant_iteratorIjlEEPiPlSF_S6_NS0_8equal_toIiEEEE10hipError_tPvRmT2_T3_mT4_T5_T6_T7_T8_P12ihipStream_tbENKUlT_T0_E_clISt17integral_constantIbLb1EESY_IbLb0EEEEDaSU_SV_EUlSU_E_NS1_11comp_targetILNS1_3genE10ELNS1_11target_archE1201ELNS1_3gpuE5ELNS1_3repE0EEENS1_30default_config_static_selectorELNS0_4arch9wavefront6targetE1EEEvT1_.kd
    .uniform_work_group_size: 1
    .uses_dynamic_stack: false
    .vgpr_count:     0
    .vgpr_spill_count: 0
    .wavefront_size: 64
  - .agpr_count:     0
    .args:
      - .offset:         0
        .size:           128
        .value_kind:     by_value
    .group_segment_fixed_size: 0
    .kernarg_segment_align: 8
    .kernarg_segment_size: 128
    .language:       OpenCL C
    .language_version:
      - 2
      - 0
    .max_flat_workgroup_size: 256
    .name:           _ZN7rocprim17ROCPRIM_400000_NS6detail17trampoline_kernelINS0_14default_configENS1_33run_length_encode_config_selectorIijNS0_4plusIjEEEEZZNS1_33reduce_by_key_impl_wrapped_configILNS1_25lookback_scan_determinismE0ES3_S7_PKiNS0_17constant_iteratorIjlEEPiPlSF_S6_NS0_8equal_toIiEEEE10hipError_tPvRmT2_T3_mT4_T5_T6_T7_T8_P12ihipStream_tbENKUlT_T0_E_clISt17integral_constantIbLb1EESY_IbLb0EEEEDaSU_SV_EUlSU_E_NS1_11comp_targetILNS1_3genE10ELNS1_11target_archE1200ELNS1_3gpuE4ELNS1_3repE0EEENS1_30default_config_static_selectorELNS0_4arch9wavefront6targetE1EEEvT1_
    .private_segment_fixed_size: 0
    .sgpr_count:     4
    .sgpr_spill_count: 0
    .symbol:         _ZN7rocprim17ROCPRIM_400000_NS6detail17trampoline_kernelINS0_14default_configENS1_33run_length_encode_config_selectorIijNS0_4plusIjEEEEZZNS1_33reduce_by_key_impl_wrapped_configILNS1_25lookback_scan_determinismE0ES3_S7_PKiNS0_17constant_iteratorIjlEEPiPlSF_S6_NS0_8equal_toIiEEEE10hipError_tPvRmT2_T3_mT4_T5_T6_T7_T8_P12ihipStream_tbENKUlT_T0_E_clISt17integral_constantIbLb1EESY_IbLb0EEEEDaSU_SV_EUlSU_E_NS1_11comp_targetILNS1_3genE10ELNS1_11target_archE1200ELNS1_3gpuE4ELNS1_3repE0EEENS1_30default_config_static_selectorELNS0_4arch9wavefront6targetE1EEEvT1_.kd
    .uniform_work_group_size: 1
    .uses_dynamic_stack: false
    .vgpr_count:     0
    .vgpr_spill_count: 0
    .wavefront_size: 64
  - .agpr_count:     0
    .args:
      - .offset:         0
        .size:           128
        .value_kind:     by_value
    .group_segment_fixed_size: 0
    .kernarg_segment_align: 8
    .kernarg_segment_size: 128
    .language:       OpenCL C
    .language_version:
      - 2
      - 0
    .max_flat_workgroup_size: 512
    .name:           _ZN7rocprim17ROCPRIM_400000_NS6detail17trampoline_kernelINS0_14default_configENS1_33run_length_encode_config_selectorIijNS0_4plusIjEEEEZZNS1_33reduce_by_key_impl_wrapped_configILNS1_25lookback_scan_determinismE0ES3_S7_PKiNS0_17constant_iteratorIjlEEPiPlSF_S6_NS0_8equal_toIiEEEE10hipError_tPvRmT2_T3_mT4_T5_T6_T7_T8_P12ihipStream_tbENKUlT_T0_E_clISt17integral_constantIbLb1EESY_IbLb0EEEEDaSU_SV_EUlSU_E_NS1_11comp_targetILNS1_3genE9ELNS1_11target_archE1100ELNS1_3gpuE3ELNS1_3repE0EEENS1_30default_config_static_selectorELNS0_4arch9wavefront6targetE1EEEvT1_
    .private_segment_fixed_size: 0
    .sgpr_count:     4
    .sgpr_spill_count: 0
    .symbol:         _ZN7rocprim17ROCPRIM_400000_NS6detail17trampoline_kernelINS0_14default_configENS1_33run_length_encode_config_selectorIijNS0_4plusIjEEEEZZNS1_33reduce_by_key_impl_wrapped_configILNS1_25lookback_scan_determinismE0ES3_S7_PKiNS0_17constant_iteratorIjlEEPiPlSF_S6_NS0_8equal_toIiEEEE10hipError_tPvRmT2_T3_mT4_T5_T6_T7_T8_P12ihipStream_tbENKUlT_T0_E_clISt17integral_constantIbLb1EESY_IbLb0EEEEDaSU_SV_EUlSU_E_NS1_11comp_targetILNS1_3genE9ELNS1_11target_archE1100ELNS1_3gpuE3ELNS1_3repE0EEENS1_30default_config_static_selectorELNS0_4arch9wavefront6targetE1EEEvT1_.kd
    .uniform_work_group_size: 1
    .uses_dynamic_stack: false
    .vgpr_count:     0
    .vgpr_spill_count: 0
    .wavefront_size: 64
  - .agpr_count:     0
    .args:
      - .offset:         0
        .size:           128
        .value_kind:     by_value
    .group_segment_fixed_size: 0
    .kernarg_segment_align: 8
    .kernarg_segment_size: 128
    .language:       OpenCL C
    .language_version:
      - 2
      - 0
    .max_flat_workgroup_size: 192
    .name:           _ZN7rocprim17ROCPRIM_400000_NS6detail17trampoline_kernelINS0_14default_configENS1_33run_length_encode_config_selectorIijNS0_4plusIjEEEEZZNS1_33reduce_by_key_impl_wrapped_configILNS1_25lookback_scan_determinismE0ES3_S7_PKiNS0_17constant_iteratorIjlEEPiPlSF_S6_NS0_8equal_toIiEEEE10hipError_tPvRmT2_T3_mT4_T5_T6_T7_T8_P12ihipStream_tbENKUlT_T0_E_clISt17integral_constantIbLb1EESY_IbLb0EEEEDaSU_SV_EUlSU_E_NS1_11comp_targetILNS1_3genE8ELNS1_11target_archE1030ELNS1_3gpuE2ELNS1_3repE0EEENS1_30default_config_static_selectorELNS0_4arch9wavefront6targetE1EEEvT1_
    .private_segment_fixed_size: 0
    .sgpr_count:     4
    .sgpr_spill_count: 0
    .symbol:         _ZN7rocprim17ROCPRIM_400000_NS6detail17trampoline_kernelINS0_14default_configENS1_33run_length_encode_config_selectorIijNS0_4plusIjEEEEZZNS1_33reduce_by_key_impl_wrapped_configILNS1_25lookback_scan_determinismE0ES3_S7_PKiNS0_17constant_iteratorIjlEEPiPlSF_S6_NS0_8equal_toIiEEEE10hipError_tPvRmT2_T3_mT4_T5_T6_T7_T8_P12ihipStream_tbENKUlT_T0_E_clISt17integral_constantIbLb1EESY_IbLb0EEEEDaSU_SV_EUlSU_E_NS1_11comp_targetILNS1_3genE8ELNS1_11target_archE1030ELNS1_3gpuE2ELNS1_3repE0EEENS1_30default_config_static_selectorELNS0_4arch9wavefront6targetE1EEEvT1_.kd
    .uniform_work_group_size: 1
    .uses_dynamic_stack: false
    .vgpr_count:     0
    .vgpr_spill_count: 0
    .wavefront_size: 64
  - .agpr_count:     0
    .args:
      - .offset:         0
        .size:           128
        .value_kind:     by_value
    .group_segment_fixed_size: 0
    .kernarg_segment_align: 8
    .kernarg_segment_size: 128
    .language:       OpenCL C
    .language_version:
      - 2
      - 0
    .max_flat_workgroup_size: 256
    .name:           _ZN7rocprim17ROCPRIM_400000_NS6detail17trampoline_kernelINS0_14default_configENS1_33run_length_encode_config_selectorIijNS0_4plusIjEEEEZZNS1_33reduce_by_key_impl_wrapped_configILNS1_25lookback_scan_determinismE0ES3_S7_PKiNS0_17constant_iteratorIjlEEPiPlSF_S6_NS0_8equal_toIiEEEE10hipError_tPvRmT2_T3_mT4_T5_T6_T7_T8_P12ihipStream_tbENKUlT_T0_E_clISt17integral_constantIbLb0EESY_IbLb1EEEEDaSU_SV_EUlSU_E_NS1_11comp_targetILNS1_3genE0ELNS1_11target_archE4294967295ELNS1_3gpuE0ELNS1_3repE0EEENS1_30default_config_static_selectorELNS0_4arch9wavefront6targetE1EEEvT1_
    .private_segment_fixed_size: 0
    .sgpr_count:     4
    .sgpr_spill_count: 0
    .symbol:         _ZN7rocprim17ROCPRIM_400000_NS6detail17trampoline_kernelINS0_14default_configENS1_33run_length_encode_config_selectorIijNS0_4plusIjEEEEZZNS1_33reduce_by_key_impl_wrapped_configILNS1_25lookback_scan_determinismE0ES3_S7_PKiNS0_17constant_iteratorIjlEEPiPlSF_S6_NS0_8equal_toIiEEEE10hipError_tPvRmT2_T3_mT4_T5_T6_T7_T8_P12ihipStream_tbENKUlT_T0_E_clISt17integral_constantIbLb0EESY_IbLb1EEEEDaSU_SV_EUlSU_E_NS1_11comp_targetILNS1_3genE0ELNS1_11target_archE4294967295ELNS1_3gpuE0ELNS1_3repE0EEENS1_30default_config_static_selectorELNS0_4arch9wavefront6targetE1EEEvT1_.kd
    .uniform_work_group_size: 1
    .uses_dynamic_stack: false
    .vgpr_count:     0
    .vgpr_spill_count: 0
    .wavefront_size: 64
  - .agpr_count:     0
    .args:
      - .offset:         0
        .size:           128
        .value_kind:     by_value
    .group_segment_fixed_size: 0
    .kernarg_segment_align: 8
    .kernarg_segment_size: 128
    .language:       OpenCL C
    .language_version:
      - 2
      - 0
    .max_flat_workgroup_size: 512
    .name:           _ZN7rocprim17ROCPRIM_400000_NS6detail17trampoline_kernelINS0_14default_configENS1_33run_length_encode_config_selectorIijNS0_4plusIjEEEEZZNS1_33reduce_by_key_impl_wrapped_configILNS1_25lookback_scan_determinismE0ES3_S7_PKiNS0_17constant_iteratorIjlEEPiPlSF_S6_NS0_8equal_toIiEEEE10hipError_tPvRmT2_T3_mT4_T5_T6_T7_T8_P12ihipStream_tbENKUlT_T0_E_clISt17integral_constantIbLb0EESY_IbLb1EEEEDaSU_SV_EUlSU_E_NS1_11comp_targetILNS1_3genE5ELNS1_11target_archE942ELNS1_3gpuE9ELNS1_3repE0EEENS1_30default_config_static_selectorELNS0_4arch9wavefront6targetE1EEEvT1_
    .private_segment_fixed_size: 0
    .sgpr_count:     4
    .sgpr_spill_count: 0
    .symbol:         _ZN7rocprim17ROCPRIM_400000_NS6detail17trampoline_kernelINS0_14default_configENS1_33run_length_encode_config_selectorIijNS0_4plusIjEEEEZZNS1_33reduce_by_key_impl_wrapped_configILNS1_25lookback_scan_determinismE0ES3_S7_PKiNS0_17constant_iteratorIjlEEPiPlSF_S6_NS0_8equal_toIiEEEE10hipError_tPvRmT2_T3_mT4_T5_T6_T7_T8_P12ihipStream_tbENKUlT_T0_E_clISt17integral_constantIbLb0EESY_IbLb1EEEEDaSU_SV_EUlSU_E_NS1_11comp_targetILNS1_3genE5ELNS1_11target_archE942ELNS1_3gpuE9ELNS1_3repE0EEENS1_30default_config_static_selectorELNS0_4arch9wavefront6targetE1EEEvT1_.kd
    .uniform_work_group_size: 1
    .uses_dynamic_stack: false
    .vgpr_count:     0
    .vgpr_spill_count: 0
    .wavefront_size: 64
  - .agpr_count:     0
    .args:
      - .offset:         0
        .size:           128
        .value_kind:     by_value
    .group_segment_fixed_size: 15360
    .kernarg_segment_align: 8
    .kernarg_segment_size: 128
    .language:       OpenCL C
    .language_version:
      - 2
      - 0
    .max_flat_workgroup_size: 256
    .name:           _ZN7rocprim17ROCPRIM_400000_NS6detail17trampoline_kernelINS0_14default_configENS1_33run_length_encode_config_selectorIijNS0_4plusIjEEEEZZNS1_33reduce_by_key_impl_wrapped_configILNS1_25lookback_scan_determinismE0ES3_S7_PKiNS0_17constant_iteratorIjlEEPiPlSF_S6_NS0_8equal_toIiEEEE10hipError_tPvRmT2_T3_mT4_T5_T6_T7_T8_P12ihipStream_tbENKUlT_T0_E_clISt17integral_constantIbLb0EESY_IbLb1EEEEDaSU_SV_EUlSU_E_NS1_11comp_targetILNS1_3genE4ELNS1_11target_archE910ELNS1_3gpuE8ELNS1_3repE0EEENS1_30default_config_static_selectorELNS0_4arch9wavefront6targetE1EEEvT1_
    .private_segment_fixed_size: 0
    .sgpr_count:     70
    .sgpr_spill_count: 0
    .symbol:         _ZN7rocprim17ROCPRIM_400000_NS6detail17trampoline_kernelINS0_14default_configENS1_33run_length_encode_config_selectorIijNS0_4plusIjEEEEZZNS1_33reduce_by_key_impl_wrapped_configILNS1_25lookback_scan_determinismE0ES3_S7_PKiNS0_17constant_iteratorIjlEEPiPlSF_S6_NS0_8equal_toIiEEEE10hipError_tPvRmT2_T3_mT4_T5_T6_T7_T8_P12ihipStream_tbENKUlT_T0_E_clISt17integral_constantIbLb0EESY_IbLb1EEEEDaSU_SV_EUlSU_E_NS1_11comp_targetILNS1_3genE4ELNS1_11target_archE910ELNS1_3gpuE8ELNS1_3repE0EEENS1_30default_config_static_selectorELNS0_4arch9wavefront6targetE1EEEvT1_.kd
    .uniform_work_group_size: 1
    .uses_dynamic_stack: false
    .vgpr_count:     104
    .vgpr_spill_count: 0
    .wavefront_size: 64
  - .agpr_count:     0
    .args:
      - .offset:         0
        .size:           128
        .value_kind:     by_value
    .group_segment_fixed_size: 0
    .kernarg_segment_align: 8
    .kernarg_segment_size: 128
    .language:       OpenCL C
    .language_version:
      - 2
      - 0
    .max_flat_workgroup_size: 256
    .name:           _ZN7rocprim17ROCPRIM_400000_NS6detail17trampoline_kernelINS0_14default_configENS1_33run_length_encode_config_selectorIijNS0_4plusIjEEEEZZNS1_33reduce_by_key_impl_wrapped_configILNS1_25lookback_scan_determinismE0ES3_S7_PKiNS0_17constant_iteratorIjlEEPiPlSF_S6_NS0_8equal_toIiEEEE10hipError_tPvRmT2_T3_mT4_T5_T6_T7_T8_P12ihipStream_tbENKUlT_T0_E_clISt17integral_constantIbLb0EESY_IbLb1EEEEDaSU_SV_EUlSU_E_NS1_11comp_targetILNS1_3genE3ELNS1_11target_archE908ELNS1_3gpuE7ELNS1_3repE0EEENS1_30default_config_static_selectorELNS0_4arch9wavefront6targetE1EEEvT1_
    .private_segment_fixed_size: 0
    .sgpr_count:     4
    .sgpr_spill_count: 0
    .symbol:         _ZN7rocprim17ROCPRIM_400000_NS6detail17trampoline_kernelINS0_14default_configENS1_33run_length_encode_config_selectorIijNS0_4plusIjEEEEZZNS1_33reduce_by_key_impl_wrapped_configILNS1_25lookback_scan_determinismE0ES3_S7_PKiNS0_17constant_iteratorIjlEEPiPlSF_S6_NS0_8equal_toIiEEEE10hipError_tPvRmT2_T3_mT4_T5_T6_T7_T8_P12ihipStream_tbENKUlT_T0_E_clISt17integral_constantIbLb0EESY_IbLb1EEEEDaSU_SV_EUlSU_E_NS1_11comp_targetILNS1_3genE3ELNS1_11target_archE908ELNS1_3gpuE7ELNS1_3repE0EEENS1_30default_config_static_selectorELNS0_4arch9wavefront6targetE1EEEvT1_.kd
    .uniform_work_group_size: 1
    .uses_dynamic_stack: false
    .vgpr_count:     0
    .vgpr_spill_count: 0
    .wavefront_size: 64
  - .agpr_count:     0
    .args:
      - .offset:         0
        .size:           128
        .value_kind:     by_value
    .group_segment_fixed_size: 0
    .kernarg_segment_align: 8
    .kernarg_segment_size: 128
    .language:       OpenCL C
    .language_version:
      - 2
      - 0
    .max_flat_workgroup_size: 256
    .name:           _ZN7rocprim17ROCPRIM_400000_NS6detail17trampoline_kernelINS0_14default_configENS1_33run_length_encode_config_selectorIijNS0_4plusIjEEEEZZNS1_33reduce_by_key_impl_wrapped_configILNS1_25lookback_scan_determinismE0ES3_S7_PKiNS0_17constant_iteratorIjlEEPiPlSF_S6_NS0_8equal_toIiEEEE10hipError_tPvRmT2_T3_mT4_T5_T6_T7_T8_P12ihipStream_tbENKUlT_T0_E_clISt17integral_constantIbLb0EESY_IbLb1EEEEDaSU_SV_EUlSU_E_NS1_11comp_targetILNS1_3genE2ELNS1_11target_archE906ELNS1_3gpuE6ELNS1_3repE0EEENS1_30default_config_static_selectorELNS0_4arch9wavefront6targetE1EEEvT1_
    .private_segment_fixed_size: 0
    .sgpr_count:     4
    .sgpr_spill_count: 0
    .symbol:         _ZN7rocprim17ROCPRIM_400000_NS6detail17trampoline_kernelINS0_14default_configENS1_33run_length_encode_config_selectorIijNS0_4plusIjEEEEZZNS1_33reduce_by_key_impl_wrapped_configILNS1_25lookback_scan_determinismE0ES3_S7_PKiNS0_17constant_iteratorIjlEEPiPlSF_S6_NS0_8equal_toIiEEEE10hipError_tPvRmT2_T3_mT4_T5_T6_T7_T8_P12ihipStream_tbENKUlT_T0_E_clISt17integral_constantIbLb0EESY_IbLb1EEEEDaSU_SV_EUlSU_E_NS1_11comp_targetILNS1_3genE2ELNS1_11target_archE906ELNS1_3gpuE6ELNS1_3repE0EEENS1_30default_config_static_selectorELNS0_4arch9wavefront6targetE1EEEvT1_.kd
    .uniform_work_group_size: 1
    .uses_dynamic_stack: false
    .vgpr_count:     0
    .vgpr_spill_count: 0
    .wavefront_size: 64
  - .agpr_count:     0
    .args:
      - .offset:         0
        .size:           128
        .value_kind:     by_value
    .group_segment_fixed_size: 0
    .kernarg_segment_align: 8
    .kernarg_segment_size: 128
    .language:       OpenCL C
    .language_version:
      - 2
      - 0
    .max_flat_workgroup_size: 384
    .name:           _ZN7rocprim17ROCPRIM_400000_NS6detail17trampoline_kernelINS0_14default_configENS1_33run_length_encode_config_selectorIijNS0_4plusIjEEEEZZNS1_33reduce_by_key_impl_wrapped_configILNS1_25lookback_scan_determinismE0ES3_S7_PKiNS0_17constant_iteratorIjlEEPiPlSF_S6_NS0_8equal_toIiEEEE10hipError_tPvRmT2_T3_mT4_T5_T6_T7_T8_P12ihipStream_tbENKUlT_T0_E_clISt17integral_constantIbLb0EESY_IbLb1EEEEDaSU_SV_EUlSU_E_NS1_11comp_targetILNS1_3genE10ELNS1_11target_archE1201ELNS1_3gpuE5ELNS1_3repE0EEENS1_30default_config_static_selectorELNS0_4arch9wavefront6targetE1EEEvT1_
    .private_segment_fixed_size: 0
    .sgpr_count:     4
    .sgpr_spill_count: 0
    .symbol:         _ZN7rocprim17ROCPRIM_400000_NS6detail17trampoline_kernelINS0_14default_configENS1_33run_length_encode_config_selectorIijNS0_4plusIjEEEEZZNS1_33reduce_by_key_impl_wrapped_configILNS1_25lookback_scan_determinismE0ES3_S7_PKiNS0_17constant_iteratorIjlEEPiPlSF_S6_NS0_8equal_toIiEEEE10hipError_tPvRmT2_T3_mT4_T5_T6_T7_T8_P12ihipStream_tbENKUlT_T0_E_clISt17integral_constantIbLb0EESY_IbLb1EEEEDaSU_SV_EUlSU_E_NS1_11comp_targetILNS1_3genE10ELNS1_11target_archE1201ELNS1_3gpuE5ELNS1_3repE0EEENS1_30default_config_static_selectorELNS0_4arch9wavefront6targetE1EEEvT1_.kd
    .uniform_work_group_size: 1
    .uses_dynamic_stack: false
    .vgpr_count:     0
    .vgpr_spill_count: 0
    .wavefront_size: 64
  - .agpr_count:     0
    .args:
      - .offset:         0
        .size:           128
        .value_kind:     by_value
    .group_segment_fixed_size: 0
    .kernarg_segment_align: 8
    .kernarg_segment_size: 128
    .language:       OpenCL C
    .language_version:
      - 2
      - 0
    .max_flat_workgroup_size: 256
    .name:           _ZN7rocprim17ROCPRIM_400000_NS6detail17trampoline_kernelINS0_14default_configENS1_33run_length_encode_config_selectorIijNS0_4plusIjEEEEZZNS1_33reduce_by_key_impl_wrapped_configILNS1_25lookback_scan_determinismE0ES3_S7_PKiNS0_17constant_iteratorIjlEEPiPlSF_S6_NS0_8equal_toIiEEEE10hipError_tPvRmT2_T3_mT4_T5_T6_T7_T8_P12ihipStream_tbENKUlT_T0_E_clISt17integral_constantIbLb0EESY_IbLb1EEEEDaSU_SV_EUlSU_E_NS1_11comp_targetILNS1_3genE10ELNS1_11target_archE1200ELNS1_3gpuE4ELNS1_3repE0EEENS1_30default_config_static_selectorELNS0_4arch9wavefront6targetE1EEEvT1_
    .private_segment_fixed_size: 0
    .sgpr_count:     4
    .sgpr_spill_count: 0
    .symbol:         _ZN7rocprim17ROCPRIM_400000_NS6detail17trampoline_kernelINS0_14default_configENS1_33run_length_encode_config_selectorIijNS0_4plusIjEEEEZZNS1_33reduce_by_key_impl_wrapped_configILNS1_25lookback_scan_determinismE0ES3_S7_PKiNS0_17constant_iteratorIjlEEPiPlSF_S6_NS0_8equal_toIiEEEE10hipError_tPvRmT2_T3_mT4_T5_T6_T7_T8_P12ihipStream_tbENKUlT_T0_E_clISt17integral_constantIbLb0EESY_IbLb1EEEEDaSU_SV_EUlSU_E_NS1_11comp_targetILNS1_3genE10ELNS1_11target_archE1200ELNS1_3gpuE4ELNS1_3repE0EEENS1_30default_config_static_selectorELNS0_4arch9wavefront6targetE1EEEvT1_.kd
    .uniform_work_group_size: 1
    .uses_dynamic_stack: false
    .vgpr_count:     0
    .vgpr_spill_count: 0
    .wavefront_size: 64
  - .agpr_count:     0
    .args:
      - .offset:         0
        .size:           128
        .value_kind:     by_value
    .group_segment_fixed_size: 0
    .kernarg_segment_align: 8
    .kernarg_segment_size: 128
    .language:       OpenCL C
    .language_version:
      - 2
      - 0
    .max_flat_workgroup_size: 512
    .name:           _ZN7rocprim17ROCPRIM_400000_NS6detail17trampoline_kernelINS0_14default_configENS1_33run_length_encode_config_selectorIijNS0_4plusIjEEEEZZNS1_33reduce_by_key_impl_wrapped_configILNS1_25lookback_scan_determinismE0ES3_S7_PKiNS0_17constant_iteratorIjlEEPiPlSF_S6_NS0_8equal_toIiEEEE10hipError_tPvRmT2_T3_mT4_T5_T6_T7_T8_P12ihipStream_tbENKUlT_T0_E_clISt17integral_constantIbLb0EESY_IbLb1EEEEDaSU_SV_EUlSU_E_NS1_11comp_targetILNS1_3genE9ELNS1_11target_archE1100ELNS1_3gpuE3ELNS1_3repE0EEENS1_30default_config_static_selectorELNS0_4arch9wavefront6targetE1EEEvT1_
    .private_segment_fixed_size: 0
    .sgpr_count:     4
    .sgpr_spill_count: 0
    .symbol:         _ZN7rocprim17ROCPRIM_400000_NS6detail17trampoline_kernelINS0_14default_configENS1_33run_length_encode_config_selectorIijNS0_4plusIjEEEEZZNS1_33reduce_by_key_impl_wrapped_configILNS1_25lookback_scan_determinismE0ES3_S7_PKiNS0_17constant_iteratorIjlEEPiPlSF_S6_NS0_8equal_toIiEEEE10hipError_tPvRmT2_T3_mT4_T5_T6_T7_T8_P12ihipStream_tbENKUlT_T0_E_clISt17integral_constantIbLb0EESY_IbLb1EEEEDaSU_SV_EUlSU_E_NS1_11comp_targetILNS1_3genE9ELNS1_11target_archE1100ELNS1_3gpuE3ELNS1_3repE0EEENS1_30default_config_static_selectorELNS0_4arch9wavefront6targetE1EEEvT1_.kd
    .uniform_work_group_size: 1
    .uses_dynamic_stack: false
    .vgpr_count:     0
    .vgpr_spill_count: 0
    .wavefront_size: 64
  - .agpr_count:     0
    .args:
      - .offset:         0
        .size:           128
        .value_kind:     by_value
    .group_segment_fixed_size: 0
    .kernarg_segment_align: 8
    .kernarg_segment_size: 128
    .language:       OpenCL C
    .language_version:
      - 2
      - 0
    .max_flat_workgroup_size: 192
    .name:           _ZN7rocprim17ROCPRIM_400000_NS6detail17trampoline_kernelINS0_14default_configENS1_33run_length_encode_config_selectorIijNS0_4plusIjEEEEZZNS1_33reduce_by_key_impl_wrapped_configILNS1_25lookback_scan_determinismE0ES3_S7_PKiNS0_17constant_iteratorIjlEEPiPlSF_S6_NS0_8equal_toIiEEEE10hipError_tPvRmT2_T3_mT4_T5_T6_T7_T8_P12ihipStream_tbENKUlT_T0_E_clISt17integral_constantIbLb0EESY_IbLb1EEEEDaSU_SV_EUlSU_E_NS1_11comp_targetILNS1_3genE8ELNS1_11target_archE1030ELNS1_3gpuE2ELNS1_3repE0EEENS1_30default_config_static_selectorELNS0_4arch9wavefront6targetE1EEEvT1_
    .private_segment_fixed_size: 0
    .sgpr_count:     4
    .sgpr_spill_count: 0
    .symbol:         _ZN7rocprim17ROCPRIM_400000_NS6detail17trampoline_kernelINS0_14default_configENS1_33run_length_encode_config_selectorIijNS0_4plusIjEEEEZZNS1_33reduce_by_key_impl_wrapped_configILNS1_25lookback_scan_determinismE0ES3_S7_PKiNS0_17constant_iteratorIjlEEPiPlSF_S6_NS0_8equal_toIiEEEE10hipError_tPvRmT2_T3_mT4_T5_T6_T7_T8_P12ihipStream_tbENKUlT_T0_E_clISt17integral_constantIbLb0EESY_IbLb1EEEEDaSU_SV_EUlSU_E_NS1_11comp_targetILNS1_3genE8ELNS1_11target_archE1030ELNS1_3gpuE2ELNS1_3repE0EEENS1_30default_config_static_selectorELNS0_4arch9wavefront6targetE1EEEvT1_.kd
    .uniform_work_group_size: 1
    .uses_dynamic_stack: false
    .vgpr_count:     0
    .vgpr_spill_count: 0
    .wavefront_size: 64
  - .agpr_count:     0
    .args:
      - .offset:         0
        .size:           8
        .value_kind:     by_value
      - .address_space:  global
        .offset:         8
        .size:           8
        .value_kind:     global_buffer
      - .address_space:  global
        .offset:         16
        .size:           8
        .value_kind:     global_buffer
      - .offset:         24
        .size:           4
        .value_kind:     hidden_block_count_x
      - .offset:         28
        .size:           4
        .value_kind:     hidden_block_count_y
      - .offset:         32
        .size:           4
        .value_kind:     hidden_block_count_z
      - .offset:         36
        .size:           2
        .value_kind:     hidden_group_size_x
      - .offset:         38
        .size:           2
        .value_kind:     hidden_group_size_y
      - .offset:         40
        .size:           2
        .value_kind:     hidden_group_size_z
      - .offset:         42
        .size:           2
        .value_kind:     hidden_remainder_x
      - .offset:         44
        .size:           2
        .value_kind:     hidden_remainder_y
      - .offset:         46
        .size:           2
        .value_kind:     hidden_remainder_z
      - .offset:         64
        .size:           8
        .value_kind:     hidden_global_offset_x
      - .offset:         72
        .size:           8
        .value_kind:     hidden_global_offset_y
      - .offset:         80
        .size:           8
        .value_kind:     hidden_global_offset_z
      - .offset:         88
        .size:           2
        .value_kind:     hidden_grid_dims
    .group_segment_fixed_size: 0
    .kernarg_segment_align: 8
    .kernarg_segment_size: 280
    .language:       OpenCL C
    .language_version:
      - 2
      - 0
    .max_flat_workgroup_size: 1024
    .name:           _ZN2at6native8internal12_GLOBAL__N_126adjacent_difference_kernelIPKlEEvlT_Pi
    .private_segment_fixed_size: 0
    .sgpr_count:     18
    .sgpr_spill_count: 0
    .symbol:         _ZN2at6native8internal12_GLOBAL__N_126adjacent_difference_kernelIPKlEEvlT_Pi.kd
    .uniform_work_group_size: 1
    .uses_dynamic_stack: false
    .vgpr_count:     18
    .vgpr_spill_count: 0
    .wavefront_size: 64
  - .agpr_count:     0
    .args:
      - .offset:         0
        .size:           112
        .value_kind:     by_value
    .group_segment_fixed_size: 0
    .kernarg_segment_align: 8
    .kernarg_segment_size: 112
    .language:       OpenCL C
    .language_version:
      - 2
      - 0
    .max_flat_workgroup_size: 512
    .name:           _ZN7rocprim17ROCPRIM_400000_NS6detail17trampoline_kernelINS0_14default_configENS1_25partition_config_selectorILNS1_17partition_subalgoE8ElNS0_10empty_typeEbEEZZNS1_14partition_implILS5_8ELb0ES3_jPKlPS6_PKS6_NS0_5tupleIJPlS6_EEENSE_IJSB_SB_EEENS0_18inequality_wrapperIN6hipcub16HIPCUB_304000_NS8EqualityEEESF_JS6_EEE10hipError_tPvRmT3_T4_T5_T6_T7_T9_mT8_P12ihipStream_tbDpT10_ENKUlT_T0_E_clISt17integral_constantIbLb0EES16_EEDaS11_S12_EUlS11_E_NS1_11comp_targetILNS1_3genE0ELNS1_11target_archE4294967295ELNS1_3gpuE0ELNS1_3repE0EEENS1_30default_config_static_selectorELNS0_4arch9wavefront6targetE1EEEvT1_
    .private_segment_fixed_size: 0
    .sgpr_count:     4
    .sgpr_spill_count: 0
    .symbol:         _ZN7rocprim17ROCPRIM_400000_NS6detail17trampoline_kernelINS0_14default_configENS1_25partition_config_selectorILNS1_17partition_subalgoE8ElNS0_10empty_typeEbEEZZNS1_14partition_implILS5_8ELb0ES3_jPKlPS6_PKS6_NS0_5tupleIJPlS6_EEENSE_IJSB_SB_EEENS0_18inequality_wrapperIN6hipcub16HIPCUB_304000_NS8EqualityEEESF_JS6_EEE10hipError_tPvRmT3_T4_T5_T6_T7_T9_mT8_P12ihipStream_tbDpT10_ENKUlT_T0_E_clISt17integral_constantIbLb0EES16_EEDaS11_S12_EUlS11_E_NS1_11comp_targetILNS1_3genE0ELNS1_11target_archE4294967295ELNS1_3gpuE0ELNS1_3repE0EEENS1_30default_config_static_selectorELNS0_4arch9wavefront6targetE1EEEvT1_.kd
    .uniform_work_group_size: 1
    .uses_dynamic_stack: false
    .vgpr_count:     0
    .vgpr_spill_count: 0
    .wavefront_size: 64
  - .agpr_count:     0
    .args:
      - .offset:         0
        .size:           112
        .value_kind:     by_value
    .group_segment_fixed_size: 0
    .kernarg_segment_align: 8
    .kernarg_segment_size: 112
    .language:       OpenCL C
    .language_version:
      - 2
      - 0
    .max_flat_workgroup_size: 512
    .name:           _ZN7rocprim17ROCPRIM_400000_NS6detail17trampoline_kernelINS0_14default_configENS1_25partition_config_selectorILNS1_17partition_subalgoE8ElNS0_10empty_typeEbEEZZNS1_14partition_implILS5_8ELb0ES3_jPKlPS6_PKS6_NS0_5tupleIJPlS6_EEENSE_IJSB_SB_EEENS0_18inequality_wrapperIN6hipcub16HIPCUB_304000_NS8EqualityEEESF_JS6_EEE10hipError_tPvRmT3_T4_T5_T6_T7_T9_mT8_P12ihipStream_tbDpT10_ENKUlT_T0_E_clISt17integral_constantIbLb0EES16_EEDaS11_S12_EUlS11_E_NS1_11comp_targetILNS1_3genE5ELNS1_11target_archE942ELNS1_3gpuE9ELNS1_3repE0EEENS1_30default_config_static_selectorELNS0_4arch9wavefront6targetE1EEEvT1_
    .private_segment_fixed_size: 0
    .sgpr_count:     4
    .sgpr_spill_count: 0
    .symbol:         _ZN7rocprim17ROCPRIM_400000_NS6detail17trampoline_kernelINS0_14default_configENS1_25partition_config_selectorILNS1_17partition_subalgoE8ElNS0_10empty_typeEbEEZZNS1_14partition_implILS5_8ELb0ES3_jPKlPS6_PKS6_NS0_5tupleIJPlS6_EEENSE_IJSB_SB_EEENS0_18inequality_wrapperIN6hipcub16HIPCUB_304000_NS8EqualityEEESF_JS6_EEE10hipError_tPvRmT3_T4_T5_T6_T7_T9_mT8_P12ihipStream_tbDpT10_ENKUlT_T0_E_clISt17integral_constantIbLb0EES16_EEDaS11_S12_EUlS11_E_NS1_11comp_targetILNS1_3genE5ELNS1_11target_archE942ELNS1_3gpuE9ELNS1_3repE0EEENS1_30default_config_static_selectorELNS0_4arch9wavefront6targetE1EEEvT1_.kd
    .uniform_work_group_size: 1
    .uses_dynamic_stack: false
    .vgpr_count:     0
    .vgpr_spill_count: 0
    .wavefront_size: 64
  - .agpr_count:     0
    .args:
      - .offset:         0
        .size:           112
        .value_kind:     by_value
    .group_segment_fixed_size: 10248
    .kernarg_segment_align: 8
    .kernarg_segment_size: 112
    .language:       OpenCL C
    .language_version:
      - 2
      - 0
    .max_flat_workgroup_size: 256
    .name:           _ZN7rocprim17ROCPRIM_400000_NS6detail17trampoline_kernelINS0_14default_configENS1_25partition_config_selectorILNS1_17partition_subalgoE8ElNS0_10empty_typeEbEEZZNS1_14partition_implILS5_8ELb0ES3_jPKlPS6_PKS6_NS0_5tupleIJPlS6_EEENSE_IJSB_SB_EEENS0_18inequality_wrapperIN6hipcub16HIPCUB_304000_NS8EqualityEEESF_JS6_EEE10hipError_tPvRmT3_T4_T5_T6_T7_T9_mT8_P12ihipStream_tbDpT10_ENKUlT_T0_E_clISt17integral_constantIbLb0EES16_EEDaS11_S12_EUlS11_E_NS1_11comp_targetILNS1_3genE4ELNS1_11target_archE910ELNS1_3gpuE8ELNS1_3repE0EEENS1_30default_config_static_selectorELNS0_4arch9wavefront6targetE1EEEvT1_
    .private_segment_fixed_size: 0
    .sgpr_count:     44
    .sgpr_spill_count: 0
    .symbol:         _ZN7rocprim17ROCPRIM_400000_NS6detail17trampoline_kernelINS0_14default_configENS1_25partition_config_selectorILNS1_17partition_subalgoE8ElNS0_10empty_typeEbEEZZNS1_14partition_implILS5_8ELb0ES3_jPKlPS6_PKS6_NS0_5tupleIJPlS6_EEENSE_IJSB_SB_EEENS0_18inequality_wrapperIN6hipcub16HIPCUB_304000_NS8EqualityEEESF_JS6_EEE10hipError_tPvRmT3_T4_T5_T6_T7_T9_mT8_P12ihipStream_tbDpT10_ENKUlT_T0_E_clISt17integral_constantIbLb0EES16_EEDaS11_S12_EUlS11_E_NS1_11comp_targetILNS1_3genE4ELNS1_11target_archE910ELNS1_3gpuE8ELNS1_3repE0EEENS1_30default_config_static_selectorELNS0_4arch9wavefront6targetE1EEEvT1_.kd
    .uniform_work_group_size: 1
    .uses_dynamic_stack: false
    .vgpr_count:     47
    .vgpr_spill_count: 0
    .wavefront_size: 64
  - .agpr_count:     0
    .args:
      - .offset:         0
        .size:           112
        .value_kind:     by_value
    .group_segment_fixed_size: 0
    .kernarg_segment_align: 8
    .kernarg_segment_size: 112
    .language:       OpenCL C
    .language_version:
      - 2
      - 0
    .max_flat_workgroup_size: 512
    .name:           _ZN7rocprim17ROCPRIM_400000_NS6detail17trampoline_kernelINS0_14default_configENS1_25partition_config_selectorILNS1_17partition_subalgoE8ElNS0_10empty_typeEbEEZZNS1_14partition_implILS5_8ELb0ES3_jPKlPS6_PKS6_NS0_5tupleIJPlS6_EEENSE_IJSB_SB_EEENS0_18inequality_wrapperIN6hipcub16HIPCUB_304000_NS8EqualityEEESF_JS6_EEE10hipError_tPvRmT3_T4_T5_T6_T7_T9_mT8_P12ihipStream_tbDpT10_ENKUlT_T0_E_clISt17integral_constantIbLb0EES16_EEDaS11_S12_EUlS11_E_NS1_11comp_targetILNS1_3genE3ELNS1_11target_archE908ELNS1_3gpuE7ELNS1_3repE0EEENS1_30default_config_static_selectorELNS0_4arch9wavefront6targetE1EEEvT1_
    .private_segment_fixed_size: 0
    .sgpr_count:     4
    .sgpr_spill_count: 0
    .symbol:         _ZN7rocprim17ROCPRIM_400000_NS6detail17trampoline_kernelINS0_14default_configENS1_25partition_config_selectorILNS1_17partition_subalgoE8ElNS0_10empty_typeEbEEZZNS1_14partition_implILS5_8ELb0ES3_jPKlPS6_PKS6_NS0_5tupleIJPlS6_EEENSE_IJSB_SB_EEENS0_18inequality_wrapperIN6hipcub16HIPCUB_304000_NS8EqualityEEESF_JS6_EEE10hipError_tPvRmT3_T4_T5_T6_T7_T9_mT8_P12ihipStream_tbDpT10_ENKUlT_T0_E_clISt17integral_constantIbLb0EES16_EEDaS11_S12_EUlS11_E_NS1_11comp_targetILNS1_3genE3ELNS1_11target_archE908ELNS1_3gpuE7ELNS1_3repE0EEENS1_30default_config_static_selectorELNS0_4arch9wavefront6targetE1EEEvT1_.kd
    .uniform_work_group_size: 1
    .uses_dynamic_stack: false
    .vgpr_count:     0
    .vgpr_spill_count: 0
    .wavefront_size: 64
  - .agpr_count:     0
    .args:
      - .offset:         0
        .size:           112
        .value_kind:     by_value
    .group_segment_fixed_size: 0
    .kernarg_segment_align: 8
    .kernarg_segment_size: 112
    .language:       OpenCL C
    .language_version:
      - 2
      - 0
    .max_flat_workgroup_size: 256
    .name:           _ZN7rocprim17ROCPRIM_400000_NS6detail17trampoline_kernelINS0_14default_configENS1_25partition_config_selectorILNS1_17partition_subalgoE8ElNS0_10empty_typeEbEEZZNS1_14partition_implILS5_8ELb0ES3_jPKlPS6_PKS6_NS0_5tupleIJPlS6_EEENSE_IJSB_SB_EEENS0_18inequality_wrapperIN6hipcub16HIPCUB_304000_NS8EqualityEEESF_JS6_EEE10hipError_tPvRmT3_T4_T5_T6_T7_T9_mT8_P12ihipStream_tbDpT10_ENKUlT_T0_E_clISt17integral_constantIbLb0EES16_EEDaS11_S12_EUlS11_E_NS1_11comp_targetILNS1_3genE2ELNS1_11target_archE906ELNS1_3gpuE6ELNS1_3repE0EEENS1_30default_config_static_selectorELNS0_4arch9wavefront6targetE1EEEvT1_
    .private_segment_fixed_size: 0
    .sgpr_count:     4
    .sgpr_spill_count: 0
    .symbol:         _ZN7rocprim17ROCPRIM_400000_NS6detail17trampoline_kernelINS0_14default_configENS1_25partition_config_selectorILNS1_17partition_subalgoE8ElNS0_10empty_typeEbEEZZNS1_14partition_implILS5_8ELb0ES3_jPKlPS6_PKS6_NS0_5tupleIJPlS6_EEENSE_IJSB_SB_EEENS0_18inequality_wrapperIN6hipcub16HIPCUB_304000_NS8EqualityEEESF_JS6_EEE10hipError_tPvRmT3_T4_T5_T6_T7_T9_mT8_P12ihipStream_tbDpT10_ENKUlT_T0_E_clISt17integral_constantIbLb0EES16_EEDaS11_S12_EUlS11_E_NS1_11comp_targetILNS1_3genE2ELNS1_11target_archE906ELNS1_3gpuE6ELNS1_3repE0EEENS1_30default_config_static_selectorELNS0_4arch9wavefront6targetE1EEEvT1_.kd
    .uniform_work_group_size: 1
    .uses_dynamic_stack: false
    .vgpr_count:     0
    .vgpr_spill_count: 0
    .wavefront_size: 64
  - .agpr_count:     0
    .args:
      - .offset:         0
        .size:           112
        .value_kind:     by_value
    .group_segment_fixed_size: 0
    .kernarg_segment_align: 8
    .kernarg_segment_size: 112
    .language:       OpenCL C
    .language_version:
      - 2
      - 0
    .max_flat_workgroup_size: 384
    .name:           _ZN7rocprim17ROCPRIM_400000_NS6detail17trampoline_kernelINS0_14default_configENS1_25partition_config_selectorILNS1_17partition_subalgoE8ElNS0_10empty_typeEbEEZZNS1_14partition_implILS5_8ELb0ES3_jPKlPS6_PKS6_NS0_5tupleIJPlS6_EEENSE_IJSB_SB_EEENS0_18inequality_wrapperIN6hipcub16HIPCUB_304000_NS8EqualityEEESF_JS6_EEE10hipError_tPvRmT3_T4_T5_T6_T7_T9_mT8_P12ihipStream_tbDpT10_ENKUlT_T0_E_clISt17integral_constantIbLb0EES16_EEDaS11_S12_EUlS11_E_NS1_11comp_targetILNS1_3genE10ELNS1_11target_archE1200ELNS1_3gpuE4ELNS1_3repE0EEENS1_30default_config_static_selectorELNS0_4arch9wavefront6targetE1EEEvT1_
    .private_segment_fixed_size: 0
    .sgpr_count:     4
    .sgpr_spill_count: 0
    .symbol:         _ZN7rocprim17ROCPRIM_400000_NS6detail17trampoline_kernelINS0_14default_configENS1_25partition_config_selectorILNS1_17partition_subalgoE8ElNS0_10empty_typeEbEEZZNS1_14partition_implILS5_8ELb0ES3_jPKlPS6_PKS6_NS0_5tupleIJPlS6_EEENSE_IJSB_SB_EEENS0_18inequality_wrapperIN6hipcub16HIPCUB_304000_NS8EqualityEEESF_JS6_EEE10hipError_tPvRmT3_T4_T5_T6_T7_T9_mT8_P12ihipStream_tbDpT10_ENKUlT_T0_E_clISt17integral_constantIbLb0EES16_EEDaS11_S12_EUlS11_E_NS1_11comp_targetILNS1_3genE10ELNS1_11target_archE1200ELNS1_3gpuE4ELNS1_3repE0EEENS1_30default_config_static_selectorELNS0_4arch9wavefront6targetE1EEEvT1_.kd
    .uniform_work_group_size: 1
    .uses_dynamic_stack: false
    .vgpr_count:     0
    .vgpr_spill_count: 0
    .wavefront_size: 64
  - .agpr_count:     0
    .args:
      - .offset:         0
        .size:           112
        .value_kind:     by_value
    .group_segment_fixed_size: 0
    .kernarg_segment_align: 8
    .kernarg_segment_size: 112
    .language:       OpenCL C
    .language_version:
      - 2
      - 0
    .max_flat_workgroup_size: 512
    .name:           _ZN7rocprim17ROCPRIM_400000_NS6detail17trampoline_kernelINS0_14default_configENS1_25partition_config_selectorILNS1_17partition_subalgoE8ElNS0_10empty_typeEbEEZZNS1_14partition_implILS5_8ELb0ES3_jPKlPS6_PKS6_NS0_5tupleIJPlS6_EEENSE_IJSB_SB_EEENS0_18inequality_wrapperIN6hipcub16HIPCUB_304000_NS8EqualityEEESF_JS6_EEE10hipError_tPvRmT3_T4_T5_T6_T7_T9_mT8_P12ihipStream_tbDpT10_ENKUlT_T0_E_clISt17integral_constantIbLb0EES16_EEDaS11_S12_EUlS11_E_NS1_11comp_targetILNS1_3genE9ELNS1_11target_archE1100ELNS1_3gpuE3ELNS1_3repE0EEENS1_30default_config_static_selectorELNS0_4arch9wavefront6targetE1EEEvT1_
    .private_segment_fixed_size: 0
    .sgpr_count:     4
    .sgpr_spill_count: 0
    .symbol:         _ZN7rocprim17ROCPRIM_400000_NS6detail17trampoline_kernelINS0_14default_configENS1_25partition_config_selectorILNS1_17partition_subalgoE8ElNS0_10empty_typeEbEEZZNS1_14partition_implILS5_8ELb0ES3_jPKlPS6_PKS6_NS0_5tupleIJPlS6_EEENSE_IJSB_SB_EEENS0_18inequality_wrapperIN6hipcub16HIPCUB_304000_NS8EqualityEEESF_JS6_EEE10hipError_tPvRmT3_T4_T5_T6_T7_T9_mT8_P12ihipStream_tbDpT10_ENKUlT_T0_E_clISt17integral_constantIbLb0EES16_EEDaS11_S12_EUlS11_E_NS1_11comp_targetILNS1_3genE9ELNS1_11target_archE1100ELNS1_3gpuE3ELNS1_3repE0EEENS1_30default_config_static_selectorELNS0_4arch9wavefront6targetE1EEEvT1_.kd
    .uniform_work_group_size: 1
    .uses_dynamic_stack: false
    .vgpr_count:     0
    .vgpr_spill_count: 0
    .wavefront_size: 64
  - .agpr_count:     0
    .args:
      - .offset:         0
        .size:           112
        .value_kind:     by_value
    .group_segment_fixed_size: 0
    .kernarg_segment_align: 8
    .kernarg_segment_size: 112
    .language:       OpenCL C
    .language_version:
      - 2
      - 0
    .max_flat_workgroup_size: 512
    .name:           _ZN7rocprim17ROCPRIM_400000_NS6detail17trampoline_kernelINS0_14default_configENS1_25partition_config_selectorILNS1_17partition_subalgoE8ElNS0_10empty_typeEbEEZZNS1_14partition_implILS5_8ELb0ES3_jPKlPS6_PKS6_NS0_5tupleIJPlS6_EEENSE_IJSB_SB_EEENS0_18inequality_wrapperIN6hipcub16HIPCUB_304000_NS8EqualityEEESF_JS6_EEE10hipError_tPvRmT3_T4_T5_T6_T7_T9_mT8_P12ihipStream_tbDpT10_ENKUlT_T0_E_clISt17integral_constantIbLb0EES16_EEDaS11_S12_EUlS11_E_NS1_11comp_targetILNS1_3genE8ELNS1_11target_archE1030ELNS1_3gpuE2ELNS1_3repE0EEENS1_30default_config_static_selectorELNS0_4arch9wavefront6targetE1EEEvT1_
    .private_segment_fixed_size: 0
    .sgpr_count:     4
    .sgpr_spill_count: 0
    .symbol:         _ZN7rocprim17ROCPRIM_400000_NS6detail17trampoline_kernelINS0_14default_configENS1_25partition_config_selectorILNS1_17partition_subalgoE8ElNS0_10empty_typeEbEEZZNS1_14partition_implILS5_8ELb0ES3_jPKlPS6_PKS6_NS0_5tupleIJPlS6_EEENSE_IJSB_SB_EEENS0_18inequality_wrapperIN6hipcub16HIPCUB_304000_NS8EqualityEEESF_JS6_EEE10hipError_tPvRmT3_T4_T5_T6_T7_T9_mT8_P12ihipStream_tbDpT10_ENKUlT_T0_E_clISt17integral_constantIbLb0EES16_EEDaS11_S12_EUlS11_E_NS1_11comp_targetILNS1_3genE8ELNS1_11target_archE1030ELNS1_3gpuE2ELNS1_3repE0EEENS1_30default_config_static_selectorELNS0_4arch9wavefront6targetE1EEEvT1_.kd
    .uniform_work_group_size: 1
    .uses_dynamic_stack: false
    .vgpr_count:     0
    .vgpr_spill_count: 0
    .wavefront_size: 64
  - .agpr_count:     0
    .args:
      - .offset:         0
        .size:           128
        .value_kind:     by_value
    .group_segment_fixed_size: 0
    .kernarg_segment_align: 8
    .kernarg_segment_size: 128
    .language:       OpenCL C
    .language_version:
      - 2
      - 0
    .max_flat_workgroup_size: 512
    .name:           _ZN7rocprim17ROCPRIM_400000_NS6detail17trampoline_kernelINS0_14default_configENS1_25partition_config_selectorILNS1_17partition_subalgoE8ElNS0_10empty_typeEbEEZZNS1_14partition_implILS5_8ELb0ES3_jPKlPS6_PKS6_NS0_5tupleIJPlS6_EEENSE_IJSB_SB_EEENS0_18inequality_wrapperIN6hipcub16HIPCUB_304000_NS8EqualityEEESF_JS6_EEE10hipError_tPvRmT3_T4_T5_T6_T7_T9_mT8_P12ihipStream_tbDpT10_ENKUlT_T0_E_clISt17integral_constantIbLb1EES16_EEDaS11_S12_EUlS11_E_NS1_11comp_targetILNS1_3genE0ELNS1_11target_archE4294967295ELNS1_3gpuE0ELNS1_3repE0EEENS1_30default_config_static_selectorELNS0_4arch9wavefront6targetE1EEEvT1_
    .private_segment_fixed_size: 0
    .sgpr_count:     4
    .sgpr_spill_count: 0
    .symbol:         _ZN7rocprim17ROCPRIM_400000_NS6detail17trampoline_kernelINS0_14default_configENS1_25partition_config_selectorILNS1_17partition_subalgoE8ElNS0_10empty_typeEbEEZZNS1_14partition_implILS5_8ELb0ES3_jPKlPS6_PKS6_NS0_5tupleIJPlS6_EEENSE_IJSB_SB_EEENS0_18inequality_wrapperIN6hipcub16HIPCUB_304000_NS8EqualityEEESF_JS6_EEE10hipError_tPvRmT3_T4_T5_T6_T7_T9_mT8_P12ihipStream_tbDpT10_ENKUlT_T0_E_clISt17integral_constantIbLb1EES16_EEDaS11_S12_EUlS11_E_NS1_11comp_targetILNS1_3genE0ELNS1_11target_archE4294967295ELNS1_3gpuE0ELNS1_3repE0EEENS1_30default_config_static_selectorELNS0_4arch9wavefront6targetE1EEEvT1_.kd
    .uniform_work_group_size: 1
    .uses_dynamic_stack: false
    .vgpr_count:     0
    .vgpr_spill_count: 0
    .wavefront_size: 64
  - .agpr_count:     0
    .args:
      - .offset:         0
        .size:           128
        .value_kind:     by_value
    .group_segment_fixed_size: 0
    .kernarg_segment_align: 8
    .kernarg_segment_size: 128
    .language:       OpenCL C
    .language_version:
      - 2
      - 0
    .max_flat_workgroup_size: 512
    .name:           _ZN7rocprim17ROCPRIM_400000_NS6detail17trampoline_kernelINS0_14default_configENS1_25partition_config_selectorILNS1_17partition_subalgoE8ElNS0_10empty_typeEbEEZZNS1_14partition_implILS5_8ELb0ES3_jPKlPS6_PKS6_NS0_5tupleIJPlS6_EEENSE_IJSB_SB_EEENS0_18inequality_wrapperIN6hipcub16HIPCUB_304000_NS8EqualityEEESF_JS6_EEE10hipError_tPvRmT3_T4_T5_T6_T7_T9_mT8_P12ihipStream_tbDpT10_ENKUlT_T0_E_clISt17integral_constantIbLb1EES16_EEDaS11_S12_EUlS11_E_NS1_11comp_targetILNS1_3genE5ELNS1_11target_archE942ELNS1_3gpuE9ELNS1_3repE0EEENS1_30default_config_static_selectorELNS0_4arch9wavefront6targetE1EEEvT1_
    .private_segment_fixed_size: 0
    .sgpr_count:     4
    .sgpr_spill_count: 0
    .symbol:         _ZN7rocprim17ROCPRIM_400000_NS6detail17trampoline_kernelINS0_14default_configENS1_25partition_config_selectorILNS1_17partition_subalgoE8ElNS0_10empty_typeEbEEZZNS1_14partition_implILS5_8ELb0ES3_jPKlPS6_PKS6_NS0_5tupleIJPlS6_EEENSE_IJSB_SB_EEENS0_18inequality_wrapperIN6hipcub16HIPCUB_304000_NS8EqualityEEESF_JS6_EEE10hipError_tPvRmT3_T4_T5_T6_T7_T9_mT8_P12ihipStream_tbDpT10_ENKUlT_T0_E_clISt17integral_constantIbLb1EES16_EEDaS11_S12_EUlS11_E_NS1_11comp_targetILNS1_3genE5ELNS1_11target_archE942ELNS1_3gpuE9ELNS1_3repE0EEENS1_30default_config_static_selectorELNS0_4arch9wavefront6targetE1EEEvT1_.kd
    .uniform_work_group_size: 1
    .uses_dynamic_stack: false
    .vgpr_count:     0
    .vgpr_spill_count: 0
    .wavefront_size: 64
  - .agpr_count:     0
    .args:
      - .offset:         0
        .size:           128
        .value_kind:     by_value
    .group_segment_fixed_size: 10248
    .kernarg_segment_align: 8
    .kernarg_segment_size: 128
    .language:       OpenCL C
    .language_version:
      - 2
      - 0
    .max_flat_workgroup_size: 256
    .name:           _ZN7rocprim17ROCPRIM_400000_NS6detail17trampoline_kernelINS0_14default_configENS1_25partition_config_selectorILNS1_17partition_subalgoE8ElNS0_10empty_typeEbEEZZNS1_14partition_implILS5_8ELb0ES3_jPKlPS6_PKS6_NS0_5tupleIJPlS6_EEENSE_IJSB_SB_EEENS0_18inequality_wrapperIN6hipcub16HIPCUB_304000_NS8EqualityEEESF_JS6_EEE10hipError_tPvRmT3_T4_T5_T6_T7_T9_mT8_P12ihipStream_tbDpT10_ENKUlT_T0_E_clISt17integral_constantIbLb1EES16_EEDaS11_S12_EUlS11_E_NS1_11comp_targetILNS1_3genE4ELNS1_11target_archE910ELNS1_3gpuE8ELNS1_3repE0EEENS1_30default_config_static_selectorELNS0_4arch9wavefront6targetE1EEEvT1_
    .private_segment_fixed_size: 0
    .sgpr_count:     46
    .sgpr_spill_count: 0
    .symbol:         _ZN7rocprim17ROCPRIM_400000_NS6detail17trampoline_kernelINS0_14default_configENS1_25partition_config_selectorILNS1_17partition_subalgoE8ElNS0_10empty_typeEbEEZZNS1_14partition_implILS5_8ELb0ES3_jPKlPS6_PKS6_NS0_5tupleIJPlS6_EEENSE_IJSB_SB_EEENS0_18inequality_wrapperIN6hipcub16HIPCUB_304000_NS8EqualityEEESF_JS6_EEE10hipError_tPvRmT3_T4_T5_T6_T7_T9_mT8_P12ihipStream_tbDpT10_ENKUlT_T0_E_clISt17integral_constantIbLb1EES16_EEDaS11_S12_EUlS11_E_NS1_11comp_targetILNS1_3genE4ELNS1_11target_archE910ELNS1_3gpuE8ELNS1_3repE0EEENS1_30default_config_static_selectorELNS0_4arch9wavefront6targetE1EEEvT1_.kd
    .uniform_work_group_size: 1
    .uses_dynamic_stack: false
    .vgpr_count:     47
    .vgpr_spill_count: 0
    .wavefront_size: 64
  - .agpr_count:     0
    .args:
      - .offset:         0
        .size:           128
        .value_kind:     by_value
    .group_segment_fixed_size: 0
    .kernarg_segment_align: 8
    .kernarg_segment_size: 128
    .language:       OpenCL C
    .language_version:
      - 2
      - 0
    .max_flat_workgroup_size: 512
    .name:           _ZN7rocprim17ROCPRIM_400000_NS6detail17trampoline_kernelINS0_14default_configENS1_25partition_config_selectorILNS1_17partition_subalgoE8ElNS0_10empty_typeEbEEZZNS1_14partition_implILS5_8ELb0ES3_jPKlPS6_PKS6_NS0_5tupleIJPlS6_EEENSE_IJSB_SB_EEENS0_18inequality_wrapperIN6hipcub16HIPCUB_304000_NS8EqualityEEESF_JS6_EEE10hipError_tPvRmT3_T4_T5_T6_T7_T9_mT8_P12ihipStream_tbDpT10_ENKUlT_T0_E_clISt17integral_constantIbLb1EES16_EEDaS11_S12_EUlS11_E_NS1_11comp_targetILNS1_3genE3ELNS1_11target_archE908ELNS1_3gpuE7ELNS1_3repE0EEENS1_30default_config_static_selectorELNS0_4arch9wavefront6targetE1EEEvT1_
    .private_segment_fixed_size: 0
    .sgpr_count:     4
    .sgpr_spill_count: 0
    .symbol:         _ZN7rocprim17ROCPRIM_400000_NS6detail17trampoline_kernelINS0_14default_configENS1_25partition_config_selectorILNS1_17partition_subalgoE8ElNS0_10empty_typeEbEEZZNS1_14partition_implILS5_8ELb0ES3_jPKlPS6_PKS6_NS0_5tupleIJPlS6_EEENSE_IJSB_SB_EEENS0_18inequality_wrapperIN6hipcub16HIPCUB_304000_NS8EqualityEEESF_JS6_EEE10hipError_tPvRmT3_T4_T5_T6_T7_T9_mT8_P12ihipStream_tbDpT10_ENKUlT_T0_E_clISt17integral_constantIbLb1EES16_EEDaS11_S12_EUlS11_E_NS1_11comp_targetILNS1_3genE3ELNS1_11target_archE908ELNS1_3gpuE7ELNS1_3repE0EEENS1_30default_config_static_selectorELNS0_4arch9wavefront6targetE1EEEvT1_.kd
    .uniform_work_group_size: 1
    .uses_dynamic_stack: false
    .vgpr_count:     0
    .vgpr_spill_count: 0
    .wavefront_size: 64
  - .agpr_count:     0
    .args:
      - .offset:         0
        .size:           128
        .value_kind:     by_value
    .group_segment_fixed_size: 0
    .kernarg_segment_align: 8
    .kernarg_segment_size: 128
    .language:       OpenCL C
    .language_version:
      - 2
      - 0
    .max_flat_workgroup_size: 256
    .name:           _ZN7rocprim17ROCPRIM_400000_NS6detail17trampoline_kernelINS0_14default_configENS1_25partition_config_selectorILNS1_17partition_subalgoE8ElNS0_10empty_typeEbEEZZNS1_14partition_implILS5_8ELb0ES3_jPKlPS6_PKS6_NS0_5tupleIJPlS6_EEENSE_IJSB_SB_EEENS0_18inequality_wrapperIN6hipcub16HIPCUB_304000_NS8EqualityEEESF_JS6_EEE10hipError_tPvRmT3_T4_T5_T6_T7_T9_mT8_P12ihipStream_tbDpT10_ENKUlT_T0_E_clISt17integral_constantIbLb1EES16_EEDaS11_S12_EUlS11_E_NS1_11comp_targetILNS1_3genE2ELNS1_11target_archE906ELNS1_3gpuE6ELNS1_3repE0EEENS1_30default_config_static_selectorELNS0_4arch9wavefront6targetE1EEEvT1_
    .private_segment_fixed_size: 0
    .sgpr_count:     4
    .sgpr_spill_count: 0
    .symbol:         _ZN7rocprim17ROCPRIM_400000_NS6detail17trampoline_kernelINS0_14default_configENS1_25partition_config_selectorILNS1_17partition_subalgoE8ElNS0_10empty_typeEbEEZZNS1_14partition_implILS5_8ELb0ES3_jPKlPS6_PKS6_NS0_5tupleIJPlS6_EEENSE_IJSB_SB_EEENS0_18inequality_wrapperIN6hipcub16HIPCUB_304000_NS8EqualityEEESF_JS6_EEE10hipError_tPvRmT3_T4_T5_T6_T7_T9_mT8_P12ihipStream_tbDpT10_ENKUlT_T0_E_clISt17integral_constantIbLb1EES16_EEDaS11_S12_EUlS11_E_NS1_11comp_targetILNS1_3genE2ELNS1_11target_archE906ELNS1_3gpuE6ELNS1_3repE0EEENS1_30default_config_static_selectorELNS0_4arch9wavefront6targetE1EEEvT1_.kd
    .uniform_work_group_size: 1
    .uses_dynamic_stack: false
    .vgpr_count:     0
    .vgpr_spill_count: 0
    .wavefront_size: 64
  - .agpr_count:     0
    .args:
      - .offset:         0
        .size:           128
        .value_kind:     by_value
    .group_segment_fixed_size: 0
    .kernarg_segment_align: 8
    .kernarg_segment_size: 128
    .language:       OpenCL C
    .language_version:
      - 2
      - 0
    .max_flat_workgroup_size: 384
    .name:           _ZN7rocprim17ROCPRIM_400000_NS6detail17trampoline_kernelINS0_14default_configENS1_25partition_config_selectorILNS1_17partition_subalgoE8ElNS0_10empty_typeEbEEZZNS1_14partition_implILS5_8ELb0ES3_jPKlPS6_PKS6_NS0_5tupleIJPlS6_EEENSE_IJSB_SB_EEENS0_18inequality_wrapperIN6hipcub16HIPCUB_304000_NS8EqualityEEESF_JS6_EEE10hipError_tPvRmT3_T4_T5_T6_T7_T9_mT8_P12ihipStream_tbDpT10_ENKUlT_T0_E_clISt17integral_constantIbLb1EES16_EEDaS11_S12_EUlS11_E_NS1_11comp_targetILNS1_3genE10ELNS1_11target_archE1200ELNS1_3gpuE4ELNS1_3repE0EEENS1_30default_config_static_selectorELNS0_4arch9wavefront6targetE1EEEvT1_
    .private_segment_fixed_size: 0
    .sgpr_count:     4
    .sgpr_spill_count: 0
    .symbol:         _ZN7rocprim17ROCPRIM_400000_NS6detail17trampoline_kernelINS0_14default_configENS1_25partition_config_selectorILNS1_17partition_subalgoE8ElNS0_10empty_typeEbEEZZNS1_14partition_implILS5_8ELb0ES3_jPKlPS6_PKS6_NS0_5tupleIJPlS6_EEENSE_IJSB_SB_EEENS0_18inequality_wrapperIN6hipcub16HIPCUB_304000_NS8EqualityEEESF_JS6_EEE10hipError_tPvRmT3_T4_T5_T6_T7_T9_mT8_P12ihipStream_tbDpT10_ENKUlT_T0_E_clISt17integral_constantIbLb1EES16_EEDaS11_S12_EUlS11_E_NS1_11comp_targetILNS1_3genE10ELNS1_11target_archE1200ELNS1_3gpuE4ELNS1_3repE0EEENS1_30default_config_static_selectorELNS0_4arch9wavefront6targetE1EEEvT1_.kd
    .uniform_work_group_size: 1
    .uses_dynamic_stack: false
    .vgpr_count:     0
    .vgpr_spill_count: 0
    .wavefront_size: 64
  - .agpr_count:     0
    .args:
      - .offset:         0
        .size:           128
        .value_kind:     by_value
    .group_segment_fixed_size: 0
    .kernarg_segment_align: 8
    .kernarg_segment_size: 128
    .language:       OpenCL C
    .language_version:
      - 2
      - 0
    .max_flat_workgroup_size: 512
    .name:           _ZN7rocprim17ROCPRIM_400000_NS6detail17trampoline_kernelINS0_14default_configENS1_25partition_config_selectorILNS1_17partition_subalgoE8ElNS0_10empty_typeEbEEZZNS1_14partition_implILS5_8ELb0ES3_jPKlPS6_PKS6_NS0_5tupleIJPlS6_EEENSE_IJSB_SB_EEENS0_18inequality_wrapperIN6hipcub16HIPCUB_304000_NS8EqualityEEESF_JS6_EEE10hipError_tPvRmT3_T4_T5_T6_T7_T9_mT8_P12ihipStream_tbDpT10_ENKUlT_T0_E_clISt17integral_constantIbLb1EES16_EEDaS11_S12_EUlS11_E_NS1_11comp_targetILNS1_3genE9ELNS1_11target_archE1100ELNS1_3gpuE3ELNS1_3repE0EEENS1_30default_config_static_selectorELNS0_4arch9wavefront6targetE1EEEvT1_
    .private_segment_fixed_size: 0
    .sgpr_count:     4
    .sgpr_spill_count: 0
    .symbol:         _ZN7rocprim17ROCPRIM_400000_NS6detail17trampoline_kernelINS0_14default_configENS1_25partition_config_selectorILNS1_17partition_subalgoE8ElNS0_10empty_typeEbEEZZNS1_14partition_implILS5_8ELb0ES3_jPKlPS6_PKS6_NS0_5tupleIJPlS6_EEENSE_IJSB_SB_EEENS0_18inequality_wrapperIN6hipcub16HIPCUB_304000_NS8EqualityEEESF_JS6_EEE10hipError_tPvRmT3_T4_T5_T6_T7_T9_mT8_P12ihipStream_tbDpT10_ENKUlT_T0_E_clISt17integral_constantIbLb1EES16_EEDaS11_S12_EUlS11_E_NS1_11comp_targetILNS1_3genE9ELNS1_11target_archE1100ELNS1_3gpuE3ELNS1_3repE0EEENS1_30default_config_static_selectorELNS0_4arch9wavefront6targetE1EEEvT1_.kd
    .uniform_work_group_size: 1
    .uses_dynamic_stack: false
    .vgpr_count:     0
    .vgpr_spill_count: 0
    .wavefront_size: 64
  - .agpr_count:     0
    .args:
      - .offset:         0
        .size:           128
        .value_kind:     by_value
    .group_segment_fixed_size: 0
    .kernarg_segment_align: 8
    .kernarg_segment_size: 128
    .language:       OpenCL C
    .language_version:
      - 2
      - 0
    .max_flat_workgroup_size: 512
    .name:           _ZN7rocprim17ROCPRIM_400000_NS6detail17trampoline_kernelINS0_14default_configENS1_25partition_config_selectorILNS1_17partition_subalgoE8ElNS0_10empty_typeEbEEZZNS1_14partition_implILS5_8ELb0ES3_jPKlPS6_PKS6_NS0_5tupleIJPlS6_EEENSE_IJSB_SB_EEENS0_18inequality_wrapperIN6hipcub16HIPCUB_304000_NS8EqualityEEESF_JS6_EEE10hipError_tPvRmT3_T4_T5_T6_T7_T9_mT8_P12ihipStream_tbDpT10_ENKUlT_T0_E_clISt17integral_constantIbLb1EES16_EEDaS11_S12_EUlS11_E_NS1_11comp_targetILNS1_3genE8ELNS1_11target_archE1030ELNS1_3gpuE2ELNS1_3repE0EEENS1_30default_config_static_selectorELNS0_4arch9wavefront6targetE1EEEvT1_
    .private_segment_fixed_size: 0
    .sgpr_count:     4
    .sgpr_spill_count: 0
    .symbol:         _ZN7rocprim17ROCPRIM_400000_NS6detail17trampoline_kernelINS0_14default_configENS1_25partition_config_selectorILNS1_17partition_subalgoE8ElNS0_10empty_typeEbEEZZNS1_14partition_implILS5_8ELb0ES3_jPKlPS6_PKS6_NS0_5tupleIJPlS6_EEENSE_IJSB_SB_EEENS0_18inequality_wrapperIN6hipcub16HIPCUB_304000_NS8EqualityEEESF_JS6_EEE10hipError_tPvRmT3_T4_T5_T6_T7_T9_mT8_P12ihipStream_tbDpT10_ENKUlT_T0_E_clISt17integral_constantIbLb1EES16_EEDaS11_S12_EUlS11_E_NS1_11comp_targetILNS1_3genE8ELNS1_11target_archE1030ELNS1_3gpuE2ELNS1_3repE0EEENS1_30default_config_static_selectorELNS0_4arch9wavefront6targetE1EEEvT1_.kd
    .uniform_work_group_size: 1
    .uses_dynamic_stack: false
    .vgpr_count:     0
    .vgpr_spill_count: 0
    .wavefront_size: 64
  - .agpr_count:     0
    .args:
      - .offset:         0
        .size:           112
        .value_kind:     by_value
    .group_segment_fixed_size: 0
    .kernarg_segment_align: 8
    .kernarg_segment_size: 112
    .language:       OpenCL C
    .language_version:
      - 2
      - 0
    .max_flat_workgroup_size: 512
    .name:           _ZN7rocprim17ROCPRIM_400000_NS6detail17trampoline_kernelINS0_14default_configENS1_25partition_config_selectorILNS1_17partition_subalgoE8ElNS0_10empty_typeEbEEZZNS1_14partition_implILS5_8ELb0ES3_jPKlPS6_PKS6_NS0_5tupleIJPlS6_EEENSE_IJSB_SB_EEENS0_18inequality_wrapperIN6hipcub16HIPCUB_304000_NS8EqualityEEESF_JS6_EEE10hipError_tPvRmT3_T4_T5_T6_T7_T9_mT8_P12ihipStream_tbDpT10_ENKUlT_T0_E_clISt17integral_constantIbLb1EES15_IbLb0EEEEDaS11_S12_EUlS11_E_NS1_11comp_targetILNS1_3genE0ELNS1_11target_archE4294967295ELNS1_3gpuE0ELNS1_3repE0EEENS1_30default_config_static_selectorELNS0_4arch9wavefront6targetE1EEEvT1_
    .private_segment_fixed_size: 0
    .sgpr_count:     4
    .sgpr_spill_count: 0
    .symbol:         _ZN7rocprim17ROCPRIM_400000_NS6detail17trampoline_kernelINS0_14default_configENS1_25partition_config_selectorILNS1_17partition_subalgoE8ElNS0_10empty_typeEbEEZZNS1_14partition_implILS5_8ELb0ES3_jPKlPS6_PKS6_NS0_5tupleIJPlS6_EEENSE_IJSB_SB_EEENS0_18inequality_wrapperIN6hipcub16HIPCUB_304000_NS8EqualityEEESF_JS6_EEE10hipError_tPvRmT3_T4_T5_T6_T7_T9_mT8_P12ihipStream_tbDpT10_ENKUlT_T0_E_clISt17integral_constantIbLb1EES15_IbLb0EEEEDaS11_S12_EUlS11_E_NS1_11comp_targetILNS1_3genE0ELNS1_11target_archE4294967295ELNS1_3gpuE0ELNS1_3repE0EEENS1_30default_config_static_selectorELNS0_4arch9wavefront6targetE1EEEvT1_.kd
    .uniform_work_group_size: 1
    .uses_dynamic_stack: false
    .vgpr_count:     0
    .vgpr_spill_count: 0
    .wavefront_size: 64
  - .agpr_count:     0
    .args:
      - .offset:         0
        .size:           112
        .value_kind:     by_value
    .group_segment_fixed_size: 0
    .kernarg_segment_align: 8
    .kernarg_segment_size: 112
    .language:       OpenCL C
    .language_version:
      - 2
      - 0
    .max_flat_workgroup_size: 512
    .name:           _ZN7rocprim17ROCPRIM_400000_NS6detail17trampoline_kernelINS0_14default_configENS1_25partition_config_selectorILNS1_17partition_subalgoE8ElNS0_10empty_typeEbEEZZNS1_14partition_implILS5_8ELb0ES3_jPKlPS6_PKS6_NS0_5tupleIJPlS6_EEENSE_IJSB_SB_EEENS0_18inequality_wrapperIN6hipcub16HIPCUB_304000_NS8EqualityEEESF_JS6_EEE10hipError_tPvRmT3_T4_T5_T6_T7_T9_mT8_P12ihipStream_tbDpT10_ENKUlT_T0_E_clISt17integral_constantIbLb1EES15_IbLb0EEEEDaS11_S12_EUlS11_E_NS1_11comp_targetILNS1_3genE5ELNS1_11target_archE942ELNS1_3gpuE9ELNS1_3repE0EEENS1_30default_config_static_selectorELNS0_4arch9wavefront6targetE1EEEvT1_
    .private_segment_fixed_size: 0
    .sgpr_count:     4
    .sgpr_spill_count: 0
    .symbol:         _ZN7rocprim17ROCPRIM_400000_NS6detail17trampoline_kernelINS0_14default_configENS1_25partition_config_selectorILNS1_17partition_subalgoE8ElNS0_10empty_typeEbEEZZNS1_14partition_implILS5_8ELb0ES3_jPKlPS6_PKS6_NS0_5tupleIJPlS6_EEENSE_IJSB_SB_EEENS0_18inequality_wrapperIN6hipcub16HIPCUB_304000_NS8EqualityEEESF_JS6_EEE10hipError_tPvRmT3_T4_T5_T6_T7_T9_mT8_P12ihipStream_tbDpT10_ENKUlT_T0_E_clISt17integral_constantIbLb1EES15_IbLb0EEEEDaS11_S12_EUlS11_E_NS1_11comp_targetILNS1_3genE5ELNS1_11target_archE942ELNS1_3gpuE9ELNS1_3repE0EEENS1_30default_config_static_selectorELNS0_4arch9wavefront6targetE1EEEvT1_.kd
    .uniform_work_group_size: 1
    .uses_dynamic_stack: false
    .vgpr_count:     0
    .vgpr_spill_count: 0
    .wavefront_size: 64
  - .agpr_count:     0
    .args:
      - .offset:         0
        .size:           112
        .value_kind:     by_value
    .group_segment_fixed_size: 10248
    .kernarg_segment_align: 8
    .kernarg_segment_size: 112
    .language:       OpenCL C
    .language_version:
      - 2
      - 0
    .max_flat_workgroup_size: 256
    .name:           _ZN7rocprim17ROCPRIM_400000_NS6detail17trampoline_kernelINS0_14default_configENS1_25partition_config_selectorILNS1_17partition_subalgoE8ElNS0_10empty_typeEbEEZZNS1_14partition_implILS5_8ELb0ES3_jPKlPS6_PKS6_NS0_5tupleIJPlS6_EEENSE_IJSB_SB_EEENS0_18inequality_wrapperIN6hipcub16HIPCUB_304000_NS8EqualityEEESF_JS6_EEE10hipError_tPvRmT3_T4_T5_T6_T7_T9_mT8_P12ihipStream_tbDpT10_ENKUlT_T0_E_clISt17integral_constantIbLb1EES15_IbLb0EEEEDaS11_S12_EUlS11_E_NS1_11comp_targetILNS1_3genE4ELNS1_11target_archE910ELNS1_3gpuE8ELNS1_3repE0EEENS1_30default_config_static_selectorELNS0_4arch9wavefront6targetE1EEEvT1_
    .private_segment_fixed_size: 0
    .sgpr_count:     44
    .sgpr_spill_count: 0
    .symbol:         _ZN7rocprim17ROCPRIM_400000_NS6detail17trampoline_kernelINS0_14default_configENS1_25partition_config_selectorILNS1_17partition_subalgoE8ElNS0_10empty_typeEbEEZZNS1_14partition_implILS5_8ELb0ES3_jPKlPS6_PKS6_NS0_5tupleIJPlS6_EEENSE_IJSB_SB_EEENS0_18inequality_wrapperIN6hipcub16HIPCUB_304000_NS8EqualityEEESF_JS6_EEE10hipError_tPvRmT3_T4_T5_T6_T7_T9_mT8_P12ihipStream_tbDpT10_ENKUlT_T0_E_clISt17integral_constantIbLb1EES15_IbLb0EEEEDaS11_S12_EUlS11_E_NS1_11comp_targetILNS1_3genE4ELNS1_11target_archE910ELNS1_3gpuE8ELNS1_3repE0EEENS1_30default_config_static_selectorELNS0_4arch9wavefront6targetE1EEEvT1_.kd
    .uniform_work_group_size: 1
    .uses_dynamic_stack: false
    .vgpr_count:     47
    .vgpr_spill_count: 0
    .wavefront_size: 64
  - .agpr_count:     0
    .args:
      - .offset:         0
        .size:           112
        .value_kind:     by_value
    .group_segment_fixed_size: 0
    .kernarg_segment_align: 8
    .kernarg_segment_size: 112
    .language:       OpenCL C
    .language_version:
      - 2
      - 0
    .max_flat_workgroup_size: 512
    .name:           _ZN7rocprim17ROCPRIM_400000_NS6detail17trampoline_kernelINS0_14default_configENS1_25partition_config_selectorILNS1_17partition_subalgoE8ElNS0_10empty_typeEbEEZZNS1_14partition_implILS5_8ELb0ES3_jPKlPS6_PKS6_NS0_5tupleIJPlS6_EEENSE_IJSB_SB_EEENS0_18inequality_wrapperIN6hipcub16HIPCUB_304000_NS8EqualityEEESF_JS6_EEE10hipError_tPvRmT3_T4_T5_T6_T7_T9_mT8_P12ihipStream_tbDpT10_ENKUlT_T0_E_clISt17integral_constantIbLb1EES15_IbLb0EEEEDaS11_S12_EUlS11_E_NS1_11comp_targetILNS1_3genE3ELNS1_11target_archE908ELNS1_3gpuE7ELNS1_3repE0EEENS1_30default_config_static_selectorELNS0_4arch9wavefront6targetE1EEEvT1_
    .private_segment_fixed_size: 0
    .sgpr_count:     4
    .sgpr_spill_count: 0
    .symbol:         _ZN7rocprim17ROCPRIM_400000_NS6detail17trampoline_kernelINS0_14default_configENS1_25partition_config_selectorILNS1_17partition_subalgoE8ElNS0_10empty_typeEbEEZZNS1_14partition_implILS5_8ELb0ES3_jPKlPS6_PKS6_NS0_5tupleIJPlS6_EEENSE_IJSB_SB_EEENS0_18inequality_wrapperIN6hipcub16HIPCUB_304000_NS8EqualityEEESF_JS6_EEE10hipError_tPvRmT3_T4_T5_T6_T7_T9_mT8_P12ihipStream_tbDpT10_ENKUlT_T0_E_clISt17integral_constantIbLb1EES15_IbLb0EEEEDaS11_S12_EUlS11_E_NS1_11comp_targetILNS1_3genE3ELNS1_11target_archE908ELNS1_3gpuE7ELNS1_3repE0EEENS1_30default_config_static_selectorELNS0_4arch9wavefront6targetE1EEEvT1_.kd
    .uniform_work_group_size: 1
    .uses_dynamic_stack: false
    .vgpr_count:     0
    .vgpr_spill_count: 0
    .wavefront_size: 64
  - .agpr_count:     0
    .args:
      - .offset:         0
        .size:           112
        .value_kind:     by_value
    .group_segment_fixed_size: 0
    .kernarg_segment_align: 8
    .kernarg_segment_size: 112
    .language:       OpenCL C
    .language_version:
      - 2
      - 0
    .max_flat_workgroup_size: 256
    .name:           _ZN7rocprim17ROCPRIM_400000_NS6detail17trampoline_kernelINS0_14default_configENS1_25partition_config_selectorILNS1_17partition_subalgoE8ElNS0_10empty_typeEbEEZZNS1_14partition_implILS5_8ELb0ES3_jPKlPS6_PKS6_NS0_5tupleIJPlS6_EEENSE_IJSB_SB_EEENS0_18inequality_wrapperIN6hipcub16HIPCUB_304000_NS8EqualityEEESF_JS6_EEE10hipError_tPvRmT3_T4_T5_T6_T7_T9_mT8_P12ihipStream_tbDpT10_ENKUlT_T0_E_clISt17integral_constantIbLb1EES15_IbLb0EEEEDaS11_S12_EUlS11_E_NS1_11comp_targetILNS1_3genE2ELNS1_11target_archE906ELNS1_3gpuE6ELNS1_3repE0EEENS1_30default_config_static_selectorELNS0_4arch9wavefront6targetE1EEEvT1_
    .private_segment_fixed_size: 0
    .sgpr_count:     4
    .sgpr_spill_count: 0
    .symbol:         _ZN7rocprim17ROCPRIM_400000_NS6detail17trampoline_kernelINS0_14default_configENS1_25partition_config_selectorILNS1_17partition_subalgoE8ElNS0_10empty_typeEbEEZZNS1_14partition_implILS5_8ELb0ES3_jPKlPS6_PKS6_NS0_5tupleIJPlS6_EEENSE_IJSB_SB_EEENS0_18inequality_wrapperIN6hipcub16HIPCUB_304000_NS8EqualityEEESF_JS6_EEE10hipError_tPvRmT3_T4_T5_T6_T7_T9_mT8_P12ihipStream_tbDpT10_ENKUlT_T0_E_clISt17integral_constantIbLb1EES15_IbLb0EEEEDaS11_S12_EUlS11_E_NS1_11comp_targetILNS1_3genE2ELNS1_11target_archE906ELNS1_3gpuE6ELNS1_3repE0EEENS1_30default_config_static_selectorELNS0_4arch9wavefront6targetE1EEEvT1_.kd
    .uniform_work_group_size: 1
    .uses_dynamic_stack: false
    .vgpr_count:     0
    .vgpr_spill_count: 0
    .wavefront_size: 64
  - .agpr_count:     0
    .args:
      - .offset:         0
        .size:           112
        .value_kind:     by_value
    .group_segment_fixed_size: 0
    .kernarg_segment_align: 8
    .kernarg_segment_size: 112
    .language:       OpenCL C
    .language_version:
      - 2
      - 0
    .max_flat_workgroup_size: 384
    .name:           _ZN7rocprim17ROCPRIM_400000_NS6detail17trampoline_kernelINS0_14default_configENS1_25partition_config_selectorILNS1_17partition_subalgoE8ElNS0_10empty_typeEbEEZZNS1_14partition_implILS5_8ELb0ES3_jPKlPS6_PKS6_NS0_5tupleIJPlS6_EEENSE_IJSB_SB_EEENS0_18inequality_wrapperIN6hipcub16HIPCUB_304000_NS8EqualityEEESF_JS6_EEE10hipError_tPvRmT3_T4_T5_T6_T7_T9_mT8_P12ihipStream_tbDpT10_ENKUlT_T0_E_clISt17integral_constantIbLb1EES15_IbLb0EEEEDaS11_S12_EUlS11_E_NS1_11comp_targetILNS1_3genE10ELNS1_11target_archE1200ELNS1_3gpuE4ELNS1_3repE0EEENS1_30default_config_static_selectorELNS0_4arch9wavefront6targetE1EEEvT1_
    .private_segment_fixed_size: 0
    .sgpr_count:     4
    .sgpr_spill_count: 0
    .symbol:         _ZN7rocprim17ROCPRIM_400000_NS6detail17trampoline_kernelINS0_14default_configENS1_25partition_config_selectorILNS1_17partition_subalgoE8ElNS0_10empty_typeEbEEZZNS1_14partition_implILS5_8ELb0ES3_jPKlPS6_PKS6_NS0_5tupleIJPlS6_EEENSE_IJSB_SB_EEENS0_18inequality_wrapperIN6hipcub16HIPCUB_304000_NS8EqualityEEESF_JS6_EEE10hipError_tPvRmT3_T4_T5_T6_T7_T9_mT8_P12ihipStream_tbDpT10_ENKUlT_T0_E_clISt17integral_constantIbLb1EES15_IbLb0EEEEDaS11_S12_EUlS11_E_NS1_11comp_targetILNS1_3genE10ELNS1_11target_archE1200ELNS1_3gpuE4ELNS1_3repE0EEENS1_30default_config_static_selectorELNS0_4arch9wavefront6targetE1EEEvT1_.kd
    .uniform_work_group_size: 1
    .uses_dynamic_stack: false
    .vgpr_count:     0
    .vgpr_spill_count: 0
    .wavefront_size: 64
  - .agpr_count:     0
    .args:
      - .offset:         0
        .size:           112
        .value_kind:     by_value
    .group_segment_fixed_size: 0
    .kernarg_segment_align: 8
    .kernarg_segment_size: 112
    .language:       OpenCL C
    .language_version:
      - 2
      - 0
    .max_flat_workgroup_size: 512
    .name:           _ZN7rocprim17ROCPRIM_400000_NS6detail17trampoline_kernelINS0_14default_configENS1_25partition_config_selectorILNS1_17partition_subalgoE8ElNS0_10empty_typeEbEEZZNS1_14partition_implILS5_8ELb0ES3_jPKlPS6_PKS6_NS0_5tupleIJPlS6_EEENSE_IJSB_SB_EEENS0_18inequality_wrapperIN6hipcub16HIPCUB_304000_NS8EqualityEEESF_JS6_EEE10hipError_tPvRmT3_T4_T5_T6_T7_T9_mT8_P12ihipStream_tbDpT10_ENKUlT_T0_E_clISt17integral_constantIbLb1EES15_IbLb0EEEEDaS11_S12_EUlS11_E_NS1_11comp_targetILNS1_3genE9ELNS1_11target_archE1100ELNS1_3gpuE3ELNS1_3repE0EEENS1_30default_config_static_selectorELNS0_4arch9wavefront6targetE1EEEvT1_
    .private_segment_fixed_size: 0
    .sgpr_count:     4
    .sgpr_spill_count: 0
    .symbol:         _ZN7rocprim17ROCPRIM_400000_NS6detail17trampoline_kernelINS0_14default_configENS1_25partition_config_selectorILNS1_17partition_subalgoE8ElNS0_10empty_typeEbEEZZNS1_14partition_implILS5_8ELb0ES3_jPKlPS6_PKS6_NS0_5tupleIJPlS6_EEENSE_IJSB_SB_EEENS0_18inequality_wrapperIN6hipcub16HIPCUB_304000_NS8EqualityEEESF_JS6_EEE10hipError_tPvRmT3_T4_T5_T6_T7_T9_mT8_P12ihipStream_tbDpT10_ENKUlT_T0_E_clISt17integral_constantIbLb1EES15_IbLb0EEEEDaS11_S12_EUlS11_E_NS1_11comp_targetILNS1_3genE9ELNS1_11target_archE1100ELNS1_3gpuE3ELNS1_3repE0EEENS1_30default_config_static_selectorELNS0_4arch9wavefront6targetE1EEEvT1_.kd
    .uniform_work_group_size: 1
    .uses_dynamic_stack: false
    .vgpr_count:     0
    .vgpr_spill_count: 0
    .wavefront_size: 64
  - .agpr_count:     0
    .args:
      - .offset:         0
        .size:           112
        .value_kind:     by_value
    .group_segment_fixed_size: 0
    .kernarg_segment_align: 8
    .kernarg_segment_size: 112
    .language:       OpenCL C
    .language_version:
      - 2
      - 0
    .max_flat_workgroup_size: 512
    .name:           _ZN7rocprim17ROCPRIM_400000_NS6detail17trampoline_kernelINS0_14default_configENS1_25partition_config_selectorILNS1_17partition_subalgoE8ElNS0_10empty_typeEbEEZZNS1_14partition_implILS5_8ELb0ES3_jPKlPS6_PKS6_NS0_5tupleIJPlS6_EEENSE_IJSB_SB_EEENS0_18inequality_wrapperIN6hipcub16HIPCUB_304000_NS8EqualityEEESF_JS6_EEE10hipError_tPvRmT3_T4_T5_T6_T7_T9_mT8_P12ihipStream_tbDpT10_ENKUlT_T0_E_clISt17integral_constantIbLb1EES15_IbLb0EEEEDaS11_S12_EUlS11_E_NS1_11comp_targetILNS1_3genE8ELNS1_11target_archE1030ELNS1_3gpuE2ELNS1_3repE0EEENS1_30default_config_static_selectorELNS0_4arch9wavefront6targetE1EEEvT1_
    .private_segment_fixed_size: 0
    .sgpr_count:     4
    .sgpr_spill_count: 0
    .symbol:         _ZN7rocprim17ROCPRIM_400000_NS6detail17trampoline_kernelINS0_14default_configENS1_25partition_config_selectorILNS1_17partition_subalgoE8ElNS0_10empty_typeEbEEZZNS1_14partition_implILS5_8ELb0ES3_jPKlPS6_PKS6_NS0_5tupleIJPlS6_EEENSE_IJSB_SB_EEENS0_18inequality_wrapperIN6hipcub16HIPCUB_304000_NS8EqualityEEESF_JS6_EEE10hipError_tPvRmT3_T4_T5_T6_T7_T9_mT8_P12ihipStream_tbDpT10_ENKUlT_T0_E_clISt17integral_constantIbLb1EES15_IbLb0EEEEDaS11_S12_EUlS11_E_NS1_11comp_targetILNS1_3genE8ELNS1_11target_archE1030ELNS1_3gpuE2ELNS1_3repE0EEENS1_30default_config_static_selectorELNS0_4arch9wavefront6targetE1EEEvT1_.kd
    .uniform_work_group_size: 1
    .uses_dynamic_stack: false
    .vgpr_count:     0
    .vgpr_spill_count: 0
    .wavefront_size: 64
  - .agpr_count:     0
    .args:
      - .offset:         0
        .size:           128
        .value_kind:     by_value
    .group_segment_fixed_size: 0
    .kernarg_segment_align: 8
    .kernarg_segment_size: 128
    .language:       OpenCL C
    .language_version:
      - 2
      - 0
    .max_flat_workgroup_size: 512
    .name:           _ZN7rocprim17ROCPRIM_400000_NS6detail17trampoline_kernelINS0_14default_configENS1_25partition_config_selectorILNS1_17partition_subalgoE8ElNS0_10empty_typeEbEEZZNS1_14partition_implILS5_8ELb0ES3_jPKlPS6_PKS6_NS0_5tupleIJPlS6_EEENSE_IJSB_SB_EEENS0_18inequality_wrapperIN6hipcub16HIPCUB_304000_NS8EqualityEEESF_JS6_EEE10hipError_tPvRmT3_T4_T5_T6_T7_T9_mT8_P12ihipStream_tbDpT10_ENKUlT_T0_E_clISt17integral_constantIbLb0EES15_IbLb1EEEEDaS11_S12_EUlS11_E_NS1_11comp_targetILNS1_3genE0ELNS1_11target_archE4294967295ELNS1_3gpuE0ELNS1_3repE0EEENS1_30default_config_static_selectorELNS0_4arch9wavefront6targetE1EEEvT1_
    .private_segment_fixed_size: 0
    .sgpr_count:     4
    .sgpr_spill_count: 0
    .symbol:         _ZN7rocprim17ROCPRIM_400000_NS6detail17trampoline_kernelINS0_14default_configENS1_25partition_config_selectorILNS1_17partition_subalgoE8ElNS0_10empty_typeEbEEZZNS1_14partition_implILS5_8ELb0ES3_jPKlPS6_PKS6_NS0_5tupleIJPlS6_EEENSE_IJSB_SB_EEENS0_18inequality_wrapperIN6hipcub16HIPCUB_304000_NS8EqualityEEESF_JS6_EEE10hipError_tPvRmT3_T4_T5_T6_T7_T9_mT8_P12ihipStream_tbDpT10_ENKUlT_T0_E_clISt17integral_constantIbLb0EES15_IbLb1EEEEDaS11_S12_EUlS11_E_NS1_11comp_targetILNS1_3genE0ELNS1_11target_archE4294967295ELNS1_3gpuE0ELNS1_3repE0EEENS1_30default_config_static_selectorELNS0_4arch9wavefront6targetE1EEEvT1_.kd
    .uniform_work_group_size: 1
    .uses_dynamic_stack: false
    .vgpr_count:     0
    .vgpr_spill_count: 0
    .wavefront_size: 64
  - .agpr_count:     0
    .args:
      - .offset:         0
        .size:           128
        .value_kind:     by_value
    .group_segment_fixed_size: 0
    .kernarg_segment_align: 8
    .kernarg_segment_size: 128
    .language:       OpenCL C
    .language_version:
      - 2
      - 0
    .max_flat_workgroup_size: 512
    .name:           _ZN7rocprim17ROCPRIM_400000_NS6detail17trampoline_kernelINS0_14default_configENS1_25partition_config_selectorILNS1_17partition_subalgoE8ElNS0_10empty_typeEbEEZZNS1_14partition_implILS5_8ELb0ES3_jPKlPS6_PKS6_NS0_5tupleIJPlS6_EEENSE_IJSB_SB_EEENS0_18inequality_wrapperIN6hipcub16HIPCUB_304000_NS8EqualityEEESF_JS6_EEE10hipError_tPvRmT3_T4_T5_T6_T7_T9_mT8_P12ihipStream_tbDpT10_ENKUlT_T0_E_clISt17integral_constantIbLb0EES15_IbLb1EEEEDaS11_S12_EUlS11_E_NS1_11comp_targetILNS1_3genE5ELNS1_11target_archE942ELNS1_3gpuE9ELNS1_3repE0EEENS1_30default_config_static_selectorELNS0_4arch9wavefront6targetE1EEEvT1_
    .private_segment_fixed_size: 0
    .sgpr_count:     4
    .sgpr_spill_count: 0
    .symbol:         _ZN7rocprim17ROCPRIM_400000_NS6detail17trampoline_kernelINS0_14default_configENS1_25partition_config_selectorILNS1_17partition_subalgoE8ElNS0_10empty_typeEbEEZZNS1_14partition_implILS5_8ELb0ES3_jPKlPS6_PKS6_NS0_5tupleIJPlS6_EEENSE_IJSB_SB_EEENS0_18inequality_wrapperIN6hipcub16HIPCUB_304000_NS8EqualityEEESF_JS6_EEE10hipError_tPvRmT3_T4_T5_T6_T7_T9_mT8_P12ihipStream_tbDpT10_ENKUlT_T0_E_clISt17integral_constantIbLb0EES15_IbLb1EEEEDaS11_S12_EUlS11_E_NS1_11comp_targetILNS1_3genE5ELNS1_11target_archE942ELNS1_3gpuE9ELNS1_3repE0EEENS1_30default_config_static_selectorELNS0_4arch9wavefront6targetE1EEEvT1_.kd
    .uniform_work_group_size: 1
    .uses_dynamic_stack: false
    .vgpr_count:     0
    .vgpr_spill_count: 0
    .wavefront_size: 64
  - .agpr_count:     0
    .args:
      - .offset:         0
        .size:           128
        .value_kind:     by_value
    .group_segment_fixed_size: 10248
    .kernarg_segment_align: 8
    .kernarg_segment_size: 128
    .language:       OpenCL C
    .language_version:
      - 2
      - 0
    .max_flat_workgroup_size: 256
    .name:           _ZN7rocprim17ROCPRIM_400000_NS6detail17trampoline_kernelINS0_14default_configENS1_25partition_config_selectorILNS1_17partition_subalgoE8ElNS0_10empty_typeEbEEZZNS1_14partition_implILS5_8ELb0ES3_jPKlPS6_PKS6_NS0_5tupleIJPlS6_EEENSE_IJSB_SB_EEENS0_18inequality_wrapperIN6hipcub16HIPCUB_304000_NS8EqualityEEESF_JS6_EEE10hipError_tPvRmT3_T4_T5_T6_T7_T9_mT8_P12ihipStream_tbDpT10_ENKUlT_T0_E_clISt17integral_constantIbLb0EES15_IbLb1EEEEDaS11_S12_EUlS11_E_NS1_11comp_targetILNS1_3genE4ELNS1_11target_archE910ELNS1_3gpuE8ELNS1_3repE0EEENS1_30default_config_static_selectorELNS0_4arch9wavefront6targetE1EEEvT1_
    .private_segment_fixed_size: 0
    .sgpr_count:     44
    .sgpr_spill_count: 0
    .symbol:         _ZN7rocprim17ROCPRIM_400000_NS6detail17trampoline_kernelINS0_14default_configENS1_25partition_config_selectorILNS1_17partition_subalgoE8ElNS0_10empty_typeEbEEZZNS1_14partition_implILS5_8ELb0ES3_jPKlPS6_PKS6_NS0_5tupleIJPlS6_EEENSE_IJSB_SB_EEENS0_18inequality_wrapperIN6hipcub16HIPCUB_304000_NS8EqualityEEESF_JS6_EEE10hipError_tPvRmT3_T4_T5_T6_T7_T9_mT8_P12ihipStream_tbDpT10_ENKUlT_T0_E_clISt17integral_constantIbLb0EES15_IbLb1EEEEDaS11_S12_EUlS11_E_NS1_11comp_targetILNS1_3genE4ELNS1_11target_archE910ELNS1_3gpuE8ELNS1_3repE0EEENS1_30default_config_static_selectorELNS0_4arch9wavefront6targetE1EEEvT1_.kd
    .uniform_work_group_size: 1
    .uses_dynamic_stack: false
    .vgpr_count:     47
    .vgpr_spill_count: 0
    .wavefront_size: 64
  - .agpr_count:     0
    .args:
      - .offset:         0
        .size:           128
        .value_kind:     by_value
    .group_segment_fixed_size: 0
    .kernarg_segment_align: 8
    .kernarg_segment_size: 128
    .language:       OpenCL C
    .language_version:
      - 2
      - 0
    .max_flat_workgroup_size: 512
    .name:           _ZN7rocprim17ROCPRIM_400000_NS6detail17trampoline_kernelINS0_14default_configENS1_25partition_config_selectorILNS1_17partition_subalgoE8ElNS0_10empty_typeEbEEZZNS1_14partition_implILS5_8ELb0ES3_jPKlPS6_PKS6_NS0_5tupleIJPlS6_EEENSE_IJSB_SB_EEENS0_18inequality_wrapperIN6hipcub16HIPCUB_304000_NS8EqualityEEESF_JS6_EEE10hipError_tPvRmT3_T4_T5_T6_T7_T9_mT8_P12ihipStream_tbDpT10_ENKUlT_T0_E_clISt17integral_constantIbLb0EES15_IbLb1EEEEDaS11_S12_EUlS11_E_NS1_11comp_targetILNS1_3genE3ELNS1_11target_archE908ELNS1_3gpuE7ELNS1_3repE0EEENS1_30default_config_static_selectorELNS0_4arch9wavefront6targetE1EEEvT1_
    .private_segment_fixed_size: 0
    .sgpr_count:     4
    .sgpr_spill_count: 0
    .symbol:         _ZN7rocprim17ROCPRIM_400000_NS6detail17trampoline_kernelINS0_14default_configENS1_25partition_config_selectorILNS1_17partition_subalgoE8ElNS0_10empty_typeEbEEZZNS1_14partition_implILS5_8ELb0ES3_jPKlPS6_PKS6_NS0_5tupleIJPlS6_EEENSE_IJSB_SB_EEENS0_18inequality_wrapperIN6hipcub16HIPCUB_304000_NS8EqualityEEESF_JS6_EEE10hipError_tPvRmT3_T4_T5_T6_T7_T9_mT8_P12ihipStream_tbDpT10_ENKUlT_T0_E_clISt17integral_constantIbLb0EES15_IbLb1EEEEDaS11_S12_EUlS11_E_NS1_11comp_targetILNS1_3genE3ELNS1_11target_archE908ELNS1_3gpuE7ELNS1_3repE0EEENS1_30default_config_static_selectorELNS0_4arch9wavefront6targetE1EEEvT1_.kd
    .uniform_work_group_size: 1
    .uses_dynamic_stack: false
    .vgpr_count:     0
    .vgpr_spill_count: 0
    .wavefront_size: 64
  - .agpr_count:     0
    .args:
      - .offset:         0
        .size:           128
        .value_kind:     by_value
    .group_segment_fixed_size: 0
    .kernarg_segment_align: 8
    .kernarg_segment_size: 128
    .language:       OpenCL C
    .language_version:
      - 2
      - 0
    .max_flat_workgroup_size: 256
    .name:           _ZN7rocprim17ROCPRIM_400000_NS6detail17trampoline_kernelINS0_14default_configENS1_25partition_config_selectorILNS1_17partition_subalgoE8ElNS0_10empty_typeEbEEZZNS1_14partition_implILS5_8ELb0ES3_jPKlPS6_PKS6_NS0_5tupleIJPlS6_EEENSE_IJSB_SB_EEENS0_18inequality_wrapperIN6hipcub16HIPCUB_304000_NS8EqualityEEESF_JS6_EEE10hipError_tPvRmT3_T4_T5_T6_T7_T9_mT8_P12ihipStream_tbDpT10_ENKUlT_T0_E_clISt17integral_constantIbLb0EES15_IbLb1EEEEDaS11_S12_EUlS11_E_NS1_11comp_targetILNS1_3genE2ELNS1_11target_archE906ELNS1_3gpuE6ELNS1_3repE0EEENS1_30default_config_static_selectorELNS0_4arch9wavefront6targetE1EEEvT1_
    .private_segment_fixed_size: 0
    .sgpr_count:     4
    .sgpr_spill_count: 0
    .symbol:         _ZN7rocprim17ROCPRIM_400000_NS6detail17trampoline_kernelINS0_14default_configENS1_25partition_config_selectorILNS1_17partition_subalgoE8ElNS0_10empty_typeEbEEZZNS1_14partition_implILS5_8ELb0ES3_jPKlPS6_PKS6_NS0_5tupleIJPlS6_EEENSE_IJSB_SB_EEENS0_18inequality_wrapperIN6hipcub16HIPCUB_304000_NS8EqualityEEESF_JS6_EEE10hipError_tPvRmT3_T4_T5_T6_T7_T9_mT8_P12ihipStream_tbDpT10_ENKUlT_T0_E_clISt17integral_constantIbLb0EES15_IbLb1EEEEDaS11_S12_EUlS11_E_NS1_11comp_targetILNS1_3genE2ELNS1_11target_archE906ELNS1_3gpuE6ELNS1_3repE0EEENS1_30default_config_static_selectorELNS0_4arch9wavefront6targetE1EEEvT1_.kd
    .uniform_work_group_size: 1
    .uses_dynamic_stack: false
    .vgpr_count:     0
    .vgpr_spill_count: 0
    .wavefront_size: 64
  - .agpr_count:     0
    .args:
      - .offset:         0
        .size:           128
        .value_kind:     by_value
    .group_segment_fixed_size: 0
    .kernarg_segment_align: 8
    .kernarg_segment_size: 128
    .language:       OpenCL C
    .language_version:
      - 2
      - 0
    .max_flat_workgroup_size: 384
    .name:           _ZN7rocprim17ROCPRIM_400000_NS6detail17trampoline_kernelINS0_14default_configENS1_25partition_config_selectorILNS1_17partition_subalgoE8ElNS0_10empty_typeEbEEZZNS1_14partition_implILS5_8ELb0ES3_jPKlPS6_PKS6_NS0_5tupleIJPlS6_EEENSE_IJSB_SB_EEENS0_18inequality_wrapperIN6hipcub16HIPCUB_304000_NS8EqualityEEESF_JS6_EEE10hipError_tPvRmT3_T4_T5_T6_T7_T9_mT8_P12ihipStream_tbDpT10_ENKUlT_T0_E_clISt17integral_constantIbLb0EES15_IbLb1EEEEDaS11_S12_EUlS11_E_NS1_11comp_targetILNS1_3genE10ELNS1_11target_archE1200ELNS1_3gpuE4ELNS1_3repE0EEENS1_30default_config_static_selectorELNS0_4arch9wavefront6targetE1EEEvT1_
    .private_segment_fixed_size: 0
    .sgpr_count:     4
    .sgpr_spill_count: 0
    .symbol:         _ZN7rocprim17ROCPRIM_400000_NS6detail17trampoline_kernelINS0_14default_configENS1_25partition_config_selectorILNS1_17partition_subalgoE8ElNS0_10empty_typeEbEEZZNS1_14partition_implILS5_8ELb0ES3_jPKlPS6_PKS6_NS0_5tupleIJPlS6_EEENSE_IJSB_SB_EEENS0_18inequality_wrapperIN6hipcub16HIPCUB_304000_NS8EqualityEEESF_JS6_EEE10hipError_tPvRmT3_T4_T5_T6_T7_T9_mT8_P12ihipStream_tbDpT10_ENKUlT_T0_E_clISt17integral_constantIbLb0EES15_IbLb1EEEEDaS11_S12_EUlS11_E_NS1_11comp_targetILNS1_3genE10ELNS1_11target_archE1200ELNS1_3gpuE4ELNS1_3repE0EEENS1_30default_config_static_selectorELNS0_4arch9wavefront6targetE1EEEvT1_.kd
    .uniform_work_group_size: 1
    .uses_dynamic_stack: false
    .vgpr_count:     0
    .vgpr_spill_count: 0
    .wavefront_size: 64
  - .agpr_count:     0
    .args:
      - .offset:         0
        .size:           128
        .value_kind:     by_value
    .group_segment_fixed_size: 0
    .kernarg_segment_align: 8
    .kernarg_segment_size: 128
    .language:       OpenCL C
    .language_version:
      - 2
      - 0
    .max_flat_workgroup_size: 512
    .name:           _ZN7rocprim17ROCPRIM_400000_NS6detail17trampoline_kernelINS0_14default_configENS1_25partition_config_selectorILNS1_17partition_subalgoE8ElNS0_10empty_typeEbEEZZNS1_14partition_implILS5_8ELb0ES3_jPKlPS6_PKS6_NS0_5tupleIJPlS6_EEENSE_IJSB_SB_EEENS0_18inequality_wrapperIN6hipcub16HIPCUB_304000_NS8EqualityEEESF_JS6_EEE10hipError_tPvRmT3_T4_T5_T6_T7_T9_mT8_P12ihipStream_tbDpT10_ENKUlT_T0_E_clISt17integral_constantIbLb0EES15_IbLb1EEEEDaS11_S12_EUlS11_E_NS1_11comp_targetILNS1_3genE9ELNS1_11target_archE1100ELNS1_3gpuE3ELNS1_3repE0EEENS1_30default_config_static_selectorELNS0_4arch9wavefront6targetE1EEEvT1_
    .private_segment_fixed_size: 0
    .sgpr_count:     4
    .sgpr_spill_count: 0
    .symbol:         _ZN7rocprim17ROCPRIM_400000_NS6detail17trampoline_kernelINS0_14default_configENS1_25partition_config_selectorILNS1_17partition_subalgoE8ElNS0_10empty_typeEbEEZZNS1_14partition_implILS5_8ELb0ES3_jPKlPS6_PKS6_NS0_5tupleIJPlS6_EEENSE_IJSB_SB_EEENS0_18inequality_wrapperIN6hipcub16HIPCUB_304000_NS8EqualityEEESF_JS6_EEE10hipError_tPvRmT3_T4_T5_T6_T7_T9_mT8_P12ihipStream_tbDpT10_ENKUlT_T0_E_clISt17integral_constantIbLb0EES15_IbLb1EEEEDaS11_S12_EUlS11_E_NS1_11comp_targetILNS1_3genE9ELNS1_11target_archE1100ELNS1_3gpuE3ELNS1_3repE0EEENS1_30default_config_static_selectorELNS0_4arch9wavefront6targetE1EEEvT1_.kd
    .uniform_work_group_size: 1
    .uses_dynamic_stack: false
    .vgpr_count:     0
    .vgpr_spill_count: 0
    .wavefront_size: 64
  - .agpr_count:     0
    .args:
      - .offset:         0
        .size:           128
        .value_kind:     by_value
    .group_segment_fixed_size: 0
    .kernarg_segment_align: 8
    .kernarg_segment_size: 128
    .language:       OpenCL C
    .language_version:
      - 2
      - 0
    .max_flat_workgroup_size: 512
    .name:           _ZN7rocprim17ROCPRIM_400000_NS6detail17trampoline_kernelINS0_14default_configENS1_25partition_config_selectorILNS1_17partition_subalgoE8ElNS0_10empty_typeEbEEZZNS1_14partition_implILS5_8ELb0ES3_jPKlPS6_PKS6_NS0_5tupleIJPlS6_EEENSE_IJSB_SB_EEENS0_18inequality_wrapperIN6hipcub16HIPCUB_304000_NS8EqualityEEESF_JS6_EEE10hipError_tPvRmT3_T4_T5_T6_T7_T9_mT8_P12ihipStream_tbDpT10_ENKUlT_T0_E_clISt17integral_constantIbLb0EES15_IbLb1EEEEDaS11_S12_EUlS11_E_NS1_11comp_targetILNS1_3genE8ELNS1_11target_archE1030ELNS1_3gpuE2ELNS1_3repE0EEENS1_30default_config_static_selectorELNS0_4arch9wavefront6targetE1EEEvT1_
    .private_segment_fixed_size: 0
    .sgpr_count:     4
    .sgpr_spill_count: 0
    .symbol:         _ZN7rocprim17ROCPRIM_400000_NS6detail17trampoline_kernelINS0_14default_configENS1_25partition_config_selectorILNS1_17partition_subalgoE8ElNS0_10empty_typeEbEEZZNS1_14partition_implILS5_8ELb0ES3_jPKlPS6_PKS6_NS0_5tupleIJPlS6_EEENSE_IJSB_SB_EEENS0_18inequality_wrapperIN6hipcub16HIPCUB_304000_NS8EqualityEEESF_JS6_EEE10hipError_tPvRmT3_T4_T5_T6_T7_T9_mT8_P12ihipStream_tbDpT10_ENKUlT_T0_E_clISt17integral_constantIbLb0EES15_IbLb1EEEEDaS11_S12_EUlS11_E_NS1_11comp_targetILNS1_3genE8ELNS1_11target_archE1030ELNS1_3gpuE2ELNS1_3repE0EEENS1_30default_config_static_selectorELNS0_4arch9wavefront6targetE1EEEvT1_.kd
    .uniform_work_group_size: 1
    .uses_dynamic_stack: false
    .vgpr_count:     0
    .vgpr_spill_count: 0
    .wavefront_size: 64
  - .agpr_count:     0
    .args:
      - .offset:         0
        .size:           128
        .value_kind:     by_value
    .group_segment_fixed_size: 0
    .kernarg_segment_align: 8
    .kernarg_segment_size: 128
    .language:       OpenCL C
    .language_version:
      - 2
      - 0
    .max_flat_workgroup_size: 256
    .name:           _ZN7rocprim17ROCPRIM_400000_NS6detail17trampoline_kernelINS0_14default_configENS1_33run_length_encode_config_selectorIljNS0_4plusIjEEEEZZNS1_33reduce_by_key_impl_wrapped_configILNS1_25lookback_scan_determinismE0ES3_S7_PKlNS0_17constant_iteratorIjlEEPlSE_SE_S6_NS0_8equal_toIlEEEE10hipError_tPvRmT2_T3_mT4_T5_T6_T7_T8_P12ihipStream_tbENKUlT_T0_E_clISt17integral_constantIbLb0EESY_EEDaST_SU_EUlST_E_NS1_11comp_targetILNS1_3genE0ELNS1_11target_archE4294967295ELNS1_3gpuE0ELNS1_3repE0EEENS1_30default_config_static_selectorELNS0_4arch9wavefront6targetE1EEEvT1_
    .private_segment_fixed_size: 0
    .sgpr_count:     4
    .sgpr_spill_count: 0
    .symbol:         _ZN7rocprim17ROCPRIM_400000_NS6detail17trampoline_kernelINS0_14default_configENS1_33run_length_encode_config_selectorIljNS0_4plusIjEEEEZZNS1_33reduce_by_key_impl_wrapped_configILNS1_25lookback_scan_determinismE0ES3_S7_PKlNS0_17constant_iteratorIjlEEPlSE_SE_S6_NS0_8equal_toIlEEEE10hipError_tPvRmT2_T3_mT4_T5_T6_T7_T8_P12ihipStream_tbENKUlT_T0_E_clISt17integral_constantIbLb0EESY_EEDaST_SU_EUlST_E_NS1_11comp_targetILNS1_3genE0ELNS1_11target_archE4294967295ELNS1_3gpuE0ELNS1_3repE0EEENS1_30default_config_static_selectorELNS0_4arch9wavefront6targetE1EEEvT1_.kd
    .uniform_work_group_size: 1
    .uses_dynamic_stack: false
    .vgpr_count:     0
    .vgpr_spill_count: 0
    .wavefront_size: 64
  - .agpr_count:     0
    .args:
      - .offset:         0
        .size:           128
        .value_kind:     by_value
    .group_segment_fixed_size: 0
    .kernarg_segment_align: 8
    .kernarg_segment_size: 128
    .language:       OpenCL C
    .language_version:
      - 2
      - 0
    .max_flat_workgroup_size: 512
    .name:           _ZN7rocprim17ROCPRIM_400000_NS6detail17trampoline_kernelINS0_14default_configENS1_33run_length_encode_config_selectorIljNS0_4plusIjEEEEZZNS1_33reduce_by_key_impl_wrapped_configILNS1_25lookback_scan_determinismE0ES3_S7_PKlNS0_17constant_iteratorIjlEEPlSE_SE_S6_NS0_8equal_toIlEEEE10hipError_tPvRmT2_T3_mT4_T5_T6_T7_T8_P12ihipStream_tbENKUlT_T0_E_clISt17integral_constantIbLb0EESY_EEDaST_SU_EUlST_E_NS1_11comp_targetILNS1_3genE5ELNS1_11target_archE942ELNS1_3gpuE9ELNS1_3repE0EEENS1_30default_config_static_selectorELNS0_4arch9wavefront6targetE1EEEvT1_
    .private_segment_fixed_size: 0
    .sgpr_count:     4
    .sgpr_spill_count: 0
    .symbol:         _ZN7rocprim17ROCPRIM_400000_NS6detail17trampoline_kernelINS0_14default_configENS1_33run_length_encode_config_selectorIljNS0_4plusIjEEEEZZNS1_33reduce_by_key_impl_wrapped_configILNS1_25lookback_scan_determinismE0ES3_S7_PKlNS0_17constant_iteratorIjlEEPlSE_SE_S6_NS0_8equal_toIlEEEE10hipError_tPvRmT2_T3_mT4_T5_T6_T7_T8_P12ihipStream_tbENKUlT_T0_E_clISt17integral_constantIbLb0EESY_EEDaST_SU_EUlST_E_NS1_11comp_targetILNS1_3genE5ELNS1_11target_archE942ELNS1_3gpuE9ELNS1_3repE0EEENS1_30default_config_static_selectorELNS0_4arch9wavefront6targetE1EEEvT1_.kd
    .uniform_work_group_size: 1
    .uses_dynamic_stack: false
    .vgpr_count:     0
    .vgpr_spill_count: 0
    .wavefront_size: 64
  - .agpr_count:     0
    .args:
      - .offset:         0
        .size:           128
        .value_kind:     by_value
    .group_segment_fixed_size: 20480
    .kernarg_segment_align: 8
    .kernarg_segment_size: 128
    .language:       OpenCL C
    .language_version:
      - 2
      - 0
    .max_flat_workgroup_size: 256
    .name:           _ZN7rocprim17ROCPRIM_400000_NS6detail17trampoline_kernelINS0_14default_configENS1_33run_length_encode_config_selectorIljNS0_4plusIjEEEEZZNS1_33reduce_by_key_impl_wrapped_configILNS1_25lookback_scan_determinismE0ES3_S7_PKlNS0_17constant_iteratorIjlEEPlSE_SE_S6_NS0_8equal_toIlEEEE10hipError_tPvRmT2_T3_mT4_T5_T6_T7_T8_P12ihipStream_tbENKUlT_T0_E_clISt17integral_constantIbLb0EESY_EEDaST_SU_EUlST_E_NS1_11comp_targetILNS1_3genE4ELNS1_11target_archE910ELNS1_3gpuE8ELNS1_3repE0EEENS1_30default_config_static_selectorELNS0_4arch9wavefront6targetE1EEEvT1_
    .private_segment_fixed_size: 0
    .sgpr_count:     58
    .sgpr_spill_count: 0
    .symbol:         _ZN7rocprim17ROCPRIM_400000_NS6detail17trampoline_kernelINS0_14default_configENS1_33run_length_encode_config_selectorIljNS0_4plusIjEEEEZZNS1_33reduce_by_key_impl_wrapped_configILNS1_25lookback_scan_determinismE0ES3_S7_PKlNS0_17constant_iteratorIjlEEPlSE_SE_S6_NS0_8equal_toIlEEEE10hipError_tPvRmT2_T3_mT4_T5_T6_T7_T8_P12ihipStream_tbENKUlT_T0_E_clISt17integral_constantIbLb0EESY_EEDaST_SU_EUlST_E_NS1_11comp_targetILNS1_3genE4ELNS1_11target_archE910ELNS1_3gpuE8ELNS1_3repE0EEENS1_30default_config_static_selectorELNS0_4arch9wavefront6targetE1EEEvT1_.kd
    .uniform_work_group_size: 1
    .uses_dynamic_stack: false
    .vgpr_count:     68
    .vgpr_spill_count: 0
    .wavefront_size: 64
  - .agpr_count:     0
    .args:
      - .offset:         0
        .size:           128
        .value_kind:     by_value
    .group_segment_fixed_size: 0
    .kernarg_segment_align: 8
    .kernarg_segment_size: 128
    .language:       OpenCL C
    .language_version:
      - 2
      - 0
    .max_flat_workgroup_size: 256
    .name:           _ZN7rocprim17ROCPRIM_400000_NS6detail17trampoline_kernelINS0_14default_configENS1_33run_length_encode_config_selectorIljNS0_4plusIjEEEEZZNS1_33reduce_by_key_impl_wrapped_configILNS1_25lookback_scan_determinismE0ES3_S7_PKlNS0_17constant_iteratorIjlEEPlSE_SE_S6_NS0_8equal_toIlEEEE10hipError_tPvRmT2_T3_mT4_T5_T6_T7_T8_P12ihipStream_tbENKUlT_T0_E_clISt17integral_constantIbLb0EESY_EEDaST_SU_EUlST_E_NS1_11comp_targetILNS1_3genE3ELNS1_11target_archE908ELNS1_3gpuE7ELNS1_3repE0EEENS1_30default_config_static_selectorELNS0_4arch9wavefront6targetE1EEEvT1_
    .private_segment_fixed_size: 0
    .sgpr_count:     4
    .sgpr_spill_count: 0
    .symbol:         _ZN7rocprim17ROCPRIM_400000_NS6detail17trampoline_kernelINS0_14default_configENS1_33run_length_encode_config_selectorIljNS0_4plusIjEEEEZZNS1_33reduce_by_key_impl_wrapped_configILNS1_25lookback_scan_determinismE0ES3_S7_PKlNS0_17constant_iteratorIjlEEPlSE_SE_S6_NS0_8equal_toIlEEEE10hipError_tPvRmT2_T3_mT4_T5_T6_T7_T8_P12ihipStream_tbENKUlT_T0_E_clISt17integral_constantIbLb0EESY_EEDaST_SU_EUlST_E_NS1_11comp_targetILNS1_3genE3ELNS1_11target_archE908ELNS1_3gpuE7ELNS1_3repE0EEENS1_30default_config_static_selectorELNS0_4arch9wavefront6targetE1EEEvT1_.kd
    .uniform_work_group_size: 1
    .uses_dynamic_stack: false
    .vgpr_count:     0
    .vgpr_spill_count: 0
    .wavefront_size: 64
  - .agpr_count:     0
    .args:
      - .offset:         0
        .size:           128
        .value_kind:     by_value
    .group_segment_fixed_size: 0
    .kernarg_segment_align: 8
    .kernarg_segment_size: 128
    .language:       OpenCL C
    .language_version:
      - 2
      - 0
    .max_flat_workgroup_size: 256
    .name:           _ZN7rocprim17ROCPRIM_400000_NS6detail17trampoline_kernelINS0_14default_configENS1_33run_length_encode_config_selectorIljNS0_4plusIjEEEEZZNS1_33reduce_by_key_impl_wrapped_configILNS1_25lookback_scan_determinismE0ES3_S7_PKlNS0_17constant_iteratorIjlEEPlSE_SE_S6_NS0_8equal_toIlEEEE10hipError_tPvRmT2_T3_mT4_T5_T6_T7_T8_P12ihipStream_tbENKUlT_T0_E_clISt17integral_constantIbLb0EESY_EEDaST_SU_EUlST_E_NS1_11comp_targetILNS1_3genE2ELNS1_11target_archE906ELNS1_3gpuE6ELNS1_3repE0EEENS1_30default_config_static_selectorELNS0_4arch9wavefront6targetE1EEEvT1_
    .private_segment_fixed_size: 0
    .sgpr_count:     4
    .sgpr_spill_count: 0
    .symbol:         _ZN7rocprim17ROCPRIM_400000_NS6detail17trampoline_kernelINS0_14default_configENS1_33run_length_encode_config_selectorIljNS0_4plusIjEEEEZZNS1_33reduce_by_key_impl_wrapped_configILNS1_25lookback_scan_determinismE0ES3_S7_PKlNS0_17constant_iteratorIjlEEPlSE_SE_S6_NS0_8equal_toIlEEEE10hipError_tPvRmT2_T3_mT4_T5_T6_T7_T8_P12ihipStream_tbENKUlT_T0_E_clISt17integral_constantIbLb0EESY_EEDaST_SU_EUlST_E_NS1_11comp_targetILNS1_3genE2ELNS1_11target_archE906ELNS1_3gpuE6ELNS1_3repE0EEENS1_30default_config_static_selectorELNS0_4arch9wavefront6targetE1EEEvT1_.kd
    .uniform_work_group_size: 1
    .uses_dynamic_stack: false
    .vgpr_count:     0
    .vgpr_spill_count: 0
    .wavefront_size: 64
  - .agpr_count:     0
    .args:
      - .offset:         0
        .size:           128
        .value_kind:     by_value
    .group_segment_fixed_size: 0
    .kernarg_segment_align: 8
    .kernarg_segment_size: 128
    .language:       OpenCL C
    .language_version:
      - 2
      - 0
    .max_flat_workgroup_size: 512
    .name:           _ZN7rocprim17ROCPRIM_400000_NS6detail17trampoline_kernelINS0_14default_configENS1_33run_length_encode_config_selectorIljNS0_4plusIjEEEEZZNS1_33reduce_by_key_impl_wrapped_configILNS1_25lookback_scan_determinismE0ES3_S7_PKlNS0_17constant_iteratorIjlEEPlSE_SE_S6_NS0_8equal_toIlEEEE10hipError_tPvRmT2_T3_mT4_T5_T6_T7_T8_P12ihipStream_tbENKUlT_T0_E_clISt17integral_constantIbLb0EESY_EEDaST_SU_EUlST_E_NS1_11comp_targetILNS1_3genE10ELNS1_11target_archE1201ELNS1_3gpuE5ELNS1_3repE0EEENS1_30default_config_static_selectorELNS0_4arch9wavefront6targetE1EEEvT1_
    .private_segment_fixed_size: 0
    .sgpr_count:     4
    .sgpr_spill_count: 0
    .symbol:         _ZN7rocprim17ROCPRIM_400000_NS6detail17trampoline_kernelINS0_14default_configENS1_33run_length_encode_config_selectorIljNS0_4plusIjEEEEZZNS1_33reduce_by_key_impl_wrapped_configILNS1_25lookback_scan_determinismE0ES3_S7_PKlNS0_17constant_iteratorIjlEEPlSE_SE_S6_NS0_8equal_toIlEEEE10hipError_tPvRmT2_T3_mT4_T5_T6_T7_T8_P12ihipStream_tbENKUlT_T0_E_clISt17integral_constantIbLb0EESY_EEDaST_SU_EUlST_E_NS1_11comp_targetILNS1_3genE10ELNS1_11target_archE1201ELNS1_3gpuE5ELNS1_3repE0EEENS1_30default_config_static_selectorELNS0_4arch9wavefront6targetE1EEEvT1_.kd
    .uniform_work_group_size: 1
    .uses_dynamic_stack: false
    .vgpr_count:     0
    .vgpr_spill_count: 0
    .wavefront_size: 64
  - .agpr_count:     0
    .args:
      - .offset:         0
        .size:           128
        .value_kind:     by_value
    .group_segment_fixed_size: 0
    .kernarg_segment_align: 8
    .kernarg_segment_size: 128
    .language:       OpenCL C
    .language_version:
      - 2
      - 0
    .max_flat_workgroup_size: 512
    .name:           _ZN7rocprim17ROCPRIM_400000_NS6detail17trampoline_kernelINS0_14default_configENS1_33run_length_encode_config_selectorIljNS0_4plusIjEEEEZZNS1_33reduce_by_key_impl_wrapped_configILNS1_25lookback_scan_determinismE0ES3_S7_PKlNS0_17constant_iteratorIjlEEPlSE_SE_S6_NS0_8equal_toIlEEEE10hipError_tPvRmT2_T3_mT4_T5_T6_T7_T8_P12ihipStream_tbENKUlT_T0_E_clISt17integral_constantIbLb0EESY_EEDaST_SU_EUlST_E_NS1_11comp_targetILNS1_3genE10ELNS1_11target_archE1200ELNS1_3gpuE4ELNS1_3repE0EEENS1_30default_config_static_selectorELNS0_4arch9wavefront6targetE1EEEvT1_
    .private_segment_fixed_size: 0
    .sgpr_count:     4
    .sgpr_spill_count: 0
    .symbol:         _ZN7rocprim17ROCPRIM_400000_NS6detail17trampoline_kernelINS0_14default_configENS1_33run_length_encode_config_selectorIljNS0_4plusIjEEEEZZNS1_33reduce_by_key_impl_wrapped_configILNS1_25lookback_scan_determinismE0ES3_S7_PKlNS0_17constant_iteratorIjlEEPlSE_SE_S6_NS0_8equal_toIlEEEE10hipError_tPvRmT2_T3_mT4_T5_T6_T7_T8_P12ihipStream_tbENKUlT_T0_E_clISt17integral_constantIbLb0EESY_EEDaST_SU_EUlST_E_NS1_11comp_targetILNS1_3genE10ELNS1_11target_archE1200ELNS1_3gpuE4ELNS1_3repE0EEENS1_30default_config_static_selectorELNS0_4arch9wavefront6targetE1EEEvT1_.kd
    .uniform_work_group_size: 1
    .uses_dynamic_stack: false
    .vgpr_count:     0
    .vgpr_spill_count: 0
    .wavefront_size: 64
  - .agpr_count:     0
    .args:
      - .offset:         0
        .size:           128
        .value_kind:     by_value
    .group_segment_fixed_size: 0
    .kernarg_segment_align: 8
    .kernarg_segment_size: 128
    .language:       OpenCL C
    .language_version:
      - 2
      - 0
    .max_flat_workgroup_size: 512
    .name:           _ZN7rocprim17ROCPRIM_400000_NS6detail17trampoline_kernelINS0_14default_configENS1_33run_length_encode_config_selectorIljNS0_4plusIjEEEEZZNS1_33reduce_by_key_impl_wrapped_configILNS1_25lookback_scan_determinismE0ES3_S7_PKlNS0_17constant_iteratorIjlEEPlSE_SE_S6_NS0_8equal_toIlEEEE10hipError_tPvRmT2_T3_mT4_T5_T6_T7_T8_P12ihipStream_tbENKUlT_T0_E_clISt17integral_constantIbLb0EESY_EEDaST_SU_EUlST_E_NS1_11comp_targetILNS1_3genE9ELNS1_11target_archE1100ELNS1_3gpuE3ELNS1_3repE0EEENS1_30default_config_static_selectorELNS0_4arch9wavefront6targetE1EEEvT1_
    .private_segment_fixed_size: 0
    .sgpr_count:     4
    .sgpr_spill_count: 0
    .symbol:         _ZN7rocprim17ROCPRIM_400000_NS6detail17trampoline_kernelINS0_14default_configENS1_33run_length_encode_config_selectorIljNS0_4plusIjEEEEZZNS1_33reduce_by_key_impl_wrapped_configILNS1_25lookback_scan_determinismE0ES3_S7_PKlNS0_17constant_iteratorIjlEEPlSE_SE_S6_NS0_8equal_toIlEEEE10hipError_tPvRmT2_T3_mT4_T5_T6_T7_T8_P12ihipStream_tbENKUlT_T0_E_clISt17integral_constantIbLb0EESY_EEDaST_SU_EUlST_E_NS1_11comp_targetILNS1_3genE9ELNS1_11target_archE1100ELNS1_3gpuE3ELNS1_3repE0EEENS1_30default_config_static_selectorELNS0_4arch9wavefront6targetE1EEEvT1_.kd
    .uniform_work_group_size: 1
    .uses_dynamic_stack: false
    .vgpr_count:     0
    .vgpr_spill_count: 0
    .wavefront_size: 64
  - .agpr_count:     0
    .args:
      - .offset:         0
        .size:           128
        .value_kind:     by_value
    .group_segment_fixed_size: 0
    .kernarg_segment_align: 8
    .kernarg_segment_size: 128
    .language:       OpenCL C
    .language_version:
      - 2
      - 0
    .max_flat_workgroup_size: 512
    .name:           _ZN7rocprim17ROCPRIM_400000_NS6detail17trampoline_kernelINS0_14default_configENS1_33run_length_encode_config_selectorIljNS0_4plusIjEEEEZZNS1_33reduce_by_key_impl_wrapped_configILNS1_25lookback_scan_determinismE0ES3_S7_PKlNS0_17constant_iteratorIjlEEPlSE_SE_S6_NS0_8equal_toIlEEEE10hipError_tPvRmT2_T3_mT4_T5_T6_T7_T8_P12ihipStream_tbENKUlT_T0_E_clISt17integral_constantIbLb0EESY_EEDaST_SU_EUlST_E_NS1_11comp_targetILNS1_3genE8ELNS1_11target_archE1030ELNS1_3gpuE2ELNS1_3repE0EEENS1_30default_config_static_selectorELNS0_4arch9wavefront6targetE1EEEvT1_
    .private_segment_fixed_size: 0
    .sgpr_count:     4
    .sgpr_spill_count: 0
    .symbol:         _ZN7rocprim17ROCPRIM_400000_NS6detail17trampoline_kernelINS0_14default_configENS1_33run_length_encode_config_selectorIljNS0_4plusIjEEEEZZNS1_33reduce_by_key_impl_wrapped_configILNS1_25lookback_scan_determinismE0ES3_S7_PKlNS0_17constant_iteratorIjlEEPlSE_SE_S6_NS0_8equal_toIlEEEE10hipError_tPvRmT2_T3_mT4_T5_T6_T7_T8_P12ihipStream_tbENKUlT_T0_E_clISt17integral_constantIbLb0EESY_EEDaST_SU_EUlST_E_NS1_11comp_targetILNS1_3genE8ELNS1_11target_archE1030ELNS1_3gpuE2ELNS1_3repE0EEENS1_30default_config_static_selectorELNS0_4arch9wavefront6targetE1EEEvT1_.kd
    .uniform_work_group_size: 1
    .uses_dynamic_stack: false
    .vgpr_count:     0
    .vgpr_spill_count: 0
    .wavefront_size: 64
  - .agpr_count:     0
    .args:
      - .offset:         0
        .size:           128
        .value_kind:     by_value
    .group_segment_fixed_size: 0
    .kernarg_segment_align: 8
    .kernarg_segment_size: 128
    .language:       OpenCL C
    .language_version:
      - 2
      - 0
    .max_flat_workgroup_size: 256
    .name:           _ZN7rocprim17ROCPRIM_400000_NS6detail17trampoline_kernelINS0_14default_configENS1_33run_length_encode_config_selectorIljNS0_4plusIjEEEEZZNS1_33reduce_by_key_impl_wrapped_configILNS1_25lookback_scan_determinismE0ES3_S7_PKlNS0_17constant_iteratorIjlEEPlSE_SE_S6_NS0_8equal_toIlEEEE10hipError_tPvRmT2_T3_mT4_T5_T6_T7_T8_P12ihipStream_tbENKUlT_T0_E_clISt17integral_constantIbLb1EESY_EEDaST_SU_EUlST_E_NS1_11comp_targetILNS1_3genE0ELNS1_11target_archE4294967295ELNS1_3gpuE0ELNS1_3repE0EEENS1_30default_config_static_selectorELNS0_4arch9wavefront6targetE1EEEvT1_
    .private_segment_fixed_size: 0
    .sgpr_count:     4
    .sgpr_spill_count: 0
    .symbol:         _ZN7rocprim17ROCPRIM_400000_NS6detail17trampoline_kernelINS0_14default_configENS1_33run_length_encode_config_selectorIljNS0_4plusIjEEEEZZNS1_33reduce_by_key_impl_wrapped_configILNS1_25lookback_scan_determinismE0ES3_S7_PKlNS0_17constant_iteratorIjlEEPlSE_SE_S6_NS0_8equal_toIlEEEE10hipError_tPvRmT2_T3_mT4_T5_T6_T7_T8_P12ihipStream_tbENKUlT_T0_E_clISt17integral_constantIbLb1EESY_EEDaST_SU_EUlST_E_NS1_11comp_targetILNS1_3genE0ELNS1_11target_archE4294967295ELNS1_3gpuE0ELNS1_3repE0EEENS1_30default_config_static_selectorELNS0_4arch9wavefront6targetE1EEEvT1_.kd
    .uniform_work_group_size: 1
    .uses_dynamic_stack: false
    .vgpr_count:     0
    .vgpr_spill_count: 0
    .wavefront_size: 64
  - .agpr_count:     0
    .args:
      - .offset:         0
        .size:           128
        .value_kind:     by_value
    .group_segment_fixed_size: 0
    .kernarg_segment_align: 8
    .kernarg_segment_size: 128
    .language:       OpenCL C
    .language_version:
      - 2
      - 0
    .max_flat_workgroup_size: 512
    .name:           _ZN7rocprim17ROCPRIM_400000_NS6detail17trampoline_kernelINS0_14default_configENS1_33run_length_encode_config_selectorIljNS0_4plusIjEEEEZZNS1_33reduce_by_key_impl_wrapped_configILNS1_25lookback_scan_determinismE0ES3_S7_PKlNS0_17constant_iteratorIjlEEPlSE_SE_S6_NS0_8equal_toIlEEEE10hipError_tPvRmT2_T3_mT4_T5_T6_T7_T8_P12ihipStream_tbENKUlT_T0_E_clISt17integral_constantIbLb1EESY_EEDaST_SU_EUlST_E_NS1_11comp_targetILNS1_3genE5ELNS1_11target_archE942ELNS1_3gpuE9ELNS1_3repE0EEENS1_30default_config_static_selectorELNS0_4arch9wavefront6targetE1EEEvT1_
    .private_segment_fixed_size: 0
    .sgpr_count:     4
    .sgpr_spill_count: 0
    .symbol:         _ZN7rocprim17ROCPRIM_400000_NS6detail17trampoline_kernelINS0_14default_configENS1_33run_length_encode_config_selectorIljNS0_4plusIjEEEEZZNS1_33reduce_by_key_impl_wrapped_configILNS1_25lookback_scan_determinismE0ES3_S7_PKlNS0_17constant_iteratorIjlEEPlSE_SE_S6_NS0_8equal_toIlEEEE10hipError_tPvRmT2_T3_mT4_T5_T6_T7_T8_P12ihipStream_tbENKUlT_T0_E_clISt17integral_constantIbLb1EESY_EEDaST_SU_EUlST_E_NS1_11comp_targetILNS1_3genE5ELNS1_11target_archE942ELNS1_3gpuE9ELNS1_3repE0EEENS1_30default_config_static_selectorELNS0_4arch9wavefront6targetE1EEEvT1_.kd
    .uniform_work_group_size: 1
    .uses_dynamic_stack: false
    .vgpr_count:     0
    .vgpr_spill_count: 0
    .wavefront_size: 64
  - .agpr_count:     0
    .args:
      - .offset:         0
        .size:           128
        .value_kind:     by_value
    .group_segment_fixed_size: 20480
    .kernarg_segment_align: 8
    .kernarg_segment_size: 128
    .language:       OpenCL C
    .language_version:
      - 2
      - 0
    .max_flat_workgroup_size: 256
    .name:           _ZN7rocprim17ROCPRIM_400000_NS6detail17trampoline_kernelINS0_14default_configENS1_33run_length_encode_config_selectorIljNS0_4plusIjEEEEZZNS1_33reduce_by_key_impl_wrapped_configILNS1_25lookback_scan_determinismE0ES3_S7_PKlNS0_17constant_iteratorIjlEEPlSE_SE_S6_NS0_8equal_toIlEEEE10hipError_tPvRmT2_T3_mT4_T5_T6_T7_T8_P12ihipStream_tbENKUlT_T0_E_clISt17integral_constantIbLb1EESY_EEDaST_SU_EUlST_E_NS1_11comp_targetILNS1_3genE4ELNS1_11target_archE910ELNS1_3gpuE8ELNS1_3repE0EEENS1_30default_config_static_selectorELNS0_4arch9wavefront6targetE1EEEvT1_
    .private_segment_fixed_size: 0
    .sgpr_count:     60
    .sgpr_spill_count: 0
    .symbol:         _ZN7rocprim17ROCPRIM_400000_NS6detail17trampoline_kernelINS0_14default_configENS1_33run_length_encode_config_selectorIljNS0_4plusIjEEEEZZNS1_33reduce_by_key_impl_wrapped_configILNS1_25lookback_scan_determinismE0ES3_S7_PKlNS0_17constant_iteratorIjlEEPlSE_SE_S6_NS0_8equal_toIlEEEE10hipError_tPvRmT2_T3_mT4_T5_T6_T7_T8_P12ihipStream_tbENKUlT_T0_E_clISt17integral_constantIbLb1EESY_EEDaST_SU_EUlST_E_NS1_11comp_targetILNS1_3genE4ELNS1_11target_archE910ELNS1_3gpuE8ELNS1_3repE0EEENS1_30default_config_static_selectorELNS0_4arch9wavefront6targetE1EEEvT1_.kd
    .uniform_work_group_size: 1
    .uses_dynamic_stack: false
    .vgpr_count:     68
    .vgpr_spill_count: 0
    .wavefront_size: 64
  - .agpr_count:     0
    .args:
      - .offset:         0
        .size:           128
        .value_kind:     by_value
    .group_segment_fixed_size: 0
    .kernarg_segment_align: 8
    .kernarg_segment_size: 128
    .language:       OpenCL C
    .language_version:
      - 2
      - 0
    .max_flat_workgroup_size: 256
    .name:           _ZN7rocprim17ROCPRIM_400000_NS6detail17trampoline_kernelINS0_14default_configENS1_33run_length_encode_config_selectorIljNS0_4plusIjEEEEZZNS1_33reduce_by_key_impl_wrapped_configILNS1_25lookback_scan_determinismE0ES3_S7_PKlNS0_17constant_iteratorIjlEEPlSE_SE_S6_NS0_8equal_toIlEEEE10hipError_tPvRmT2_T3_mT4_T5_T6_T7_T8_P12ihipStream_tbENKUlT_T0_E_clISt17integral_constantIbLb1EESY_EEDaST_SU_EUlST_E_NS1_11comp_targetILNS1_3genE3ELNS1_11target_archE908ELNS1_3gpuE7ELNS1_3repE0EEENS1_30default_config_static_selectorELNS0_4arch9wavefront6targetE1EEEvT1_
    .private_segment_fixed_size: 0
    .sgpr_count:     4
    .sgpr_spill_count: 0
    .symbol:         _ZN7rocprim17ROCPRIM_400000_NS6detail17trampoline_kernelINS0_14default_configENS1_33run_length_encode_config_selectorIljNS0_4plusIjEEEEZZNS1_33reduce_by_key_impl_wrapped_configILNS1_25lookback_scan_determinismE0ES3_S7_PKlNS0_17constant_iteratorIjlEEPlSE_SE_S6_NS0_8equal_toIlEEEE10hipError_tPvRmT2_T3_mT4_T5_T6_T7_T8_P12ihipStream_tbENKUlT_T0_E_clISt17integral_constantIbLb1EESY_EEDaST_SU_EUlST_E_NS1_11comp_targetILNS1_3genE3ELNS1_11target_archE908ELNS1_3gpuE7ELNS1_3repE0EEENS1_30default_config_static_selectorELNS0_4arch9wavefront6targetE1EEEvT1_.kd
    .uniform_work_group_size: 1
    .uses_dynamic_stack: false
    .vgpr_count:     0
    .vgpr_spill_count: 0
    .wavefront_size: 64
  - .agpr_count:     0
    .args:
      - .offset:         0
        .size:           128
        .value_kind:     by_value
    .group_segment_fixed_size: 0
    .kernarg_segment_align: 8
    .kernarg_segment_size: 128
    .language:       OpenCL C
    .language_version:
      - 2
      - 0
    .max_flat_workgroup_size: 256
    .name:           _ZN7rocprim17ROCPRIM_400000_NS6detail17trampoline_kernelINS0_14default_configENS1_33run_length_encode_config_selectorIljNS0_4plusIjEEEEZZNS1_33reduce_by_key_impl_wrapped_configILNS1_25lookback_scan_determinismE0ES3_S7_PKlNS0_17constant_iteratorIjlEEPlSE_SE_S6_NS0_8equal_toIlEEEE10hipError_tPvRmT2_T3_mT4_T5_T6_T7_T8_P12ihipStream_tbENKUlT_T0_E_clISt17integral_constantIbLb1EESY_EEDaST_SU_EUlST_E_NS1_11comp_targetILNS1_3genE2ELNS1_11target_archE906ELNS1_3gpuE6ELNS1_3repE0EEENS1_30default_config_static_selectorELNS0_4arch9wavefront6targetE1EEEvT1_
    .private_segment_fixed_size: 0
    .sgpr_count:     4
    .sgpr_spill_count: 0
    .symbol:         _ZN7rocprim17ROCPRIM_400000_NS6detail17trampoline_kernelINS0_14default_configENS1_33run_length_encode_config_selectorIljNS0_4plusIjEEEEZZNS1_33reduce_by_key_impl_wrapped_configILNS1_25lookback_scan_determinismE0ES3_S7_PKlNS0_17constant_iteratorIjlEEPlSE_SE_S6_NS0_8equal_toIlEEEE10hipError_tPvRmT2_T3_mT4_T5_T6_T7_T8_P12ihipStream_tbENKUlT_T0_E_clISt17integral_constantIbLb1EESY_EEDaST_SU_EUlST_E_NS1_11comp_targetILNS1_3genE2ELNS1_11target_archE906ELNS1_3gpuE6ELNS1_3repE0EEENS1_30default_config_static_selectorELNS0_4arch9wavefront6targetE1EEEvT1_.kd
    .uniform_work_group_size: 1
    .uses_dynamic_stack: false
    .vgpr_count:     0
    .vgpr_spill_count: 0
    .wavefront_size: 64
  - .agpr_count:     0
    .args:
      - .offset:         0
        .size:           128
        .value_kind:     by_value
    .group_segment_fixed_size: 0
    .kernarg_segment_align: 8
    .kernarg_segment_size: 128
    .language:       OpenCL C
    .language_version:
      - 2
      - 0
    .max_flat_workgroup_size: 512
    .name:           _ZN7rocprim17ROCPRIM_400000_NS6detail17trampoline_kernelINS0_14default_configENS1_33run_length_encode_config_selectorIljNS0_4plusIjEEEEZZNS1_33reduce_by_key_impl_wrapped_configILNS1_25lookback_scan_determinismE0ES3_S7_PKlNS0_17constant_iteratorIjlEEPlSE_SE_S6_NS0_8equal_toIlEEEE10hipError_tPvRmT2_T3_mT4_T5_T6_T7_T8_P12ihipStream_tbENKUlT_T0_E_clISt17integral_constantIbLb1EESY_EEDaST_SU_EUlST_E_NS1_11comp_targetILNS1_3genE10ELNS1_11target_archE1201ELNS1_3gpuE5ELNS1_3repE0EEENS1_30default_config_static_selectorELNS0_4arch9wavefront6targetE1EEEvT1_
    .private_segment_fixed_size: 0
    .sgpr_count:     4
    .sgpr_spill_count: 0
    .symbol:         _ZN7rocprim17ROCPRIM_400000_NS6detail17trampoline_kernelINS0_14default_configENS1_33run_length_encode_config_selectorIljNS0_4plusIjEEEEZZNS1_33reduce_by_key_impl_wrapped_configILNS1_25lookback_scan_determinismE0ES3_S7_PKlNS0_17constant_iteratorIjlEEPlSE_SE_S6_NS0_8equal_toIlEEEE10hipError_tPvRmT2_T3_mT4_T5_T6_T7_T8_P12ihipStream_tbENKUlT_T0_E_clISt17integral_constantIbLb1EESY_EEDaST_SU_EUlST_E_NS1_11comp_targetILNS1_3genE10ELNS1_11target_archE1201ELNS1_3gpuE5ELNS1_3repE0EEENS1_30default_config_static_selectorELNS0_4arch9wavefront6targetE1EEEvT1_.kd
    .uniform_work_group_size: 1
    .uses_dynamic_stack: false
    .vgpr_count:     0
    .vgpr_spill_count: 0
    .wavefront_size: 64
  - .agpr_count:     0
    .args:
      - .offset:         0
        .size:           128
        .value_kind:     by_value
    .group_segment_fixed_size: 0
    .kernarg_segment_align: 8
    .kernarg_segment_size: 128
    .language:       OpenCL C
    .language_version:
      - 2
      - 0
    .max_flat_workgroup_size: 512
    .name:           _ZN7rocprim17ROCPRIM_400000_NS6detail17trampoline_kernelINS0_14default_configENS1_33run_length_encode_config_selectorIljNS0_4plusIjEEEEZZNS1_33reduce_by_key_impl_wrapped_configILNS1_25lookback_scan_determinismE0ES3_S7_PKlNS0_17constant_iteratorIjlEEPlSE_SE_S6_NS0_8equal_toIlEEEE10hipError_tPvRmT2_T3_mT4_T5_T6_T7_T8_P12ihipStream_tbENKUlT_T0_E_clISt17integral_constantIbLb1EESY_EEDaST_SU_EUlST_E_NS1_11comp_targetILNS1_3genE10ELNS1_11target_archE1200ELNS1_3gpuE4ELNS1_3repE0EEENS1_30default_config_static_selectorELNS0_4arch9wavefront6targetE1EEEvT1_
    .private_segment_fixed_size: 0
    .sgpr_count:     4
    .sgpr_spill_count: 0
    .symbol:         _ZN7rocprim17ROCPRIM_400000_NS6detail17trampoline_kernelINS0_14default_configENS1_33run_length_encode_config_selectorIljNS0_4plusIjEEEEZZNS1_33reduce_by_key_impl_wrapped_configILNS1_25lookback_scan_determinismE0ES3_S7_PKlNS0_17constant_iteratorIjlEEPlSE_SE_S6_NS0_8equal_toIlEEEE10hipError_tPvRmT2_T3_mT4_T5_T6_T7_T8_P12ihipStream_tbENKUlT_T0_E_clISt17integral_constantIbLb1EESY_EEDaST_SU_EUlST_E_NS1_11comp_targetILNS1_3genE10ELNS1_11target_archE1200ELNS1_3gpuE4ELNS1_3repE0EEENS1_30default_config_static_selectorELNS0_4arch9wavefront6targetE1EEEvT1_.kd
    .uniform_work_group_size: 1
    .uses_dynamic_stack: false
    .vgpr_count:     0
    .vgpr_spill_count: 0
    .wavefront_size: 64
  - .agpr_count:     0
    .args:
      - .offset:         0
        .size:           128
        .value_kind:     by_value
    .group_segment_fixed_size: 0
    .kernarg_segment_align: 8
    .kernarg_segment_size: 128
    .language:       OpenCL C
    .language_version:
      - 2
      - 0
    .max_flat_workgroup_size: 512
    .name:           _ZN7rocprim17ROCPRIM_400000_NS6detail17trampoline_kernelINS0_14default_configENS1_33run_length_encode_config_selectorIljNS0_4plusIjEEEEZZNS1_33reduce_by_key_impl_wrapped_configILNS1_25lookback_scan_determinismE0ES3_S7_PKlNS0_17constant_iteratorIjlEEPlSE_SE_S6_NS0_8equal_toIlEEEE10hipError_tPvRmT2_T3_mT4_T5_T6_T7_T8_P12ihipStream_tbENKUlT_T0_E_clISt17integral_constantIbLb1EESY_EEDaST_SU_EUlST_E_NS1_11comp_targetILNS1_3genE9ELNS1_11target_archE1100ELNS1_3gpuE3ELNS1_3repE0EEENS1_30default_config_static_selectorELNS0_4arch9wavefront6targetE1EEEvT1_
    .private_segment_fixed_size: 0
    .sgpr_count:     4
    .sgpr_spill_count: 0
    .symbol:         _ZN7rocprim17ROCPRIM_400000_NS6detail17trampoline_kernelINS0_14default_configENS1_33run_length_encode_config_selectorIljNS0_4plusIjEEEEZZNS1_33reduce_by_key_impl_wrapped_configILNS1_25lookback_scan_determinismE0ES3_S7_PKlNS0_17constant_iteratorIjlEEPlSE_SE_S6_NS0_8equal_toIlEEEE10hipError_tPvRmT2_T3_mT4_T5_T6_T7_T8_P12ihipStream_tbENKUlT_T0_E_clISt17integral_constantIbLb1EESY_EEDaST_SU_EUlST_E_NS1_11comp_targetILNS1_3genE9ELNS1_11target_archE1100ELNS1_3gpuE3ELNS1_3repE0EEENS1_30default_config_static_selectorELNS0_4arch9wavefront6targetE1EEEvT1_.kd
    .uniform_work_group_size: 1
    .uses_dynamic_stack: false
    .vgpr_count:     0
    .vgpr_spill_count: 0
    .wavefront_size: 64
  - .agpr_count:     0
    .args:
      - .offset:         0
        .size:           128
        .value_kind:     by_value
    .group_segment_fixed_size: 0
    .kernarg_segment_align: 8
    .kernarg_segment_size: 128
    .language:       OpenCL C
    .language_version:
      - 2
      - 0
    .max_flat_workgroup_size: 512
    .name:           _ZN7rocprim17ROCPRIM_400000_NS6detail17trampoline_kernelINS0_14default_configENS1_33run_length_encode_config_selectorIljNS0_4plusIjEEEEZZNS1_33reduce_by_key_impl_wrapped_configILNS1_25lookback_scan_determinismE0ES3_S7_PKlNS0_17constant_iteratorIjlEEPlSE_SE_S6_NS0_8equal_toIlEEEE10hipError_tPvRmT2_T3_mT4_T5_T6_T7_T8_P12ihipStream_tbENKUlT_T0_E_clISt17integral_constantIbLb1EESY_EEDaST_SU_EUlST_E_NS1_11comp_targetILNS1_3genE8ELNS1_11target_archE1030ELNS1_3gpuE2ELNS1_3repE0EEENS1_30default_config_static_selectorELNS0_4arch9wavefront6targetE1EEEvT1_
    .private_segment_fixed_size: 0
    .sgpr_count:     4
    .sgpr_spill_count: 0
    .symbol:         _ZN7rocprim17ROCPRIM_400000_NS6detail17trampoline_kernelINS0_14default_configENS1_33run_length_encode_config_selectorIljNS0_4plusIjEEEEZZNS1_33reduce_by_key_impl_wrapped_configILNS1_25lookback_scan_determinismE0ES3_S7_PKlNS0_17constant_iteratorIjlEEPlSE_SE_S6_NS0_8equal_toIlEEEE10hipError_tPvRmT2_T3_mT4_T5_T6_T7_T8_P12ihipStream_tbENKUlT_T0_E_clISt17integral_constantIbLb1EESY_EEDaST_SU_EUlST_E_NS1_11comp_targetILNS1_3genE8ELNS1_11target_archE1030ELNS1_3gpuE2ELNS1_3repE0EEENS1_30default_config_static_selectorELNS0_4arch9wavefront6targetE1EEEvT1_.kd
    .uniform_work_group_size: 1
    .uses_dynamic_stack: false
    .vgpr_count:     0
    .vgpr_spill_count: 0
    .wavefront_size: 64
  - .agpr_count:     0
    .args:
      - .offset:         0
        .size:           128
        .value_kind:     by_value
    .group_segment_fixed_size: 0
    .kernarg_segment_align: 8
    .kernarg_segment_size: 128
    .language:       OpenCL C
    .language_version:
      - 2
      - 0
    .max_flat_workgroup_size: 256
    .name:           _ZN7rocprim17ROCPRIM_400000_NS6detail17trampoline_kernelINS0_14default_configENS1_33run_length_encode_config_selectorIljNS0_4plusIjEEEEZZNS1_33reduce_by_key_impl_wrapped_configILNS1_25lookback_scan_determinismE0ES3_S7_PKlNS0_17constant_iteratorIjlEEPlSE_SE_S6_NS0_8equal_toIlEEEE10hipError_tPvRmT2_T3_mT4_T5_T6_T7_T8_P12ihipStream_tbENKUlT_T0_E_clISt17integral_constantIbLb1EESX_IbLb0EEEEDaST_SU_EUlST_E_NS1_11comp_targetILNS1_3genE0ELNS1_11target_archE4294967295ELNS1_3gpuE0ELNS1_3repE0EEENS1_30default_config_static_selectorELNS0_4arch9wavefront6targetE1EEEvT1_
    .private_segment_fixed_size: 0
    .sgpr_count:     4
    .sgpr_spill_count: 0
    .symbol:         _ZN7rocprim17ROCPRIM_400000_NS6detail17trampoline_kernelINS0_14default_configENS1_33run_length_encode_config_selectorIljNS0_4plusIjEEEEZZNS1_33reduce_by_key_impl_wrapped_configILNS1_25lookback_scan_determinismE0ES3_S7_PKlNS0_17constant_iteratorIjlEEPlSE_SE_S6_NS0_8equal_toIlEEEE10hipError_tPvRmT2_T3_mT4_T5_T6_T7_T8_P12ihipStream_tbENKUlT_T0_E_clISt17integral_constantIbLb1EESX_IbLb0EEEEDaST_SU_EUlST_E_NS1_11comp_targetILNS1_3genE0ELNS1_11target_archE4294967295ELNS1_3gpuE0ELNS1_3repE0EEENS1_30default_config_static_selectorELNS0_4arch9wavefront6targetE1EEEvT1_.kd
    .uniform_work_group_size: 1
    .uses_dynamic_stack: false
    .vgpr_count:     0
    .vgpr_spill_count: 0
    .wavefront_size: 64
  - .agpr_count:     0
    .args:
      - .offset:         0
        .size:           128
        .value_kind:     by_value
    .group_segment_fixed_size: 0
    .kernarg_segment_align: 8
    .kernarg_segment_size: 128
    .language:       OpenCL C
    .language_version:
      - 2
      - 0
    .max_flat_workgroup_size: 512
    .name:           _ZN7rocprim17ROCPRIM_400000_NS6detail17trampoline_kernelINS0_14default_configENS1_33run_length_encode_config_selectorIljNS0_4plusIjEEEEZZNS1_33reduce_by_key_impl_wrapped_configILNS1_25lookback_scan_determinismE0ES3_S7_PKlNS0_17constant_iteratorIjlEEPlSE_SE_S6_NS0_8equal_toIlEEEE10hipError_tPvRmT2_T3_mT4_T5_T6_T7_T8_P12ihipStream_tbENKUlT_T0_E_clISt17integral_constantIbLb1EESX_IbLb0EEEEDaST_SU_EUlST_E_NS1_11comp_targetILNS1_3genE5ELNS1_11target_archE942ELNS1_3gpuE9ELNS1_3repE0EEENS1_30default_config_static_selectorELNS0_4arch9wavefront6targetE1EEEvT1_
    .private_segment_fixed_size: 0
    .sgpr_count:     4
    .sgpr_spill_count: 0
    .symbol:         _ZN7rocprim17ROCPRIM_400000_NS6detail17trampoline_kernelINS0_14default_configENS1_33run_length_encode_config_selectorIljNS0_4plusIjEEEEZZNS1_33reduce_by_key_impl_wrapped_configILNS1_25lookback_scan_determinismE0ES3_S7_PKlNS0_17constant_iteratorIjlEEPlSE_SE_S6_NS0_8equal_toIlEEEE10hipError_tPvRmT2_T3_mT4_T5_T6_T7_T8_P12ihipStream_tbENKUlT_T0_E_clISt17integral_constantIbLb1EESX_IbLb0EEEEDaST_SU_EUlST_E_NS1_11comp_targetILNS1_3genE5ELNS1_11target_archE942ELNS1_3gpuE9ELNS1_3repE0EEENS1_30default_config_static_selectorELNS0_4arch9wavefront6targetE1EEEvT1_.kd
    .uniform_work_group_size: 1
    .uses_dynamic_stack: false
    .vgpr_count:     0
    .vgpr_spill_count: 0
    .wavefront_size: 64
  - .agpr_count:     0
    .args:
      - .offset:         0
        .size:           128
        .value_kind:     by_value
    .group_segment_fixed_size: 20480
    .kernarg_segment_align: 8
    .kernarg_segment_size: 128
    .language:       OpenCL C
    .language_version:
      - 2
      - 0
    .max_flat_workgroup_size: 256
    .name:           _ZN7rocprim17ROCPRIM_400000_NS6detail17trampoline_kernelINS0_14default_configENS1_33run_length_encode_config_selectorIljNS0_4plusIjEEEEZZNS1_33reduce_by_key_impl_wrapped_configILNS1_25lookback_scan_determinismE0ES3_S7_PKlNS0_17constant_iteratorIjlEEPlSE_SE_S6_NS0_8equal_toIlEEEE10hipError_tPvRmT2_T3_mT4_T5_T6_T7_T8_P12ihipStream_tbENKUlT_T0_E_clISt17integral_constantIbLb1EESX_IbLb0EEEEDaST_SU_EUlST_E_NS1_11comp_targetILNS1_3genE4ELNS1_11target_archE910ELNS1_3gpuE8ELNS1_3repE0EEENS1_30default_config_static_selectorELNS0_4arch9wavefront6targetE1EEEvT1_
    .private_segment_fixed_size: 0
    .sgpr_count:     58
    .sgpr_spill_count: 0
    .symbol:         _ZN7rocprim17ROCPRIM_400000_NS6detail17trampoline_kernelINS0_14default_configENS1_33run_length_encode_config_selectorIljNS0_4plusIjEEEEZZNS1_33reduce_by_key_impl_wrapped_configILNS1_25lookback_scan_determinismE0ES3_S7_PKlNS0_17constant_iteratorIjlEEPlSE_SE_S6_NS0_8equal_toIlEEEE10hipError_tPvRmT2_T3_mT4_T5_T6_T7_T8_P12ihipStream_tbENKUlT_T0_E_clISt17integral_constantIbLb1EESX_IbLb0EEEEDaST_SU_EUlST_E_NS1_11comp_targetILNS1_3genE4ELNS1_11target_archE910ELNS1_3gpuE8ELNS1_3repE0EEENS1_30default_config_static_selectorELNS0_4arch9wavefront6targetE1EEEvT1_.kd
    .uniform_work_group_size: 1
    .uses_dynamic_stack: false
    .vgpr_count:     68
    .vgpr_spill_count: 0
    .wavefront_size: 64
  - .agpr_count:     0
    .args:
      - .offset:         0
        .size:           128
        .value_kind:     by_value
    .group_segment_fixed_size: 0
    .kernarg_segment_align: 8
    .kernarg_segment_size: 128
    .language:       OpenCL C
    .language_version:
      - 2
      - 0
    .max_flat_workgroup_size: 256
    .name:           _ZN7rocprim17ROCPRIM_400000_NS6detail17trampoline_kernelINS0_14default_configENS1_33run_length_encode_config_selectorIljNS0_4plusIjEEEEZZNS1_33reduce_by_key_impl_wrapped_configILNS1_25lookback_scan_determinismE0ES3_S7_PKlNS0_17constant_iteratorIjlEEPlSE_SE_S6_NS0_8equal_toIlEEEE10hipError_tPvRmT2_T3_mT4_T5_T6_T7_T8_P12ihipStream_tbENKUlT_T0_E_clISt17integral_constantIbLb1EESX_IbLb0EEEEDaST_SU_EUlST_E_NS1_11comp_targetILNS1_3genE3ELNS1_11target_archE908ELNS1_3gpuE7ELNS1_3repE0EEENS1_30default_config_static_selectorELNS0_4arch9wavefront6targetE1EEEvT1_
    .private_segment_fixed_size: 0
    .sgpr_count:     4
    .sgpr_spill_count: 0
    .symbol:         _ZN7rocprim17ROCPRIM_400000_NS6detail17trampoline_kernelINS0_14default_configENS1_33run_length_encode_config_selectorIljNS0_4plusIjEEEEZZNS1_33reduce_by_key_impl_wrapped_configILNS1_25lookback_scan_determinismE0ES3_S7_PKlNS0_17constant_iteratorIjlEEPlSE_SE_S6_NS0_8equal_toIlEEEE10hipError_tPvRmT2_T3_mT4_T5_T6_T7_T8_P12ihipStream_tbENKUlT_T0_E_clISt17integral_constantIbLb1EESX_IbLb0EEEEDaST_SU_EUlST_E_NS1_11comp_targetILNS1_3genE3ELNS1_11target_archE908ELNS1_3gpuE7ELNS1_3repE0EEENS1_30default_config_static_selectorELNS0_4arch9wavefront6targetE1EEEvT1_.kd
    .uniform_work_group_size: 1
    .uses_dynamic_stack: false
    .vgpr_count:     0
    .vgpr_spill_count: 0
    .wavefront_size: 64
  - .agpr_count:     0
    .args:
      - .offset:         0
        .size:           128
        .value_kind:     by_value
    .group_segment_fixed_size: 0
    .kernarg_segment_align: 8
    .kernarg_segment_size: 128
    .language:       OpenCL C
    .language_version:
      - 2
      - 0
    .max_flat_workgroup_size: 256
    .name:           _ZN7rocprim17ROCPRIM_400000_NS6detail17trampoline_kernelINS0_14default_configENS1_33run_length_encode_config_selectorIljNS0_4plusIjEEEEZZNS1_33reduce_by_key_impl_wrapped_configILNS1_25lookback_scan_determinismE0ES3_S7_PKlNS0_17constant_iteratorIjlEEPlSE_SE_S6_NS0_8equal_toIlEEEE10hipError_tPvRmT2_T3_mT4_T5_T6_T7_T8_P12ihipStream_tbENKUlT_T0_E_clISt17integral_constantIbLb1EESX_IbLb0EEEEDaST_SU_EUlST_E_NS1_11comp_targetILNS1_3genE2ELNS1_11target_archE906ELNS1_3gpuE6ELNS1_3repE0EEENS1_30default_config_static_selectorELNS0_4arch9wavefront6targetE1EEEvT1_
    .private_segment_fixed_size: 0
    .sgpr_count:     4
    .sgpr_spill_count: 0
    .symbol:         _ZN7rocprim17ROCPRIM_400000_NS6detail17trampoline_kernelINS0_14default_configENS1_33run_length_encode_config_selectorIljNS0_4plusIjEEEEZZNS1_33reduce_by_key_impl_wrapped_configILNS1_25lookback_scan_determinismE0ES3_S7_PKlNS0_17constant_iteratorIjlEEPlSE_SE_S6_NS0_8equal_toIlEEEE10hipError_tPvRmT2_T3_mT4_T5_T6_T7_T8_P12ihipStream_tbENKUlT_T0_E_clISt17integral_constantIbLb1EESX_IbLb0EEEEDaST_SU_EUlST_E_NS1_11comp_targetILNS1_3genE2ELNS1_11target_archE906ELNS1_3gpuE6ELNS1_3repE0EEENS1_30default_config_static_selectorELNS0_4arch9wavefront6targetE1EEEvT1_.kd
    .uniform_work_group_size: 1
    .uses_dynamic_stack: false
    .vgpr_count:     0
    .vgpr_spill_count: 0
    .wavefront_size: 64
  - .agpr_count:     0
    .args:
      - .offset:         0
        .size:           128
        .value_kind:     by_value
    .group_segment_fixed_size: 0
    .kernarg_segment_align: 8
    .kernarg_segment_size: 128
    .language:       OpenCL C
    .language_version:
      - 2
      - 0
    .max_flat_workgroup_size: 512
    .name:           _ZN7rocprim17ROCPRIM_400000_NS6detail17trampoline_kernelINS0_14default_configENS1_33run_length_encode_config_selectorIljNS0_4plusIjEEEEZZNS1_33reduce_by_key_impl_wrapped_configILNS1_25lookback_scan_determinismE0ES3_S7_PKlNS0_17constant_iteratorIjlEEPlSE_SE_S6_NS0_8equal_toIlEEEE10hipError_tPvRmT2_T3_mT4_T5_T6_T7_T8_P12ihipStream_tbENKUlT_T0_E_clISt17integral_constantIbLb1EESX_IbLb0EEEEDaST_SU_EUlST_E_NS1_11comp_targetILNS1_3genE10ELNS1_11target_archE1201ELNS1_3gpuE5ELNS1_3repE0EEENS1_30default_config_static_selectorELNS0_4arch9wavefront6targetE1EEEvT1_
    .private_segment_fixed_size: 0
    .sgpr_count:     4
    .sgpr_spill_count: 0
    .symbol:         _ZN7rocprim17ROCPRIM_400000_NS6detail17trampoline_kernelINS0_14default_configENS1_33run_length_encode_config_selectorIljNS0_4plusIjEEEEZZNS1_33reduce_by_key_impl_wrapped_configILNS1_25lookback_scan_determinismE0ES3_S7_PKlNS0_17constant_iteratorIjlEEPlSE_SE_S6_NS0_8equal_toIlEEEE10hipError_tPvRmT2_T3_mT4_T5_T6_T7_T8_P12ihipStream_tbENKUlT_T0_E_clISt17integral_constantIbLb1EESX_IbLb0EEEEDaST_SU_EUlST_E_NS1_11comp_targetILNS1_3genE10ELNS1_11target_archE1201ELNS1_3gpuE5ELNS1_3repE0EEENS1_30default_config_static_selectorELNS0_4arch9wavefront6targetE1EEEvT1_.kd
    .uniform_work_group_size: 1
    .uses_dynamic_stack: false
    .vgpr_count:     0
    .vgpr_spill_count: 0
    .wavefront_size: 64
  - .agpr_count:     0
    .args:
      - .offset:         0
        .size:           128
        .value_kind:     by_value
    .group_segment_fixed_size: 0
    .kernarg_segment_align: 8
    .kernarg_segment_size: 128
    .language:       OpenCL C
    .language_version:
      - 2
      - 0
    .max_flat_workgroup_size: 512
    .name:           _ZN7rocprim17ROCPRIM_400000_NS6detail17trampoline_kernelINS0_14default_configENS1_33run_length_encode_config_selectorIljNS0_4plusIjEEEEZZNS1_33reduce_by_key_impl_wrapped_configILNS1_25lookback_scan_determinismE0ES3_S7_PKlNS0_17constant_iteratorIjlEEPlSE_SE_S6_NS0_8equal_toIlEEEE10hipError_tPvRmT2_T3_mT4_T5_T6_T7_T8_P12ihipStream_tbENKUlT_T0_E_clISt17integral_constantIbLb1EESX_IbLb0EEEEDaST_SU_EUlST_E_NS1_11comp_targetILNS1_3genE10ELNS1_11target_archE1200ELNS1_3gpuE4ELNS1_3repE0EEENS1_30default_config_static_selectorELNS0_4arch9wavefront6targetE1EEEvT1_
    .private_segment_fixed_size: 0
    .sgpr_count:     4
    .sgpr_spill_count: 0
    .symbol:         _ZN7rocprim17ROCPRIM_400000_NS6detail17trampoline_kernelINS0_14default_configENS1_33run_length_encode_config_selectorIljNS0_4plusIjEEEEZZNS1_33reduce_by_key_impl_wrapped_configILNS1_25lookback_scan_determinismE0ES3_S7_PKlNS0_17constant_iteratorIjlEEPlSE_SE_S6_NS0_8equal_toIlEEEE10hipError_tPvRmT2_T3_mT4_T5_T6_T7_T8_P12ihipStream_tbENKUlT_T0_E_clISt17integral_constantIbLb1EESX_IbLb0EEEEDaST_SU_EUlST_E_NS1_11comp_targetILNS1_3genE10ELNS1_11target_archE1200ELNS1_3gpuE4ELNS1_3repE0EEENS1_30default_config_static_selectorELNS0_4arch9wavefront6targetE1EEEvT1_.kd
    .uniform_work_group_size: 1
    .uses_dynamic_stack: false
    .vgpr_count:     0
    .vgpr_spill_count: 0
    .wavefront_size: 64
  - .agpr_count:     0
    .args:
      - .offset:         0
        .size:           128
        .value_kind:     by_value
    .group_segment_fixed_size: 0
    .kernarg_segment_align: 8
    .kernarg_segment_size: 128
    .language:       OpenCL C
    .language_version:
      - 2
      - 0
    .max_flat_workgroup_size: 512
    .name:           _ZN7rocprim17ROCPRIM_400000_NS6detail17trampoline_kernelINS0_14default_configENS1_33run_length_encode_config_selectorIljNS0_4plusIjEEEEZZNS1_33reduce_by_key_impl_wrapped_configILNS1_25lookback_scan_determinismE0ES3_S7_PKlNS0_17constant_iteratorIjlEEPlSE_SE_S6_NS0_8equal_toIlEEEE10hipError_tPvRmT2_T3_mT4_T5_T6_T7_T8_P12ihipStream_tbENKUlT_T0_E_clISt17integral_constantIbLb1EESX_IbLb0EEEEDaST_SU_EUlST_E_NS1_11comp_targetILNS1_3genE9ELNS1_11target_archE1100ELNS1_3gpuE3ELNS1_3repE0EEENS1_30default_config_static_selectorELNS0_4arch9wavefront6targetE1EEEvT1_
    .private_segment_fixed_size: 0
    .sgpr_count:     4
    .sgpr_spill_count: 0
    .symbol:         _ZN7rocprim17ROCPRIM_400000_NS6detail17trampoline_kernelINS0_14default_configENS1_33run_length_encode_config_selectorIljNS0_4plusIjEEEEZZNS1_33reduce_by_key_impl_wrapped_configILNS1_25lookback_scan_determinismE0ES3_S7_PKlNS0_17constant_iteratorIjlEEPlSE_SE_S6_NS0_8equal_toIlEEEE10hipError_tPvRmT2_T3_mT4_T5_T6_T7_T8_P12ihipStream_tbENKUlT_T0_E_clISt17integral_constantIbLb1EESX_IbLb0EEEEDaST_SU_EUlST_E_NS1_11comp_targetILNS1_3genE9ELNS1_11target_archE1100ELNS1_3gpuE3ELNS1_3repE0EEENS1_30default_config_static_selectorELNS0_4arch9wavefront6targetE1EEEvT1_.kd
    .uniform_work_group_size: 1
    .uses_dynamic_stack: false
    .vgpr_count:     0
    .vgpr_spill_count: 0
    .wavefront_size: 64
  - .agpr_count:     0
    .args:
      - .offset:         0
        .size:           128
        .value_kind:     by_value
    .group_segment_fixed_size: 0
    .kernarg_segment_align: 8
    .kernarg_segment_size: 128
    .language:       OpenCL C
    .language_version:
      - 2
      - 0
    .max_flat_workgroup_size: 512
    .name:           _ZN7rocprim17ROCPRIM_400000_NS6detail17trampoline_kernelINS0_14default_configENS1_33run_length_encode_config_selectorIljNS0_4plusIjEEEEZZNS1_33reduce_by_key_impl_wrapped_configILNS1_25lookback_scan_determinismE0ES3_S7_PKlNS0_17constant_iteratorIjlEEPlSE_SE_S6_NS0_8equal_toIlEEEE10hipError_tPvRmT2_T3_mT4_T5_T6_T7_T8_P12ihipStream_tbENKUlT_T0_E_clISt17integral_constantIbLb1EESX_IbLb0EEEEDaST_SU_EUlST_E_NS1_11comp_targetILNS1_3genE8ELNS1_11target_archE1030ELNS1_3gpuE2ELNS1_3repE0EEENS1_30default_config_static_selectorELNS0_4arch9wavefront6targetE1EEEvT1_
    .private_segment_fixed_size: 0
    .sgpr_count:     4
    .sgpr_spill_count: 0
    .symbol:         _ZN7rocprim17ROCPRIM_400000_NS6detail17trampoline_kernelINS0_14default_configENS1_33run_length_encode_config_selectorIljNS0_4plusIjEEEEZZNS1_33reduce_by_key_impl_wrapped_configILNS1_25lookback_scan_determinismE0ES3_S7_PKlNS0_17constant_iteratorIjlEEPlSE_SE_S6_NS0_8equal_toIlEEEE10hipError_tPvRmT2_T3_mT4_T5_T6_T7_T8_P12ihipStream_tbENKUlT_T0_E_clISt17integral_constantIbLb1EESX_IbLb0EEEEDaST_SU_EUlST_E_NS1_11comp_targetILNS1_3genE8ELNS1_11target_archE1030ELNS1_3gpuE2ELNS1_3repE0EEENS1_30default_config_static_selectorELNS0_4arch9wavefront6targetE1EEEvT1_.kd
    .uniform_work_group_size: 1
    .uses_dynamic_stack: false
    .vgpr_count:     0
    .vgpr_spill_count: 0
    .wavefront_size: 64
  - .agpr_count:     0
    .args:
      - .offset:         0
        .size:           128
        .value_kind:     by_value
    .group_segment_fixed_size: 0
    .kernarg_segment_align: 8
    .kernarg_segment_size: 128
    .language:       OpenCL C
    .language_version:
      - 2
      - 0
    .max_flat_workgroup_size: 256
    .name:           _ZN7rocprim17ROCPRIM_400000_NS6detail17trampoline_kernelINS0_14default_configENS1_33run_length_encode_config_selectorIljNS0_4plusIjEEEEZZNS1_33reduce_by_key_impl_wrapped_configILNS1_25lookback_scan_determinismE0ES3_S7_PKlNS0_17constant_iteratorIjlEEPlSE_SE_S6_NS0_8equal_toIlEEEE10hipError_tPvRmT2_T3_mT4_T5_T6_T7_T8_P12ihipStream_tbENKUlT_T0_E_clISt17integral_constantIbLb0EESX_IbLb1EEEEDaST_SU_EUlST_E_NS1_11comp_targetILNS1_3genE0ELNS1_11target_archE4294967295ELNS1_3gpuE0ELNS1_3repE0EEENS1_30default_config_static_selectorELNS0_4arch9wavefront6targetE1EEEvT1_
    .private_segment_fixed_size: 0
    .sgpr_count:     4
    .sgpr_spill_count: 0
    .symbol:         _ZN7rocprim17ROCPRIM_400000_NS6detail17trampoline_kernelINS0_14default_configENS1_33run_length_encode_config_selectorIljNS0_4plusIjEEEEZZNS1_33reduce_by_key_impl_wrapped_configILNS1_25lookback_scan_determinismE0ES3_S7_PKlNS0_17constant_iteratorIjlEEPlSE_SE_S6_NS0_8equal_toIlEEEE10hipError_tPvRmT2_T3_mT4_T5_T6_T7_T8_P12ihipStream_tbENKUlT_T0_E_clISt17integral_constantIbLb0EESX_IbLb1EEEEDaST_SU_EUlST_E_NS1_11comp_targetILNS1_3genE0ELNS1_11target_archE4294967295ELNS1_3gpuE0ELNS1_3repE0EEENS1_30default_config_static_selectorELNS0_4arch9wavefront6targetE1EEEvT1_.kd
    .uniform_work_group_size: 1
    .uses_dynamic_stack: false
    .vgpr_count:     0
    .vgpr_spill_count: 0
    .wavefront_size: 64
  - .agpr_count:     0
    .args:
      - .offset:         0
        .size:           128
        .value_kind:     by_value
    .group_segment_fixed_size: 0
    .kernarg_segment_align: 8
    .kernarg_segment_size: 128
    .language:       OpenCL C
    .language_version:
      - 2
      - 0
    .max_flat_workgroup_size: 512
    .name:           _ZN7rocprim17ROCPRIM_400000_NS6detail17trampoline_kernelINS0_14default_configENS1_33run_length_encode_config_selectorIljNS0_4plusIjEEEEZZNS1_33reduce_by_key_impl_wrapped_configILNS1_25lookback_scan_determinismE0ES3_S7_PKlNS0_17constant_iteratorIjlEEPlSE_SE_S6_NS0_8equal_toIlEEEE10hipError_tPvRmT2_T3_mT4_T5_T6_T7_T8_P12ihipStream_tbENKUlT_T0_E_clISt17integral_constantIbLb0EESX_IbLb1EEEEDaST_SU_EUlST_E_NS1_11comp_targetILNS1_3genE5ELNS1_11target_archE942ELNS1_3gpuE9ELNS1_3repE0EEENS1_30default_config_static_selectorELNS0_4arch9wavefront6targetE1EEEvT1_
    .private_segment_fixed_size: 0
    .sgpr_count:     4
    .sgpr_spill_count: 0
    .symbol:         _ZN7rocprim17ROCPRIM_400000_NS6detail17trampoline_kernelINS0_14default_configENS1_33run_length_encode_config_selectorIljNS0_4plusIjEEEEZZNS1_33reduce_by_key_impl_wrapped_configILNS1_25lookback_scan_determinismE0ES3_S7_PKlNS0_17constant_iteratorIjlEEPlSE_SE_S6_NS0_8equal_toIlEEEE10hipError_tPvRmT2_T3_mT4_T5_T6_T7_T8_P12ihipStream_tbENKUlT_T0_E_clISt17integral_constantIbLb0EESX_IbLb1EEEEDaST_SU_EUlST_E_NS1_11comp_targetILNS1_3genE5ELNS1_11target_archE942ELNS1_3gpuE9ELNS1_3repE0EEENS1_30default_config_static_selectorELNS0_4arch9wavefront6targetE1EEEvT1_.kd
    .uniform_work_group_size: 1
    .uses_dynamic_stack: false
    .vgpr_count:     0
    .vgpr_spill_count: 0
    .wavefront_size: 64
  - .agpr_count:     0
    .args:
      - .offset:         0
        .size:           128
        .value_kind:     by_value
    .group_segment_fixed_size: 20480
    .kernarg_segment_align: 8
    .kernarg_segment_size: 128
    .language:       OpenCL C
    .language_version:
      - 2
      - 0
    .max_flat_workgroup_size: 256
    .name:           _ZN7rocprim17ROCPRIM_400000_NS6detail17trampoline_kernelINS0_14default_configENS1_33run_length_encode_config_selectorIljNS0_4plusIjEEEEZZNS1_33reduce_by_key_impl_wrapped_configILNS1_25lookback_scan_determinismE0ES3_S7_PKlNS0_17constant_iteratorIjlEEPlSE_SE_S6_NS0_8equal_toIlEEEE10hipError_tPvRmT2_T3_mT4_T5_T6_T7_T8_P12ihipStream_tbENKUlT_T0_E_clISt17integral_constantIbLb0EESX_IbLb1EEEEDaST_SU_EUlST_E_NS1_11comp_targetILNS1_3genE4ELNS1_11target_archE910ELNS1_3gpuE8ELNS1_3repE0EEENS1_30default_config_static_selectorELNS0_4arch9wavefront6targetE1EEEvT1_
    .private_segment_fixed_size: 0
    .sgpr_count:     60
    .sgpr_spill_count: 0
    .symbol:         _ZN7rocprim17ROCPRIM_400000_NS6detail17trampoline_kernelINS0_14default_configENS1_33run_length_encode_config_selectorIljNS0_4plusIjEEEEZZNS1_33reduce_by_key_impl_wrapped_configILNS1_25lookback_scan_determinismE0ES3_S7_PKlNS0_17constant_iteratorIjlEEPlSE_SE_S6_NS0_8equal_toIlEEEE10hipError_tPvRmT2_T3_mT4_T5_T6_T7_T8_P12ihipStream_tbENKUlT_T0_E_clISt17integral_constantIbLb0EESX_IbLb1EEEEDaST_SU_EUlST_E_NS1_11comp_targetILNS1_3genE4ELNS1_11target_archE910ELNS1_3gpuE8ELNS1_3repE0EEENS1_30default_config_static_selectorELNS0_4arch9wavefront6targetE1EEEvT1_.kd
    .uniform_work_group_size: 1
    .uses_dynamic_stack: false
    .vgpr_count:     68
    .vgpr_spill_count: 0
    .wavefront_size: 64
  - .agpr_count:     0
    .args:
      - .offset:         0
        .size:           128
        .value_kind:     by_value
    .group_segment_fixed_size: 0
    .kernarg_segment_align: 8
    .kernarg_segment_size: 128
    .language:       OpenCL C
    .language_version:
      - 2
      - 0
    .max_flat_workgroup_size: 256
    .name:           _ZN7rocprim17ROCPRIM_400000_NS6detail17trampoline_kernelINS0_14default_configENS1_33run_length_encode_config_selectorIljNS0_4plusIjEEEEZZNS1_33reduce_by_key_impl_wrapped_configILNS1_25lookback_scan_determinismE0ES3_S7_PKlNS0_17constant_iteratorIjlEEPlSE_SE_S6_NS0_8equal_toIlEEEE10hipError_tPvRmT2_T3_mT4_T5_T6_T7_T8_P12ihipStream_tbENKUlT_T0_E_clISt17integral_constantIbLb0EESX_IbLb1EEEEDaST_SU_EUlST_E_NS1_11comp_targetILNS1_3genE3ELNS1_11target_archE908ELNS1_3gpuE7ELNS1_3repE0EEENS1_30default_config_static_selectorELNS0_4arch9wavefront6targetE1EEEvT1_
    .private_segment_fixed_size: 0
    .sgpr_count:     4
    .sgpr_spill_count: 0
    .symbol:         _ZN7rocprim17ROCPRIM_400000_NS6detail17trampoline_kernelINS0_14default_configENS1_33run_length_encode_config_selectorIljNS0_4plusIjEEEEZZNS1_33reduce_by_key_impl_wrapped_configILNS1_25lookback_scan_determinismE0ES3_S7_PKlNS0_17constant_iteratorIjlEEPlSE_SE_S6_NS0_8equal_toIlEEEE10hipError_tPvRmT2_T3_mT4_T5_T6_T7_T8_P12ihipStream_tbENKUlT_T0_E_clISt17integral_constantIbLb0EESX_IbLb1EEEEDaST_SU_EUlST_E_NS1_11comp_targetILNS1_3genE3ELNS1_11target_archE908ELNS1_3gpuE7ELNS1_3repE0EEENS1_30default_config_static_selectorELNS0_4arch9wavefront6targetE1EEEvT1_.kd
    .uniform_work_group_size: 1
    .uses_dynamic_stack: false
    .vgpr_count:     0
    .vgpr_spill_count: 0
    .wavefront_size: 64
  - .agpr_count:     0
    .args:
      - .offset:         0
        .size:           128
        .value_kind:     by_value
    .group_segment_fixed_size: 0
    .kernarg_segment_align: 8
    .kernarg_segment_size: 128
    .language:       OpenCL C
    .language_version:
      - 2
      - 0
    .max_flat_workgroup_size: 256
    .name:           _ZN7rocprim17ROCPRIM_400000_NS6detail17trampoline_kernelINS0_14default_configENS1_33run_length_encode_config_selectorIljNS0_4plusIjEEEEZZNS1_33reduce_by_key_impl_wrapped_configILNS1_25lookback_scan_determinismE0ES3_S7_PKlNS0_17constant_iteratorIjlEEPlSE_SE_S6_NS0_8equal_toIlEEEE10hipError_tPvRmT2_T3_mT4_T5_T6_T7_T8_P12ihipStream_tbENKUlT_T0_E_clISt17integral_constantIbLb0EESX_IbLb1EEEEDaST_SU_EUlST_E_NS1_11comp_targetILNS1_3genE2ELNS1_11target_archE906ELNS1_3gpuE6ELNS1_3repE0EEENS1_30default_config_static_selectorELNS0_4arch9wavefront6targetE1EEEvT1_
    .private_segment_fixed_size: 0
    .sgpr_count:     4
    .sgpr_spill_count: 0
    .symbol:         _ZN7rocprim17ROCPRIM_400000_NS6detail17trampoline_kernelINS0_14default_configENS1_33run_length_encode_config_selectorIljNS0_4plusIjEEEEZZNS1_33reduce_by_key_impl_wrapped_configILNS1_25lookback_scan_determinismE0ES3_S7_PKlNS0_17constant_iteratorIjlEEPlSE_SE_S6_NS0_8equal_toIlEEEE10hipError_tPvRmT2_T3_mT4_T5_T6_T7_T8_P12ihipStream_tbENKUlT_T0_E_clISt17integral_constantIbLb0EESX_IbLb1EEEEDaST_SU_EUlST_E_NS1_11comp_targetILNS1_3genE2ELNS1_11target_archE906ELNS1_3gpuE6ELNS1_3repE0EEENS1_30default_config_static_selectorELNS0_4arch9wavefront6targetE1EEEvT1_.kd
    .uniform_work_group_size: 1
    .uses_dynamic_stack: false
    .vgpr_count:     0
    .vgpr_spill_count: 0
    .wavefront_size: 64
  - .agpr_count:     0
    .args:
      - .offset:         0
        .size:           128
        .value_kind:     by_value
    .group_segment_fixed_size: 0
    .kernarg_segment_align: 8
    .kernarg_segment_size: 128
    .language:       OpenCL C
    .language_version:
      - 2
      - 0
    .max_flat_workgroup_size: 512
    .name:           _ZN7rocprim17ROCPRIM_400000_NS6detail17trampoline_kernelINS0_14default_configENS1_33run_length_encode_config_selectorIljNS0_4plusIjEEEEZZNS1_33reduce_by_key_impl_wrapped_configILNS1_25lookback_scan_determinismE0ES3_S7_PKlNS0_17constant_iteratorIjlEEPlSE_SE_S6_NS0_8equal_toIlEEEE10hipError_tPvRmT2_T3_mT4_T5_T6_T7_T8_P12ihipStream_tbENKUlT_T0_E_clISt17integral_constantIbLb0EESX_IbLb1EEEEDaST_SU_EUlST_E_NS1_11comp_targetILNS1_3genE10ELNS1_11target_archE1201ELNS1_3gpuE5ELNS1_3repE0EEENS1_30default_config_static_selectorELNS0_4arch9wavefront6targetE1EEEvT1_
    .private_segment_fixed_size: 0
    .sgpr_count:     4
    .sgpr_spill_count: 0
    .symbol:         _ZN7rocprim17ROCPRIM_400000_NS6detail17trampoline_kernelINS0_14default_configENS1_33run_length_encode_config_selectorIljNS0_4plusIjEEEEZZNS1_33reduce_by_key_impl_wrapped_configILNS1_25lookback_scan_determinismE0ES3_S7_PKlNS0_17constant_iteratorIjlEEPlSE_SE_S6_NS0_8equal_toIlEEEE10hipError_tPvRmT2_T3_mT4_T5_T6_T7_T8_P12ihipStream_tbENKUlT_T0_E_clISt17integral_constantIbLb0EESX_IbLb1EEEEDaST_SU_EUlST_E_NS1_11comp_targetILNS1_3genE10ELNS1_11target_archE1201ELNS1_3gpuE5ELNS1_3repE0EEENS1_30default_config_static_selectorELNS0_4arch9wavefront6targetE1EEEvT1_.kd
    .uniform_work_group_size: 1
    .uses_dynamic_stack: false
    .vgpr_count:     0
    .vgpr_spill_count: 0
    .wavefront_size: 64
  - .agpr_count:     0
    .args:
      - .offset:         0
        .size:           128
        .value_kind:     by_value
    .group_segment_fixed_size: 0
    .kernarg_segment_align: 8
    .kernarg_segment_size: 128
    .language:       OpenCL C
    .language_version:
      - 2
      - 0
    .max_flat_workgroup_size: 512
    .name:           _ZN7rocprim17ROCPRIM_400000_NS6detail17trampoline_kernelINS0_14default_configENS1_33run_length_encode_config_selectorIljNS0_4plusIjEEEEZZNS1_33reduce_by_key_impl_wrapped_configILNS1_25lookback_scan_determinismE0ES3_S7_PKlNS0_17constant_iteratorIjlEEPlSE_SE_S6_NS0_8equal_toIlEEEE10hipError_tPvRmT2_T3_mT4_T5_T6_T7_T8_P12ihipStream_tbENKUlT_T0_E_clISt17integral_constantIbLb0EESX_IbLb1EEEEDaST_SU_EUlST_E_NS1_11comp_targetILNS1_3genE10ELNS1_11target_archE1200ELNS1_3gpuE4ELNS1_3repE0EEENS1_30default_config_static_selectorELNS0_4arch9wavefront6targetE1EEEvT1_
    .private_segment_fixed_size: 0
    .sgpr_count:     4
    .sgpr_spill_count: 0
    .symbol:         _ZN7rocprim17ROCPRIM_400000_NS6detail17trampoline_kernelINS0_14default_configENS1_33run_length_encode_config_selectorIljNS0_4plusIjEEEEZZNS1_33reduce_by_key_impl_wrapped_configILNS1_25lookback_scan_determinismE0ES3_S7_PKlNS0_17constant_iteratorIjlEEPlSE_SE_S6_NS0_8equal_toIlEEEE10hipError_tPvRmT2_T3_mT4_T5_T6_T7_T8_P12ihipStream_tbENKUlT_T0_E_clISt17integral_constantIbLb0EESX_IbLb1EEEEDaST_SU_EUlST_E_NS1_11comp_targetILNS1_3genE10ELNS1_11target_archE1200ELNS1_3gpuE4ELNS1_3repE0EEENS1_30default_config_static_selectorELNS0_4arch9wavefront6targetE1EEEvT1_.kd
    .uniform_work_group_size: 1
    .uses_dynamic_stack: false
    .vgpr_count:     0
    .vgpr_spill_count: 0
    .wavefront_size: 64
  - .agpr_count:     0
    .args:
      - .offset:         0
        .size:           128
        .value_kind:     by_value
    .group_segment_fixed_size: 0
    .kernarg_segment_align: 8
    .kernarg_segment_size: 128
    .language:       OpenCL C
    .language_version:
      - 2
      - 0
    .max_flat_workgroup_size: 512
    .name:           _ZN7rocprim17ROCPRIM_400000_NS6detail17trampoline_kernelINS0_14default_configENS1_33run_length_encode_config_selectorIljNS0_4plusIjEEEEZZNS1_33reduce_by_key_impl_wrapped_configILNS1_25lookback_scan_determinismE0ES3_S7_PKlNS0_17constant_iteratorIjlEEPlSE_SE_S6_NS0_8equal_toIlEEEE10hipError_tPvRmT2_T3_mT4_T5_T6_T7_T8_P12ihipStream_tbENKUlT_T0_E_clISt17integral_constantIbLb0EESX_IbLb1EEEEDaST_SU_EUlST_E_NS1_11comp_targetILNS1_3genE9ELNS1_11target_archE1100ELNS1_3gpuE3ELNS1_3repE0EEENS1_30default_config_static_selectorELNS0_4arch9wavefront6targetE1EEEvT1_
    .private_segment_fixed_size: 0
    .sgpr_count:     4
    .sgpr_spill_count: 0
    .symbol:         _ZN7rocprim17ROCPRIM_400000_NS6detail17trampoline_kernelINS0_14default_configENS1_33run_length_encode_config_selectorIljNS0_4plusIjEEEEZZNS1_33reduce_by_key_impl_wrapped_configILNS1_25lookback_scan_determinismE0ES3_S7_PKlNS0_17constant_iteratorIjlEEPlSE_SE_S6_NS0_8equal_toIlEEEE10hipError_tPvRmT2_T3_mT4_T5_T6_T7_T8_P12ihipStream_tbENKUlT_T0_E_clISt17integral_constantIbLb0EESX_IbLb1EEEEDaST_SU_EUlST_E_NS1_11comp_targetILNS1_3genE9ELNS1_11target_archE1100ELNS1_3gpuE3ELNS1_3repE0EEENS1_30default_config_static_selectorELNS0_4arch9wavefront6targetE1EEEvT1_.kd
    .uniform_work_group_size: 1
    .uses_dynamic_stack: false
    .vgpr_count:     0
    .vgpr_spill_count: 0
    .wavefront_size: 64
  - .agpr_count:     0
    .args:
      - .offset:         0
        .size:           128
        .value_kind:     by_value
    .group_segment_fixed_size: 0
    .kernarg_segment_align: 8
    .kernarg_segment_size: 128
    .language:       OpenCL C
    .language_version:
      - 2
      - 0
    .max_flat_workgroup_size: 512
    .name:           _ZN7rocprim17ROCPRIM_400000_NS6detail17trampoline_kernelINS0_14default_configENS1_33run_length_encode_config_selectorIljNS0_4plusIjEEEEZZNS1_33reduce_by_key_impl_wrapped_configILNS1_25lookback_scan_determinismE0ES3_S7_PKlNS0_17constant_iteratorIjlEEPlSE_SE_S6_NS0_8equal_toIlEEEE10hipError_tPvRmT2_T3_mT4_T5_T6_T7_T8_P12ihipStream_tbENKUlT_T0_E_clISt17integral_constantIbLb0EESX_IbLb1EEEEDaST_SU_EUlST_E_NS1_11comp_targetILNS1_3genE8ELNS1_11target_archE1030ELNS1_3gpuE2ELNS1_3repE0EEENS1_30default_config_static_selectorELNS0_4arch9wavefront6targetE1EEEvT1_
    .private_segment_fixed_size: 0
    .sgpr_count:     4
    .sgpr_spill_count: 0
    .symbol:         _ZN7rocprim17ROCPRIM_400000_NS6detail17trampoline_kernelINS0_14default_configENS1_33run_length_encode_config_selectorIljNS0_4plusIjEEEEZZNS1_33reduce_by_key_impl_wrapped_configILNS1_25lookback_scan_determinismE0ES3_S7_PKlNS0_17constant_iteratorIjlEEPlSE_SE_S6_NS0_8equal_toIlEEEE10hipError_tPvRmT2_T3_mT4_T5_T6_T7_T8_P12ihipStream_tbENKUlT_T0_E_clISt17integral_constantIbLb0EESX_IbLb1EEEEDaST_SU_EUlST_E_NS1_11comp_targetILNS1_3genE8ELNS1_11target_archE1030ELNS1_3gpuE2ELNS1_3repE0EEENS1_30default_config_static_selectorELNS0_4arch9wavefront6targetE1EEEvT1_.kd
    .uniform_work_group_size: 1
    .uses_dynamic_stack: false
    .vgpr_count:     0
    .vgpr_spill_count: 0
    .wavefront_size: 64
  - .agpr_count:     0
    .args:
      - .offset:         0
        .size:           8
        .value_kind:     by_value
      - .address_space:  global
        .offset:         8
        .size:           8
        .value_kind:     global_buffer
      - .address_space:  global
        .offset:         16
        .size:           8
        .value_kind:     global_buffer
      - .offset:         24
        .size:           4
        .value_kind:     hidden_block_count_x
      - .offset:         28
        .size:           4
        .value_kind:     hidden_block_count_y
      - .offset:         32
        .size:           4
        .value_kind:     hidden_block_count_z
      - .offset:         36
        .size:           2
        .value_kind:     hidden_group_size_x
      - .offset:         38
        .size:           2
        .value_kind:     hidden_group_size_y
      - .offset:         40
        .size:           2
        .value_kind:     hidden_group_size_z
      - .offset:         42
        .size:           2
        .value_kind:     hidden_remainder_x
      - .offset:         44
        .size:           2
        .value_kind:     hidden_remainder_y
      - .offset:         46
        .size:           2
        .value_kind:     hidden_remainder_z
      - .offset:         64
        .size:           8
        .value_kind:     hidden_global_offset_x
      - .offset:         72
        .size:           8
        .value_kind:     hidden_global_offset_y
      - .offset:         80
        .size:           8
        .value_kind:     hidden_global_offset_z
      - .offset:         88
        .size:           2
        .value_kind:     hidden_grid_dims
    .group_segment_fixed_size: 0
    .kernarg_segment_align: 8
    .kernarg_segment_size: 280
    .language:       OpenCL C
    .language_version:
      - 2
      - 0
    .max_flat_workgroup_size: 1024
    .name:           _ZN2at6native8internal12_GLOBAL__N_126adjacent_difference_kernelIPKsEEvlT_Pi
    .private_segment_fixed_size: 0
    .sgpr_count:     18
    .sgpr_spill_count: 0
    .symbol:         _ZN2at6native8internal12_GLOBAL__N_126adjacent_difference_kernelIPKsEEvlT_Pi.kd
    .uniform_work_group_size: 1
    .uses_dynamic_stack: false
    .vgpr_count:     14
    .vgpr_spill_count: 0
    .wavefront_size: 64
  - .agpr_count:     0
    .args:
      - .offset:         0
        .size:           112
        .value_kind:     by_value
    .group_segment_fixed_size: 0
    .kernarg_segment_align: 8
    .kernarg_segment_size: 112
    .language:       OpenCL C
    .language_version:
      - 2
      - 0
    .max_flat_workgroup_size: 256
    .name:           _ZN7rocprim17ROCPRIM_400000_NS6detail17trampoline_kernelINS0_14default_configENS1_25partition_config_selectorILNS1_17partition_subalgoE8EsNS0_10empty_typeEbEEZZNS1_14partition_implILS5_8ELb0ES3_jPKsPS6_PKS6_NS0_5tupleIJPsS6_EEENSE_IJSB_SB_EEENS0_18inequality_wrapperIN6hipcub16HIPCUB_304000_NS8EqualityEEEPlJS6_EEE10hipError_tPvRmT3_T4_T5_T6_T7_T9_mT8_P12ihipStream_tbDpT10_ENKUlT_T0_E_clISt17integral_constantIbLb0EES17_EEDaS12_S13_EUlS12_E_NS1_11comp_targetILNS1_3genE0ELNS1_11target_archE4294967295ELNS1_3gpuE0ELNS1_3repE0EEENS1_30default_config_static_selectorELNS0_4arch9wavefront6targetE1EEEvT1_
    .private_segment_fixed_size: 0
    .sgpr_count:     4
    .sgpr_spill_count: 0
    .symbol:         _ZN7rocprim17ROCPRIM_400000_NS6detail17trampoline_kernelINS0_14default_configENS1_25partition_config_selectorILNS1_17partition_subalgoE8EsNS0_10empty_typeEbEEZZNS1_14partition_implILS5_8ELb0ES3_jPKsPS6_PKS6_NS0_5tupleIJPsS6_EEENSE_IJSB_SB_EEENS0_18inequality_wrapperIN6hipcub16HIPCUB_304000_NS8EqualityEEEPlJS6_EEE10hipError_tPvRmT3_T4_T5_T6_T7_T9_mT8_P12ihipStream_tbDpT10_ENKUlT_T0_E_clISt17integral_constantIbLb0EES17_EEDaS12_S13_EUlS12_E_NS1_11comp_targetILNS1_3genE0ELNS1_11target_archE4294967295ELNS1_3gpuE0ELNS1_3repE0EEENS1_30default_config_static_selectorELNS0_4arch9wavefront6targetE1EEEvT1_.kd
    .uniform_work_group_size: 1
    .uses_dynamic_stack: false
    .vgpr_count:     0
    .vgpr_spill_count: 0
    .wavefront_size: 64
  - .agpr_count:     0
    .args:
      - .offset:         0
        .size:           112
        .value_kind:     by_value
    .group_segment_fixed_size: 0
    .kernarg_segment_align: 8
    .kernarg_segment_size: 112
    .language:       OpenCL C
    .language_version:
      - 2
      - 0
    .max_flat_workgroup_size: 512
    .name:           _ZN7rocprim17ROCPRIM_400000_NS6detail17trampoline_kernelINS0_14default_configENS1_25partition_config_selectorILNS1_17partition_subalgoE8EsNS0_10empty_typeEbEEZZNS1_14partition_implILS5_8ELb0ES3_jPKsPS6_PKS6_NS0_5tupleIJPsS6_EEENSE_IJSB_SB_EEENS0_18inequality_wrapperIN6hipcub16HIPCUB_304000_NS8EqualityEEEPlJS6_EEE10hipError_tPvRmT3_T4_T5_T6_T7_T9_mT8_P12ihipStream_tbDpT10_ENKUlT_T0_E_clISt17integral_constantIbLb0EES17_EEDaS12_S13_EUlS12_E_NS1_11comp_targetILNS1_3genE5ELNS1_11target_archE942ELNS1_3gpuE9ELNS1_3repE0EEENS1_30default_config_static_selectorELNS0_4arch9wavefront6targetE1EEEvT1_
    .private_segment_fixed_size: 0
    .sgpr_count:     4
    .sgpr_spill_count: 0
    .symbol:         _ZN7rocprim17ROCPRIM_400000_NS6detail17trampoline_kernelINS0_14default_configENS1_25partition_config_selectorILNS1_17partition_subalgoE8EsNS0_10empty_typeEbEEZZNS1_14partition_implILS5_8ELb0ES3_jPKsPS6_PKS6_NS0_5tupleIJPsS6_EEENSE_IJSB_SB_EEENS0_18inequality_wrapperIN6hipcub16HIPCUB_304000_NS8EqualityEEEPlJS6_EEE10hipError_tPvRmT3_T4_T5_T6_T7_T9_mT8_P12ihipStream_tbDpT10_ENKUlT_T0_E_clISt17integral_constantIbLb0EES17_EEDaS12_S13_EUlS12_E_NS1_11comp_targetILNS1_3genE5ELNS1_11target_archE942ELNS1_3gpuE9ELNS1_3repE0EEENS1_30default_config_static_selectorELNS0_4arch9wavefront6targetE1EEEvT1_.kd
    .uniform_work_group_size: 1
    .uses_dynamic_stack: false
    .vgpr_count:     0
    .vgpr_spill_count: 0
    .wavefront_size: 64
  - .agpr_count:     0
    .args:
      - .offset:         0
        .size:           112
        .value_kind:     by_value
    .group_segment_fixed_size: 11272
    .kernarg_segment_align: 8
    .kernarg_segment_size: 112
    .language:       OpenCL C
    .language_version:
      - 2
      - 0
    .max_flat_workgroup_size: 256
    .name:           _ZN7rocprim17ROCPRIM_400000_NS6detail17trampoline_kernelINS0_14default_configENS1_25partition_config_selectorILNS1_17partition_subalgoE8EsNS0_10empty_typeEbEEZZNS1_14partition_implILS5_8ELb0ES3_jPKsPS6_PKS6_NS0_5tupleIJPsS6_EEENSE_IJSB_SB_EEENS0_18inequality_wrapperIN6hipcub16HIPCUB_304000_NS8EqualityEEEPlJS6_EEE10hipError_tPvRmT3_T4_T5_T6_T7_T9_mT8_P12ihipStream_tbDpT10_ENKUlT_T0_E_clISt17integral_constantIbLb0EES17_EEDaS12_S13_EUlS12_E_NS1_11comp_targetILNS1_3genE4ELNS1_11target_archE910ELNS1_3gpuE8ELNS1_3repE0EEENS1_30default_config_static_selectorELNS0_4arch9wavefront6targetE1EEEvT1_
    .private_segment_fixed_size: 0
    .sgpr_count:     66
    .sgpr_spill_count: 0
    .symbol:         _ZN7rocprim17ROCPRIM_400000_NS6detail17trampoline_kernelINS0_14default_configENS1_25partition_config_selectorILNS1_17partition_subalgoE8EsNS0_10empty_typeEbEEZZNS1_14partition_implILS5_8ELb0ES3_jPKsPS6_PKS6_NS0_5tupleIJPsS6_EEENSE_IJSB_SB_EEENS0_18inequality_wrapperIN6hipcub16HIPCUB_304000_NS8EqualityEEEPlJS6_EEE10hipError_tPvRmT3_T4_T5_T6_T7_T9_mT8_P12ihipStream_tbDpT10_ENKUlT_T0_E_clISt17integral_constantIbLb0EES17_EEDaS12_S13_EUlS12_E_NS1_11comp_targetILNS1_3genE4ELNS1_11target_archE910ELNS1_3gpuE8ELNS1_3repE0EEENS1_30default_config_static_selectorELNS0_4arch9wavefront6targetE1EEEvT1_.kd
    .uniform_work_group_size: 1
    .uses_dynamic_stack: false
    .vgpr_count:     96
    .vgpr_spill_count: 0
    .wavefront_size: 64
  - .agpr_count:     0
    .args:
      - .offset:         0
        .size:           112
        .value_kind:     by_value
    .group_segment_fixed_size: 0
    .kernarg_segment_align: 8
    .kernarg_segment_size: 112
    .language:       OpenCL C
    .language_version:
      - 2
      - 0
    .max_flat_workgroup_size: 256
    .name:           _ZN7rocprim17ROCPRIM_400000_NS6detail17trampoline_kernelINS0_14default_configENS1_25partition_config_selectorILNS1_17partition_subalgoE8EsNS0_10empty_typeEbEEZZNS1_14partition_implILS5_8ELb0ES3_jPKsPS6_PKS6_NS0_5tupleIJPsS6_EEENSE_IJSB_SB_EEENS0_18inequality_wrapperIN6hipcub16HIPCUB_304000_NS8EqualityEEEPlJS6_EEE10hipError_tPvRmT3_T4_T5_T6_T7_T9_mT8_P12ihipStream_tbDpT10_ENKUlT_T0_E_clISt17integral_constantIbLb0EES17_EEDaS12_S13_EUlS12_E_NS1_11comp_targetILNS1_3genE3ELNS1_11target_archE908ELNS1_3gpuE7ELNS1_3repE0EEENS1_30default_config_static_selectorELNS0_4arch9wavefront6targetE1EEEvT1_
    .private_segment_fixed_size: 0
    .sgpr_count:     4
    .sgpr_spill_count: 0
    .symbol:         _ZN7rocprim17ROCPRIM_400000_NS6detail17trampoline_kernelINS0_14default_configENS1_25partition_config_selectorILNS1_17partition_subalgoE8EsNS0_10empty_typeEbEEZZNS1_14partition_implILS5_8ELb0ES3_jPKsPS6_PKS6_NS0_5tupleIJPsS6_EEENSE_IJSB_SB_EEENS0_18inequality_wrapperIN6hipcub16HIPCUB_304000_NS8EqualityEEEPlJS6_EEE10hipError_tPvRmT3_T4_T5_T6_T7_T9_mT8_P12ihipStream_tbDpT10_ENKUlT_T0_E_clISt17integral_constantIbLb0EES17_EEDaS12_S13_EUlS12_E_NS1_11comp_targetILNS1_3genE3ELNS1_11target_archE908ELNS1_3gpuE7ELNS1_3repE0EEENS1_30default_config_static_selectorELNS0_4arch9wavefront6targetE1EEEvT1_.kd
    .uniform_work_group_size: 1
    .uses_dynamic_stack: false
    .vgpr_count:     0
    .vgpr_spill_count: 0
    .wavefront_size: 64
  - .agpr_count:     0
    .args:
      - .offset:         0
        .size:           112
        .value_kind:     by_value
    .group_segment_fixed_size: 0
    .kernarg_segment_align: 8
    .kernarg_segment_size: 112
    .language:       OpenCL C
    .language_version:
      - 2
      - 0
    .max_flat_workgroup_size: 192
    .name:           _ZN7rocprim17ROCPRIM_400000_NS6detail17trampoline_kernelINS0_14default_configENS1_25partition_config_selectorILNS1_17partition_subalgoE8EsNS0_10empty_typeEbEEZZNS1_14partition_implILS5_8ELb0ES3_jPKsPS6_PKS6_NS0_5tupleIJPsS6_EEENSE_IJSB_SB_EEENS0_18inequality_wrapperIN6hipcub16HIPCUB_304000_NS8EqualityEEEPlJS6_EEE10hipError_tPvRmT3_T4_T5_T6_T7_T9_mT8_P12ihipStream_tbDpT10_ENKUlT_T0_E_clISt17integral_constantIbLb0EES17_EEDaS12_S13_EUlS12_E_NS1_11comp_targetILNS1_3genE2ELNS1_11target_archE906ELNS1_3gpuE6ELNS1_3repE0EEENS1_30default_config_static_selectorELNS0_4arch9wavefront6targetE1EEEvT1_
    .private_segment_fixed_size: 0
    .sgpr_count:     4
    .sgpr_spill_count: 0
    .symbol:         _ZN7rocprim17ROCPRIM_400000_NS6detail17trampoline_kernelINS0_14default_configENS1_25partition_config_selectorILNS1_17partition_subalgoE8EsNS0_10empty_typeEbEEZZNS1_14partition_implILS5_8ELb0ES3_jPKsPS6_PKS6_NS0_5tupleIJPsS6_EEENSE_IJSB_SB_EEENS0_18inequality_wrapperIN6hipcub16HIPCUB_304000_NS8EqualityEEEPlJS6_EEE10hipError_tPvRmT3_T4_T5_T6_T7_T9_mT8_P12ihipStream_tbDpT10_ENKUlT_T0_E_clISt17integral_constantIbLb0EES17_EEDaS12_S13_EUlS12_E_NS1_11comp_targetILNS1_3genE2ELNS1_11target_archE906ELNS1_3gpuE6ELNS1_3repE0EEENS1_30default_config_static_selectorELNS0_4arch9wavefront6targetE1EEEvT1_.kd
    .uniform_work_group_size: 1
    .uses_dynamic_stack: false
    .vgpr_count:     0
    .vgpr_spill_count: 0
    .wavefront_size: 64
  - .agpr_count:     0
    .args:
      - .offset:         0
        .size:           112
        .value_kind:     by_value
    .group_segment_fixed_size: 0
    .kernarg_segment_align: 8
    .kernarg_segment_size: 112
    .language:       OpenCL C
    .language_version:
      - 2
      - 0
    .max_flat_workgroup_size: 256
    .name:           _ZN7rocprim17ROCPRIM_400000_NS6detail17trampoline_kernelINS0_14default_configENS1_25partition_config_selectorILNS1_17partition_subalgoE8EsNS0_10empty_typeEbEEZZNS1_14partition_implILS5_8ELb0ES3_jPKsPS6_PKS6_NS0_5tupleIJPsS6_EEENSE_IJSB_SB_EEENS0_18inequality_wrapperIN6hipcub16HIPCUB_304000_NS8EqualityEEEPlJS6_EEE10hipError_tPvRmT3_T4_T5_T6_T7_T9_mT8_P12ihipStream_tbDpT10_ENKUlT_T0_E_clISt17integral_constantIbLb0EES17_EEDaS12_S13_EUlS12_E_NS1_11comp_targetILNS1_3genE10ELNS1_11target_archE1200ELNS1_3gpuE4ELNS1_3repE0EEENS1_30default_config_static_selectorELNS0_4arch9wavefront6targetE1EEEvT1_
    .private_segment_fixed_size: 0
    .sgpr_count:     4
    .sgpr_spill_count: 0
    .symbol:         _ZN7rocprim17ROCPRIM_400000_NS6detail17trampoline_kernelINS0_14default_configENS1_25partition_config_selectorILNS1_17partition_subalgoE8EsNS0_10empty_typeEbEEZZNS1_14partition_implILS5_8ELb0ES3_jPKsPS6_PKS6_NS0_5tupleIJPsS6_EEENSE_IJSB_SB_EEENS0_18inequality_wrapperIN6hipcub16HIPCUB_304000_NS8EqualityEEEPlJS6_EEE10hipError_tPvRmT3_T4_T5_T6_T7_T9_mT8_P12ihipStream_tbDpT10_ENKUlT_T0_E_clISt17integral_constantIbLb0EES17_EEDaS12_S13_EUlS12_E_NS1_11comp_targetILNS1_3genE10ELNS1_11target_archE1200ELNS1_3gpuE4ELNS1_3repE0EEENS1_30default_config_static_selectorELNS0_4arch9wavefront6targetE1EEEvT1_.kd
    .uniform_work_group_size: 1
    .uses_dynamic_stack: false
    .vgpr_count:     0
    .vgpr_spill_count: 0
    .wavefront_size: 64
  - .agpr_count:     0
    .args:
      - .offset:         0
        .size:           112
        .value_kind:     by_value
    .group_segment_fixed_size: 0
    .kernarg_segment_align: 8
    .kernarg_segment_size: 112
    .language:       OpenCL C
    .language_version:
      - 2
      - 0
    .max_flat_workgroup_size: 128
    .name:           _ZN7rocprim17ROCPRIM_400000_NS6detail17trampoline_kernelINS0_14default_configENS1_25partition_config_selectorILNS1_17partition_subalgoE8EsNS0_10empty_typeEbEEZZNS1_14partition_implILS5_8ELb0ES3_jPKsPS6_PKS6_NS0_5tupleIJPsS6_EEENSE_IJSB_SB_EEENS0_18inequality_wrapperIN6hipcub16HIPCUB_304000_NS8EqualityEEEPlJS6_EEE10hipError_tPvRmT3_T4_T5_T6_T7_T9_mT8_P12ihipStream_tbDpT10_ENKUlT_T0_E_clISt17integral_constantIbLb0EES17_EEDaS12_S13_EUlS12_E_NS1_11comp_targetILNS1_3genE9ELNS1_11target_archE1100ELNS1_3gpuE3ELNS1_3repE0EEENS1_30default_config_static_selectorELNS0_4arch9wavefront6targetE1EEEvT1_
    .private_segment_fixed_size: 0
    .sgpr_count:     4
    .sgpr_spill_count: 0
    .symbol:         _ZN7rocprim17ROCPRIM_400000_NS6detail17trampoline_kernelINS0_14default_configENS1_25partition_config_selectorILNS1_17partition_subalgoE8EsNS0_10empty_typeEbEEZZNS1_14partition_implILS5_8ELb0ES3_jPKsPS6_PKS6_NS0_5tupleIJPsS6_EEENSE_IJSB_SB_EEENS0_18inequality_wrapperIN6hipcub16HIPCUB_304000_NS8EqualityEEEPlJS6_EEE10hipError_tPvRmT3_T4_T5_T6_T7_T9_mT8_P12ihipStream_tbDpT10_ENKUlT_T0_E_clISt17integral_constantIbLb0EES17_EEDaS12_S13_EUlS12_E_NS1_11comp_targetILNS1_3genE9ELNS1_11target_archE1100ELNS1_3gpuE3ELNS1_3repE0EEENS1_30default_config_static_selectorELNS0_4arch9wavefront6targetE1EEEvT1_.kd
    .uniform_work_group_size: 1
    .uses_dynamic_stack: false
    .vgpr_count:     0
    .vgpr_spill_count: 0
    .wavefront_size: 64
  - .agpr_count:     0
    .args:
      - .offset:         0
        .size:           112
        .value_kind:     by_value
    .group_segment_fixed_size: 0
    .kernarg_segment_align: 8
    .kernarg_segment_size: 112
    .language:       OpenCL C
    .language_version:
      - 2
      - 0
    .max_flat_workgroup_size: 384
    .name:           _ZN7rocprim17ROCPRIM_400000_NS6detail17trampoline_kernelINS0_14default_configENS1_25partition_config_selectorILNS1_17partition_subalgoE8EsNS0_10empty_typeEbEEZZNS1_14partition_implILS5_8ELb0ES3_jPKsPS6_PKS6_NS0_5tupleIJPsS6_EEENSE_IJSB_SB_EEENS0_18inequality_wrapperIN6hipcub16HIPCUB_304000_NS8EqualityEEEPlJS6_EEE10hipError_tPvRmT3_T4_T5_T6_T7_T9_mT8_P12ihipStream_tbDpT10_ENKUlT_T0_E_clISt17integral_constantIbLb0EES17_EEDaS12_S13_EUlS12_E_NS1_11comp_targetILNS1_3genE8ELNS1_11target_archE1030ELNS1_3gpuE2ELNS1_3repE0EEENS1_30default_config_static_selectorELNS0_4arch9wavefront6targetE1EEEvT1_
    .private_segment_fixed_size: 0
    .sgpr_count:     4
    .sgpr_spill_count: 0
    .symbol:         _ZN7rocprim17ROCPRIM_400000_NS6detail17trampoline_kernelINS0_14default_configENS1_25partition_config_selectorILNS1_17partition_subalgoE8EsNS0_10empty_typeEbEEZZNS1_14partition_implILS5_8ELb0ES3_jPKsPS6_PKS6_NS0_5tupleIJPsS6_EEENSE_IJSB_SB_EEENS0_18inequality_wrapperIN6hipcub16HIPCUB_304000_NS8EqualityEEEPlJS6_EEE10hipError_tPvRmT3_T4_T5_T6_T7_T9_mT8_P12ihipStream_tbDpT10_ENKUlT_T0_E_clISt17integral_constantIbLb0EES17_EEDaS12_S13_EUlS12_E_NS1_11comp_targetILNS1_3genE8ELNS1_11target_archE1030ELNS1_3gpuE2ELNS1_3repE0EEENS1_30default_config_static_selectorELNS0_4arch9wavefront6targetE1EEEvT1_.kd
    .uniform_work_group_size: 1
    .uses_dynamic_stack: false
    .vgpr_count:     0
    .vgpr_spill_count: 0
    .wavefront_size: 64
  - .agpr_count:     0
    .args:
      - .offset:         0
        .size:           128
        .value_kind:     by_value
    .group_segment_fixed_size: 0
    .kernarg_segment_align: 8
    .kernarg_segment_size: 128
    .language:       OpenCL C
    .language_version:
      - 2
      - 0
    .max_flat_workgroup_size: 256
    .name:           _ZN7rocprim17ROCPRIM_400000_NS6detail17trampoline_kernelINS0_14default_configENS1_25partition_config_selectorILNS1_17partition_subalgoE8EsNS0_10empty_typeEbEEZZNS1_14partition_implILS5_8ELb0ES3_jPKsPS6_PKS6_NS0_5tupleIJPsS6_EEENSE_IJSB_SB_EEENS0_18inequality_wrapperIN6hipcub16HIPCUB_304000_NS8EqualityEEEPlJS6_EEE10hipError_tPvRmT3_T4_T5_T6_T7_T9_mT8_P12ihipStream_tbDpT10_ENKUlT_T0_E_clISt17integral_constantIbLb1EES17_EEDaS12_S13_EUlS12_E_NS1_11comp_targetILNS1_3genE0ELNS1_11target_archE4294967295ELNS1_3gpuE0ELNS1_3repE0EEENS1_30default_config_static_selectorELNS0_4arch9wavefront6targetE1EEEvT1_
    .private_segment_fixed_size: 0
    .sgpr_count:     4
    .sgpr_spill_count: 0
    .symbol:         _ZN7rocprim17ROCPRIM_400000_NS6detail17trampoline_kernelINS0_14default_configENS1_25partition_config_selectorILNS1_17partition_subalgoE8EsNS0_10empty_typeEbEEZZNS1_14partition_implILS5_8ELb0ES3_jPKsPS6_PKS6_NS0_5tupleIJPsS6_EEENSE_IJSB_SB_EEENS0_18inequality_wrapperIN6hipcub16HIPCUB_304000_NS8EqualityEEEPlJS6_EEE10hipError_tPvRmT3_T4_T5_T6_T7_T9_mT8_P12ihipStream_tbDpT10_ENKUlT_T0_E_clISt17integral_constantIbLb1EES17_EEDaS12_S13_EUlS12_E_NS1_11comp_targetILNS1_3genE0ELNS1_11target_archE4294967295ELNS1_3gpuE0ELNS1_3repE0EEENS1_30default_config_static_selectorELNS0_4arch9wavefront6targetE1EEEvT1_.kd
    .uniform_work_group_size: 1
    .uses_dynamic_stack: false
    .vgpr_count:     0
    .vgpr_spill_count: 0
    .wavefront_size: 64
  - .agpr_count:     0
    .args:
      - .offset:         0
        .size:           128
        .value_kind:     by_value
    .group_segment_fixed_size: 0
    .kernarg_segment_align: 8
    .kernarg_segment_size: 128
    .language:       OpenCL C
    .language_version:
      - 2
      - 0
    .max_flat_workgroup_size: 512
    .name:           _ZN7rocprim17ROCPRIM_400000_NS6detail17trampoline_kernelINS0_14default_configENS1_25partition_config_selectorILNS1_17partition_subalgoE8EsNS0_10empty_typeEbEEZZNS1_14partition_implILS5_8ELb0ES3_jPKsPS6_PKS6_NS0_5tupleIJPsS6_EEENSE_IJSB_SB_EEENS0_18inequality_wrapperIN6hipcub16HIPCUB_304000_NS8EqualityEEEPlJS6_EEE10hipError_tPvRmT3_T4_T5_T6_T7_T9_mT8_P12ihipStream_tbDpT10_ENKUlT_T0_E_clISt17integral_constantIbLb1EES17_EEDaS12_S13_EUlS12_E_NS1_11comp_targetILNS1_3genE5ELNS1_11target_archE942ELNS1_3gpuE9ELNS1_3repE0EEENS1_30default_config_static_selectorELNS0_4arch9wavefront6targetE1EEEvT1_
    .private_segment_fixed_size: 0
    .sgpr_count:     4
    .sgpr_spill_count: 0
    .symbol:         _ZN7rocprim17ROCPRIM_400000_NS6detail17trampoline_kernelINS0_14default_configENS1_25partition_config_selectorILNS1_17partition_subalgoE8EsNS0_10empty_typeEbEEZZNS1_14partition_implILS5_8ELb0ES3_jPKsPS6_PKS6_NS0_5tupleIJPsS6_EEENSE_IJSB_SB_EEENS0_18inequality_wrapperIN6hipcub16HIPCUB_304000_NS8EqualityEEEPlJS6_EEE10hipError_tPvRmT3_T4_T5_T6_T7_T9_mT8_P12ihipStream_tbDpT10_ENKUlT_T0_E_clISt17integral_constantIbLb1EES17_EEDaS12_S13_EUlS12_E_NS1_11comp_targetILNS1_3genE5ELNS1_11target_archE942ELNS1_3gpuE9ELNS1_3repE0EEENS1_30default_config_static_selectorELNS0_4arch9wavefront6targetE1EEEvT1_.kd
    .uniform_work_group_size: 1
    .uses_dynamic_stack: false
    .vgpr_count:     0
    .vgpr_spill_count: 0
    .wavefront_size: 64
  - .agpr_count:     0
    .args:
      - .offset:         0
        .size:           128
        .value_kind:     by_value
    .group_segment_fixed_size: 11272
    .kernarg_segment_align: 8
    .kernarg_segment_size: 128
    .language:       OpenCL C
    .language_version:
      - 2
      - 0
    .max_flat_workgroup_size: 256
    .name:           _ZN7rocprim17ROCPRIM_400000_NS6detail17trampoline_kernelINS0_14default_configENS1_25partition_config_selectorILNS1_17partition_subalgoE8EsNS0_10empty_typeEbEEZZNS1_14partition_implILS5_8ELb0ES3_jPKsPS6_PKS6_NS0_5tupleIJPsS6_EEENSE_IJSB_SB_EEENS0_18inequality_wrapperIN6hipcub16HIPCUB_304000_NS8EqualityEEEPlJS6_EEE10hipError_tPvRmT3_T4_T5_T6_T7_T9_mT8_P12ihipStream_tbDpT10_ENKUlT_T0_E_clISt17integral_constantIbLb1EES17_EEDaS12_S13_EUlS12_E_NS1_11comp_targetILNS1_3genE4ELNS1_11target_archE910ELNS1_3gpuE8ELNS1_3repE0EEENS1_30default_config_static_selectorELNS0_4arch9wavefront6targetE1EEEvT1_
    .private_segment_fixed_size: 0
    .sgpr_count:     69
    .sgpr_spill_count: 0
    .symbol:         _ZN7rocprim17ROCPRIM_400000_NS6detail17trampoline_kernelINS0_14default_configENS1_25partition_config_selectorILNS1_17partition_subalgoE8EsNS0_10empty_typeEbEEZZNS1_14partition_implILS5_8ELb0ES3_jPKsPS6_PKS6_NS0_5tupleIJPsS6_EEENSE_IJSB_SB_EEENS0_18inequality_wrapperIN6hipcub16HIPCUB_304000_NS8EqualityEEEPlJS6_EEE10hipError_tPvRmT3_T4_T5_T6_T7_T9_mT8_P12ihipStream_tbDpT10_ENKUlT_T0_E_clISt17integral_constantIbLb1EES17_EEDaS12_S13_EUlS12_E_NS1_11comp_targetILNS1_3genE4ELNS1_11target_archE910ELNS1_3gpuE8ELNS1_3repE0EEENS1_30default_config_static_selectorELNS0_4arch9wavefront6targetE1EEEvT1_.kd
    .uniform_work_group_size: 1
    .uses_dynamic_stack: false
    .vgpr_count:     98
    .vgpr_spill_count: 0
    .wavefront_size: 64
  - .agpr_count:     0
    .args:
      - .offset:         0
        .size:           128
        .value_kind:     by_value
    .group_segment_fixed_size: 0
    .kernarg_segment_align: 8
    .kernarg_segment_size: 128
    .language:       OpenCL C
    .language_version:
      - 2
      - 0
    .max_flat_workgroup_size: 256
    .name:           _ZN7rocprim17ROCPRIM_400000_NS6detail17trampoline_kernelINS0_14default_configENS1_25partition_config_selectorILNS1_17partition_subalgoE8EsNS0_10empty_typeEbEEZZNS1_14partition_implILS5_8ELb0ES3_jPKsPS6_PKS6_NS0_5tupleIJPsS6_EEENSE_IJSB_SB_EEENS0_18inequality_wrapperIN6hipcub16HIPCUB_304000_NS8EqualityEEEPlJS6_EEE10hipError_tPvRmT3_T4_T5_T6_T7_T9_mT8_P12ihipStream_tbDpT10_ENKUlT_T0_E_clISt17integral_constantIbLb1EES17_EEDaS12_S13_EUlS12_E_NS1_11comp_targetILNS1_3genE3ELNS1_11target_archE908ELNS1_3gpuE7ELNS1_3repE0EEENS1_30default_config_static_selectorELNS0_4arch9wavefront6targetE1EEEvT1_
    .private_segment_fixed_size: 0
    .sgpr_count:     4
    .sgpr_spill_count: 0
    .symbol:         _ZN7rocprim17ROCPRIM_400000_NS6detail17trampoline_kernelINS0_14default_configENS1_25partition_config_selectorILNS1_17partition_subalgoE8EsNS0_10empty_typeEbEEZZNS1_14partition_implILS5_8ELb0ES3_jPKsPS6_PKS6_NS0_5tupleIJPsS6_EEENSE_IJSB_SB_EEENS0_18inequality_wrapperIN6hipcub16HIPCUB_304000_NS8EqualityEEEPlJS6_EEE10hipError_tPvRmT3_T4_T5_T6_T7_T9_mT8_P12ihipStream_tbDpT10_ENKUlT_T0_E_clISt17integral_constantIbLb1EES17_EEDaS12_S13_EUlS12_E_NS1_11comp_targetILNS1_3genE3ELNS1_11target_archE908ELNS1_3gpuE7ELNS1_3repE0EEENS1_30default_config_static_selectorELNS0_4arch9wavefront6targetE1EEEvT1_.kd
    .uniform_work_group_size: 1
    .uses_dynamic_stack: false
    .vgpr_count:     0
    .vgpr_spill_count: 0
    .wavefront_size: 64
  - .agpr_count:     0
    .args:
      - .offset:         0
        .size:           128
        .value_kind:     by_value
    .group_segment_fixed_size: 0
    .kernarg_segment_align: 8
    .kernarg_segment_size: 128
    .language:       OpenCL C
    .language_version:
      - 2
      - 0
    .max_flat_workgroup_size: 192
    .name:           _ZN7rocprim17ROCPRIM_400000_NS6detail17trampoline_kernelINS0_14default_configENS1_25partition_config_selectorILNS1_17partition_subalgoE8EsNS0_10empty_typeEbEEZZNS1_14partition_implILS5_8ELb0ES3_jPKsPS6_PKS6_NS0_5tupleIJPsS6_EEENSE_IJSB_SB_EEENS0_18inequality_wrapperIN6hipcub16HIPCUB_304000_NS8EqualityEEEPlJS6_EEE10hipError_tPvRmT3_T4_T5_T6_T7_T9_mT8_P12ihipStream_tbDpT10_ENKUlT_T0_E_clISt17integral_constantIbLb1EES17_EEDaS12_S13_EUlS12_E_NS1_11comp_targetILNS1_3genE2ELNS1_11target_archE906ELNS1_3gpuE6ELNS1_3repE0EEENS1_30default_config_static_selectorELNS0_4arch9wavefront6targetE1EEEvT1_
    .private_segment_fixed_size: 0
    .sgpr_count:     4
    .sgpr_spill_count: 0
    .symbol:         _ZN7rocprim17ROCPRIM_400000_NS6detail17trampoline_kernelINS0_14default_configENS1_25partition_config_selectorILNS1_17partition_subalgoE8EsNS0_10empty_typeEbEEZZNS1_14partition_implILS5_8ELb0ES3_jPKsPS6_PKS6_NS0_5tupleIJPsS6_EEENSE_IJSB_SB_EEENS0_18inequality_wrapperIN6hipcub16HIPCUB_304000_NS8EqualityEEEPlJS6_EEE10hipError_tPvRmT3_T4_T5_T6_T7_T9_mT8_P12ihipStream_tbDpT10_ENKUlT_T0_E_clISt17integral_constantIbLb1EES17_EEDaS12_S13_EUlS12_E_NS1_11comp_targetILNS1_3genE2ELNS1_11target_archE906ELNS1_3gpuE6ELNS1_3repE0EEENS1_30default_config_static_selectorELNS0_4arch9wavefront6targetE1EEEvT1_.kd
    .uniform_work_group_size: 1
    .uses_dynamic_stack: false
    .vgpr_count:     0
    .vgpr_spill_count: 0
    .wavefront_size: 64
  - .agpr_count:     0
    .args:
      - .offset:         0
        .size:           128
        .value_kind:     by_value
    .group_segment_fixed_size: 0
    .kernarg_segment_align: 8
    .kernarg_segment_size: 128
    .language:       OpenCL C
    .language_version:
      - 2
      - 0
    .max_flat_workgroup_size: 256
    .name:           _ZN7rocprim17ROCPRIM_400000_NS6detail17trampoline_kernelINS0_14default_configENS1_25partition_config_selectorILNS1_17partition_subalgoE8EsNS0_10empty_typeEbEEZZNS1_14partition_implILS5_8ELb0ES3_jPKsPS6_PKS6_NS0_5tupleIJPsS6_EEENSE_IJSB_SB_EEENS0_18inequality_wrapperIN6hipcub16HIPCUB_304000_NS8EqualityEEEPlJS6_EEE10hipError_tPvRmT3_T4_T5_T6_T7_T9_mT8_P12ihipStream_tbDpT10_ENKUlT_T0_E_clISt17integral_constantIbLb1EES17_EEDaS12_S13_EUlS12_E_NS1_11comp_targetILNS1_3genE10ELNS1_11target_archE1200ELNS1_3gpuE4ELNS1_3repE0EEENS1_30default_config_static_selectorELNS0_4arch9wavefront6targetE1EEEvT1_
    .private_segment_fixed_size: 0
    .sgpr_count:     4
    .sgpr_spill_count: 0
    .symbol:         _ZN7rocprim17ROCPRIM_400000_NS6detail17trampoline_kernelINS0_14default_configENS1_25partition_config_selectorILNS1_17partition_subalgoE8EsNS0_10empty_typeEbEEZZNS1_14partition_implILS5_8ELb0ES3_jPKsPS6_PKS6_NS0_5tupleIJPsS6_EEENSE_IJSB_SB_EEENS0_18inequality_wrapperIN6hipcub16HIPCUB_304000_NS8EqualityEEEPlJS6_EEE10hipError_tPvRmT3_T4_T5_T6_T7_T9_mT8_P12ihipStream_tbDpT10_ENKUlT_T0_E_clISt17integral_constantIbLb1EES17_EEDaS12_S13_EUlS12_E_NS1_11comp_targetILNS1_3genE10ELNS1_11target_archE1200ELNS1_3gpuE4ELNS1_3repE0EEENS1_30default_config_static_selectorELNS0_4arch9wavefront6targetE1EEEvT1_.kd
    .uniform_work_group_size: 1
    .uses_dynamic_stack: false
    .vgpr_count:     0
    .vgpr_spill_count: 0
    .wavefront_size: 64
  - .agpr_count:     0
    .args:
      - .offset:         0
        .size:           128
        .value_kind:     by_value
    .group_segment_fixed_size: 0
    .kernarg_segment_align: 8
    .kernarg_segment_size: 128
    .language:       OpenCL C
    .language_version:
      - 2
      - 0
    .max_flat_workgroup_size: 128
    .name:           _ZN7rocprim17ROCPRIM_400000_NS6detail17trampoline_kernelINS0_14default_configENS1_25partition_config_selectorILNS1_17partition_subalgoE8EsNS0_10empty_typeEbEEZZNS1_14partition_implILS5_8ELb0ES3_jPKsPS6_PKS6_NS0_5tupleIJPsS6_EEENSE_IJSB_SB_EEENS0_18inequality_wrapperIN6hipcub16HIPCUB_304000_NS8EqualityEEEPlJS6_EEE10hipError_tPvRmT3_T4_T5_T6_T7_T9_mT8_P12ihipStream_tbDpT10_ENKUlT_T0_E_clISt17integral_constantIbLb1EES17_EEDaS12_S13_EUlS12_E_NS1_11comp_targetILNS1_3genE9ELNS1_11target_archE1100ELNS1_3gpuE3ELNS1_3repE0EEENS1_30default_config_static_selectorELNS0_4arch9wavefront6targetE1EEEvT1_
    .private_segment_fixed_size: 0
    .sgpr_count:     4
    .sgpr_spill_count: 0
    .symbol:         _ZN7rocprim17ROCPRIM_400000_NS6detail17trampoline_kernelINS0_14default_configENS1_25partition_config_selectorILNS1_17partition_subalgoE8EsNS0_10empty_typeEbEEZZNS1_14partition_implILS5_8ELb0ES3_jPKsPS6_PKS6_NS0_5tupleIJPsS6_EEENSE_IJSB_SB_EEENS0_18inequality_wrapperIN6hipcub16HIPCUB_304000_NS8EqualityEEEPlJS6_EEE10hipError_tPvRmT3_T4_T5_T6_T7_T9_mT8_P12ihipStream_tbDpT10_ENKUlT_T0_E_clISt17integral_constantIbLb1EES17_EEDaS12_S13_EUlS12_E_NS1_11comp_targetILNS1_3genE9ELNS1_11target_archE1100ELNS1_3gpuE3ELNS1_3repE0EEENS1_30default_config_static_selectorELNS0_4arch9wavefront6targetE1EEEvT1_.kd
    .uniform_work_group_size: 1
    .uses_dynamic_stack: false
    .vgpr_count:     0
    .vgpr_spill_count: 0
    .wavefront_size: 64
  - .agpr_count:     0
    .args:
      - .offset:         0
        .size:           128
        .value_kind:     by_value
    .group_segment_fixed_size: 0
    .kernarg_segment_align: 8
    .kernarg_segment_size: 128
    .language:       OpenCL C
    .language_version:
      - 2
      - 0
    .max_flat_workgroup_size: 384
    .name:           _ZN7rocprim17ROCPRIM_400000_NS6detail17trampoline_kernelINS0_14default_configENS1_25partition_config_selectorILNS1_17partition_subalgoE8EsNS0_10empty_typeEbEEZZNS1_14partition_implILS5_8ELb0ES3_jPKsPS6_PKS6_NS0_5tupleIJPsS6_EEENSE_IJSB_SB_EEENS0_18inequality_wrapperIN6hipcub16HIPCUB_304000_NS8EqualityEEEPlJS6_EEE10hipError_tPvRmT3_T4_T5_T6_T7_T9_mT8_P12ihipStream_tbDpT10_ENKUlT_T0_E_clISt17integral_constantIbLb1EES17_EEDaS12_S13_EUlS12_E_NS1_11comp_targetILNS1_3genE8ELNS1_11target_archE1030ELNS1_3gpuE2ELNS1_3repE0EEENS1_30default_config_static_selectorELNS0_4arch9wavefront6targetE1EEEvT1_
    .private_segment_fixed_size: 0
    .sgpr_count:     4
    .sgpr_spill_count: 0
    .symbol:         _ZN7rocprim17ROCPRIM_400000_NS6detail17trampoline_kernelINS0_14default_configENS1_25partition_config_selectorILNS1_17partition_subalgoE8EsNS0_10empty_typeEbEEZZNS1_14partition_implILS5_8ELb0ES3_jPKsPS6_PKS6_NS0_5tupleIJPsS6_EEENSE_IJSB_SB_EEENS0_18inequality_wrapperIN6hipcub16HIPCUB_304000_NS8EqualityEEEPlJS6_EEE10hipError_tPvRmT3_T4_T5_T6_T7_T9_mT8_P12ihipStream_tbDpT10_ENKUlT_T0_E_clISt17integral_constantIbLb1EES17_EEDaS12_S13_EUlS12_E_NS1_11comp_targetILNS1_3genE8ELNS1_11target_archE1030ELNS1_3gpuE2ELNS1_3repE0EEENS1_30default_config_static_selectorELNS0_4arch9wavefront6targetE1EEEvT1_.kd
    .uniform_work_group_size: 1
    .uses_dynamic_stack: false
    .vgpr_count:     0
    .vgpr_spill_count: 0
    .wavefront_size: 64
  - .agpr_count:     0
    .args:
      - .offset:         0
        .size:           112
        .value_kind:     by_value
    .group_segment_fixed_size: 0
    .kernarg_segment_align: 8
    .kernarg_segment_size: 112
    .language:       OpenCL C
    .language_version:
      - 2
      - 0
    .max_flat_workgroup_size: 256
    .name:           _ZN7rocprim17ROCPRIM_400000_NS6detail17trampoline_kernelINS0_14default_configENS1_25partition_config_selectorILNS1_17partition_subalgoE8EsNS0_10empty_typeEbEEZZNS1_14partition_implILS5_8ELb0ES3_jPKsPS6_PKS6_NS0_5tupleIJPsS6_EEENSE_IJSB_SB_EEENS0_18inequality_wrapperIN6hipcub16HIPCUB_304000_NS8EqualityEEEPlJS6_EEE10hipError_tPvRmT3_T4_T5_T6_T7_T9_mT8_P12ihipStream_tbDpT10_ENKUlT_T0_E_clISt17integral_constantIbLb1EES16_IbLb0EEEEDaS12_S13_EUlS12_E_NS1_11comp_targetILNS1_3genE0ELNS1_11target_archE4294967295ELNS1_3gpuE0ELNS1_3repE0EEENS1_30default_config_static_selectorELNS0_4arch9wavefront6targetE1EEEvT1_
    .private_segment_fixed_size: 0
    .sgpr_count:     4
    .sgpr_spill_count: 0
    .symbol:         _ZN7rocprim17ROCPRIM_400000_NS6detail17trampoline_kernelINS0_14default_configENS1_25partition_config_selectorILNS1_17partition_subalgoE8EsNS0_10empty_typeEbEEZZNS1_14partition_implILS5_8ELb0ES3_jPKsPS6_PKS6_NS0_5tupleIJPsS6_EEENSE_IJSB_SB_EEENS0_18inequality_wrapperIN6hipcub16HIPCUB_304000_NS8EqualityEEEPlJS6_EEE10hipError_tPvRmT3_T4_T5_T6_T7_T9_mT8_P12ihipStream_tbDpT10_ENKUlT_T0_E_clISt17integral_constantIbLb1EES16_IbLb0EEEEDaS12_S13_EUlS12_E_NS1_11comp_targetILNS1_3genE0ELNS1_11target_archE4294967295ELNS1_3gpuE0ELNS1_3repE0EEENS1_30default_config_static_selectorELNS0_4arch9wavefront6targetE1EEEvT1_.kd
    .uniform_work_group_size: 1
    .uses_dynamic_stack: false
    .vgpr_count:     0
    .vgpr_spill_count: 0
    .wavefront_size: 64
  - .agpr_count:     0
    .args:
      - .offset:         0
        .size:           112
        .value_kind:     by_value
    .group_segment_fixed_size: 0
    .kernarg_segment_align: 8
    .kernarg_segment_size: 112
    .language:       OpenCL C
    .language_version:
      - 2
      - 0
    .max_flat_workgroup_size: 512
    .name:           _ZN7rocprim17ROCPRIM_400000_NS6detail17trampoline_kernelINS0_14default_configENS1_25partition_config_selectorILNS1_17partition_subalgoE8EsNS0_10empty_typeEbEEZZNS1_14partition_implILS5_8ELb0ES3_jPKsPS6_PKS6_NS0_5tupleIJPsS6_EEENSE_IJSB_SB_EEENS0_18inequality_wrapperIN6hipcub16HIPCUB_304000_NS8EqualityEEEPlJS6_EEE10hipError_tPvRmT3_T4_T5_T6_T7_T9_mT8_P12ihipStream_tbDpT10_ENKUlT_T0_E_clISt17integral_constantIbLb1EES16_IbLb0EEEEDaS12_S13_EUlS12_E_NS1_11comp_targetILNS1_3genE5ELNS1_11target_archE942ELNS1_3gpuE9ELNS1_3repE0EEENS1_30default_config_static_selectorELNS0_4arch9wavefront6targetE1EEEvT1_
    .private_segment_fixed_size: 0
    .sgpr_count:     4
    .sgpr_spill_count: 0
    .symbol:         _ZN7rocprim17ROCPRIM_400000_NS6detail17trampoline_kernelINS0_14default_configENS1_25partition_config_selectorILNS1_17partition_subalgoE8EsNS0_10empty_typeEbEEZZNS1_14partition_implILS5_8ELb0ES3_jPKsPS6_PKS6_NS0_5tupleIJPsS6_EEENSE_IJSB_SB_EEENS0_18inequality_wrapperIN6hipcub16HIPCUB_304000_NS8EqualityEEEPlJS6_EEE10hipError_tPvRmT3_T4_T5_T6_T7_T9_mT8_P12ihipStream_tbDpT10_ENKUlT_T0_E_clISt17integral_constantIbLb1EES16_IbLb0EEEEDaS12_S13_EUlS12_E_NS1_11comp_targetILNS1_3genE5ELNS1_11target_archE942ELNS1_3gpuE9ELNS1_3repE0EEENS1_30default_config_static_selectorELNS0_4arch9wavefront6targetE1EEEvT1_.kd
    .uniform_work_group_size: 1
    .uses_dynamic_stack: false
    .vgpr_count:     0
    .vgpr_spill_count: 0
    .wavefront_size: 64
  - .agpr_count:     0
    .args:
      - .offset:         0
        .size:           112
        .value_kind:     by_value
    .group_segment_fixed_size: 11272
    .kernarg_segment_align: 8
    .kernarg_segment_size: 112
    .language:       OpenCL C
    .language_version:
      - 2
      - 0
    .max_flat_workgroup_size: 256
    .name:           _ZN7rocprim17ROCPRIM_400000_NS6detail17trampoline_kernelINS0_14default_configENS1_25partition_config_selectorILNS1_17partition_subalgoE8EsNS0_10empty_typeEbEEZZNS1_14partition_implILS5_8ELb0ES3_jPKsPS6_PKS6_NS0_5tupleIJPsS6_EEENSE_IJSB_SB_EEENS0_18inequality_wrapperIN6hipcub16HIPCUB_304000_NS8EqualityEEEPlJS6_EEE10hipError_tPvRmT3_T4_T5_T6_T7_T9_mT8_P12ihipStream_tbDpT10_ENKUlT_T0_E_clISt17integral_constantIbLb1EES16_IbLb0EEEEDaS12_S13_EUlS12_E_NS1_11comp_targetILNS1_3genE4ELNS1_11target_archE910ELNS1_3gpuE8ELNS1_3repE0EEENS1_30default_config_static_selectorELNS0_4arch9wavefront6targetE1EEEvT1_
    .private_segment_fixed_size: 0
    .sgpr_count:     66
    .sgpr_spill_count: 0
    .symbol:         _ZN7rocprim17ROCPRIM_400000_NS6detail17trampoline_kernelINS0_14default_configENS1_25partition_config_selectorILNS1_17partition_subalgoE8EsNS0_10empty_typeEbEEZZNS1_14partition_implILS5_8ELb0ES3_jPKsPS6_PKS6_NS0_5tupleIJPsS6_EEENSE_IJSB_SB_EEENS0_18inequality_wrapperIN6hipcub16HIPCUB_304000_NS8EqualityEEEPlJS6_EEE10hipError_tPvRmT3_T4_T5_T6_T7_T9_mT8_P12ihipStream_tbDpT10_ENKUlT_T0_E_clISt17integral_constantIbLb1EES16_IbLb0EEEEDaS12_S13_EUlS12_E_NS1_11comp_targetILNS1_3genE4ELNS1_11target_archE910ELNS1_3gpuE8ELNS1_3repE0EEENS1_30default_config_static_selectorELNS0_4arch9wavefront6targetE1EEEvT1_.kd
    .uniform_work_group_size: 1
    .uses_dynamic_stack: false
    .vgpr_count:     96
    .vgpr_spill_count: 0
    .wavefront_size: 64
  - .agpr_count:     0
    .args:
      - .offset:         0
        .size:           112
        .value_kind:     by_value
    .group_segment_fixed_size: 0
    .kernarg_segment_align: 8
    .kernarg_segment_size: 112
    .language:       OpenCL C
    .language_version:
      - 2
      - 0
    .max_flat_workgroup_size: 256
    .name:           _ZN7rocprim17ROCPRIM_400000_NS6detail17trampoline_kernelINS0_14default_configENS1_25partition_config_selectorILNS1_17partition_subalgoE8EsNS0_10empty_typeEbEEZZNS1_14partition_implILS5_8ELb0ES3_jPKsPS6_PKS6_NS0_5tupleIJPsS6_EEENSE_IJSB_SB_EEENS0_18inequality_wrapperIN6hipcub16HIPCUB_304000_NS8EqualityEEEPlJS6_EEE10hipError_tPvRmT3_T4_T5_T6_T7_T9_mT8_P12ihipStream_tbDpT10_ENKUlT_T0_E_clISt17integral_constantIbLb1EES16_IbLb0EEEEDaS12_S13_EUlS12_E_NS1_11comp_targetILNS1_3genE3ELNS1_11target_archE908ELNS1_3gpuE7ELNS1_3repE0EEENS1_30default_config_static_selectorELNS0_4arch9wavefront6targetE1EEEvT1_
    .private_segment_fixed_size: 0
    .sgpr_count:     4
    .sgpr_spill_count: 0
    .symbol:         _ZN7rocprim17ROCPRIM_400000_NS6detail17trampoline_kernelINS0_14default_configENS1_25partition_config_selectorILNS1_17partition_subalgoE8EsNS0_10empty_typeEbEEZZNS1_14partition_implILS5_8ELb0ES3_jPKsPS6_PKS6_NS0_5tupleIJPsS6_EEENSE_IJSB_SB_EEENS0_18inequality_wrapperIN6hipcub16HIPCUB_304000_NS8EqualityEEEPlJS6_EEE10hipError_tPvRmT3_T4_T5_T6_T7_T9_mT8_P12ihipStream_tbDpT10_ENKUlT_T0_E_clISt17integral_constantIbLb1EES16_IbLb0EEEEDaS12_S13_EUlS12_E_NS1_11comp_targetILNS1_3genE3ELNS1_11target_archE908ELNS1_3gpuE7ELNS1_3repE0EEENS1_30default_config_static_selectorELNS0_4arch9wavefront6targetE1EEEvT1_.kd
    .uniform_work_group_size: 1
    .uses_dynamic_stack: false
    .vgpr_count:     0
    .vgpr_spill_count: 0
    .wavefront_size: 64
  - .agpr_count:     0
    .args:
      - .offset:         0
        .size:           112
        .value_kind:     by_value
    .group_segment_fixed_size: 0
    .kernarg_segment_align: 8
    .kernarg_segment_size: 112
    .language:       OpenCL C
    .language_version:
      - 2
      - 0
    .max_flat_workgroup_size: 192
    .name:           _ZN7rocprim17ROCPRIM_400000_NS6detail17trampoline_kernelINS0_14default_configENS1_25partition_config_selectorILNS1_17partition_subalgoE8EsNS0_10empty_typeEbEEZZNS1_14partition_implILS5_8ELb0ES3_jPKsPS6_PKS6_NS0_5tupleIJPsS6_EEENSE_IJSB_SB_EEENS0_18inequality_wrapperIN6hipcub16HIPCUB_304000_NS8EqualityEEEPlJS6_EEE10hipError_tPvRmT3_T4_T5_T6_T7_T9_mT8_P12ihipStream_tbDpT10_ENKUlT_T0_E_clISt17integral_constantIbLb1EES16_IbLb0EEEEDaS12_S13_EUlS12_E_NS1_11comp_targetILNS1_3genE2ELNS1_11target_archE906ELNS1_3gpuE6ELNS1_3repE0EEENS1_30default_config_static_selectorELNS0_4arch9wavefront6targetE1EEEvT1_
    .private_segment_fixed_size: 0
    .sgpr_count:     4
    .sgpr_spill_count: 0
    .symbol:         _ZN7rocprim17ROCPRIM_400000_NS6detail17trampoline_kernelINS0_14default_configENS1_25partition_config_selectorILNS1_17partition_subalgoE8EsNS0_10empty_typeEbEEZZNS1_14partition_implILS5_8ELb0ES3_jPKsPS6_PKS6_NS0_5tupleIJPsS6_EEENSE_IJSB_SB_EEENS0_18inequality_wrapperIN6hipcub16HIPCUB_304000_NS8EqualityEEEPlJS6_EEE10hipError_tPvRmT3_T4_T5_T6_T7_T9_mT8_P12ihipStream_tbDpT10_ENKUlT_T0_E_clISt17integral_constantIbLb1EES16_IbLb0EEEEDaS12_S13_EUlS12_E_NS1_11comp_targetILNS1_3genE2ELNS1_11target_archE906ELNS1_3gpuE6ELNS1_3repE0EEENS1_30default_config_static_selectorELNS0_4arch9wavefront6targetE1EEEvT1_.kd
    .uniform_work_group_size: 1
    .uses_dynamic_stack: false
    .vgpr_count:     0
    .vgpr_spill_count: 0
    .wavefront_size: 64
  - .agpr_count:     0
    .args:
      - .offset:         0
        .size:           112
        .value_kind:     by_value
    .group_segment_fixed_size: 0
    .kernarg_segment_align: 8
    .kernarg_segment_size: 112
    .language:       OpenCL C
    .language_version:
      - 2
      - 0
    .max_flat_workgroup_size: 256
    .name:           _ZN7rocprim17ROCPRIM_400000_NS6detail17trampoline_kernelINS0_14default_configENS1_25partition_config_selectorILNS1_17partition_subalgoE8EsNS0_10empty_typeEbEEZZNS1_14partition_implILS5_8ELb0ES3_jPKsPS6_PKS6_NS0_5tupleIJPsS6_EEENSE_IJSB_SB_EEENS0_18inequality_wrapperIN6hipcub16HIPCUB_304000_NS8EqualityEEEPlJS6_EEE10hipError_tPvRmT3_T4_T5_T6_T7_T9_mT8_P12ihipStream_tbDpT10_ENKUlT_T0_E_clISt17integral_constantIbLb1EES16_IbLb0EEEEDaS12_S13_EUlS12_E_NS1_11comp_targetILNS1_3genE10ELNS1_11target_archE1200ELNS1_3gpuE4ELNS1_3repE0EEENS1_30default_config_static_selectorELNS0_4arch9wavefront6targetE1EEEvT1_
    .private_segment_fixed_size: 0
    .sgpr_count:     4
    .sgpr_spill_count: 0
    .symbol:         _ZN7rocprim17ROCPRIM_400000_NS6detail17trampoline_kernelINS0_14default_configENS1_25partition_config_selectorILNS1_17partition_subalgoE8EsNS0_10empty_typeEbEEZZNS1_14partition_implILS5_8ELb0ES3_jPKsPS6_PKS6_NS0_5tupleIJPsS6_EEENSE_IJSB_SB_EEENS0_18inequality_wrapperIN6hipcub16HIPCUB_304000_NS8EqualityEEEPlJS6_EEE10hipError_tPvRmT3_T4_T5_T6_T7_T9_mT8_P12ihipStream_tbDpT10_ENKUlT_T0_E_clISt17integral_constantIbLb1EES16_IbLb0EEEEDaS12_S13_EUlS12_E_NS1_11comp_targetILNS1_3genE10ELNS1_11target_archE1200ELNS1_3gpuE4ELNS1_3repE0EEENS1_30default_config_static_selectorELNS0_4arch9wavefront6targetE1EEEvT1_.kd
    .uniform_work_group_size: 1
    .uses_dynamic_stack: false
    .vgpr_count:     0
    .vgpr_spill_count: 0
    .wavefront_size: 64
  - .agpr_count:     0
    .args:
      - .offset:         0
        .size:           112
        .value_kind:     by_value
    .group_segment_fixed_size: 0
    .kernarg_segment_align: 8
    .kernarg_segment_size: 112
    .language:       OpenCL C
    .language_version:
      - 2
      - 0
    .max_flat_workgroup_size: 128
    .name:           _ZN7rocprim17ROCPRIM_400000_NS6detail17trampoline_kernelINS0_14default_configENS1_25partition_config_selectorILNS1_17partition_subalgoE8EsNS0_10empty_typeEbEEZZNS1_14partition_implILS5_8ELb0ES3_jPKsPS6_PKS6_NS0_5tupleIJPsS6_EEENSE_IJSB_SB_EEENS0_18inequality_wrapperIN6hipcub16HIPCUB_304000_NS8EqualityEEEPlJS6_EEE10hipError_tPvRmT3_T4_T5_T6_T7_T9_mT8_P12ihipStream_tbDpT10_ENKUlT_T0_E_clISt17integral_constantIbLb1EES16_IbLb0EEEEDaS12_S13_EUlS12_E_NS1_11comp_targetILNS1_3genE9ELNS1_11target_archE1100ELNS1_3gpuE3ELNS1_3repE0EEENS1_30default_config_static_selectorELNS0_4arch9wavefront6targetE1EEEvT1_
    .private_segment_fixed_size: 0
    .sgpr_count:     4
    .sgpr_spill_count: 0
    .symbol:         _ZN7rocprim17ROCPRIM_400000_NS6detail17trampoline_kernelINS0_14default_configENS1_25partition_config_selectorILNS1_17partition_subalgoE8EsNS0_10empty_typeEbEEZZNS1_14partition_implILS5_8ELb0ES3_jPKsPS6_PKS6_NS0_5tupleIJPsS6_EEENSE_IJSB_SB_EEENS0_18inequality_wrapperIN6hipcub16HIPCUB_304000_NS8EqualityEEEPlJS6_EEE10hipError_tPvRmT3_T4_T5_T6_T7_T9_mT8_P12ihipStream_tbDpT10_ENKUlT_T0_E_clISt17integral_constantIbLb1EES16_IbLb0EEEEDaS12_S13_EUlS12_E_NS1_11comp_targetILNS1_3genE9ELNS1_11target_archE1100ELNS1_3gpuE3ELNS1_3repE0EEENS1_30default_config_static_selectorELNS0_4arch9wavefront6targetE1EEEvT1_.kd
    .uniform_work_group_size: 1
    .uses_dynamic_stack: false
    .vgpr_count:     0
    .vgpr_spill_count: 0
    .wavefront_size: 64
  - .agpr_count:     0
    .args:
      - .offset:         0
        .size:           112
        .value_kind:     by_value
    .group_segment_fixed_size: 0
    .kernarg_segment_align: 8
    .kernarg_segment_size: 112
    .language:       OpenCL C
    .language_version:
      - 2
      - 0
    .max_flat_workgroup_size: 384
    .name:           _ZN7rocprim17ROCPRIM_400000_NS6detail17trampoline_kernelINS0_14default_configENS1_25partition_config_selectorILNS1_17partition_subalgoE8EsNS0_10empty_typeEbEEZZNS1_14partition_implILS5_8ELb0ES3_jPKsPS6_PKS6_NS0_5tupleIJPsS6_EEENSE_IJSB_SB_EEENS0_18inequality_wrapperIN6hipcub16HIPCUB_304000_NS8EqualityEEEPlJS6_EEE10hipError_tPvRmT3_T4_T5_T6_T7_T9_mT8_P12ihipStream_tbDpT10_ENKUlT_T0_E_clISt17integral_constantIbLb1EES16_IbLb0EEEEDaS12_S13_EUlS12_E_NS1_11comp_targetILNS1_3genE8ELNS1_11target_archE1030ELNS1_3gpuE2ELNS1_3repE0EEENS1_30default_config_static_selectorELNS0_4arch9wavefront6targetE1EEEvT1_
    .private_segment_fixed_size: 0
    .sgpr_count:     4
    .sgpr_spill_count: 0
    .symbol:         _ZN7rocprim17ROCPRIM_400000_NS6detail17trampoline_kernelINS0_14default_configENS1_25partition_config_selectorILNS1_17partition_subalgoE8EsNS0_10empty_typeEbEEZZNS1_14partition_implILS5_8ELb0ES3_jPKsPS6_PKS6_NS0_5tupleIJPsS6_EEENSE_IJSB_SB_EEENS0_18inequality_wrapperIN6hipcub16HIPCUB_304000_NS8EqualityEEEPlJS6_EEE10hipError_tPvRmT3_T4_T5_T6_T7_T9_mT8_P12ihipStream_tbDpT10_ENKUlT_T0_E_clISt17integral_constantIbLb1EES16_IbLb0EEEEDaS12_S13_EUlS12_E_NS1_11comp_targetILNS1_3genE8ELNS1_11target_archE1030ELNS1_3gpuE2ELNS1_3repE0EEENS1_30default_config_static_selectorELNS0_4arch9wavefront6targetE1EEEvT1_.kd
    .uniform_work_group_size: 1
    .uses_dynamic_stack: false
    .vgpr_count:     0
    .vgpr_spill_count: 0
    .wavefront_size: 64
  - .agpr_count:     0
    .args:
      - .offset:         0
        .size:           128
        .value_kind:     by_value
    .group_segment_fixed_size: 0
    .kernarg_segment_align: 8
    .kernarg_segment_size: 128
    .language:       OpenCL C
    .language_version:
      - 2
      - 0
    .max_flat_workgroup_size: 256
    .name:           _ZN7rocprim17ROCPRIM_400000_NS6detail17trampoline_kernelINS0_14default_configENS1_25partition_config_selectorILNS1_17partition_subalgoE8EsNS0_10empty_typeEbEEZZNS1_14partition_implILS5_8ELb0ES3_jPKsPS6_PKS6_NS0_5tupleIJPsS6_EEENSE_IJSB_SB_EEENS0_18inequality_wrapperIN6hipcub16HIPCUB_304000_NS8EqualityEEEPlJS6_EEE10hipError_tPvRmT3_T4_T5_T6_T7_T9_mT8_P12ihipStream_tbDpT10_ENKUlT_T0_E_clISt17integral_constantIbLb0EES16_IbLb1EEEEDaS12_S13_EUlS12_E_NS1_11comp_targetILNS1_3genE0ELNS1_11target_archE4294967295ELNS1_3gpuE0ELNS1_3repE0EEENS1_30default_config_static_selectorELNS0_4arch9wavefront6targetE1EEEvT1_
    .private_segment_fixed_size: 0
    .sgpr_count:     4
    .sgpr_spill_count: 0
    .symbol:         _ZN7rocprim17ROCPRIM_400000_NS6detail17trampoline_kernelINS0_14default_configENS1_25partition_config_selectorILNS1_17partition_subalgoE8EsNS0_10empty_typeEbEEZZNS1_14partition_implILS5_8ELb0ES3_jPKsPS6_PKS6_NS0_5tupleIJPsS6_EEENSE_IJSB_SB_EEENS0_18inequality_wrapperIN6hipcub16HIPCUB_304000_NS8EqualityEEEPlJS6_EEE10hipError_tPvRmT3_T4_T5_T6_T7_T9_mT8_P12ihipStream_tbDpT10_ENKUlT_T0_E_clISt17integral_constantIbLb0EES16_IbLb1EEEEDaS12_S13_EUlS12_E_NS1_11comp_targetILNS1_3genE0ELNS1_11target_archE4294967295ELNS1_3gpuE0ELNS1_3repE0EEENS1_30default_config_static_selectorELNS0_4arch9wavefront6targetE1EEEvT1_.kd
    .uniform_work_group_size: 1
    .uses_dynamic_stack: false
    .vgpr_count:     0
    .vgpr_spill_count: 0
    .wavefront_size: 64
  - .agpr_count:     0
    .args:
      - .offset:         0
        .size:           128
        .value_kind:     by_value
    .group_segment_fixed_size: 0
    .kernarg_segment_align: 8
    .kernarg_segment_size: 128
    .language:       OpenCL C
    .language_version:
      - 2
      - 0
    .max_flat_workgroup_size: 512
    .name:           _ZN7rocprim17ROCPRIM_400000_NS6detail17trampoline_kernelINS0_14default_configENS1_25partition_config_selectorILNS1_17partition_subalgoE8EsNS0_10empty_typeEbEEZZNS1_14partition_implILS5_8ELb0ES3_jPKsPS6_PKS6_NS0_5tupleIJPsS6_EEENSE_IJSB_SB_EEENS0_18inequality_wrapperIN6hipcub16HIPCUB_304000_NS8EqualityEEEPlJS6_EEE10hipError_tPvRmT3_T4_T5_T6_T7_T9_mT8_P12ihipStream_tbDpT10_ENKUlT_T0_E_clISt17integral_constantIbLb0EES16_IbLb1EEEEDaS12_S13_EUlS12_E_NS1_11comp_targetILNS1_3genE5ELNS1_11target_archE942ELNS1_3gpuE9ELNS1_3repE0EEENS1_30default_config_static_selectorELNS0_4arch9wavefront6targetE1EEEvT1_
    .private_segment_fixed_size: 0
    .sgpr_count:     4
    .sgpr_spill_count: 0
    .symbol:         _ZN7rocprim17ROCPRIM_400000_NS6detail17trampoline_kernelINS0_14default_configENS1_25partition_config_selectorILNS1_17partition_subalgoE8EsNS0_10empty_typeEbEEZZNS1_14partition_implILS5_8ELb0ES3_jPKsPS6_PKS6_NS0_5tupleIJPsS6_EEENSE_IJSB_SB_EEENS0_18inequality_wrapperIN6hipcub16HIPCUB_304000_NS8EqualityEEEPlJS6_EEE10hipError_tPvRmT3_T4_T5_T6_T7_T9_mT8_P12ihipStream_tbDpT10_ENKUlT_T0_E_clISt17integral_constantIbLb0EES16_IbLb1EEEEDaS12_S13_EUlS12_E_NS1_11comp_targetILNS1_3genE5ELNS1_11target_archE942ELNS1_3gpuE9ELNS1_3repE0EEENS1_30default_config_static_selectorELNS0_4arch9wavefront6targetE1EEEvT1_.kd
    .uniform_work_group_size: 1
    .uses_dynamic_stack: false
    .vgpr_count:     0
    .vgpr_spill_count: 0
    .wavefront_size: 64
  - .agpr_count:     0
    .args:
      - .offset:         0
        .size:           128
        .value_kind:     by_value
    .group_segment_fixed_size: 11272
    .kernarg_segment_align: 8
    .kernarg_segment_size: 128
    .language:       OpenCL C
    .language_version:
      - 2
      - 0
    .max_flat_workgroup_size: 256
    .name:           _ZN7rocprim17ROCPRIM_400000_NS6detail17trampoline_kernelINS0_14default_configENS1_25partition_config_selectorILNS1_17partition_subalgoE8EsNS0_10empty_typeEbEEZZNS1_14partition_implILS5_8ELb0ES3_jPKsPS6_PKS6_NS0_5tupleIJPsS6_EEENSE_IJSB_SB_EEENS0_18inequality_wrapperIN6hipcub16HIPCUB_304000_NS8EqualityEEEPlJS6_EEE10hipError_tPvRmT3_T4_T5_T6_T7_T9_mT8_P12ihipStream_tbDpT10_ENKUlT_T0_E_clISt17integral_constantIbLb0EES16_IbLb1EEEEDaS12_S13_EUlS12_E_NS1_11comp_targetILNS1_3genE4ELNS1_11target_archE910ELNS1_3gpuE8ELNS1_3repE0EEENS1_30default_config_static_selectorELNS0_4arch9wavefront6targetE1EEEvT1_
    .private_segment_fixed_size: 0
    .sgpr_count:     69
    .sgpr_spill_count: 0
    .symbol:         _ZN7rocprim17ROCPRIM_400000_NS6detail17trampoline_kernelINS0_14default_configENS1_25partition_config_selectorILNS1_17partition_subalgoE8EsNS0_10empty_typeEbEEZZNS1_14partition_implILS5_8ELb0ES3_jPKsPS6_PKS6_NS0_5tupleIJPsS6_EEENSE_IJSB_SB_EEENS0_18inequality_wrapperIN6hipcub16HIPCUB_304000_NS8EqualityEEEPlJS6_EEE10hipError_tPvRmT3_T4_T5_T6_T7_T9_mT8_P12ihipStream_tbDpT10_ENKUlT_T0_E_clISt17integral_constantIbLb0EES16_IbLb1EEEEDaS12_S13_EUlS12_E_NS1_11comp_targetILNS1_3genE4ELNS1_11target_archE910ELNS1_3gpuE8ELNS1_3repE0EEENS1_30default_config_static_selectorELNS0_4arch9wavefront6targetE1EEEvT1_.kd
    .uniform_work_group_size: 1
    .uses_dynamic_stack: false
    .vgpr_count:     98
    .vgpr_spill_count: 0
    .wavefront_size: 64
  - .agpr_count:     0
    .args:
      - .offset:         0
        .size:           128
        .value_kind:     by_value
    .group_segment_fixed_size: 0
    .kernarg_segment_align: 8
    .kernarg_segment_size: 128
    .language:       OpenCL C
    .language_version:
      - 2
      - 0
    .max_flat_workgroup_size: 256
    .name:           _ZN7rocprim17ROCPRIM_400000_NS6detail17trampoline_kernelINS0_14default_configENS1_25partition_config_selectorILNS1_17partition_subalgoE8EsNS0_10empty_typeEbEEZZNS1_14partition_implILS5_8ELb0ES3_jPKsPS6_PKS6_NS0_5tupleIJPsS6_EEENSE_IJSB_SB_EEENS0_18inequality_wrapperIN6hipcub16HIPCUB_304000_NS8EqualityEEEPlJS6_EEE10hipError_tPvRmT3_T4_T5_T6_T7_T9_mT8_P12ihipStream_tbDpT10_ENKUlT_T0_E_clISt17integral_constantIbLb0EES16_IbLb1EEEEDaS12_S13_EUlS12_E_NS1_11comp_targetILNS1_3genE3ELNS1_11target_archE908ELNS1_3gpuE7ELNS1_3repE0EEENS1_30default_config_static_selectorELNS0_4arch9wavefront6targetE1EEEvT1_
    .private_segment_fixed_size: 0
    .sgpr_count:     4
    .sgpr_spill_count: 0
    .symbol:         _ZN7rocprim17ROCPRIM_400000_NS6detail17trampoline_kernelINS0_14default_configENS1_25partition_config_selectorILNS1_17partition_subalgoE8EsNS0_10empty_typeEbEEZZNS1_14partition_implILS5_8ELb0ES3_jPKsPS6_PKS6_NS0_5tupleIJPsS6_EEENSE_IJSB_SB_EEENS0_18inequality_wrapperIN6hipcub16HIPCUB_304000_NS8EqualityEEEPlJS6_EEE10hipError_tPvRmT3_T4_T5_T6_T7_T9_mT8_P12ihipStream_tbDpT10_ENKUlT_T0_E_clISt17integral_constantIbLb0EES16_IbLb1EEEEDaS12_S13_EUlS12_E_NS1_11comp_targetILNS1_3genE3ELNS1_11target_archE908ELNS1_3gpuE7ELNS1_3repE0EEENS1_30default_config_static_selectorELNS0_4arch9wavefront6targetE1EEEvT1_.kd
    .uniform_work_group_size: 1
    .uses_dynamic_stack: false
    .vgpr_count:     0
    .vgpr_spill_count: 0
    .wavefront_size: 64
  - .agpr_count:     0
    .args:
      - .offset:         0
        .size:           128
        .value_kind:     by_value
    .group_segment_fixed_size: 0
    .kernarg_segment_align: 8
    .kernarg_segment_size: 128
    .language:       OpenCL C
    .language_version:
      - 2
      - 0
    .max_flat_workgroup_size: 192
    .name:           _ZN7rocprim17ROCPRIM_400000_NS6detail17trampoline_kernelINS0_14default_configENS1_25partition_config_selectorILNS1_17partition_subalgoE8EsNS0_10empty_typeEbEEZZNS1_14partition_implILS5_8ELb0ES3_jPKsPS6_PKS6_NS0_5tupleIJPsS6_EEENSE_IJSB_SB_EEENS0_18inequality_wrapperIN6hipcub16HIPCUB_304000_NS8EqualityEEEPlJS6_EEE10hipError_tPvRmT3_T4_T5_T6_T7_T9_mT8_P12ihipStream_tbDpT10_ENKUlT_T0_E_clISt17integral_constantIbLb0EES16_IbLb1EEEEDaS12_S13_EUlS12_E_NS1_11comp_targetILNS1_3genE2ELNS1_11target_archE906ELNS1_3gpuE6ELNS1_3repE0EEENS1_30default_config_static_selectorELNS0_4arch9wavefront6targetE1EEEvT1_
    .private_segment_fixed_size: 0
    .sgpr_count:     4
    .sgpr_spill_count: 0
    .symbol:         _ZN7rocprim17ROCPRIM_400000_NS6detail17trampoline_kernelINS0_14default_configENS1_25partition_config_selectorILNS1_17partition_subalgoE8EsNS0_10empty_typeEbEEZZNS1_14partition_implILS5_8ELb0ES3_jPKsPS6_PKS6_NS0_5tupleIJPsS6_EEENSE_IJSB_SB_EEENS0_18inequality_wrapperIN6hipcub16HIPCUB_304000_NS8EqualityEEEPlJS6_EEE10hipError_tPvRmT3_T4_T5_T6_T7_T9_mT8_P12ihipStream_tbDpT10_ENKUlT_T0_E_clISt17integral_constantIbLb0EES16_IbLb1EEEEDaS12_S13_EUlS12_E_NS1_11comp_targetILNS1_3genE2ELNS1_11target_archE906ELNS1_3gpuE6ELNS1_3repE0EEENS1_30default_config_static_selectorELNS0_4arch9wavefront6targetE1EEEvT1_.kd
    .uniform_work_group_size: 1
    .uses_dynamic_stack: false
    .vgpr_count:     0
    .vgpr_spill_count: 0
    .wavefront_size: 64
  - .agpr_count:     0
    .args:
      - .offset:         0
        .size:           128
        .value_kind:     by_value
    .group_segment_fixed_size: 0
    .kernarg_segment_align: 8
    .kernarg_segment_size: 128
    .language:       OpenCL C
    .language_version:
      - 2
      - 0
    .max_flat_workgroup_size: 256
    .name:           _ZN7rocprim17ROCPRIM_400000_NS6detail17trampoline_kernelINS0_14default_configENS1_25partition_config_selectorILNS1_17partition_subalgoE8EsNS0_10empty_typeEbEEZZNS1_14partition_implILS5_8ELb0ES3_jPKsPS6_PKS6_NS0_5tupleIJPsS6_EEENSE_IJSB_SB_EEENS0_18inequality_wrapperIN6hipcub16HIPCUB_304000_NS8EqualityEEEPlJS6_EEE10hipError_tPvRmT3_T4_T5_T6_T7_T9_mT8_P12ihipStream_tbDpT10_ENKUlT_T0_E_clISt17integral_constantIbLb0EES16_IbLb1EEEEDaS12_S13_EUlS12_E_NS1_11comp_targetILNS1_3genE10ELNS1_11target_archE1200ELNS1_3gpuE4ELNS1_3repE0EEENS1_30default_config_static_selectorELNS0_4arch9wavefront6targetE1EEEvT1_
    .private_segment_fixed_size: 0
    .sgpr_count:     4
    .sgpr_spill_count: 0
    .symbol:         _ZN7rocprim17ROCPRIM_400000_NS6detail17trampoline_kernelINS0_14default_configENS1_25partition_config_selectorILNS1_17partition_subalgoE8EsNS0_10empty_typeEbEEZZNS1_14partition_implILS5_8ELb0ES3_jPKsPS6_PKS6_NS0_5tupleIJPsS6_EEENSE_IJSB_SB_EEENS0_18inequality_wrapperIN6hipcub16HIPCUB_304000_NS8EqualityEEEPlJS6_EEE10hipError_tPvRmT3_T4_T5_T6_T7_T9_mT8_P12ihipStream_tbDpT10_ENKUlT_T0_E_clISt17integral_constantIbLb0EES16_IbLb1EEEEDaS12_S13_EUlS12_E_NS1_11comp_targetILNS1_3genE10ELNS1_11target_archE1200ELNS1_3gpuE4ELNS1_3repE0EEENS1_30default_config_static_selectorELNS0_4arch9wavefront6targetE1EEEvT1_.kd
    .uniform_work_group_size: 1
    .uses_dynamic_stack: false
    .vgpr_count:     0
    .vgpr_spill_count: 0
    .wavefront_size: 64
  - .agpr_count:     0
    .args:
      - .offset:         0
        .size:           128
        .value_kind:     by_value
    .group_segment_fixed_size: 0
    .kernarg_segment_align: 8
    .kernarg_segment_size: 128
    .language:       OpenCL C
    .language_version:
      - 2
      - 0
    .max_flat_workgroup_size: 128
    .name:           _ZN7rocprim17ROCPRIM_400000_NS6detail17trampoline_kernelINS0_14default_configENS1_25partition_config_selectorILNS1_17partition_subalgoE8EsNS0_10empty_typeEbEEZZNS1_14partition_implILS5_8ELb0ES3_jPKsPS6_PKS6_NS0_5tupleIJPsS6_EEENSE_IJSB_SB_EEENS0_18inequality_wrapperIN6hipcub16HIPCUB_304000_NS8EqualityEEEPlJS6_EEE10hipError_tPvRmT3_T4_T5_T6_T7_T9_mT8_P12ihipStream_tbDpT10_ENKUlT_T0_E_clISt17integral_constantIbLb0EES16_IbLb1EEEEDaS12_S13_EUlS12_E_NS1_11comp_targetILNS1_3genE9ELNS1_11target_archE1100ELNS1_3gpuE3ELNS1_3repE0EEENS1_30default_config_static_selectorELNS0_4arch9wavefront6targetE1EEEvT1_
    .private_segment_fixed_size: 0
    .sgpr_count:     4
    .sgpr_spill_count: 0
    .symbol:         _ZN7rocprim17ROCPRIM_400000_NS6detail17trampoline_kernelINS0_14default_configENS1_25partition_config_selectorILNS1_17partition_subalgoE8EsNS0_10empty_typeEbEEZZNS1_14partition_implILS5_8ELb0ES3_jPKsPS6_PKS6_NS0_5tupleIJPsS6_EEENSE_IJSB_SB_EEENS0_18inequality_wrapperIN6hipcub16HIPCUB_304000_NS8EqualityEEEPlJS6_EEE10hipError_tPvRmT3_T4_T5_T6_T7_T9_mT8_P12ihipStream_tbDpT10_ENKUlT_T0_E_clISt17integral_constantIbLb0EES16_IbLb1EEEEDaS12_S13_EUlS12_E_NS1_11comp_targetILNS1_3genE9ELNS1_11target_archE1100ELNS1_3gpuE3ELNS1_3repE0EEENS1_30default_config_static_selectorELNS0_4arch9wavefront6targetE1EEEvT1_.kd
    .uniform_work_group_size: 1
    .uses_dynamic_stack: false
    .vgpr_count:     0
    .vgpr_spill_count: 0
    .wavefront_size: 64
  - .agpr_count:     0
    .args:
      - .offset:         0
        .size:           128
        .value_kind:     by_value
    .group_segment_fixed_size: 0
    .kernarg_segment_align: 8
    .kernarg_segment_size: 128
    .language:       OpenCL C
    .language_version:
      - 2
      - 0
    .max_flat_workgroup_size: 384
    .name:           _ZN7rocprim17ROCPRIM_400000_NS6detail17trampoline_kernelINS0_14default_configENS1_25partition_config_selectorILNS1_17partition_subalgoE8EsNS0_10empty_typeEbEEZZNS1_14partition_implILS5_8ELb0ES3_jPKsPS6_PKS6_NS0_5tupleIJPsS6_EEENSE_IJSB_SB_EEENS0_18inequality_wrapperIN6hipcub16HIPCUB_304000_NS8EqualityEEEPlJS6_EEE10hipError_tPvRmT3_T4_T5_T6_T7_T9_mT8_P12ihipStream_tbDpT10_ENKUlT_T0_E_clISt17integral_constantIbLb0EES16_IbLb1EEEEDaS12_S13_EUlS12_E_NS1_11comp_targetILNS1_3genE8ELNS1_11target_archE1030ELNS1_3gpuE2ELNS1_3repE0EEENS1_30default_config_static_selectorELNS0_4arch9wavefront6targetE1EEEvT1_
    .private_segment_fixed_size: 0
    .sgpr_count:     4
    .sgpr_spill_count: 0
    .symbol:         _ZN7rocprim17ROCPRIM_400000_NS6detail17trampoline_kernelINS0_14default_configENS1_25partition_config_selectorILNS1_17partition_subalgoE8EsNS0_10empty_typeEbEEZZNS1_14partition_implILS5_8ELb0ES3_jPKsPS6_PKS6_NS0_5tupleIJPsS6_EEENSE_IJSB_SB_EEENS0_18inequality_wrapperIN6hipcub16HIPCUB_304000_NS8EqualityEEEPlJS6_EEE10hipError_tPvRmT3_T4_T5_T6_T7_T9_mT8_P12ihipStream_tbDpT10_ENKUlT_T0_E_clISt17integral_constantIbLb0EES16_IbLb1EEEEDaS12_S13_EUlS12_E_NS1_11comp_targetILNS1_3genE8ELNS1_11target_archE1030ELNS1_3gpuE2ELNS1_3repE0EEENS1_30default_config_static_selectorELNS0_4arch9wavefront6targetE1EEEvT1_.kd
    .uniform_work_group_size: 1
    .uses_dynamic_stack: false
    .vgpr_count:     0
    .vgpr_spill_count: 0
    .wavefront_size: 64
  - .agpr_count:     0
    .args:
      - .offset:         0
        .size:           128
        .value_kind:     by_value
    .group_segment_fixed_size: 0
    .kernarg_segment_align: 8
    .kernarg_segment_size: 128
    .language:       OpenCL C
    .language_version:
      - 2
      - 0
    .max_flat_workgroup_size: 512
    .name:           _ZN7rocprim17ROCPRIM_400000_NS6detail17trampoline_kernelINS0_14default_configENS1_33run_length_encode_config_selectorIsjNS0_4plusIjEEEEZZNS1_33reduce_by_key_impl_wrapped_configILNS1_25lookback_scan_determinismE0ES3_S7_PKsNS0_17constant_iteratorIjlEEPsPlSF_S6_NS0_8equal_toIsEEEE10hipError_tPvRmT2_T3_mT4_T5_T6_T7_T8_P12ihipStream_tbENKUlT_T0_E_clISt17integral_constantIbLb0EESZ_EEDaSU_SV_EUlSU_E_NS1_11comp_targetILNS1_3genE0ELNS1_11target_archE4294967295ELNS1_3gpuE0ELNS1_3repE0EEENS1_30default_config_static_selectorELNS0_4arch9wavefront6targetE1EEEvT1_
    .private_segment_fixed_size: 0
    .sgpr_count:     4
    .sgpr_spill_count: 0
    .symbol:         _ZN7rocprim17ROCPRIM_400000_NS6detail17trampoline_kernelINS0_14default_configENS1_33run_length_encode_config_selectorIsjNS0_4plusIjEEEEZZNS1_33reduce_by_key_impl_wrapped_configILNS1_25lookback_scan_determinismE0ES3_S7_PKsNS0_17constant_iteratorIjlEEPsPlSF_S6_NS0_8equal_toIsEEEE10hipError_tPvRmT2_T3_mT4_T5_T6_T7_T8_P12ihipStream_tbENKUlT_T0_E_clISt17integral_constantIbLb0EESZ_EEDaSU_SV_EUlSU_E_NS1_11comp_targetILNS1_3genE0ELNS1_11target_archE4294967295ELNS1_3gpuE0ELNS1_3repE0EEENS1_30default_config_static_selectorELNS0_4arch9wavefront6targetE1EEEvT1_.kd
    .uniform_work_group_size: 1
    .uses_dynamic_stack: false
    .vgpr_count:     0
    .vgpr_spill_count: 0
    .wavefront_size: 64
  - .agpr_count:     0
    .args:
      - .offset:         0
        .size:           128
        .value_kind:     by_value
    .group_segment_fixed_size: 0
    .kernarg_segment_align: 8
    .kernarg_segment_size: 128
    .language:       OpenCL C
    .language_version:
      - 2
      - 0
    .max_flat_workgroup_size: 512
    .name:           _ZN7rocprim17ROCPRIM_400000_NS6detail17trampoline_kernelINS0_14default_configENS1_33run_length_encode_config_selectorIsjNS0_4plusIjEEEEZZNS1_33reduce_by_key_impl_wrapped_configILNS1_25lookback_scan_determinismE0ES3_S7_PKsNS0_17constant_iteratorIjlEEPsPlSF_S6_NS0_8equal_toIsEEEE10hipError_tPvRmT2_T3_mT4_T5_T6_T7_T8_P12ihipStream_tbENKUlT_T0_E_clISt17integral_constantIbLb0EESZ_EEDaSU_SV_EUlSU_E_NS1_11comp_targetILNS1_3genE5ELNS1_11target_archE942ELNS1_3gpuE9ELNS1_3repE0EEENS1_30default_config_static_selectorELNS0_4arch9wavefront6targetE1EEEvT1_
    .private_segment_fixed_size: 0
    .sgpr_count:     4
    .sgpr_spill_count: 0
    .symbol:         _ZN7rocprim17ROCPRIM_400000_NS6detail17trampoline_kernelINS0_14default_configENS1_33run_length_encode_config_selectorIsjNS0_4plusIjEEEEZZNS1_33reduce_by_key_impl_wrapped_configILNS1_25lookback_scan_determinismE0ES3_S7_PKsNS0_17constant_iteratorIjlEEPsPlSF_S6_NS0_8equal_toIsEEEE10hipError_tPvRmT2_T3_mT4_T5_T6_T7_T8_P12ihipStream_tbENKUlT_T0_E_clISt17integral_constantIbLb0EESZ_EEDaSU_SV_EUlSU_E_NS1_11comp_targetILNS1_3genE5ELNS1_11target_archE942ELNS1_3gpuE9ELNS1_3repE0EEENS1_30default_config_static_selectorELNS0_4arch9wavefront6targetE1EEEvT1_.kd
    .uniform_work_group_size: 1
    .uses_dynamic_stack: false
    .vgpr_count:     0
    .vgpr_spill_count: 0
    .wavefront_size: 64
  - .agpr_count:     0
    .args:
      - .offset:         0
        .size:           128
        .value_kind:     by_value
    .group_segment_fixed_size: 10752
    .kernarg_segment_align: 8
    .kernarg_segment_size: 128
    .language:       OpenCL C
    .language_version:
      - 2
      - 0
    .max_flat_workgroup_size: 192
    .name:           _ZN7rocprim17ROCPRIM_400000_NS6detail17trampoline_kernelINS0_14default_configENS1_33run_length_encode_config_selectorIsjNS0_4plusIjEEEEZZNS1_33reduce_by_key_impl_wrapped_configILNS1_25lookback_scan_determinismE0ES3_S7_PKsNS0_17constant_iteratorIjlEEPsPlSF_S6_NS0_8equal_toIsEEEE10hipError_tPvRmT2_T3_mT4_T5_T6_T7_T8_P12ihipStream_tbENKUlT_T0_E_clISt17integral_constantIbLb0EESZ_EEDaSU_SV_EUlSU_E_NS1_11comp_targetILNS1_3genE4ELNS1_11target_archE910ELNS1_3gpuE8ELNS1_3repE0EEENS1_30default_config_static_selectorELNS0_4arch9wavefront6targetE1EEEvT1_
    .private_segment_fixed_size: 0
    .sgpr_count:     66
    .sgpr_spill_count: 0
    .symbol:         _ZN7rocprim17ROCPRIM_400000_NS6detail17trampoline_kernelINS0_14default_configENS1_33run_length_encode_config_selectorIsjNS0_4plusIjEEEEZZNS1_33reduce_by_key_impl_wrapped_configILNS1_25lookback_scan_determinismE0ES3_S7_PKsNS0_17constant_iteratorIjlEEPsPlSF_S6_NS0_8equal_toIsEEEE10hipError_tPvRmT2_T3_mT4_T5_T6_T7_T8_P12ihipStream_tbENKUlT_T0_E_clISt17integral_constantIbLb0EESZ_EEDaSU_SV_EUlSU_E_NS1_11comp_targetILNS1_3genE4ELNS1_11target_archE910ELNS1_3gpuE8ELNS1_3repE0EEENS1_30default_config_static_selectorELNS0_4arch9wavefront6targetE1EEEvT1_.kd
    .uniform_work_group_size: 1
    .uses_dynamic_stack: false
    .vgpr_count:     65
    .vgpr_spill_count: 0
    .wavefront_size: 64
  - .agpr_count:     0
    .args:
      - .offset:         0
        .size:           128
        .value_kind:     by_value
    .group_segment_fixed_size: 0
    .kernarg_segment_align: 8
    .kernarg_segment_size: 128
    .language:       OpenCL C
    .language_version:
      - 2
      - 0
    .max_flat_workgroup_size: 512
    .name:           _ZN7rocprim17ROCPRIM_400000_NS6detail17trampoline_kernelINS0_14default_configENS1_33run_length_encode_config_selectorIsjNS0_4plusIjEEEEZZNS1_33reduce_by_key_impl_wrapped_configILNS1_25lookback_scan_determinismE0ES3_S7_PKsNS0_17constant_iteratorIjlEEPsPlSF_S6_NS0_8equal_toIsEEEE10hipError_tPvRmT2_T3_mT4_T5_T6_T7_T8_P12ihipStream_tbENKUlT_T0_E_clISt17integral_constantIbLb0EESZ_EEDaSU_SV_EUlSU_E_NS1_11comp_targetILNS1_3genE3ELNS1_11target_archE908ELNS1_3gpuE7ELNS1_3repE0EEENS1_30default_config_static_selectorELNS0_4arch9wavefront6targetE1EEEvT1_
    .private_segment_fixed_size: 0
    .sgpr_count:     4
    .sgpr_spill_count: 0
    .symbol:         _ZN7rocprim17ROCPRIM_400000_NS6detail17trampoline_kernelINS0_14default_configENS1_33run_length_encode_config_selectorIsjNS0_4plusIjEEEEZZNS1_33reduce_by_key_impl_wrapped_configILNS1_25lookback_scan_determinismE0ES3_S7_PKsNS0_17constant_iteratorIjlEEPsPlSF_S6_NS0_8equal_toIsEEEE10hipError_tPvRmT2_T3_mT4_T5_T6_T7_T8_P12ihipStream_tbENKUlT_T0_E_clISt17integral_constantIbLb0EESZ_EEDaSU_SV_EUlSU_E_NS1_11comp_targetILNS1_3genE3ELNS1_11target_archE908ELNS1_3gpuE7ELNS1_3repE0EEENS1_30default_config_static_selectorELNS0_4arch9wavefront6targetE1EEEvT1_.kd
    .uniform_work_group_size: 1
    .uses_dynamic_stack: false
    .vgpr_count:     0
    .vgpr_spill_count: 0
    .wavefront_size: 64
  - .agpr_count:     0
    .args:
      - .offset:         0
        .size:           128
        .value_kind:     by_value
    .group_segment_fixed_size: 0
    .kernarg_segment_align: 8
    .kernarg_segment_size: 128
    .language:       OpenCL C
    .language_version:
      - 2
      - 0
    .max_flat_workgroup_size: 256
    .name:           _ZN7rocprim17ROCPRIM_400000_NS6detail17trampoline_kernelINS0_14default_configENS1_33run_length_encode_config_selectorIsjNS0_4plusIjEEEEZZNS1_33reduce_by_key_impl_wrapped_configILNS1_25lookback_scan_determinismE0ES3_S7_PKsNS0_17constant_iteratorIjlEEPsPlSF_S6_NS0_8equal_toIsEEEE10hipError_tPvRmT2_T3_mT4_T5_T6_T7_T8_P12ihipStream_tbENKUlT_T0_E_clISt17integral_constantIbLb0EESZ_EEDaSU_SV_EUlSU_E_NS1_11comp_targetILNS1_3genE2ELNS1_11target_archE906ELNS1_3gpuE6ELNS1_3repE0EEENS1_30default_config_static_selectorELNS0_4arch9wavefront6targetE1EEEvT1_
    .private_segment_fixed_size: 0
    .sgpr_count:     4
    .sgpr_spill_count: 0
    .symbol:         _ZN7rocprim17ROCPRIM_400000_NS6detail17trampoline_kernelINS0_14default_configENS1_33run_length_encode_config_selectorIsjNS0_4plusIjEEEEZZNS1_33reduce_by_key_impl_wrapped_configILNS1_25lookback_scan_determinismE0ES3_S7_PKsNS0_17constant_iteratorIjlEEPsPlSF_S6_NS0_8equal_toIsEEEE10hipError_tPvRmT2_T3_mT4_T5_T6_T7_T8_P12ihipStream_tbENKUlT_T0_E_clISt17integral_constantIbLb0EESZ_EEDaSU_SV_EUlSU_E_NS1_11comp_targetILNS1_3genE2ELNS1_11target_archE906ELNS1_3gpuE6ELNS1_3repE0EEENS1_30default_config_static_selectorELNS0_4arch9wavefront6targetE1EEEvT1_.kd
    .uniform_work_group_size: 1
    .uses_dynamic_stack: false
    .vgpr_count:     0
    .vgpr_spill_count: 0
    .wavefront_size: 64
  - .agpr_count:     0
    .args:
      - .offset:         0
        .size:           128
        .value_kind:     by_value
    .group_segment_fixed_size: 0
    .kernarg_segment_align: 8
    .kernarg_segment_size: 128
    .language:       OpenCL C
    .language_version:
      - 2
      - 0
    .max_flat_workgroup_size: 512
    .name:           _ZN7rocprim17ROCPRIM_400000_NS6detail17trampoline_kernelINS0_14default_configENS1_33run_length_encode_config_selectorIsjNS0_4plusIjEEEEZZNS1_33reduce_by_key_impl_wrapped_configILNS1_25lookback_scan_determinismE0ES3_S7_PKsNS0_17constant_iteratorIjlEEPsPlSF_S6_NS0_8equal_toIsEEEE10hipError_tPvRmT2_T3_mT4_T5_T6_T7_T8_P12ihipStream_tbENKUlT_T0_E_clISt17integral_constantIbLb0EESZ_EEDaSU_SV_EUlSU_E_NS1_11comp_targetILNS1_3genE10ELNS1_11target_archE1201ELNS1_3gpuE5ELNS1_3repE0EEENS1_30default_config_static_selectorELNS0_4arch9wavefront6targetE1EEEvT1_
    .private_segment_fixed_size: 0
    .sgpr_count:     4
    .sgpr_spill_count: 0
    .symbol:         _ZN7rocprim17ROCPRIM_400000_NS6detail17trampoline_kernelINS0_14default_configENS1_33run_length_encode_config_selectorIsjNS0_4plusIjEEEEZZNS1_33reduce_by_key_impl_wrapped_configILNS1_25lookback_scan_determinismE0ES3_S7_PKsNS0_17constant_iteratorIjlEEPsPlSF_S6_NS0_8equal_toIsEEEE10hipError_tPvRmT2_T3_mT4_T5_T6_T7_T8_P12ihipStream_tbENKUlT_T0_E_clISt17integral_constantIbLb0EESZ_EEDaSU_SV_EUlSU_E_NS1_11comp_targetILNS1_3genE10ELNS1_11target_archE1201ELNS1_3gpuE5ELNS1_3repE0EEENS1_30default_config_static_selectorELNS0_4arch9wavefront6targetE1EEEvT1_.kd
    .uniform_work_group_size: 1
    .uses_dynamic_stack: false
    .vgpr_count:     0
    .vgpr_spill_count: 0
    .wavefront_size: 64
  - .agpr_count:     0
    .args:
      - .offset:         0
        .size:           128
        .value_kind:     by_value
    .group_segment_fixed_size: 0
    .kernarg_segment_align: 8
    .kernarg_segment_size: 128
    .language:       OpenCL C
    .language_version:
      - 2
      - 0
    .max_flat_workgroup_size: 384
    .name:           _ZN7rocprim17ROCPRIM_400000_NS6detail17trampoline_kernelINS0_14default_configENS1_33run_length_encode_config_selectorIsjNS0_4plusIjEEEEZZNS1_33reduce_by_key_impl_wrapped_configILNS1_25lookback_scan_determinismE0ES3_S7_PKsNS0_17constant_iteratorIjlEEPsPlSF_S6_NS0_8equal_toIsEEEE10hipError_tPvRmT2_T3_mT4_T5_T6_T7_T8_P12ihipStream_tbENKUlT_T0_E_clISt17integral_constantIbLb0EESZ_EEDaSU_SV_EUlSU_E_NS1_11comp_targetILNS1_3genE10ELNS1_11target_archE1200ELNS1_3gpuE4ELNS1_3repE0EEENS1_30default_config_static_selectorELNS0_4arch9wavefront6targetE1EEEvT1_
    .private_segment_fixed_size: 0
    .sgpr_count:     4
    .sgpr_spill_count: 0
    .symbol:         _ZN7rocprim17ROCPRIM_400000_NS6detail17trampoline_kernelINS0_14default_configENS1_33run_length_encode_config_selectorIsjNS0_4plusIjEEEEZZNS1_33reduce_by_key_impl_wrapped_configILNS1_25lookback_scan_determinismE0ES3_S7_PKsNS0_17constant_iteratorIjlEEPsPlSF_S6_NS0_8equal_toIsEEEE10hipError_tPvRmT2_T3_mT4_T5_T6_T7_T8_P12ihipStream_tbENKUlT_T0_E_clISt17integral_constantIbLb0EESZ_EEDaSU_SV_EUlSU_E_NS1_11comp_targetILNS1_3genE10ELNS1_11target_archE1200ELNS1_3gpuE4ELNS1_3repE0EEENS1_30default_config_static_selectorELNS0_4arch9wavefront6targetE1EEEvT1_.kd
    .uniform_work_group_size: 1
    .uses_dynamic_stack: false
    .vgpr_count:     0
    .vgpr_spill_count: 0
    .wavefront_size: 64
  - .agpr_count:     0
    .args:
      - .offset:         0
        .size:           128
        .value_kind:     by_value
    .group_segment_fixed_size: 0
    .kernarg_segment_align: 8
    .kernarg_segment_size: 128
    .language:       OpenCL C
    .language_version:
      - 2
      - 0
    .max_flat_workgroup_size: 512
    .name:           _ZN7rocprim17ROCPRIM_400000_NS6detail17trampoline_kernelINS0_14default_configENS1_33run_length_encode_config_selectorIsjNS0_4plusIjEEEEZZNS1_33reduce_by_key_impl_wrapped_configILNS1_25lookback_scan_determinismE0ES3_S7_PKsNS0_17constant_iteratorIjlEEPsPlSF_S6_NS0_8equal_toIsEEEE10hipError_tPvRmT2_T3_mT4_T5_T6_T7_T8_P12ihipStream_tbENKUlT_T0_E_clISt17integral_constantIbLb0EESZ_EEDaSU_SV_EUlSU_E_NS1_11comp_targetILNS1_3genE9ELNS1_11target_archE1100ELNS1_3gpuE3ELNS1_3repE0EEENS1_30default_config_static_selectorELNS0_4arch9wavefront6targetE1EEEvT1_
    .private_segment_fixed_size: 0
    .sgpr_count:     4
    .sgpr_spill_count: 0
    .symbol:         _ZN7rocprim17ROCPRIM_400000_NS6detail17trampoline_kernelINS0_14default_configENS1_33run_length_encode_config_selectorIsjNS0_4plusIjEEEEZZNS1_33reduce_by_key_impl_wrapped_configILNS1_25lookback_scan_determinismE0ES3_S7_PKsNS0_17constant_iteratorIjlEEPsPlSF_S6_NS0_8equal_toIsEEEE10hipError_tPvRmT2_T3_mT4_T5_T6_T7_T8_P12ihipStream_tbENKUlT_T0_E_clISt17integral_constantIbLb0EESZ_EEDaSU_SV_EUlSU_E_NS1_11comp_targetILNS1_3genE9ELNS1_11target_archE1100ELNS1_3gpuE3ELNS1_3repE0EEENS1_30default_config_static_selectorELNS0_4arch9wavefront6targetE1EEEvT1_.kd
    .uniform_work_group_size: 1
    .uses_dynamic_stack: false
    .vgpr_count:     0
    .vgpr_spill_count: 0
    .wavefront_size: 64
  - .agpr_count:     0
    .args:
      - .offset:         0
        .size:           128
        .value_kind:     by_value
    .group_segment_fixed_size: 0
    .kernarg_segment_align: 8
    .kernarg_segment_size: 128
    .language:       OpenCL C
    .language_version:
      - 2
      - 0
    .max_flat_workgroup_size: 384
    .name:           _ZN7rocprim17ROCPRIM_400000_NS6detail17trampoline_kernelINS0_14default_configENS1_33run_length_encode_config_selectorIsjNS0_4plusIjEEEEZZNS1_33reduce_by_key_impl_wrapped_configILNS1_25lookback_scan_determinismE0ES3_S7_PKsNS0_17constant_iteratorIjlEEPsPlSF_S6_NS0_8equal_toIsEEEE10hipError_tPvRmT2_T3_mT4_T5_T6_T7_T8_P12ihipStream_tbENKUlT_T0_E_clISt17integral_constantIbLb0EESZ_EEDaSU_SV_EUlSU_E_NS1_11comp_targetILNS1_3genE8ELNS1_11target_archE1030ELNS1_3gpuE2ELNS1_3repE0EEENS1_30default_config_static_selectorELNS0_4arch9wavefront6targetE1EEEvT1_
    .private_segment_fixed_size: 0
    .sgpr_count:     4
    .sgpr_spill_count: 0
    .symbol:         _ZN7rocprim17ROCPRIM_400000_NS6detail17trampoline_kernelINS0_14default_configENS1_33run_length_encode_config_selectorIsjNS0_4plusIjEEEEZZNS1_33reduce_by_key_impl_wrapped_configILNS1_25lookback_scan_determinismE0ES3_S7_PKsNS0_17constant_iteratorIjlEEPsPlSF_S6_NS0_8equal_toIsEEEE10hipError_tPvRmT2_T3_mT4_T5_T6_T7_T8_P12ihipStream_tbENKUlT_T0_E_clISt17integral_constantIbLb0EESZ_EEDaSU_SV_EUlSU_E_NS1_11comp_targetILNS1_3genE8ELNS1_11target_archE1030ELNS1_3gpuE2ELNS1_3repE0EEENS1_30default_config_static_selectorELNS0_4arch9wavefront6targetE1EEEvT1_.kd
    .uniform_work_group_size: 1
    .uses_dynamic_stack: false
    .vgpr_count:     0
    .vgpr_spill_count: 0
    .wavefront_size: 64
  - .agpr_count:     0
    .args:
      - .offset:         0
        .size:           128
        .value_kind:     by_value
    .group_segment_fixed_size: 0
    .kernarg_segment_align: 8
    .kernarg_segment_size: 128
    .language:       OpenCL C
    .language_version:
      - 2
      - 0
    .max_flat_workgroup_size: 512
    .name:           _ZN7rocprim17ROCPRIM_400000_NS6detail17trampoline_kernelINS0_14default_configENS1_33run_length_encode_config_selectorIsjNS0_4plusIjEEEEZZNS1_33reduce_by_key_impl_wrapped_configILNS1_25lookback_scan_determinismE0ES3_S7_PKsNS0_17constant_iteratorIjlEEPsPlSF_S6_NS0_8equal_toIsEEEE10hipError_tPvRmT2_T3_mT4_T5_T6_T7_T8_P12ihipStream_tbENKUlT_T0_E_clISt17integral_constantIbLb1EESZ_EEDaSU_SV_EUlSU_E_NS1_11comp_targetILNS1_3genE0ELNS1_11target_archE4294967295ELNS1_3gpuE0ELNS1_3repE0EEENS1_30default_config_static_selectorELNS0_4arch9wavefront6targetE1EEEvT1_
    .private_segment_fixed_size: 0
    .sgpr_count:     4
    .sgpr_spill_count: 0
    .symbol:         _ZN7rocprim17ROCPRIM_400000_NS6detail17trampoline_kernelINS0_14default_configENS1_33run_length_encode_config_selectorIsjNS0_4plusIjEEEEZZNS1_33reduce_by_key_impl_wrapped_configILNS1_25lookback_scan_determinismE0ES3_S7_PKsNS0_17constant_iteratorIjlEEPsPlSF_S6_NS0_8equal_toIsEEEE10hipError_tPvRmT2_T3_mT4_T5_T6_T7_T8_P12ihipStream_tbENKUlT_T0_E_clISt17integral_constantIbLb1EESZ_EEDaSU_SV_EUlSU_E_NS1_11comp_targetILNS1_3genE0ELNS1_11target_archE4294967295ELNS1_3gpuE0ELNS1_3repE0EEENS1_30default_config_static_selectorELNS0_4arch9wavefront6targetE1EEEvT1_.kd
    .uniform_work_group_size: 1
    .uses_dynamic_stack: false
    .vgpr_count:     0
    .vgpr_spill_count: 0
    .wavefront_size: 64
  - .agpr_count:     0
    .args:
      - .offset:         0
        .size:           128
        .value_kind:     by_value
    .group_segment_fixed_size: 0
    .kernarg_segment_align: 8
    .kernarg_segment_size: 128
    .language:       OpenCL C
    .language_version:
      - 2
      - 0
    .max_flat_workgroup_size: 512
    .name:           _ZN7rocprim17ROCPRIM_400000_NS6detail17trampoline_kernelINS0_14default_configENS1_33run_length_encode_config_selectorIsjNS0_4plusIjEEEEZZNS1_33reduce_by_key_impl_wrapped_configILNS1_25lookback_scan_determinismE0ES3_S7_PKsNS0_17constant_iteratorIjlEEPsPlSF_S6_NS0_8equal_toIsEEEE10hipError_tPvRmT2_T3_mT4_T5_T6_T7_T8_P12ihipStream_tbENKUlT_T0_E_clISt17integral_constantIbLb1EESZ_EEDaSU_SV_EUlSU_E_NS1_11comp_targetILNS1_3genE5ELNS1_11target_archE942ELNS1_3gpuE9ELNS1_3repE0EEENS1_30default_config_static_selectorELNS0_4arch9wavefront6targetE1EEEvT1_
    .private_segment_fixed_size: 0
    .sgpr_count:     4
    .sgpr_spill_count: 0
    .symbol:         _ZN7rocprim17ROCPRIM_400000_NS6detail17trampoline_kernelINS0_14default_configENS1_33run_length_encode_config_selectorIsjNS0_4plusIjEEEEZZNS1_33reduce_by_key_impl_wrapped_configILNS1_25lookback_scan_determinismE0ES3_S7_PKsNS0_17constant_iteratorIjlEEPsPlSF_S6_NS0_8equal_toIsEEEE10hipError_tPvRmT2_T3_mT4_T5_T6_T7_T8_P12ihipStream_tbENKUlT_T0_E_clISt17integral_constantIbLb1EESZ_EEDaSU_SV_EUlSU_E_NS1_11comp_targetILNS1_3genE5ELNS1_11target_archE942ELNS1_3gpuE9ELNS1_3repE0EEENS1_30default_config_static_selectorELNS0_4arch9wavefront6targetE1EEEvT1_.kd
    .uniform_work_group_size: 1
    .uses_dynamic_stack: false
    .vgpr_count:     0
    .vgpr_spill_count: 0
    .wavefront_size: 64
  - .agpr_count:     0
    .args:
      - .offset:         0
        .size:           128
        .value_kind:     by_value
    .group_segment_fixed_size: 10752
    .kernarg_segment_align: 8
    .kernarg_segment_size: 128
    .language:       OpenCL C
    .language_version:
      - 2
      - 0
    .max_flat_workgroup_size: 192
    .name:           _ZN7rocprim17ROCPRIM_400000_NS6detail17trampoline_kernelINS0_14default_configENS1_33run_length_encode_config_selectorIsjNS0_4plusIjEEEEZZNS1_33reduce_by_key_impl_wrapped_configILNS1_25lookback_scan_determinismE0ES3_S7_PKsNS0_17constant_iteratorIjlEEPsPlSF_S6_NS0_8equal_toIsEEEE10hipError_tPvRmT2_T3_mT4_T5_T6_T7_T8_P12ihipStream_tbENKUlT_T0_E_clISt17integral_constantIbLb1EESZ_EEDaSU_SV_EUlSU_E_NS1_11comp_targetILNS1_3genE4ELNS1_11target_archE910ELNS1_3gpuE8ELNS1_3repE0EEENS1_30default_config_static_selectorELNS0_4arch9wavefront6targetE1EEEvT1_
    .private_segment_fixed_size: 0
    .sgpr_count:     68
    .sgpr_spill_count: 0
    .symbol:         _ZN7rocprim17ROCPRIM_400000_NS6detail17trampoline_kernelINS0_14default_configENS1_33run_length_encode_config_selectorIsjNS0_4plusIjEEEEZZNS1_33reduce_by_key_impl_wrapped_configILNS1_25lookback_scan_determinismE0ES3_S7_PKsNS0_17constant_iteratorIjlEEPsPlSF_S6_NS0_8equal_toIsEEEE10hipError_tPvRmT2_T3_mT4_T5_T6_T7_T8_P12ihipStream_tbENKUlT_T0_E_clISt17integral_constantIbLb1EESZ_EEDaSU_SV_EUlSU_E_NS1_11comp_targetILNS1_3genE4ELNS1_11target_archE910ELNS1_3gpuE8ELNS1_3repE0EEENS1_30default_config_static_selectorELNS0_4arch9wavefront6targetE1EEEvT1_.kd
    .uniform_work_group_size: 1
    .uses_dynamic_stack: false
    .vgpr_count:     65
    .vgpr_spill_count: 0
    .wavefront_size: 64
  - .agpr_count:     0
    .args:
      - .offset:         0
        .size:           128
        .value_kind:     by_value
    .group_segment_fixed_size: 0
    .kernarg_segment_align: 8
    .kernarg_segment_size: 128
    .language:       OpenCL C
    .language_version:
      - 2
      - 0
    .max_flat_workgroup_size: 512
    .name:           _ZN7rocprim17ROCPRIM_400000_NS6detail17trampoline_kernelINS0_14default_configENS1_33run_length_encode_config_selectorIsjNS0_4plusIjEEEEZZNS1_33reduce_by_key_impl_wrapped_configILNS1_25lookback_scan_determinismE0ES3_S7_PKsNS0_17constant_iteratorIjlEEPsPlSF_S6_NS0_8equal_toIsEEEE10hipError_tPvRmT2_T3_mT4_T5_T6_T7_T8_P12ihipStream_tbENKUlT_T0_E_clISt17integral_constantIbLb1EESZ_EEDaSU_SV_EUlSU_E_NS1_11comp_targetILNS1_3genE3ELNS1_11target_archE908ELNS1_3gpuE7ELNS1_3repE0EEENS1_30default_config_static_selectorELNS0_4arch9wavefront6targetE1EEEvT1_
    .private_segment_fixed_size: 0
    .sgpr_count:     4
    .sgpr_spill_count: 0
    .symbol:         _ZN7rocprim17ROCPRIM_400000_NS6detail17trampoline_kernelINS0_14default_configENS1_33run_length_encode_config_selectorIsjNS0_4plusIjEEEEZZNS1_33reduce_by_key_impl_wrapped_configILNS1_25lookback_scan_determinismE0ES3_S7_PKsNS0_17constant_iteratorIjlEEPsPlSF_S6_NS0_8equal_toIsEEEE10hipError_tPvRmT2_T3_mT4_T5_T6_T7_T8_P12ihipStream_tbENKUlT_T0_E_clISt17integral_constantIbLb1EESZ_EEDaSU_SV_EUlSU_E_NS1_11comp_targetILNS1_3genE3ELNS1_11target_archE908ELNS1_3gpuE7ELNS1_3repE0EEENS1_30default_config_static_selectorELNS0_4arch9wavefront6targetE1EEEvT1_.kd
    .uniform_work_group_size: 1
    .uses_dynamic_stack: false
    .vgpr_count:     0
    .vgpr_spill_count: 0
    .wavefront_size: 64
  - .agpr_count:     0
    .args:
      - .offset:         0
        .size:           128
        .value_kind:     by_value
    .group_segment_fixed_size: 0
    .kernarg_segment_align: 8
    .kernarg_segment_size: 128
    .language:       OpenCL C
    .language_version:
      - 2
      - 0
    .max_flat_workgroup_size: 256
    .name:           _ZN7rocprim17ROCPRIM_400000_NS6detail17trampoline_kernelINS0_14default_configENS1_33run_length_encode_config_selectorIsjNS0_4plusIjEEEEZZNS1_33reduce_by_key_impl_wrapped_configILNS1_25lookback_scan_determinismE0ES3_S7_PKsNS0_17constant_iteratorIjlEEPsPlSF_S6_NS0_8equal_toIsEEEE10hipError_tPvRmT2_T3_mT4_T5_T6_T7_T8_P12ihipStream_tbENKUlT_T0_E_clISt17integral_constantIbLb1EESZ_EEDaSU_SV_EUlSU_E_NS1_11comp_targetILNS1_3genE2ELNS1_11target_archE906ELNS1_3gpuE6ELNS1_3repE0EEENS1_30default_config_static_selectorELNS0_4arch9wavefront6targetE1EEEvT1_
    .private_segment_fixed_size: 0
    .sgpr_count:     4
    .sgpr_spill_count: 0
    .symbol:         _ZN7rocprim17ROCPRIM_400000_NS6detail17trampoline_kernelINS0_14default_configENS1_33run_length_encode_config_selectorIsjNS0_4plusIjEEEEZZNS1_33reduce_by_key_impl_wrapped_configILNS1_25lookback_scan_determinismE0ES3_S7_PKsNS0_17constant_iteratorIjlEEPsPlSF_S6_NS0_8equal_toIsEEEE10hipError_tPvRmT2_T3_mT4_T5_T6_T7_T8_P12ihipStream_tbENKUlT_T0_E_clISt17integral_constantIbLb1EESZ_EEDaSU_SV_EUlSU_E_NS1_11comp_targetILNS1_3genE2ELNS1_11target_archE906ELNS1_3gpuE6ELNS1_3repE0EEENS1_30default_config_static_selectorELNS0_4arch9wavefront6targetE1EEEvT1_.kd
    .uniform_work_group_size: 1
    .uses_dynamic_stack: false
    .vgpr_count:     0
    .vgpr_spill_count: 0
    .wavefront_size: 64
  - .agpr_count:     0
    .args:
      - .offset:         0
        .size:           128
        .value_kind:     by_value
    .group_segment_fixed_size: 0
    .kernarg_segment_align: 8
    .kernarg_segment_size: 128
    .language:       OpenCL C
    .language_version:
      - 2
      - 0
    .max_flat_workgroup_size: 512
    .name:           _ZN7rocprim17ROCPRIM_400000_NS6detail17trampoline_kernelINS0_14default_configENS1_33run_length_encode_config_selectorIsjNS0_4plusIjEEEEZZNS1_33reduce_by_key_impl_wrapped_configILNS1_25lookback_scan_determinismE0ES3_S7_PKsNS0_17constant_iteratorIjlEEPsPlSF_S6_NS0_8equal_toIsEEEE10hipError_tPvRmT2_T3_mT4_T5_T6_T7_T8_P12ihipStream_tbENKUlT_T0_E_clISt17integral_constantIbLb1EESZ_EEDaSU_SV_EUlSU_E_NS1_11comp_targetILNS1_3genE10ELNS1_11target_archE1201ELNS1_3gpuE5ELNS1_3repE0EEENS1_30default_config_static_selectorELNS0_4arch9wavefront6targetE1EEEvT1_
    .private_segment_fixed_size: 0
    .sgpr_count:     4
    .sgpr_spill_count: 0
    .symbol:         _ZN7rocprim17ROCPRIM_400000_NS6detail17trampoline_kernelINS0_14default_configENS1_33run_length_encode_config_selectorIsjNS0_4plusIjEEEEZZNS1_33reduce_by_key_impl_wrapped_configILNS1_25lookback_scan_determinismE0ES3_S7_PKsNS0_17constant_iteratorIjlEEPsPlSF_S6_NS0_8equal_toIsEEEE10hipError_tPvRmT2_T3_mT4_T5_T6_T7_T8_P12ihipStream_tbENKUlT_T0_E_clISt17integral_constantIbLb1EESZ_EEDaSU_SV_EUlSU_E_NS1_11comp_targetILNS1_3genE10ELNS1_11target_archE1201ELNS1_3gpuE5ELNS1_3repE0EEENS1_30default_config_static_selectorELNS0_4arch9wavefront6targetE1EEEvT1_.kd
    .uniform_work_group_size: 1
    .uses_dynamic_stack: false
    .vgpr_count:     0
    .vgpr_spill_count: 0
    .wavefront_size: 64
  - .agpr_count:     0
    .args:
      - .offset:         0
        .size:           128
        .value_kind:     by_value
    .group_segment_fixed_size: 0
    .kernarg_segment_align: 8
    .kernarg_segment_size: 128
    .language:       OpenCL C
    .language_version:
      - 2
      - 0
    .max_flat_workgroup_size: 384
    .name:           _ZN7rocprim17ROCPRIM_400000_NS6detail17trampoline_kernelINS0_14default_configENS1_33run_length_encode_config_selectorIsjNS0_4plusIjEEEEZZNS1_33reduce_by_key_impl_wrapped_configILNS1_25lookback_scan_determinismE0ES3_S7_PKsNS0_17constant_iteratorIjlEEPsPlSF_S6_NS0_8equal_toIsEEEE10hipError_tPvRmT2_T3_mT4_T5_T6_T7_T8_P12ihipStream_tbENKUlT_T0_E_clISt17integral_constantIbLb1EESZ_EEDaSU_SV_EUlSU_E_NS1_11comp_targetILNS1_3genE10ELNS1_11target_archE1200ELNS1_3gpuE4ELNS1_3repE0EEENS1_30default_config_static_selectorELNS0_4arch9wavefront6targetE1EEEvT1_
    .private_segment_fixed_size: 0
    .sgpr_count:     4
    .sgpr_spill_count: 0
    .symbol:         _ZN7rocprim17ROCPRIM_400000_NS6detail17trampoline_kernelINS0_14default_configENS1_33run_length_encode_config_selectorIsjNS0_4plusIjEEEEZZNS1_33reduce_by_key_impl_wrapped_configILNS1_25lookback_scan_determinismE0ES3_S7_PKsNS0_17constant_iteratorIjlEEPsPlSF_S6_NS0_8equal_toIsEEEE10hipError_tPvRmT2_T3_mT4_T5_T6_T7_T8_P12ihipStream_tbENKUlT_T0_E_clISt17integral_constantIbLb1EESZ_EEDaSU_SV_EUlSU_E_NS1_11comp_targetILNS1_3genE10ELNS1_11target_archE1200ELNS1_3gpuE4ELNS1_3repE0EEENS1_30default_config_static_selectorELNS0_4arch9wavefront6targetE1EEEvT1_.kd
    .uniform_work_group_size: 1
    .uses_dynamic_stack: false
    .vgpr_count:     0
    .vgpr_spill_count: 0
    .wavefront_size: 64
  - .agpr_count:     0
    .args:
      - .offset:         0
        .size:           128
        .value_kind:     by_value
    .group_segment_fixed_size: 0
    .kernarg_segment_align: 8
    .kernarg_segment_size: 128
    .language:       OpenCL C
    .language_version:
      - 2
      - 0
    .max_flat_workgroup_size: 512
    .name:           _ZN7rocprim17ROCPRIM_400000_NS6detail17trampoline_kernelINS0_14default_configENS1_33run_length_encode_config_selectorIsjNS0_4plusIjEEEEZZNS1_33reduce_by_key_impl_wrapped_configILNS1_25lookback_scan_determinismE0ES3_S7_PKsNS0_17constant_iteratorIjlEEPsPlSF_S6_NS0_8equal_toIsEEEE10hipError_tPvRmT2_T3_mT4_T5_T6_T7_T8_P12ihipStream_tbENKUlT_T0_E_clISt17integral_constantIbLb1EESZ_EEDaSU_SV_EUlSU_E_NS1_11comp_targetILNS1_3genE9ELNS1_11target_archE1100ELNS1_3gpuE3ELNS1_3repE0EEENS1_30default_config_static_selectorELNS0_4arch9wavefront6targetE1EEEvT1_
    .private_segment_fixed_size: 0
    .sgpr_count:     4
    .sgpr_spill_count: 0
    .symbol:         _ZN7rocprim17ROCPRIM_400000_NS6detail17trampoline_kernelINS0_14default_configENS1_33run_length_encode_config_selectorIsjNS0_4plusIjEEEEZZNS1_33reduce_by_key_impl_wrapped_configILNS1_25lookback_scan_determinismE0ES3_S7_PKsNS0_17constant_iteratorIjlEEPsPlSF_S6_NS0_8equal_toIsEEEE10hipError_tPvRmT2_T3_mT4_T5_T6_T7_T8_P12ihipStream_tbENKUlT_T0_E_clISt17integral_constantIbLb1EESZ_EEDaSU_SV_EUlSU_E_NS1_11comp_targetILNS1_3genE9ELNS1_11target_archE1100ELNS1_3gpuE3ELNS1_3repE0EEENS1_30default_config_static_selectorELNS0_4arch9wavefront6targetE1EEEvT1_.kd
    .uniform_work_group_size: 1
    .uses_dynamic_stack: false
    .vgpr_count:     0
    .vgpr_spill_count: 0
    .wavefront_size: 64
  - .agpr_count:     0
    .args:
      - .offset:         0
        .size:           128
        .value_kind:     by_value
    .group_segment_fixed_size: 0
    .kernarg_segment_align: 8
    .kernarg_segment_size: 128
    .language:       OpenCL C
    .language_version:
      - 2
      - 0
    .max_flat_workgroup_size: 384
    .name:           _ZN7rocprim17ROCPRIM_400000_NS6detail17trampoline_kernelINS0_14default_configENS1_33run_length_encode_config_selectorIsjNS0_4plusIjEEEEZZNS1_33reduce_by_key_impl_wrapped_configILNS1_25lookback_scan_determinismE0ES3_S7_PKsNS0_17constant_iteratorIjlEEPsPlSF_S6_NS0_8equal_toIsEEEE10hipError_tPvRmT2_T3_mT4_T5_T6_T7_T8_P12ihipStream_tbENKUlT_T0_E_clISt17integral_constantIbLb1EESZ_EEDaSU_SV_EUlSU_E_NS1_11comp_targetILNS1_3genE8ELNS1_11target_archE1030ELNS1_3gpuE2ELNS1_3repE0EEENS1_30default_config_static_selectorELNS0_4arch9wavefront6targetE1EEEvT1_
    .private_segment_fixed_size: 0
    .sgpr_count:     4
    .sgpr_spill_count: 0
    .symbol:         _ZN7rocprim17ROCPRIM_400000_NS6detail17trampoline_kernelINS0_14default_configENS1_33run_length_encode_config_selectorIsjNS0_4plusIjEEEEZZNS1_33reduce_by_key_impl_wrapped_configILNS1_25lookback_scan_determinismE0ES3_S7_PKsNS0_17constant_iteratorIjlEEPsPlSF_S6_NS0_8equal_toIsEEEE10hipError_tPvRmT2_T3_mT4_T5_T6_T7_T8_P12ihipStream_tbENKUlT_T0_E_clISt17integral_constantIbLb1EESZ_EEDaSU_SV_EUlSU_E_NS1_11comp_targetILNS1_3genE8ELNS1_11target_archE1030ELNS1_3gpuE2ELNS1_3repE0EEENS1_30default_config_static_selectorELNS0_4arch9wavefront6targetE1EEEvT1_.kd
    .uniform_work_group_size: 1
    .uses_dynamic_stack: false
    .vgpr_count:     0
    .vgpr_spill_count: 0
    .wavefront_size: 64
  - .agpr_count:     0
    .args:
      - .offset:         0
        .size:           128
        .value_kind:     by_value
    .group_segment_fixed_size: 0
    .kernarg_segment_align: 8
    .kernarg_segment_size: 128
    .language:       OpenCL C
    .language_version:
      - 2
      - 0
    .max_flat_workgroup_size: 512
    .name:           _ZN7rocprim17ROCPRIM_400000_NS6detail17trampoline_kernelINS0_14default_configENS1_33run_length_encode_config_selectorIsjNS0_4plusIjEEEEZZNS1_33reduce_by_key_impl_wrapped_configILNS1_25lookback_scan_determinismE0ES3_S7_PKsNS0_17constant_iteratorIjlEEPsPlSF_S6_NS0_8equal_toIsEEEE10hipError_tPvRmT2_T3_mT4_T5_T6_T7_T8_P12ihipStream_tbENKUlT_T0_E_clISt17integral_constantIbLb1EESY_IbLb0EEEEDaSU_SV_EUlSU_E_NS1_11comp_targetILNS1_3genE0ELNS1_11target_archE4294967295ELNS1_3gpuE0ELNS1_3repE0EEENS1_30default_config_static_selectorELNS0_4arch9wavefront6targetE1EEEvT1_
    .private_segment_fixed_size: 0
    .sgpr_count:     4
    .sgpr_spill_count: 0
    .symbol:         _ZN7rocprim17ROCPRIM_400000_NS6detail17trampoline_kernelINS0_14default_configENS1_33run_length_encode_config_selectorIsjNS0_4plusIjEEEEZZNS1_33reduce_by_key_impl_wrapped_configILNS1_25lookback_scan_determinismE0ES3_S7_PKsNS0_17constant_iteratorIjlEEPsPlSF_S6_NS0_8equal_toIsEEEE10hipError_tPvRmT2_T3_mT4_T5_T6_T7_T8_P12ihipStream_tbENKUlT_T0_E_clISt17integral_constantIbLb1EESY_IbLb0EEEEDaSU_SV_EUlSU_E_NS1_11comp_targetILNS1_3genE0ELNS1_11target_archE4294967295ELNS1_3gpuE0ELNS1_3repE0EEENS1_30default_config_static_selectorELNS0_4arch9wavefront6targetE1EEEvT1_.kd
    .uniform_work_group_size: 1
    .uses_dynamic_stack: false
    .vgpr_count:     0
    .vgpr_spill_count: 0
    .wavefront_size: 64
  - .agpr_count:     0
    .args:
      - .offset:         0
        .size:           128
        .value_kind:     by_value
    .group_segment_fixed_size: 0
    .kernarg_segment_align: 8
    .kernarg_segment_size: 128
    .language:       OpenCL C
    .language_version:
      - 2
      - 0
    .max_flat_workgroup_size: 512
    .name:           _ZN7rocprim17ROCPRIM_400000_NS6detail17trampoline_kernelINS0_14default_configENS1_33run_length_encode_config_selectorIsjNS0_4plusIjEEEEZZNS1_33reduce_by_key_impl_wrapped_configILNS1_25lookback_scan_determinismE0ES3_S7_PKsNS0_17constant_iteratorIjlEEPsPlSF_S6_NS0_8equal_toIsEEEE10hipError_tPvRmT2_T3_mT4_T5_T6_T7_T8_P12ihipStream_tbENKUlT_T0_E_clISt17integral_constantIbLb1EESY_IbLb0EEEEDaSU_SV_EUlSU_E_NS1_11comp_targetILNS1_3genE5ELNS1_11target_archE942ELNS1_3gpuE9ELNS1_3repE0EEENS1_30default_config_static_selectorELNS0_4arch9wavefront6targetE1EEEvT1_
    .private_segment_fixed_size: 0
    .sgpr_count:     4
    .sgpr_spill_count: 0
    .symbol:         _ZN7rocprim17ROCPRIM_400000_NS6detail17trampoline_kernelINS0_14default_configENS1_33run_length_encode_config_selectorIsjNS0_4plusIjEEEEZZNS1_33reduce_by_key_impl_wrapped_configILNS1_25lookback_scan_determinismE0ES3_S7_PKsNS0_17constant_iteratorIjlEEPsPlSF_S6_NS0_8equal_toIsEEEE10hipError_tPvRmT2_T3_mT4_T5_T6_T7_T8_P12ihipStream_tbENKUlT_T0_E_clISt17integral_constantIbLb1EESY_IbLb0EEEEDaSU_SV_EUlSU_E_NS1_11comp_targetILNS1_3genE5ELNS1_11target_archE942ELNS1_3gpuE9ELNS1_3repE0EEENS1_30default_config_static_selectorELNS0_4arch9wavefront6targetE1EEEvT1_.kd
    .uniform_work_group_size: 1
    .uses_dynamic_stack: false
    .vgpr_count:     0
    .vgpr_spill_count: 0
    .wavefront_size: 64
  - .agpr_count:     0
    .args:
      - .offset:         0
        .size:           128
        .value_kind:     by_value
    .group_segment_fixed_size: 10752
    .kernarg_segment_align: 8
    .kernarg_segment_size: 128
    .language:       OpenCL C
    .language_version:
      - 2
      - 0
    .max_flat_workgroup_size: 192
    .name:           _ZN7rocprim17ROCPRIM_400000_NS6detail17trampoline_kernelINS0_14default_configENS1_33run_length_encode_config_selectorIsjNS0_4plusIjEEEEZZNS1_33reduce_by_key_impl_wrapped_configILNS1_25lookback_scan_determinismE0ES3_S7_PKsNS0_17constant_iteratorIjlEEPsPlSF_S6_NS0_8equal_toIsEEEE10hipError_tPvRmT2_T3_mT4_T5_T6_T7_T8_P12ihipStream_tbENKUlT_T0_E_clISt17integral_constantIbLb1EESY_IbLb0EEEEDaSU_SV_EUlSU_E_NS1_11comp_targetILNS1_3genE4ELNS1_11target_archE910ELNS1_3gpuE8ELNS1_3repE0EEENS1_30default_config_static_selectorELNS0_4arch9wavefront6targetE1EEEvT1_
    .private_segment_fixed_size: 0
    .sgpr_count:     66
    .sgpr_spill_count: 0
    .symbol:         _ZN7rocprim17ROCPRIM_400000_NS6detail17trampoline_kernelINS0_14default_configENS1_33run_length_encode_config_selectorIsjNS0_4plusIjEEEEZZNS1_33reduce_by_key_impl_wrapped_configILNS1_25lookback_scan_determinismE0ES3_S7_PKsNS0_17constant_iteratorIjlEEPsPlSF_S6_NS0_8equal_toIsEEEE10hipError_tPvRmT2_T3_mT4_T5_T6_T7_T8_P12ihipStream_tbENKUlT_T0_E_clISt17integral_constantIbLb1EESY_IbLb0EEEEDaSU_SV_EUlSU_E_NS1_11comp_targetILNS1_3genE4ELNS1_11target_archE910ELNS1_3gpuE8ELNS1_3repE0EEENS1_30default_config_static_selectorELNS0_4arch9wavefront6targetE1EEEvT1_.kd
    .uniform_work_group_size: 1
    .uses_dynamic_stack: false
    .vgpr_count:     65
    .vgpr_spill_count: 0
    .wavefront_size: 64
  - .agpr_count:     0
    .args:
      - .offset:         0
        .size:           128
        .value_kind:     by_value
    .group_segment_fixed_size: 0
    .kernarg_segment_align: 8
    .kernarg_segment_size: 128
    .language:       OpenCL C
    .language_version:
      - 2
      - 0
    .max_flat_workgroup_size: 512
    .name:           _ZN7rocprim17ROCPRIM_400000_NS6detail17trampoline_kernelINS0_14default_configENS1_33run_length_encode_config_selectorIsjNS0_4plusIjEEEEZZNS1_33reduce_by_key_impl_wrapped_configILNS1_25lookback_scan_determinismE0ES3_S7_PKsNS0_17constant_iteratorIjlEEPsPlSF_S6_NS0_8equal_toIsEEEE10hipError_tPvRmT2_T3_mT4_T5_T6_T7_T8_P12ihipStream_tbENKUlT_T0_E_clISt17integral_constantIbLb1EESY_IbLb0EEEEDaSU_SV_EUlSU_E_NS1_11comp_targetILNS1_3genE3ELNS1_11target_archE908ELNS1_3gpuE7ELNS1_3repE0EEENS1_30default_config_static_selectorELNS0_4arch9wavefront6targetE1EEEvT1_
    .private_segment_fixed_size: 0
    .sgpr_count:     4
    .sgpr_spill_count: 0
    .symbol:         _ZN7rocprim17ROCPRIM_400000_NS6detail17trampoline_kernelINS0_14default_configENS1_33run_length_encode_config_selectorIsjNS0_4plusIjEEEEZZNS1_33reduce_by_key_impl_wrapped_configILNS1_25lookback_scan_determinismE0ES3_S7_PKsNS0_17constant_iteratorIjlEEPsPlSF_S6_NS0_8equal_toIsEEEE10hipError_tPvRmT2_T3_mT4_T5_T6_T7_T8_P12ihipStream_tbENKUlT_T0_E_clISt17integral_constantIbLb1EESY_IbLb0EEEEDaSU_SV_EUlSU_E_NS1_11comp_targetILNS1_3genE3ELNS1_11target_archE908ELNS1_3gpuE7ELNS1_3repE0EEENS1_30default_config_static_selectorELNS0_4arch9wavefront6targetE1EEEvT1_.kd
    .uniform_work_group_size: 1
    .uses_dynamic_stack: false
    .vgpr_count:     0
    .vgpr_spill_count: 0
    .wavefront_size: 64
  - .agpr_count:     0
    .args:
      - .offset:         0
        .size:           128
        .value_kind:     by_value
    .group_segment_fixed_size: 0
    .kernarg_segment_align: 8
    .kernarg_segment_size: 128
    .language:       OpenCL C
    .language_version:
      - 2
      - 0
    .max_flat_workgroup_size: 256
    .name:           _ZN7rocprim17ROCPRIM_400000_NS6detail17trampoline_kernelINS0_14default_configENS1_33run_length_encode_config_selectorIsjNS0_4plusIjEEEEZZNS1_33reduce_by_key_impl_wrapped_configILNS1_25lookback_scan_determinismE0ES3_S7_PKsNS0_17constant_iteratorIjlEEPsPlSF_S6_NS0_8equal_toIsEEEE10hipError_tPvRmT2_T3_mT4_T5_T6_T7_T8_P12ihipStream_tbENKUlT_T0_E_clISt17integral_constantIbLb1EESY_IbLb0EEEEDaSU_SV_EUlSU_E_NS1_11comp_targetILNS1_3genE2ELNS1_11target_archE906ELNS1_3gpuE6ELNS1_3repE0EEENS1_30default_config_static_selectorELNS0_4arch9wavefront6targetE1EEEvT1_
    .private_segment_fixed_size: 0
    .sgpr_count:     4
    .sgpr_spill_count: 0
    .symbol:         _ZN7rocprim17ROCPRIM_400000_NS6detail17trampoline_kernelINS0_14default_configENS1_33run_length_encode_config_selectorIsjNS0_4plusIjEEEEZZNS1_33reduce_by_key_impl_wrapped_configILNS1_25lookback_scan_determinismE0ES3_S7_PKsNS0_17constant_iteratorIjlEEPsPlSF_S6_NS0_8equal_toIsEEEE10hipError_tPvRmT2_T3_mT4_T5_T6_T7_T8_P12ihipStream_tbENKUlT_T0_E_clISt17integral_constantIbLb1EESY_IbLb0EEEEDaSU_SV_EUlSU_E_NS1_11comp_targetILNS1_3genE2ELNS1_11target_archE906ELNS1_3gpuE6ELNS1_3repE0EEENS1_30default_config_static_selectorELNS0_4arch9wavefront6targetE1EEEvT1_.kd
    .uniform_work_group_size: 1
    .uses_dynamic_stack: false
    .vgpr_count:     0
    .vgpr_spill_count: 0
    .wavefront_size: 64
  - .agpr_count:     0
    .args:
      - .offset:         0
        .size:           128
        .value_kind:     by_value
    .group_segment_fixed_size: 0
    .kernarg_segment_align: 8
    .kernarg_segment_size: 128
    .language:       OpenCL C
    .language_version:
      - 2
      - 0
    .max_flat_workgroup_size: 512
    .name:           _ZN7rocprim17ROCPRIM_400000_NS6detail17trampoline_kernelINS0_14default_configENS1_33run_length_encode_config_selectorIsjNS0_4plusIjEEEEZZNS1_33reduce_by_key_impl_wrapped_configILNS1_25lookback_scan_determinismE0ES3_S7_PKsNS0_17constant_iteratorIjlEEPsPlSF_S6_NS0_8equal_toIsEEEE10hipError_tPvRmT2_T3_mT4_T5_T6_T7_T8_P12ihipStream_tbENKUlT_T0_E_clISt17integral_constantIbLb1EESY_IbLb0EEEEDaSU_SV_EUlSU_E_NS1_11comp_targetILNS1_3genE10ELNS1_11target_archE1201ELNS1_3gpuE5ELNS1_3repE0EEENS1_30default_config_static_selectorELNS0_4arch9wavefront6targetE1EEEvT1_
    .private_segment_fixed_size: 0
    .sgpr_count:     4
    .sgpr_spill_count: 0
    .symbol:         _ZN7rocprim17ROCPRIM_400000_NS6detail17trampoline_kernelINS0_14default_configENS1_33run_length_encode_config_selectorIsjNS0_4plusIjEEEEZZNS1_33reduce_by_key_impl_wrapped_configILNS1_25lookback_scan_determinismE0ES3_S7_PKsNS0_17constant_iteratorIjlEEPsPlSF_S6_NS0_8equal_toIsEEEE10hipError_tPvRmT2_T3_mT4_T5_T6_T7_T8_P12ihipStream_tbENKUlT_T0_E_clISt17integral_constantIbLb1EESY_IbLb0EEEEDaSU_SV_EUlSU_E_NS1_11comp_targetILNS1_3genE10ELNS1_11target_archE1201ELNS1_3gpuE5ELNS1_3repE0EEENS1_30default_config_static_selectorELNS0_4arch9wavefront6targetE1EEEvT1_.kd
    .uniform_work_group_size: 1
    .uses_dynamic_stack: false
    .vgpr_count:     0
    .vgpr_spill_count: 0
    .wavefront_size: 64
  - .agpr_count:     0
    .args:
      - .offset:         0
        .size:           128
        .value_kind:     by_value
    .group_segment_fixed_size: 0
    .kernarg_segment_align: 8
    .kernarg_segment_size: 128
    .language:       OpenCL C
    .language_version:
      - 2
      - 0
    .max_flat_workgroup_size: 384
    .name:           _ZN7rocprim17ROCPRIM_400000_NS6detail17trampoline_kernelINS0_14default_configENS1_33run_length_encode_config_selectorIsjNS0_4plusIjEEEEZZNS1_33reduce_by_key_impl_wrapped_configILNS1_25lookback_scan_determinismE0ES3_S7_PKsNS0_17constant_iteratorIjlEEPsPlSF_S6_NS0_8equal_toIsEEEE10hipError_tPvRmT2_T3_mT4_T5_T6_T7_T8_P12ihipStream_tbENKUlT_T0_E_clISt17integral_constantIbLb1EESY_IbLb0EEEEDaSU_SV_EUlSU_E_NS1_11comp_targetILNS1_3genE10ELNS1_11target_archE1200ELNS1_3gpuE4ELNS1_3repE0EEENS1_30default_config_static_selectorELNS0_4arch9wavefront6targetE1EEEvT1_
    .private_segment_fixed_size: 0
    .sgpr_count:     4
    .sgpr_spill_count: 0
    .symbol:         _ZN7rocprim17ROCPRIM_400000_NS6detail17trampoline_kernelINS0_14default_configENS1_33run_length_encode_config_selectorIsjNS0_4plusIjEEEEZZNS1_33reduce_by_key_impl_wrapped_configILNS1_25lookback_scan_determinismE0ES3_S7_PKsNS0_17constant_iteratorIjlEEPsPlSF_S6_NS0_8equal_toIsEEEE10hipError_tPvRmT2_T3_mT4_T5_T6_T7_T8_P12ihipStream_tbENKUlT_T0_E_clISt17integral_constantIbLb1EESY_IbLb0EEEEDaSU_SV_EUlSU_E_NS1_11comp_targetILNS1_3genE10ELNS1_11target_archE1200ELNS1_3gpuE4ELNS1_3repE0EEENS1_30default_config_static_selectorELNS0_4arch9wavefront6targetE1EEEvT1_.kd
    .uniform_work_group_size: 1
    .uses_dynamic_stack: false
    .vgpr_count:     0
    .vgpr_spill_count: 0
    .wavefront_size: 64
  - .agpr_count:     0
    .args:
      - .offset:         0
        .size:           128
        .value_kind:     by_value
    .group_segment_fixed_size: 0
    .kernarg_segment_align: 8
    .kernarg_segment_size: 128
    .language:       OpenCL C
    .language_version:
      - 2
      - 0
    .max_flat_workgroup_size: 512
    .name:           _ZN7rocprim17ROCPRIM_400000_NS6detail17trampoline_kernelINS0_14default_configENS1_33run_length_encode_config_selectorIsjNS0_4plusIjEEEEZZNS1_33reduce_by_key_impl_wrapped_configILNS1_25lookback_scan_determinismE0ES3_S7_PKsNS0_17constant_iteratorIjlEEPsPlSF_S6_NS0_8equal_toIsEEEE10hipError_tPvRmT2_T3_mT4_T5_T6_T7_T8_P12ihipStream_tbENKUlT_T0_E_clISt17integral_constantIbLb1EESY_IbLb0EEEEDaSU_SV_EUlSU_E_NS1_11comp_targetILNS1_3genE9ELNS1_11target_archE1100ELNS1_3gpuE3ELNS1_3repE0EEENS1_30default_config_static_selectorELNS0_4arch9wavefront6targetE1EEEvT1_
    .private_segment_fixed_size: 0
    .sgpr_count:     4
    .sgpr_spill_count: 0
    .symbol:         _ZN7rocprim17ROCPRIM_400000_NS6detail17trampoline_kernelINS0_14default_configENS1_33run_length_encode_config_selectorIsjNS0_4plusIjEEEEZZNS1_33reduce_by_key_impl_wrapped_configILNS1_25lookback_scan_determinismE0ES3_S7_PKsNS0_17constant_iteratorIjlEEPsPlSF_S6_NS0_8equal_toIsEEEE10hipError_tPvRmT2_T3_mT4_T5_T6_T7_T8_P12ihipStream_tbENKUlT_T0_E_clISt17integral_constantIbLb1EESY_IbLb0EEEEDaSU_SV_EUlSU_E_NS1_11comp_targetILNS1_3genE9ELNS1_11target_archE1100ELNS1_3gpuE3ELNS1_3repE0EEENS1_30default_config_static_selectorELNS0_4arch9wavefront6targetE1EEEvT1_.kd
    .uniform_work_group_size: 1
    .uses_dynamic_stack: false
    .vgpr_count:     0
    .vgpr_spill_count: 0
    .wavefront_size: 64
  - .agpr_count:     0
    .args:
      - .offset:         0
        .size:           128
        .value_kind:     by_value
    .group_segment_fixed_size: 0
    .kernarg_segment_align: 8
    .kernarg_segment_size: 128
    .language:       OpenCL C
    .language_version:
      - 2
      - 0
    .max_flat_workgroup_size: 384
    .name:           _ZN7rocprim17ROCPRIM_400000_NS6detail17trampoline_kernelINS0_14default_configENS1_33run_length_encode_config_selectorIsjNS0_4plusIjEEEEZZNS1_33reduce_by_key_impl_wrapped_configILNS1_25lookback_scan_determinismE0ES3_S7_PKsNS0_17constant_iteratorIjlEEPsPlSF_S6_NS0_8equal_toIsEEEE10hipError_tPvRmT2_T3_mT4_T5_T6_T7_T8_P12ihipStream_tbENKUlT_T0_E_clISt17integral_constantIbLb1EESY_IbLb0EEEEDaSU_SV_EUlSU_E_NS1_11comp_targetILNS1_3genE8ELNS1_11target_archE1030ELNS1_3gpuE2ELNS1_3repE0EEENS1_30default_config_static_selectorELNS0_4arch9wavefront6targetE1EEEvT1_
    .private_segment_fixed_size: 0
    .sgpr_count:     4
    .sgpr_spill_count: 0
    .symbol:         _ZN7rocprim17ROCPRIM_400000_NS6detail17trampoline_kernelINS0_14default_configENS1_33run_length_encode_config_selectorIsjNS0_4plusIjEEEEZZNS1_33reduce_by_key_impl_wrapped_configILNS1_25lookback_scan_determinismE0ES3_S7_PKsNS0_17constant_iteratorIjlEEPsPlSF_S6_NS0_8equal_toIsEEEE10hipError_tPvRmT2_T3_mT4_T5_T6_T7_T8_P12ihipStream_tbENKUlT_T0_E_clISt17integral_constantIbLb1EESY_IbLb0EEEEDaSU_SV_EUlSU_E_NS1_11comp_targetILNS1_3genE8ELNS1_11target_archE1030ELNS1_3gpuE2ELNS1_3repE0EEENS1_30default_config_static_selectorELNS0_4arch9wavefront6targetE1EEEvT1_.kd
    .uniform_work_group_size: 1
    .uses_dynamic_stack: false
    .vgpr_count:     0
    .vgpr_spill_count: 0
    .wavefront_size: 64
  - .agpr_count:     0
    .args:
      - .offset:         0
        .size:           128
        .value_kind:     by_value
    .group_segment_fixed_size: 0
    .kernarg_segment_align: 8
    .kernarg_segment_size: 128
    .language:       OpenCL C
    .language_version:
      - 2
      - 0
    .max_flat_workgroup_size: 512
    .name:           _ZN7rocprim17ROCPRIM_400000_NS6detail17trampoline_kernelINS0_14default_configENS1_33run_length_encode_config_selectorIsjNS0_4plusIjEEEEZZNS1_33reduce_by_key_impl_wrapped_configILNS1_25lookback_scan_determinismE0ES3_S7_PKsNS0_17constant_iteratorIjlEEPsPlSF_S6_NS0_8equal_toIsEEEE10hipError_tPvRmT2_T3_mT4_T5_T6_T7_T8_P12ihipStream_tbENKUlT_T0_E_clISt17integral_constantIbLb0EESY_IbLb1EEEEDaSU_SV_EUlSU_E_NS1_11comp_targetILNS1_3genE0ELNS1_11target_archE4294967295ELNS1_3gpuE0ELNS1_3repE0EEENS1_30default_config_static_selectorELNS0_4arch9wavefront6targetE1EEEvT1_
    .private_segment_fixed_size: 0
    .sgpr_count:     4
    .sgpr_spill_count: 0
    .symbol:         _ZN7rocprim17ROCPRIM_400000_NS6detail17trampoline_kernelINS0_14default_configENS1_33run_length_encode_config_selectorIsjNS0_4plusIjEEEEZZNS1_33reduce_by_key_impl_wrapped_configILNS1_25lookback_scan_determinismE0ES3_S7_PKsNS0_17constant_iteratorIjlEEPsPlSF_S6_NS0_8equal_toIsEEEE10hipError_tPvRmT2_T3_mT4_T5_T6_T7_T8_P12ihipStream_tbENKUlT_T0_E_clISt17integral_constantIbLb0EESY_IbLb1EEEEDaSU_SV_EUlSU_E_NS1_11comp_targetILNS1_3genE0ELNS1_11target_archE4294967295ELNS1_3gpuE0ELNS1_3repE0EEENS1_30default_config_static_selectorELNS0_4arch9wavefront6targetE1EEEvT1_.kd
    .uniform_work_group_size: 1
    .uses_dynamic_stack: false
    .vgpr_count:     0
    .vgpr_spill_count: 0
    .wavefront_size: 64
  - .agpr_count:     0
    .args:
      - .offset:         0
        .size:           128
        .value_kind:     by_value
    .group_segment_fixed_size: 0
    .kernarg_segment_align: 8
    .kernarg_segment_size: 128
    .language:       OpenCL C
    .language_version:
      - 2
      - 0
    .max_flat_workgroup_size: 512
    .name:           _ZN7rocprim17ROCPRIM_400000_NS6detail17trampoline_kernelINS0_14default_configENS1_33run_length_encode_config_selectorIsjNS0_4plusIjEEEEZZNS1_33reduce_by_key_impl_wrapped_configILNS1_25lookback_scan_determinismE0ES3_S7_PKsNS0_17constant_iteratorIjlEEPsPlSF_S6_NS0_8equal_toIsEEEE10hipError_tPvRmT2_T3_mT4_T5_T6_T7_T8_P12ihipStream_tbENKUlT_T0_E_clISt17integral_constantIbLb0EESY_IbLb1EEEEDaSU_SV_EUlSU_E_NS1_11comp_targetILNS1_3genE5ELNS1_11target_archE942ELNS1_3gpuE9ELNS1_3repE0EEENS1_30default_config_static_selectorELNS0_4arch9wavefront6targetE1EEEvT1_
    .private_segment_fixed_size: 0
    .sgpr_count:     4
    .sgpr_spill_count: 0
    .symbol:         _ZN7rocprim17ROCPRIM_400000_NS6detail17trampoline_kernelINS0_14default_configENS1_33run_length_encode_config_selectorIsjNS0_4plusIjEEEEZZNS1_33reduce_by_key_impl_wrapped_configILNS1_25lookback_scan_determinismE0ES3_S7_PKsNS0_17constant_iteratorIjlEEPsPlSF_S6_NS0_8equal_toIsEEEE10hipError_tPvRmT2_T3_mT4_T5_T6_T7_T8_P12ihipStream_tbENKUlT_T0_E_clISt17integral_constantIbLb0EESY_IbLb1EEEEDaSU_SV_EUlSU_E_NS1_11comp_targetILNS1_3genE5ELNS1_11target_archE942ELNS1_3gpuE9ELNS1_3repE0EEENS1_30default_config_static_selectorELNS0_4arch9wavefront6targetE1EEEvT1_.kd
    .uniform_work_group_size: 1
    .uses_dynamic_stack: false
    .vgpr_count:     0
    .vgpr_spill_count: 0
    .wavefront_size: 64
  - .agpr_count:     0
    .args:
      - .offset:         0
        .size:           128
        .value_kind:     by_value
    .group_segment_fixed_size: 10752
    .kernarg_segment_align: 8
    .kernarg_segment_size: 128
    .language:       OpenCL C
    .language_version:
      - 2
      - 0
    .max_flat_workgroup_size: 192
    .name:           _ZN7rocprim17ROCPRIM_400000_NS6detail17trampoline_kernelINS0_14default_configENS1_33run_length_encode_config_selectorIsjNS0_4plusIjEEEEZZNS1_33reduce_by_key_impl_wrapped_configILNS1_25lookback_scan_determinismE0ES3_S7_PKsNS0_17constant_iteratorIjlEEPsPlSF_S6_NS0_8equal_toIsEEEE10hipError_tPvRmT2_T3_mT4_T5_T6_T7_T8_P12ihipStream_tbENKUlT_T0_E_clISt17integral_constantIbLb0EESY_IbLb1EEEEDaSU_SV_EUlSU_E_NS1_11comp_targetILNS1_3genE4ELNS1_11target_archE910ELNS1_3gpuE8ELNS1_3repE0EEENS1_30default_config_static_selectorELNS0_4arch9wavefront6targetE1EEEvT1_
    .private_segment_fixed_size: 0
    .sgpr_count:     68
    .sgpr_spill_count: 0
    .symbol:         _ZN7rocprim17ROCPRIM_400000_NS6detail17trampoline_kernelINS0_14default_configENS1_33run_length_encode_config_selectorIsjNS0_4plusIjEEEEZZNS1_33reduce_by_key_impl_wrapped_configILNS1_25lookback_scan_determinismE0ES3_S7_PKsNS0_17constant_iteratorIjlEEPsPlSF_S6_NS0_8equal_toIsEEEE10hipError_tPvRmT2_T3_mT4_T5_T6_T7_T8_P12ihipStream_tbENKUlT_T0_E_clISt17integral_constantIbLb0EESY_IbLb1EEEEDaSU_SV_EUlSU_E_NS1_11comp_targetILNS1_3genE4ELNS1_11target_archE910ELNS1_3gpuE8ELNS1_3repE0EEENS1_30default_config_static_selectorELNS0_4arch9wavefront6targetE1EEEvT1_.kd
    .uniform_work_group_size: 1
    .uses_dynamic_stack: false
    .vgpr_count:     65
    .vgpr_spill_count: 0
    .wavefront_size: 64
  - .agpr_count:     0
    .args:
      - .offset:         0
        .size:           128
        .value_kind:     by_value
    .group_segment_fixed_size: 0
    .kernarg_segment_align: 8
    .kernarg_segment_size: 128
    .language:       OpenCL C
    .language_version:
      - 2
      - 0
    .max_flat_workgroup_size: 512
    .name:           _ZN7rocprim17ROCPRIM_400000_NS6detail17trampoline_kernelINS0_14default_configENS1_33run_length_encode_config_selectorIsjNS0_4plusIjEEEEZZNS1_33reduce_by_key_impl_wrapped_configILNS1_25lookback_scan_determinismE0ES3_S7_PKsNS0_17constant_iteratorIjlEEPsPlSF_S6_NS0_8equal_toIsEEEE10hipError_tPvRmT2_T3_mT4_T5_T6_T7_T8_P12ihipStream_tbENKUlT_T0_E_clISt17integral_constantIbLb0EESY_IbLb1EEEEDaSU_SV_EUlSU_E_NS1_11comp_targetILNS1_3genE3ELNS1_11target_archE908ELNS1_3gpuE7ELNS1_3repE0EEENS1_30default_config_static_selectorELNS0_4arch9wavefront6targetE1EEEvT1_
    .private_segment_fixed_size: 0
    .sgpr_count:     4
    .sgpr_spill_count: 0
    .symbol:         _ZN7rocprim17ROCPRIM_400000_NS6detail17trampoline_kernelINS0_14default_configENS1_33run_length_encode_config_selectorIsjNS0_4plusIjEEEEZZNS1_33reduce_by_key_impl_wrapped_configILNS1_25lookback_scan_determinismE0ES3_S7_PKsNS0_17constant_iteratorIjlEEPsPlSF_S6_NS0_8equal_toIsEEEE10hipError_tPvRmT2_T3_mT4_T5_T6_T7_T8_P12ihipStream_tbENKUlT_T0_E_clISt17integral_constantIbLb0EESY_IbLb1EEEEDaSU_SV_EUlSU_E_NS1_11comp_targetILNS1_3genE3ELNS1_11target_archE908ELNS1_3gpuE7ELNS1_3repE0EEENS1_30default_config_static_selectorELNS0_4arch9wavefront6targetE1EEEvT1_.kd
    .uniform_work_group_size: 1
    .uses_dynamic_stack: false
    .vgpr_count:     0
    .vgpr_spill_count: 0
    .wavefront_size: 64
  - .agpr_count:     0
    .args:
      - .offset:         0
        .size:           128
        .value_kind:     by_value
    .group_segment_fixed_size: 0
    .kernarg_segment_align: 8
    .kernarg_segment_size: 128
    .language:       OpenCL C
    .language_version:
      - 2
      - 0
    .max_flat_workgroup_size: 256
    .name:           _ZN7rocprim17ROCPRIM_400000_NS6detail17trampoline_kernelINS0_14default_configENS1_33run_length_encode_config_selectorIsjNS0_4plusIjEEEEZZNS1_33reduce_by_key_impl_wrapped_configILNS1_25lookback_scan_determinismE0ES3_S7_PKsNS0_17constant_iteratorIjlEEPsPlSF_S6_NS0_8equal_toIsEEEE10hipError_tPvRmT2_T3_mT4_T5_T6_T7_T8_P12ihipStream_tbENKUlT_T0_E_clISt17integral_constantIbLb0EESY_IbLb1EEEEDaSU_SV_EUlSU_E_NS1_11comp_targetILNS1_3genE2ELNS1_11target_archE906ELNS1_3gpuE6ELNS1_3repE0EEENS1_30default_config_static_selectorELNS0_4arch9wavefront6targetE1EEEvT1_
    .private_segment_fixed_size: 0
    .sgpr_count:     4
    .sgpr_spill_count: 0
    .symbol:         _ZN7rocprim17ROCPRIM_400000_NS6detail17trampoline_kernelINS0_14default_configENS1_33run_length_encode_config_selectorIsjNS0_4plusIjEEEEZZNS1_33reduce_by_key_impl_wrapped_configILNS1_25lookback_scan_determinismE0ES3_S7_PKsNS0_17constant_iteratorIjlEEPsPlSF_S6_NS0_8equal_toIsEEEE10hipError_tPvRmT2_T3_mT4_T5_T6_T7_T8_P12ihipStream_tbENKUlT_T0_E_clISt17integral_constantIbLb0EESY_IbLb1EEEEDaSU_SV_EUlSU_E_NS1_11comp_targetILNS1_3genE2ELNS1_11target_archE906ELNS1_3gpuE6ELNS1_3repE0EEENS1_30default_config_static_selectorELNS0_4arch9wavefront6targetE1EEEvT1_.kd
    .uniform_work_group_size: 1
    .uses_dynamic_stack: false
    .vgpr_count:     0
    .vgpr_spill_count: 0
    .wavefront_size: 64
  - .agpr_count:     0
    .args:
      - .offset:         0
        .size:           128
        .value_kind:     by_value
    .group_segment_fixed_size: 0
    .kernarg_segment_align: 8
    .kernarg_segment_size: 128
    .language:       OpenCL C
    .language_version:
      - 2
      - 0
    .max_flat_workgroup_size: 512
    .name:           _ZN7rocprim17ROCPRIM_400000_NS6detail17trampoline_kernelINS0_14default_configENS1_33run_length_encode_config_selectorIsjNS0_4plusIjEEEEZZNS1_33reduce_by_key_impl_wrapped_configILNS1_25lookback_scan_determinismE0ES3_S7_PKsNS0_17constant_iteratorIjlEEPsPlSF_S6_NS0_8equal_toIsEEEE10hipError_tPvRmT2_T3_mT4_T5_T6_T7_T8_P12ihipStream_tbENKUlT_T0_E_clISt17integral_constantIbLb0EESY_IbLb1EEEEDaSU_SV_EUlSU_E_NS1_11comp_targetILNS1_3genE10ELNS1_11target_archE1201ELNS1_3gpuE5ELNS1_3repE0EEENS1_30default_config_static_selectorELNS0_4arch9wavefront6targetE1EEEvT1_
    .private_segment_fixed_size: 0
    .sgpr_count:     4
    .sgpr_spill_count: 0
    .symbol:         _ZN7rocprim17ROCPRIM_400000_NS6detail17trampoline_kernelINS0_14default_configENS1_33run_length_encode_config_selectorIsjNS0_4plusIjEEEEZZNS1_33reduce_by_key_impl_wrapped_configILNS1_25lookback_scan_determinismE0ES3_S7_PKsNS0_17constant_iteratorIjlEEPsPlSF_S6_NS0_8equal_toIsEEEE10hipError_tPvRmT2_T3_mT4_T5_T6_T7_T8_P12ihipStream_tbENKUlT_T0_E_clISt17integral_constantIbLb0EESY_IbLb1EEEEDaSU_SV_EUlSU_E_NS1_11comp_targetILNS1_3genE10ELNS1_11target_archE1201ELNS1_3gpuE5ELNS1_3repE0EEENS1_30default_config_static_selectorELNS0_4arch9wavefront6targetE1EEEvT1_.kd
    .uniform_work_group_size: 1
    .uses_dynamic_stack: false
    .vgpr_count:     0
    .vgpr_spill_count: 0
    .wavefront_size: 64
  - .agpr_count:     0
    .args:
      - .offset:         0
        .size:           128
        .value_kind:     by_value
    .group_segment_fixed_size: 0
    .kernarg_segment_align: 8
    .kernarg_segment_size: 128
    .language:       OpenCL C
    .language_version:
      - 2
      - 0
    .max_flat_workgroup_size: 384
    .name:           _ZN7rocprim17ROCPRIM_400000_NS6detail17trampoline_kernelINS0_14default_configENS1_33run_length_encode_config_selectorIsjNS0_4plusIjEEEEZZNS1_33reduce_by_key_impl_wrapped_configILNS1_25lookback_scan_determinismE0ES3_S7_PKsNS0_17constant_iteratorIjlEEPsPlSF_S6_NS0_8equal_toIsEEEE10hipError_tPvRmT2_T3_mT4_T5_T6_T7_T8_P12ihipStream_tbENKUlT_T0_E_clISt17integral_constantIbLb0EESY_IbLb1EEEEDaSU_SV_EUlSU_E_NS1_11comp_targetILNS1_3genE10ELNS1_11target_archE1200ELNS1_3gpuE4ELNS1_3repE0EEENS1_30default_config_static_selectorELNS0_4arch9wavefront6targetE1EEEvT1_
    .private_segment_fixed_size: 0
    .sgpr_count:     4
    .sgpr_spill_count: 0
    .symbol:         _ZN7rocprim17ROCPRIM_400000_NS6detail17trampoline_kernelINS0_14default_configENS1_33run_length_encode_config_selectorIsjNS0_4plusIjEEEEZZNS1_33reduce_by_key_impl_wrapped_configILNS1_25lookback_scan_determinismE0ES3_S7_PKsNS0_17constant_iteratorIjlEEPsPlSF_S6_NS0_8equal_toIsEEEE10hipError_tPvRmT2_T3_mT4_T5_T6_T7_T8_P12ihipStream_tbENKUlT_T0_E_clISt17integral_constantIbLb0EESY_IbLb1EEEEDaSU_SV_EUlSU_E_NS1_11comp_targetILNS1_3genE10ELNS1_11target_archE1200ELNS1_3gpuE4ELNS1_3repE0EEENS1_30default_config_static_selectorELNS0_4arch9wavefront6targetE1EEEvT1_.kd
    .uniform_work_group_size: 1
    .uses_dynamic_stack: false
    .vgpr_count:     0
    .vgpr_spill_count: 0
    .wavefront_size: 64
  - .agpr_count:     0
    .args:
      - .offset:         0
        .size:           128
        .value_kind:     by_value
    .group_segment_fixed_size: 0
    .kernarg_segment_align: 8
    .kernarg_segment_size: 128
    .language:       OpenCL C
    .language_version:
      - 2
      - 0
    .max_flat_workgroup_size: 512
    .name:           _ZN7rocprim17ROCPRIM_400000_NS6detail17trampoline_kernelINS0_14default_configENS1_33run_length_encode_config_selectorIsjNS0_4plusIjEEEEZZNS1_33reduce_by_key_impl_wrapped_configILNS1_25lookback_scan_determinismE0ES3_S7_PKsNS0_17constant_iteratorIjlEEPsPlSF_S6_NS0_8equal_toIsEEEE10hipError_tPvRmT2_T3_mT4_T5_T6_T7_T8_P12ihipStream_tbENKUlT_T0_E_clISt17integral_constantIbLb0EESY_IbLb1EEEEDaSU_SV_EUlSU_E_NS1_11comp_targetILNS1_3genE9ELNS1_11target_archE1100ELNS1_3gpuE3ELNS1_3repE0EEENS1_30default_config_static_selectorELNS0_4arch9wavefront6targetE1EEEvT1_
    .private_segment_fixed_size: 0
    .sgpr_count:     4
    .sgpr_spill_count: 0
    .symbol:         _ZN7rocprim17ROCPRIM_400000_NS6detail17trampoline_kernelINS0_14default_configENS1_33run_length_encode_config_selectorIsjNS0_4plusIjEEEEZZNS1_33reduce_by_key_impl_wrapped_configILNS1_25lookback_scan_determinismE0ES3_S7_PKsNS0_17constant_iteratorIjlEEPsPlSF_S6_NS0_8equal_toIsEEEE10hipError_tPvRmT2_T3_mT4_T5_T6_T7_T8_P12ihipStream_tbENKUlT_T0_E_clISt17integral_constantIbLb0EESY_IbLb1EEEEDaSU_SV_EUlSU_E_NS1_11comp_targetILNS1_3genE9ELNS1_11target_archE1100ELNS1_3gpuE3ELNS1_3repE0EEENS1_30default_config_static_selectorELNS0_4arch9wavefront6targetE1EEEvT1_.kd
    .uniform_work_group_size: 1
    .uses_dynamic_stack: false
    .vgpr_count:     0
    .vgpr_spill_count: 0
    .wavefront_size: 64
  - .agpr_count:     0
    .args:
      - .offset:         0
        .size:           128
        .value_kind:     by_value
    .group_segment_fixed_size: 0
    .kernarg_segment_align: 8
    .kernarg_segment_size: 128
    .language:       OpenCL C
    .language_version:
      - 2
      - 0
    .max_flat_workgroup_size: 384
    .name:           _ZN7rocprim17ROCPRIM_400000_NS6detail17trampoline_kernelINS0_14default_configENS1_33run_length_encode_config_selectorIsjNS0_4plusIjEEEEZZNS1_33reduce_by_key_impl_wrapped_configILNS1_25lookback_scan_determinismE0ES3_S7_PKsNS0_17constant_iteratorIjlEEPsPlSF_S6_NS0_8equal_toIsEEEE10hipError_tPvRmT2_T3_mT4_T5_T6_T7_T8_P12ihipStream_tbENKUlT_T0_E_clISt17integral_constantIbLb0EESY_IbLb1EEEEDaSU_SV_EUlSU_E_NS1_11comp_targetILNS1_3genE8ELNS1_11target_archE1030ELNS1_3gpuE2ELNS1_3repE0EEENS1_30default_config_static_selectorELNS0_4arch9wavefront6targetE1EEEvT1_
    .private_segment_fixed_size: 0
    .sgpr_count:     4
    .sgpr_spill_count: 0
    .symbol:         _ZN7rocprim17ROCPRIM_400000_NS6detail17trampoline_kernelINS0_14default_configENS1_33run_length_encode_config_selectorIsjNS0_4plusIjEEEEZZNS1_33reduce_by_key_impl_wrapped_configILNS1_25lookback_scan_determinismE0ES3_S7_PKsNS0_17constant_iteratorIjlEEPsPlSF_S6_NS0_8equal_toIsEEEE10hipError_tPvRmT2_T3_mT4_T5_T6_T7_T8_P12ihipStream_tbENKUlT_T0_E_clISt17integral_constantIbLb0EESY_IbLb1EEEEDaSU_SV_EUlSU_E_NS1_11comp_targetILNS1_3genE8ELNS1_11target_archE1030ELNS1_3gpuE2ELNS1_3repE0EEENS1_30default_config_static_selectorELNS0_4arch9wavefront6targetE1EEEvT1_.kd
    .uniform_work_group_size: 1
    .uses_dynamic_stack: false
    .vgpr_count:     0
    .vgpr_spill_count: 0
    .wavefront_size: 64
  - .agpr_count:     0
    .args:
      - .offset:         0
        .size:           8
        .value_kind:     by_value
      - .address_space:  global
        .offset:         8
        .size:           8
        .value_kind:     global_buffer
      - .address_space:  global
        .offset:         16
        .size:           8
        .value_kind:     global_buffer
      - .offset:         24
        .size:           4
        .value_kind:     hidden_block_count_x
      - .offset:         28
        .size:           4
        .value_kind:     hidden_block_count_y
      - .offset:         32
        .size:           4
        .value_kind:     hidden_block_count_z
      - .offset:         36
        .size:           2
        .value_kind:     hidden_group_size_x
      - .offset:         38
        .size:           2
        .value_kind:     hidden_group_size_y
      - .offset:         40
        .size:           2
        .value_kind:     hidden_group_size_z
      - .offset:         42
        .size:           2
        .value_kind:     hidden_remainder_x
      - .offset:         44
        .size:           2
        .value_kind:     hidden_remainder_y
      - .offset:         46
        .size:           2
        .value_kind:     hidden_remainder_z
      - .offset:         64
        .size:           8
        .value_kind:     hidden_global_offset_x
      - .offset:         72
        .size:           8
        .value_kind:     hidden_global_offset_y
      - .offset:         80
        .size:           8
        .value_kind:     hidden_global_offset_z
      - .offset:         88
        .size:           2
        .value_kind:     hidden_grid_dims
    .group_segment_fixed_size: 0
    .kernarg_segment_align: 8
    .kernarg_segment_size: 280
    .language:       OpenCL C
    .language_version:
      - 2
      - 0
    .max_flat_workgroup_size: 1024
    .name:           _ZN2at6native8internal12_GLOBAL__N_126adjacent_difference_kernelIPKjEEvlT_Pi
    .private_segment_fixed_size: 0
    .sgpr_count:     18
    .sgpr_spill_count: 0
    .symbol:         _ZN2at6native8internal12_GLOBAL__N_126adjacent_difference_kernelIPKjEEvlT_Pi.kd
    .uniform_work_group_size: 1
    .uses_dynamic_stack: false
    .vgpr_count:     15
    .vgpr_spill_count: 0
    .wavefront_size: 64
  - .agpr_count:     0
    .args:
      - .offset:         0
        .size:           112
        .value_kind:     by_value
    .group_segment_fixed_size: 0
    .kernarg_segment_align: 8
    .kernarg_segment_size: 112
    .language:       OpenCL C
    .language_version:
      - 2
      - 0
    .max_flat_workgroup_size: 512
    .name:           _ZN7rocprim17ROCPRIM_400000_NS6detail17trampoline_kernelINS0_14default_configENS1_25partition_config_selectorILNS1_17partition_subalgoE8EjNS0_10empty_typeEbEEZZNS1_14partition_implILS5_8ELb0ES3_jPKjPS6_PKS6_NS0_5tupleIJPjS6_EEENSE_IJSB_SB_EEENS0_18inequality_wrapperIN6hipcub16HIPCUB_304000_NS8EqualityEEEPlJS6_EEE10hipError_tPvRmT3_T4_T5_T6_T7_T9_mT8_P12ihipStream_tbDpT10_ENKUlT_T0_E_clISt17integral_constantIbLb0EES17_EEDaS12_S13_EUlS12_E_NS1_11comp_targetILNS1_3genE0ELNS1_11target_archE4294967295ELNS1_3gpuE0ELNS1_3repE0EEENS1_30default_config_static_selectorELNS0_4arch9wavefront6targetE1EEEvT1_
    .private_segment_fixed_size: 0
    .sgpr_count:     4
    .sgpr_spill_count: 0
    .symbol:         _ZN7rocprim17ROCPRIM_400000_NS6detail17trampoline_kernelINS0_14default_configENS1_25partition_config_selectorILNS1_17partition_subalgoE8EjNS0_10empty_typeEbEEZZNS1_14partition_implILS5_8ELb0ES3_jPKjPS6_PKS6_NS0_5tupleIJPjS6_EEENSE_IJSB_SB_EEENS0_18inequality_wrapperIN6hipcub16HIPCUB_304000_NS8EqualityEEEPlJS6_EEE10hipError_tPvRmT3_T4_T5_T6_T7_T9_mT8_P12ihipStream_tbDpT10_ENKUlT_T0_E_clISt17integral_constantIbLb0EES17_EEDaS12_S13_EUlS12_E_NS1_11comp_targetILNS1_3genE0ELNS1_11target_archE4294967295ELNS1_3gpuE0ELNS1_3repE0EEENS1_30default_config_static_selectorELNS0_4arch9wavefront6targetE1EEEvT1_.kd
    .uniform_work_group_size: 1
    .uses_dynamic_stack: false
    .vgpr_count:     0
    .vgpr_spill_count: 0
    .wavefront_size: 64
  - .agpr_count:     0
    .args:
      - .offset:         0
        .size:           112
        .value_kind:     by_value
    .group_segment_fixed_size: 0
    .kernarg_segment_align: 8
    .kernarg_segment_size: 112
    .language:       OpenCL C
    .language_version:
      - 2
      - 0
    .max_flat_workgroup_size: 512
    .name:           _ZN7rocprim17ROCPRIM_400000_NS6detail17trampoline_kernelINS0_14default_configENS1_25partition_config_selectorILNS1_17partition_subalgoE8EjNS0_10empty_typeEbEEZZNS1_14partition_implILS5_8ELb0ES3_jPKjPS6_PKS6_NS0_5tupleIJPjS6_EEENSE_IJSB_SB_EEENS0_18inequality_wrapperIN6hipcub16HIPCUB_304000_NS8EqualityEEEPlJS6_EEE10hipError_tPvRmT3_T4_T5_T6_T7_T9_mT8_P12ihipStream_tbDpT10_ENKUlT_T0_E_clISt17integral_constantIbLb0EES17_EEDaS12_S13_EUlS12_E_NS1_11comp_targetILNS1_3genE5ELNS1_11target_archE942ELNS1_3gpuE9ELNS1_3repE0EEENS1_30default_config_static_selectorELNS0_4arch9wavefront6targetE1EEEvT1_
    .private_segment_fixed_size: 0
    .sgpr_count:     4
    .sgpr_spill_count: 0
    .symbol:         _ZN7rocprim17ROCPRIM_400000_NS6detail17trampoline_kernelINS0_14default_configENS1_25partition_config_selectorILNS1_17partition_subalgoE8EjNS0_10empty_typeEbEEZZNS1_14partition_implILS5_8ELb0ES3_jPKjPS6_PKS6_NS0_5tupleIJPjS6_EEENSE_IJSB_SB_EEENS0_18inequality_wrapperIN6hipcub16HIPCUB_304000_NS8EqualityEEEPlJS6_EEE10hipError_tPvRmT3_T4_T5_T6_T7_T9_mT8_P12ihipStream_tbDpT10_ENKUlT_T0_E_clISt17integral_constantIbLb0EES17_EEDaS12_S13_EUlS12_E_NS1_11comp_targetILNS1_3genE5ELNS1_11target_archE942ELNS1_3gpuE9ELNS1_3repE0EEENS1_30default_config_static_selectorELNS0_4arch9wavefront6targetE1EEEvT1_.kd
    .uniform_work_group_size: 1
    .uses_dynamic_stack: false
    .vgpr_count:     0
    .vgpr_spill_count: 0
    .wavefront_size: 64
  - .agpr_count:     0
    .args:
      - .offset:         0
        .size:           112
        .value_kind:     by_value
    .group_segment_fixed_size: 10248
    .kernarg_segment_align: 8
    .kernarg_segment_size: 112
    .language:       OpenCL C
    .language_version:
      - 2
      - 0
    .max_flat_workgroup_size: 256
    .name:           _ZN7rocprim17ROCPRIM_400000_NS6detail17trampoline_kernelINS0_14default_configENS1_25partition_config_selectorILNS1_17partition_subalgoE8EjNS0_10empty_typeEbEEZZNS1_14partition_implILS5_8ELb0ES3_jPKjPS6_PKS6_NS0_5tupleIJPjS6_EEENSE_IJSB_SB_EEENS0_18inequality_wrapperIN6hipcub16HIPCUB_304000_NS8EqualityEEEPlJS6_EEE10hipError_tPvRmT3_T4_T5_T6_T7_T9_mT8_P12ihipStream_tbDpT10_ENKUlT_T0_E_clISt17integral_constantIbLb0EES17_EEDaS12_S13_EUlS12_E_NS1_11comp_targetILNS1_3genE4ELNS1_11target_archE910ELNS1_3gpuE8ELNS1_3repE0EEENS1_30default_config_static_selectorELNS0_4arch9wavefront6targetE1EEEvT1_
    .private_segment_fixed_size: 0
    .sgpr_count:     44
    .sgpr_spill_count: 0
    .symbol:         _ZN7rocprim17ROCPRIM_400000_NS6detail17trampoline_kernelINS0_14default_configENS1_25partition_config_selectorILNS1_17partition_subalgoE8EjNS0_10empty_typeEbEEZZNS1_14partition_implILS5_8ELb0ES3_jPKjPS6_PKS6_NS0_5tupleIJPjS6_EEENSE_IJSB_SB_EEENS0_18inequality_wrapperIN6hipcub16HIPCUB_304000_NS8EqualityEEEPlJS6_EEE10hipError_tPvRmT3_T4_T5_T6_T7_T9_mT8_P12ihipStream_tbDpT10_ENKUlT_T0_E_clISt17integral_constantIbLb0EES17_EEDaS12_S13_EUlS12_E_NS1_11comp_targetILNS1_3genE4ELNS1_11target_archE910ELNS1_3gpuE8ELNS1_3repE0EEENS1_30default_config_static_selectorELNS0_4arch9wavefront6targetE1EEEvT1_.kd
    .uniform_work_group_size: 1
    .uses_dynamic_stack: false
    .vgpr_count:     56
    .vgpr_spill_count: 0
    .wavefront_size: 64
  - .agpr_count:     0
    .args:
      - .offset:         0
        .size:           112
        .value_kind:     by_value
    .group_segment_fixed_size: 0
    .kernarg_segment_align: 8
    .kernarg_segment_size: 112
    .language:       OpenCL C
    .language_version:
      - 2
      - 0
    .max_flat_workgroup_size: 512
    .name:           _ZN7rocprim17ROCPRIM_400000_NS6detail17trampoline_kernelINS0_14default_configENS1_25partition_config_selectorILNS1_17partition_subalgoE8EjNS0_10empty_typeEbEEZZNS1_14partition_implILS5_8ELb0ES3_jPKjPS6_PKS6_NS0_5tupleIJPjS6_EEENSE_IJSB_SB_EEENS0_18inequality_wrapperIN6hipcub16HIPCUB_304000_NS8EqualityEEEPlJS6_EEE10hipError_tPvRmT3_T4_T5_T6_T7_T9_mT8_P12ihipStream_tbDpT10_ENKUlT_T0_E_clISt17integral_constantIbLb0EES17_EEDaS12_S13_EUlS12_E_NS1_11comp_targetILNS1_3genE3ELNS1_11target_archE908ELNS1_3gpuE7ELNS1_3repE0EEENS1_30default_config_static_selectorELNS0_4arch9wavefront6targetE1EEEvT1_
    .private_segment_fixed_size: 0
    .sgpr_count:     4
    .sgpr_spill_count: 0
    .symbol:         _ZN7rocprim17ROCPRIM_400000_NS6detail17trampoline_kernelINS0_14default_configENS1_25partition_config_selectorILNS1_17partition_subalgoE8EjNS0_10empty_typeEbEEZZNS1_14partition_implILS5_8ELb0ES3_jPKjPS6_PKS6_NS0_5tupleIJPjS6_EEENSE_IJSB_SB_EEENS0_18inequality_wrapperIN6hipcub16HIPCUB_304000_NS8EqualityEEEPlJS6_EEE10hipError_tPvRmT3_T4_T5_T6_T7_T9_mT8_P12ihipStream_tbDpT10_ENKUlT_T0_E_clISt17integral_constantIbLb0EES17_EEDaS12_S13_EUlS12_E_NS1_11comp_targetILNS1_3genE3ELNS1_11target_archE908ELNS1_3gpuE7ELNS1_3repE0EEENS1_30default_config_static_selectorELNS0_4arch9wavefront6targetE1EEEvT1_.kd
    .uniform_work_group_size: 1
    .uses_dynamic_stack: false
    .vgpr_count:     0
    .vgpr_spill_count: 0
    .wavefront_size: 64
  - .agpr_count:     0
    .args:
      - .offset:         0
        .size:           112
        .value_kind:     by_value
    .group_segment_fixed_size: 0
    .kernarg_segment_align: 8
    .kernarg_segment_size: 112
    .language:       OpenCL C
    .language_version:
      - 2
      - 0
    .max_flat_workgroup_size: 256
    .name:           _ZN7rocprim17ROCPRIM_400000_NS6detail17trampoline_kernelINS0_14default_configENS1_25partition_config_selectorILNS1_17partition_subalgoE8EjNS0_10empty_typeEbEEZZNS1_14partition_implILS5_8ELb0ES3_jPKjPS6_PKS6_NS0_5tupleIJPjS6_EEENSE_IJSB_SB_EEENS0_18inequality_wrapperIN6hipcub16HIPCUB_304000_NS8EqualityEEEPlJS6_EEE10hipError_tPvRmT3_T4_T5_T6_T7_T9_mT8_P12ihipStream_tbDpT10_ENKUlT_T0_E_clISt17integral_constantIbLb0EES17_EEDaS12_S13_EUlS12_E_NS1_11comp_targetILNS1_3genE2ELNS1_11target_archE906ELNS1_3gpuE6ELNS1_3repE0EEENS1_30default_config_static_selectorELNS0_4arch9wavefront6targetE1EEEvT1_
    .private_segment_fixed_size: 0
    .sgpr_count:     4
    .sgpr_spill_count: 0
    .symbol:         _ZN7rocprim17ROCPRIM_400000_NS6detail17trampoline_kernelINS0_14default_configENS1_25partition_config_selectorILNS1_17partition_subalgoE8EjNS0_10empty_typeEbEEZZNS1_14partition_implILS5_8ELb0ES3_jPKjPS6_PKS6_NS0_5tupleIJPjS6_EEENSE_IJSB_SB_EEENS0_18inequality_wrapperIN6hipcub16HIPCUB_304000_NS8EqualityEEEPlJS6_EEE10hipError_tPvRmT3_T4_T5_T6_T7_T9_mT8_P12ihipStream_tbDpT10_ENKUlT_T0_E_clISt17integral_constantIbLb0EES17_EEDaS12_S13_EUlS12_E_NS1_11comp_targetILNS1_3genE2ELNS1_11target_archE906ELNS1_3gpuE6ELNS1_3repE0EEENS1_30default_config_static_selectorELNS0_4arch9wavefront6targetE1EEEvT1_.kd
    .uniform_work_group_size: 1
    .uses_dynamic_stack: false
    .vgpr_count:     0
    .vgpr_spill_count: 0
    .wavefront_size: 64
  - .agpr_count:     0
    .args:
      - .offset:         0
        .size:           112
        .value_kind:     by_value
    .group_segment_fixed_size: 0
    .kernarg_segment_align: 8
    .kernarg_segment_size: 112
    .language:       OpenCL C
    .language_version:
      - 2
      - 0
    .max_flat_workgroup_size: 384
    .name:           _ZN7rocprim17ROCPRIM_400000_NS6detail17trampoline_kernelINS0_14default_configENS1_25partition_config_selectorILNS1_17partition_subalgoE8EjNS0_10empty_typeEbEEZZNS1_14partition_implILS5_8ELb0ES3_jPKjPS6_PKS6_NS0_5tupleIJPjS6_EEENSE_IJSB_SB_EEENS0_18inequality_wrapperIN6hipcub16HIPCUB_304000_NS8EqualityEEEPlJS6_EEE10hipError_tPvRmT3_T4_T5_T6_T7_T9_mT8_P12ihipStream_tbDpT10_ENKUlT_T0_E_clISt17integral_constantIbLb0EES17_EEDaS12_S13_EUlS12_E_NS1_11comp_targetILNS1_3genE10ELNS1_11target_archE1200ELNS1_3gpuE4ELNS1_3repE0EEENS1_30default_config_static_selectorELNS0_4arch9wavefront6targetE1EEEvT1_
    .private_segment_fixed_size: 0
    .sgpr_count:     4
    .sgpr_spill_count: 0
    .symbol:         _ZN7rocprim17ROCPRIM_400000_NS6detail17trampoline_kernelINS0_14default_configENS1_25partition_config_selectorILNS1_17partition_subalgoE8EjNS0_10empty_typeEbEEZZNS1_14partition_implILS5_8ELb0ES3_jPKjPS6_PKS6_NS0_5tupleIJPjS6_EEENSE_IJSB_SB_EEENS0_18inequality_wrapperIN6hipcub16HIPCUB_304000_NS8EqualityEEEPlJS6_EEE10hipError_tPvRmT3_T4_T5_T6_T7_T9_mT8_P12ihipStream_tbDpT10_ENKUlT_T0_E_clISt17integral_constantIbLb0EES17_EEDaS12_S13_EUlS12_E_NS1_11comp_targetILNS1_3genE10ELNS1_11target_archE1200ELNS1_3gpuE4ELNS1_3repE0EEENS1_30default_config_static_selectorELNS0_4arch9wavefront6targetE1EEEvT1_.kd
    .uniform_work_group_size: 1
    .uses_dynamic_stack: false
    .vgpr_count:     0
    .vgpr_spill_count: 0
    .wavefront_size: 64
  - .agpr_count:     0
    .args:
      - .offset:         0
        .size:           112
        .value_kind:     by_value
    .group_segment_fixed_size: 0
    .kernarg_segment_align: 8
    .kernarg_segment_size: 112
    .language:       OpenCL C
    .language_version:
      - 2
      - 0
    .max_flat_workgroup_size: 384
    .name:           _ZN7rocprim17ROCPRIM_400000_NS6detail17trampoline_kernelINS0_14default_configENS1_25partition_config_selectorILNS1_17partition_subalgoE8EjNS0_10empty_typeEbEEZZNS1_14partition_implILS5_8ELb0ES3_jPKjPS6_PKS6_NS0_5tupleIJPjS6_EEENSE_IJSB_SB_EEENS0_18inequality_wrapperIN6hipcub16HIPCUB_304000_NS8EqualityEEEPlJS6_EEE10hipError_tPvRmT3_T4_T5_T6_T7_T9_mT8_P12ihipStream_tbDpT10_ENKUlT_T0_E_clISt17integral_constantIbLb0EES17_EEDaS12_S13_EUlS12_E_NS1_11comp_targetILNS1_3genE9ELNS1_11target_archE1100ELNS1_3gpuE3ELNS1_3repE0EEENS1_30default_config_static_selectorELNS0_4arch9wavefront6targetE1EEEvT1_
    .private_segment_fixed_size: 0
    .sgpr_count:     4
    .sgpr_spill_count: 0
    .symbol:         _ZN7rocprim17ROCPRIM_400000_NS6detail17trampoline_kernelINS0_14default_configENS1_25partition_config_selectorILNS1_17partition_subalgoE8EjNS0_10empty_typeEbEEZZNS1_14partition_implILS5_8ELb0ES3_jPKjPS6_PKS6_NS0_5tupleIJPjS6_EEENSE_IJSB_SB_EEENS0_18inequality_wrapperIN6hipcub16HIPCUB_304000_NS8EqualityEEEPlJS6_EEE10hipError_tPvRmT3_T4_T5_T6_T7_T9_mT8_P12ihipStream_tbDpT10_ENKUlT_T0_E_clISt17integral_constantIbLb0EES17_EEDaS12_S13_EUlS12_E_NS1_11comp_targetILNS1_3genE9ELNS1_11target_archE1100ELNS1_3gpuE3ELNS1_3repE0EEENS1_30default_config_static_selectorELNS0_4arch9wavefront6targetE1EEEvT1_.kd
    .uniform_work_group_size: 1
    .uses_dynamic_stack: false
    .vgpr_count:     0
    .vgpr_spill_count: 0
    .wavefront_size: 64
  - .agpr_count:     0
    .args:
      - .offset:         0
        .size:           112
        .value_kind:     by_value
    .group_segment_fixed_size: 0
    .kernarg_segment_align: 8
    .kernarg_segment_size: 112
    .language:       OpenCL C
    .language_version:
      - 2
      - 0
    .max_flat_workgroup_size: 512
    .name:           _ZN7rocprim17ROCPRIM_400000_NS6detail17trampoline_kernelINS0_14default_configENS1_25partition_config_selectorILNS1_17partition_subalgoE8EjNS0_10empty_typeEbEEZZNS1_14partition_implILS5_8ELb0ES3_jPKjPS6_PKS6_NS0_5tupleIJPjS6_EEENSE_IJSB_SB_EEENS0_18inequality_wrapperIN6hipcub16HIPCUB_304000_NS8EqualityEEEPlJS6_EEE10hipError_tPvRmT3_T4_T5_T6_T7_T9_mT8_P12ihipStream_tbDpT10_ENKUlT_T0_E_clISt17integral_constantIbLb0EES17_EEDaS12_S13_EUlS12_E_NS1_11comp_targetILNS1_3genE8ELNS1_11target_archE1030ELNS1_3gpuE2ELNS1_3repE0EEENS1_30default_config_static_selectorELNS0_4arch9wavefront6targetE1EEEvT1_
    .private_segment_fixed_size: 0
    .sgpr_count:     4
    .sgpr_spill_count: 0
    .symbol:         _ZN7rocprim17ROCPRIM_400000_NS6detail17trampoline_kernelINS0_14default_configENS1_25partition_config_selectorILNS1_17partition_subalgoE8EjNS0_10empty_typeEbEEZZNS1_14partition_implILS5_8ELb0ES3_jPKjPS6_PKS6_NS0_5tupleIJPjS6_EEENSE_IJSB_SB_EEENS0_18inequality_wrapperIN6hipcub16HIPCUB_304000_NS8EqualityEEEPlJS6_EEE10hipError_tPvRmT3_T4_T5_T6_T7_T9_mT8_P12ihipStream_tbDpT10_ENKUlT_T0_E_clISt17integral_constantIbLb0EES17_EEDaS12_S13_EUlS12_E_NS1_11comp_targetILNS1_3genE8ELNS1_11target_archE1030ELNS1_3gpuE2ELNS1_3repE0EEENS1_30default_config_static_selectorELNS0_4arch9wavefront6targetE1EEEvT1_.kd
    .uniform_work_group_size: 1
    .uses_dynamic_stack: false
    .vgpr_count:     0
    .vgpr_spill_count: 0
    .wavefront_size: 64
  - .agpr_count:     0
    .args:
      - .offset:         0
        .size:           128
        .value_kind:     by_value
    .group_segment_fixed_size: 0
    .kernarg_segment_align: 8
    .kernarg_segment_size: 128
    .language:       OpenCL C
    .language_version:
      - 2
      - 0
    .max_flat_workgroup_size: 512
    .name:           _ZN7rocprim17ROCPRIM_400000_NS6detail17trampoline_kernelINS0_14default_configENS1_25partition_config_selectorILNS1_17partition_subalgoE8EjNS0_10empty_typeEbEEZZNS1_14partition_implILS5_8ELb0ES3_jPKjPS6_PKS6_NS0_5tupleIJPjS6_EEENSE_IJSB_SB_EEENS0_18inequality_wrapperIN6hipcub16HIPCUB_304000_NS8EqualityEEEPlJS6_EEE10hipError_tPvRmT3_T4_T5_T6_T7_T9_mT8_P12ihipStream_tbDpT10_ENKUlT_T0_E_clISt17integral_constantIbLb1EES17_EEDaS12_S13_EUlS12_E_NS1_11comp_targetILNS1_3genE0ELNS1_11target_archE4294967295ELNS1_3gpuE0ELNS1_3repE0EEENS1_30default_config_static_selectorELNS0_4arch9wavefront6targetE1EEEvT1_
    .private_segment_fixed_size: 0
    .sgpr_count:     4
    .sgpr_spill_count: 0
    .symbol:         _ZN7rocprim17ROCPRIM_400000_NS6detail17trampoline_kernelINS0_14default_configENS1_25partition_config_selectorILNS1_17partition_subalgoE8EjNS0_10empty_typeEbEEZZNS1_14partition_implILS5_8ELb0ES3_jPKjPS6_PKS6_NS0_5tupleIJPjS6_EEENSE_IJSB_SB_EEENS0_18inequality_wrapperIN6hipcub16HIPCUB_304000_NS8EqualityEEEPlJS6_EEE10hipError_tPvRmT3_T4_T5_T6_T7_T9_mT8_P12ihipStream_tbDpT10_ENKUlT_T0_E_clISt17integral_constantIbLb1EES17_EEDaS12_S13_EUlS12_E_NS1_11comp_targetILNS1_3genE0ELNS1_11target_archE4294967295ELNS1_3gpuE0ELNS1_3repE0EEENS1_30default_config_static_selectorELNS0_4arch9wavefront6targetE1EEEvT1_.kd
    .uniform_work_group_size: 1
    .uses_dynamic_stack: false
    .vgpr_count:     0
    .vgpr_spill_count: 0
    .wavefront_size: 64
  - .agpr_count:     0
    .args:
      - .offset:         0
        .size:           128
        .value_kind:     by_value
    .group_segment_fixed_size: 0
    .kernarg_segment_align: 8
    .kernarg_segment_size: 128
    .language:       OpenCL C
    .language_version:
      - 2
      - 0
    .max_flat_workgroup_size: 512
    .name:           _ZN7rocprim17ROCPRIM_400000_NS6detail17trampoline_kernelINS0_14default_configENS1_25partition_config_selectorILNS1_17partition_subalgoE8EjNS0_10empty_typeEbEEZZNS1_14partition_implILS5_8ELb0ES3_jPKjPS6_PKS6_NS0_5tupleIJPjS6_EEENSE_IJSB_SB_EEENS0_18inequality_wrapperIN6hipcub16HIPCUB_304000_NS8EqualityEEEPlJS6_EEE10hipError_tPvRmT3_T4_T5_T6_T7_T9_mT8_P12ihipStream_tbDpT10_ENKUlT_T0_E_clISt17integral_constantIbLb1EES17_EEDaS12_S13_EUlS12_E_NS1_11comp_targetILNS1_3genE5ELNS1_11target_archE942ELNS1_3gpuE9ELNS1_3repE0EEENS1_30default_config_static_selectorELNS0_4arch9wavefront6targetE1EEEvT1_
    .private_segment_fixed_size: 0
    .sgpr_count:     4
    .sgpr_spill_count: 0
    .symbol:         _ZN7rocprim17ROCPRIM_400000_NS6detail17trampoline_kernelINS0_14default_configENS1_25partition_config_selectorILNS1_17partition_subalgoE8EjNS0_10empty_typeEbEEZZNS1_14partition_implILS5_8ELb0ES3_jPKjPS6_PKS6_NS0_5tupleIJPjS6_EEENSE_IJSB_SB_EEENS0_18inequality_wrapperIN6hipcub16HIPCUB_304000_NS8EqualityEEEPlJS6_EEE10hipError_tPvRmT3_T4_T5_T6_T7_T9_mT8_P12ihipStream_tbDpT10_ENKUlT_T0_E_clISt17integral_constantIbLb1EES17_EEDaS12_S13_EUlS12_E_NS1_11comp_targetILNS1_3genE5ELNS1_11target_archE942ELNS1_3gpuE9ELNS1_3repE0EEENS1_30default_config_static_selectorELNS0_4arch9wavefront6targetE1EEEvT1_.kd
    .uniform_work_group_size: 1
    .uses_dynamic_stack: false
    .vgpr_count:     0
    .vgpr_spill_count: 0
    .wavefront_size: 64
  - .agpr_count:     0
    .args:
      - .offset:         0
        .size:           128
        .value_kind:     by_value
    .group_segment_fixed_size: 10248
    .kernarg_segment_align: 8
    .kernarg_segment_size: 128
    .language:       OpenCL C
    .language_version:
      - 2
      - 0
    .max_flat_workgroup_size: 256
    .name:           _ZN7rocprim17ROCPRIM_400000_NS6detail17trampoline_kernelINS0_14default_configENS1_25partition_config_selectorILNS1_17partition_subalgoE8EjNS0_10empty_typeEbEEZZNS1_14partition_implILS5_8ELb0ES3_jPKjPS6_PKS6_NS0_5tupleIJPjS6_EEENSE_IJSB_SB_EEENS0_18inequality_wrapperIN6hipcub16HIPCUB_304000_NS8EqualityEEEPlJS6_EEE10hipError_tPvRmT3_T4_T5_T6_T7_T9_mT8_P12ihipStream_tbDpT10_ENKUlT_T0_E_clISt17integral_constantIbLb1EES17_EEDaS12_S13_EUlS12_E_NS1_11comp_targetILNS1_3genE4ELNS1_11target_archE910ELNS1_3gpuE8ELNS1_3repE0EEENS1_30default_config_static_selectorELNS0_4arch9wavefront6targetE1EEEvT1_
    .private_segment_fixed_size: 0
    .sgpr_count:     45
    .sgpr_spill_count: 0
    .symbol:         _ZN7rocprim17ROCPRIM_400000_NS6detail17trampoline_kernelINS0_14default_configENS1_25partition_config_selectorILNS1_17partition_subalgoE8EjNS0_10empty_typeEbEEZZNS1_14partition_implILS5_8ELb0ES3_jPKjPS6_PKS6_NS0_5tupleIJPjS6_EEENSE_IJSB_SB_EEENS0_18inequality_wrapperIN6hipcub16HIPCUB_304000_NS8EqualityEEEPlJS6_EEE10hipError_tPvRmT3_T4_T5_T6_T7_T9_mT8_P12ihipStream_tbDpT10_ENKUlT_T0_E_clISt17integral_constantIbLb1EES17_EEDaS12_S13_EUlS12_E_NS1_11comp_targetILNS1_3genE4ELNS1_11target_archE910ELNS1_3gpuE8ELNS1_3repE0EEENS1_30default_config_static_selectorELNS0_4arch9wavefront6targetE1EEEvT1_.kd
    .uniform_work_group_size: 1
    .uses_dynamic_stack: false
    .vgpr_count:     58
    .vgpr_spill_count: 0
    .wavefront_size: 64
  - .agpr_count:     0
    .args:
      - .offset:         0
        .size:           128
        .value_kind:     by_value
    .group_segment_fixed_size: 0
    .kernarg_segment_align: 8
    .kernarg_segment_size: 128
    .language:       OpenCL C
    .language_version:
      - 2
      - 0
    .max_flat_workgroup_size: 512
    .name:           _ZN7rocprim17ROCPRIM_400000_NS6detail17trampoline_kernelINS0_14default_configENS1_25partition_config_selectorILNS1_17partition_subalgoE8EjNS0_10empty_typeEbEEZZNS1_14partition_implILS5_8ELb0ES3_jPKjPS6_PKS6_NS0_5tupleIJPjS6_EEENSE_IJSB_SB_EEENS0_18inequality_wrapperIN6hipcub16HIPCUB_304000_NS8EqualityEEEPlJS6_EEE10hipError_tPvRmT3_T4_T5_T6_T7_T9_mT8_P12ihipStream_tbDpT10_ENKUlT_T0_E_clISt17integral_constantIbLb1EES17_EEDaS12_S13_EUlS12_E_NS1_11comp_targetILNS1_3genE3ELNS1_11target_archE908ELNS1_3gpuE7ELNS1_3repE0EEENS1_30default_config_static_selectorELNS0_4arch9wavefront6targetE1EEEvT1_
    .private_segment_fixed_size: 0
    .sgpr_count:     4
    .sgpr_spill_count: 0
    .symbol:         _ZN7rocprim17ROCPRIM_400000_NS6detail17trampoline_kernelINS0_14default_configENS1_25partition_config_selectorILNS1_17partition_subalgoE8EjNS0_10empty_typeEbEEZZNS1_14partition_implILS5_8ELb0ES3_jPKjPS6_PKS6_NS0_5tupleIJPjS6_EEENSE_IJSB_SB_EEENS0_18inequality_wrapperIN6hipcub16HIPCUB_304000_NS8EqualityEEEPlJS6_EEE10hipError_tPvRmT3_T4_T5_T6_T7_T9_mT8_P12ihipStream_tbDpT10_ENKUlT_T0_E_clISt17integral_constantIbLb1EES17_EEDaS12_S13_EUlS12_E_NS1_11comp_targetILNS1_3genE3ELNS1_11target_archE908ELNS1_3gpuE7ELNS1_3repE0EEENS1_30default_config_static_selectorELNS0_4arch9wavefront6targetE1EEEvT1_.kd
    .uniform_work_group_size: 1
    .uses_dynamic_stack: false
    .vgpr_count:     0
    .vgpr_spill_count: 0
    .wavefront_size: 64
  - .agpr_count:     0
    .args:
      - .offset:         0
        .size:           128
        .value_kind:     by_value
    .group_segment_fixed_size: 0
    .kernarg_segment_align: 8
    .kernarg_segment_size: 128
    .language:       OpenCL C
    .language_version:
      - 2
      - 0
    .max_flat_workgroup_size: 256
    .name:           _ZN7rocprim17ROCPRIM_400000_NS6detail17trampoline_kernelINS0_14default_configENS1_25partition_config_selectorILNS1_17partition_subalgoE8EjNS0_10empty_typeEbEEZZNS1_14partition_implILS5_8ELb0ES3_jPKjPS6_PKS6_NS0_5tupleIJPjS6_EEENSE_IJSB_SB_EEENS0_18inequality_wrapperIN6hipcub16HIPCUB_304000_NS8EqualityEEEPlJS6_EEE10hipError_tPvRmT3_T4_T5_T6_T7_T9_mT8_P12ihipStream_tbDpT10_ENKUlT_T0_E_clISt17integral_constantIbLb1EES17_EEDaS12_S13_EUlS12_E_NS1_11comp_targetILNS1_3genE2ELNS1_11target_archE906ELNS1_3gpuE6ELNS1_3repE0EEENS1_30default_config_static_selectorELNS0_4arch9wavefront6targetE1EEEvT1_
    .private_segment_fixed_size: 0
    .sgpr_count:     4
    .sgpr_spill_count: 0
    .symbol:         _ZN7rocprim17ROCPRIM_400000_NS6detail17trampoline_kernelINS0_14default_configENS1_25partition_config_selectorILNS1_17partition_subalgoE8EjNS0_10empty_typeEbEEZZNS1_14partition_implILS5_8ELb0ES3_jPKjPS6_PKS6_NS0_5tupleIJPjS6_EEENSE_IJSB_SB_EEENS0_18inequality_wrapperIN6hipcub16HIPCUB_304000_NS8EqualityEEEPlJS6_EEE10hipError_tPvRmT3_T4_T5_T6_T7_T9_mT8_P12ihipStream_tbDpT10_ENKUlT_T0_E_clISt17integral_constantIbLb1EES17_EEDaS12_S13_EUlS12_E_NS1_11comp_targetILNS1_3genE2ELNS1_11target_archE906ELNS1_3gpuE6ELNS1_3repE0EEENS1_30default_config_static_selectorELNS0_4arch9wavefront6targetE1EEEvT1_.kd
    .uniform_work_group_size: 1
    .uses_dynamic_stack: false
    .vgpr_count:     0
    .vgpr_spill_count: 0
    .wavefront_size: 64
  - .agpr_count:     0
    .args:
      - .offset:         0
        .size:           128
        .value_kind:     by_value
    .group_segment_fixed_size: 0
    .kernarg_segment_align: 8
    .kernarg_segment_size: 128
    .language:       OpenCL C
    .language_version:
      - 2
      - 0
    .max_flat_workgroup_size: 384
    .name:           _ZN7rocprim17ROCPRIM_400000_NS6detail17trampoline_kernelINS0_14default_configENS1_25partition_config_selectorILNS1_17partition_subalgoE8EjNS0_10empty_typeEbEEZZNS1_14partition_implILS5_8ELb0ES3_jPKjPS6_PKS6_NS0_5tupleIJPjS6_EEENSE_IJSB_SB_EEENS0_18inequality_wrapperIN6hipcub16HIPCUB_304000_NS8EqualityEEEPlJS6_EEE10hipError_tPvRmT3_T4_T5_T6_T7_T9_mT8_P12ihipStream_tbDpT10_ENKUlT_T0_E_clISt17integral_constantIbLb1EES17_EEDaS12_S13_EUlS12_E_NS1_11comp_targetILNS1_3genE10ELNS1_11target_archE1200ELNS1_3gpuE4ELNS1_3repE0EEENS1_30default_config_static_selectorELNS0_4arch9wavefront6targetE1EEEvT1_
    .private_segment_fixed_size: 0
    .sgpr_count:     4
    .sgpr_spill_count: 0
    .symbol:         _ZN7rocprim17ROCPRIM_400000_NS6detail17trampoline_kernelINS0_14default_configENS1_25partition_config_selectorILNS1_17partition_subalgoE8EjNS0_10empty_typeEbEEZZNS1_14partition_implILS5_8ELb0ES3_jPKjPS6_PKS6_NS0_5tupleIJPjS6_EEENSE_IJSB_SB_EEENS0_18inequality_wrapperIN6hipcub16HIPCUB_304000_NS8EqualityEEEPlJS6_EEE10hipError_tPvRmT3_T4_T5_T6_T7_T9_mT8_P12ihipStream_tbDpT10_ENKUlT_T0_E_clISt17integral_constantIbLb1EES17_EEDaS12_S13_EUlS12_E_NS1_11comp_targetILNS1_3genE10ELNS1_11target_archE1200ELNS1_3gpuE4ELNS1_3repE0EEENS1_30default_config_static_selectorELNS0_4arch9wavefront6targetE1EEEvT1_.kd
    .uniform_work_group_size: 1
    .uses_dynamic_stack: false
    .vgpr_count:     0
    .vgpr_spill_count: 0
    .wavefront_size: 64
  - .agpr_count:     0
    .args:
      - .offset:         0
        .size:           128
        .value_kind:     by_value
    .group_segment_fixed_size: 0
    .kernarg_segment_align: 8
    .kernarg_segment_size: 128
    .language:       OpenCL C
    .language_version:
      - 2
      - 0
    .max_flat_workgroup_size: 384
    .name:           _ZN7rocprim17ROCPRIM_400000_NS6detail17trampoline_kernelINS0_14default_configENS1_25partition_config_selectorILNS1_17partition_subalgoE8EjNS0_10empty_typeEbEEZZNS1_14partition_implILS5_8ELb0ES3_jPKjPS6_PKS6_NS0_5tupleIJPjS6_EEENSE_IJSB_SB_EEENS0_18inequality_wrapperIN6hipcub16HIPCUB_304000_NS8EqualityEEEPlJS6_EEE10hipError_tPvRmT3_T4_T5_T6_T7_T9_mT8_P12ihipStream_tbDpT10_ENKUlT_T0_E_clISt17integral_constantIbLb1EES17_EEDaS12_S13_EUlS12_E_NS1_11comp_targetILNS1_3genE9ELNS1_11target_archE1100ELNS1_3gpuE3ELNS1_3repE0EEENS1_30default_config_static_selectorELNS0_4arch9wavefront6targetE1EEEvT1_
    .private_segment_fixed_size: 0
    .sgpr_count:     4
    .sgpr_spill_count: 0
    .symbol:         _ZN7rocprim17ROCPRIM_400000_NS6detail17trampoline_kernelINS0_14default_configENS1_25partition_config_selectorILNS1_17partition_subalgoE8EjNS0_10empty_typeEbEEZZNS1_14partition_implILS5_8ELb0ES3_jPKjPS6_PKS6_NS0_5tupleIJPjS6_EEENSE_IJSB_SB_EEENS0_18inequality_wrapperIN6hipcub16HIPCUB_304000_NS8EqualityEEEPlJS6_EEE10hipError_tPvRmT3_T4_T5_T6_T7_T9_mT8_P12ihipStream_tbDpT10_ENKUlT_T0_E_clISt17integral_constantIbLb1EES17_EEDaS12_S13_EUlS12_E_NS1_11comp_targetILNS1_3genE9ELNS1_11target_archE1100ELNS1_3gpuE3ELNS1_3repE0EEENS1_30default_config_static_selectorELNS0_4arch9wavefront6targetE1EEEvT1_.kd
    .uniform_work_group_size: 1
    .uses_dynamic_stack: false
    .vgpr_count:     0
    .vgpr_spill_count: 0
    .wavefront_size: 64
  - .agpr_count:     0
    .args:
      - .offset:         0
        .size:           128
        .value_kind:     by_value
    .group_segment_fixed_size: 0
    .kernarg_segment_align: 8
    .kernarg_segment_size: 128
    .language:       OpenCL C
    .language_version:
      - 2
      - 0
    .max_flat_workgroup_size: 512
    .name:           _ZN7rocprim17ROCPRIM_400000_NS6detail17trampoline_kernelINS0_14default_configENS1_25partition_config_selectorILNS1_17partition_subalgoE8EjNS0_10empty_typeEbEEZZNS1_14partition_implILS5_8ELb0ES3_jPKjPS6_PKS6_NS0_5tupleIJPjS6_EEENSE_IJSB_SB_EEENS0_18inequality_wrapperIN6hipcub16HIPCUB_304000_NS8EqualityEEEPlJS6_EEE10hipError_tPvRmT3_T4_T5_T6_T7_T9_mT8_P12ihipStream_tbDpT10_ENKUlT_T0_E_clISt17integral_constantIbLb1EES17_EEDaS12_S13_EUlS12_E_NS1_11comp_targetILNS1_3genE8ELNS1_11target_archE1030ELNS1_3gpuE2ELNS1_3repE0EEENS1_30default_config_static_selectorELNS0_4arch9wavefront6targetE1EEEvT1_
    .private_segment_fixed_size: 0
    .sgpr_count:     4
    .sgpr_spill_count: 0
    .symbol:         _ZN7rocprim17ROCPRIM_400000_NS6detail17trampoline_kernelINS0_14default_configENS1_25partition_config_selectorILNS1_17partition_subalgoE8EjNS0_10empty_typeEbEEZZNS1_14partition_implILS5_8ELb0ES3_jPKjPS6_PKS6_NS0_5tupleIJPjS6_EEENSE_IJSB_SB_EEENS0_18inequality_wrapperIN6hipcub16HIPCUB_304000_NS8EqualityEEEPlJS6_EEE10hipError_tPvRmT3_T4_T5_T6_T7_T9_mT8_P12ihipStream_tbDpT10_ENKUlT_T0_E_clISt17integral_constantIbLb1EES17_EEDaS12_S13_EUlS12_E_NS1_11comp_targetILNS1_3genE8ELNS1_11target_archE1030ELNS1_3gpuE2ELNS1_3repE0EEENS1_30default_config_static_selectorELNS0_4arch9wavefront6targetE1EEEvT1_.kd
    .uniform_work_group_size: 1
    .uses_dynamic_stack: false
    .vgpr_count:     0
    .vgpr_spill_count: 0
    .wavefront_size: 64
  - .agpr_count:     0
    .args:
      - .offset:         0
        .size:           112
        .value_kind:     by_value
    .group_segment_fixed_size: 0
    .kernarg_segment_align: 8
    .kernarg_segment_size: 112
    .language:       OpenCL C
    .language_version:
      - 2
      - 0
    .max_flat_workgroup_size: 512
    .name:           _ZN7rocprim17ROCPRIM_400000_NS6detail17trampoline_kernelINS0_14default_configENS1_25partition_config_selectorILNS1_17partition_subalgoE8EjNS0_10empty_typeEbEEZZNS1_14partition_implILS5_8ELb0ES3_jPKjPS6_PKS6_NS0_5tupleIJPjS6_EEENSE_IJSB_SB_EEENS0_18inequality_wrapperIN6hipcub16HIPCUB_304000_NS8EqualityEEEPlJS6_EEE10hipError_tPvRmT3_T4_T5_T6_T7_T9_mT8_P12ihipStream_tbDpT10_ENKUlT_T0_E_clISt17integral_constantIbLb1EES16_IbLb0EEEEDaS12_S13_EUlS12_E_NS1_11comp_targetILNS1_3genE0ELNS1_11target_archE4294967295ELNS1_3gpuE0ELNS1_3repE0EEENS1_30default_config_static_selectorELNS0_4arch9wavefront6targetE1EEEvT1_
    .private_segment_fixed_size: 0
    .sgpr_count:     4
    .sgpr_spill_count: 0
    .symbol:         _ZN7rocprim17ROCPRIM_400000_NS6detail17trampoline_kernelINS0_14default_configENS1_25partition_config_selectorILNS1_17partition_subalgoE8EjNS0_10empty_typeEbEEZZNS1_14partition_implILS5_8ELb0ES3_jPKjPS6_PKS6_NS0_5tupleIJPjS6_EEENSE_IJSB_SB_EEENS0_18inequality_wrapperIN6hipcub16HIPCUB_304000_NS8EqualityEEEPlJS6_EEE10hipError_tPvRmT3_T4_T5_T6_T7_T9_mT8_P12ihipStream_tbDpT10_ENKUlT_T0_E_clISt17integral_constantIbLb1EES16_IbLb0EEEEDaS12_S13_EUlS12_E_NS1_11comp_targetILNS1_3genE0ELNS1_11target_archE4294967295ELNS1_3gpuE0ELNS1_3repE0EEENS1_30default_config_static_selectorELNS0_4arch9wavefront6targetE1EEEvT1_.kd
    .uniform_work_group_size: 1
    .uses_dynamic_stack: false
    .vgpr_count:     0
    .vgpr_spill_count: 0
    .wavefront_size: 64
  - .agpr_count:     0
    .args:
      - .offset:         0
        .size:           112
        .value_kind:     by_value
    .group_segment_fixed_size: 0
    .kernarg_segment_align: 8
    .kernarg_segment_size: 112
    .language:       OpenCL C
    .language_version:
      - 2
      - 0
    .max_flat_workgroup_size: 512
    .name:           _ZN7rocprim17ROCPRIM_400000_NS6detail17trampoline_kernelINS0_14default_configENS1_25partition_config_selectorILNS1_17partition_subalgoE8EjNS0_10empty_typeEbEEZZNS1_14partition_implILS5_8ELb0ES3_jPKjPS6_PKS6_NS0_5tupleIJPjS6_EEENSE_IJSB_SB_EEENS0_18inequality_wrapperIN6hipcub16HIPCUB_304000_NS8EqualityEEEPlJS6_EEE10hipError_tPvRmT3_T4_T5_T6_T7_T9_mT8_P12ihipStream_tbDpT10_ENKUlT_T0_E_clISt17integral_constantIbLb1EES16_IbLb0EEEEDaS12_S13_EUlS12_E_NS1_11comp_targetILNS1_3genE5ELNS1_11target_archE942ELNS1_3gpuE9ELNS1_3repE0EEENS1_30default_config_static_selectorELNS0_4arch9wavefront6targetE1EEEvT1_
    .private_segment_fixed_size: 0
    .sgpr_count:     4
    .sgpr_spill_count: 0
    .symbol:         _ZN7rocprim17ROCPRIM_400000_NS6detail17trampoline_kernelINS0_14default_configENS1_25partition_config_selectorILNS1_17partition_subalgoE8EjNS0_10empty_typeEbEEZZNS1_14partition_implILS5_8ELb0ES3_jPKjPS6_PKS6_NS0_5tupleIJPjS6_EEENSE_IJSB_SB_EEENS0_18inequality_wrapperIN6hipcub16HIPCUB_304000_NS8EqualityEEEPlJS6_EEE10hipError_tPvRmT3_T4_T5_T6_T7_T9_mT8_P12ihipStream_tbDpT10_ENKUlT_T0_E_clISt17integral_constantIbLb1EES16_IbLb0EEEEDaS12_S13_EUlS12_E_NS1_11comp_targetILNS1_3genE5ELNS1_11target_archE942ELNS1_3gpuE9ELNS1_3repE0EEENS1_30default_config_static_selectorELNS0_4arch9wavefront6targetE1EEEvT1_.kd
    .uniform_work_group_size: 1
    .uses_dynamic_stack: false
    .vgpr_count:     0
    .vgpr_spill_count: 0
    .wavefront_size: 64
  - .agpr_count:     0
    .args:
      - .offset:         0
        .size:           112
        .value_kind:     by_value
    .group_segment_fixed_size: 10248
    .kernarg_segment_align: 8
    .kernarg_segment_size: 112
    .language:       OpenCL C
    .language_version:
      - 2
      - 0
    .max_flat_workgroup_size: 256
    .name:           _ZN7rocprim17ROCPRIM_400000_NS6detail17trampoline_kernelINS0_14default_configENS1_25partition_config_selectorILNS1_17partition_subalgoE8EjNS0_10empty_typeEbEEZZNS1_14partition_implILS5_8ELb0ES3_jPKjPS6_PKS6_NS0_5tupleIJPjS6_EEENSE_IJSB_SB_EEENS0_18inequality_wrapperIN6hipcub16HIPCUB_304000_NS8EqualityEEEPlJS6_EEE10hipError_tPvRmT3_T4_T5_T6_T7_T9_mT8_P12ihipStream_tbDpT10_ENKUlT_T0_E_clISt17integral_constantIbLb1EES16_IbLb0EEEEDaS12_S13_EUlS12_E_NS1_11comp_targetILNS1_3genE4ELNS1_11target_archE910ELNS1_3gpuE8ELNS1_3repE0EEENS1_30default_config_static_selectorELNS0_4arch9wavefront6targetE1EEEvT1_
    .private_segment_fixed_size: 0
    .sgpr_count:     44
    .sgpr_spill_count: 0
    .symbol:         _ZN7rocprim17ROCPRIM_400000_NS6detail17trampoline_kernelINS0_14default_configENS1_25partition_config_selectorILNS1_17partition_subalgoE8EjNS0_10empty_typeEbEEZZNS1_14partition_implILS5_8ELb0ES3_jPKjPS6_PKS6_NS0_5tupleIJPjS6_EEENSE_IJSB_SB_EEENS0_18inequality_wrapperIN6hipcub16HIPCUB_304000_NS8EqualityEEEPlJS6_EEE10hipError_tPvRmT3_T4_T5_T6_T7_T9_mT8_P12ihipStream_tbDpT10_ENKUlT_T0_E_clISt17integral_constantIbLb1EES16_IbLb0EEEEDaS12_S13_EUlS12_E_NS1_11comp_targetILNS1_3genE4ELNS1_11target_archE910ELNS1_3gpuE8ELNS1_3repE0EEENS1_30default_config_static_selectorELNS0_4arch9wavefront6targetE1EEEvT1_.kd
    .uniform_work_group_size: 1
    .uses_dynamic_stack: false
    .vgpr_count:     56
    .vgpr_spill_count: 0
    .wavefront_size: 64
  - .agpr_count:     0
    .args:
      - .offset:         0
        .size:           112
        .value_kind:     by_value
    .group_segment_fixed_size: 0
    .kernarg_segment_align: 8
    .kernarg_segment_size: 112
    .language:       OpenCL C
    .language_version:
      - 2
      - 0
    .max_flat_workgroup_size: 512
    .name:           _ZN7rocprim17ROCPRIM_400000_NS6detail17trampoline_kernelINS0_14default_configENS1_25partition_config_selectorILNS1_17partition_subalgoE8EjNS0_10empty_typeEbEEZZNS1_14partition_implILS5_8ELb0ES3_jPKjPS6_PKS6_NS0_5tupleIJPjS6_EEENSE_IJSB_SB_EEENS0_18inequality_wrapperIN6hipcub16HIPCUB_304000_NS8EqualityEEEPlJS6_EEE10hipError_tPvRmT3_T4_T5_T6_T7_T9_mT8_P12ihipStream_tbDpT10_ENKUlT_T0_E_clISt17integral_constantIbLb1EES16_IbLb0EEEEDaS12_S13_EUlS12_E_NS1_11comp_targetILNS1_3genE3ELNS1_11target_archE908ELNS1_3gpuE7ELNS1_3repE0EEENS1_30default_config_static_selectorELNS0_4arch9wavefront6targetE1EEEvT1_
    .private_segment_fixed_size: 0
    .sgpr_count:     4
    .sgpr_spill_count: 0
    .symbol:         _ZN7rocprim17ROCPRIM_400000_NS6detail17trampoline_kernelINS0_14default_configENS1_25partition_config_selectorILNS1_17partition_subalgoE8EjNS0_10empty_typeEbEEZZNS1_14partition_implILS5_8ELb0ES3_jPKjPS6_PKS6_NS0_5tupleIJPjS6_EEENSE_IJSB_SB_EEENS0_18inequality_wrapperIN6hipcub16HIPCUB_304000_NS8EqualityEEEPlJS6_EEE10hipError_tPvRmT3_T4_T5_T6_T7_T9_mT8_P12ihipStream_tbDpT10_ENKUlT_T0_E_clISt17integral_constantIbLb1EES16_IbLb0EEEEDaS12_S13_EUlS12_E_NS1_11comp_targetILNS1_3genE3ELNS1_11target_archE908ELNS1_3gpuE7ELNS1_3repE0EEENS1_30default_config_static_selectorELNS0_4arch9wavefront6targetE1EEEvT1_.kd
    .uniform_work_group_size: 1
    .uses_dynamic_stack: false
    .vgpr_count:     0
    .vgpr_spill_count: 0
    .wavefront_size: 64
  - .agpr_count:     0
    .args:
      - .offset:         0
        .size:           112
        .value_kind:     by_value
    .group_segment_fixed_size: 0
    .kernarg_segment_align: 8
    .kernarg_segment_size: 112
    .language:       OpenCL C
    .language_version:
      - 2
      - 0
    .max_flat_workgroup_size: 256
    .name:           _ZN7rocprim17ROCPRIM_400000_NS6detail17trampoline_kernelINS0_14default_configENS1_25partition_config_selectorILNS1_17partition_subalgoE8EjNS0_10empty_typeEbEEZZNS1_14partition_implILS5_8ELb0ES3_jPKjPS6_PKS6_NS0_5tupleIJPjS6_EEENSE_IJSB_SB_EEENS0_18inequality_wrapperIN6hipcub16HIPCUB_304000_NS8EqualityEEEPlJS6_EEE10hipError_tPvRmT3_T4_T5_T6_T7_T9_mT8_P12ihipStream_tbDpT10_ENKUlT_T0_E_clISt17integral_constantIbLb1EES16_IbLb0EEEEDaS12_S13_EUlS12_E_NS1_11comp_targetILNS1_3genE2ELNS1_11target_archE906ELNS1_3gpuE6ELNS1_3repE0EEENS1_30default_config_static_selectorELNS0_4arch9wavefront6targetE1EEEvT1_
    .private_segment_fixed_size: 0
    .sgpr_count:     4
    .sgpr_spill_count: 0
    .symbol:         _ZN7rocprim17ROCPRIM_400000_NS6detail17trampoline_kernelINS0_14default_configENS1_25partition_config_selectorILNS1_17partition_subalgoE8EjNS0_10empty_typeEbEEZZNS1_14partition_implILS5_8ELb0ES3_jPKjPS6_PKS6_NS0_5tupleIJPjS6_EEENSE_IJSB_SB_EEENS0_18inequality_wrapperIN6hipcub16HIPCUB_304000_NS8EqualityEEEPlJS6_EEE10hipError_tPvRmT3_T4_T5_T6_T7_T9_mT8_P12ihipStream_tbDpT10_ENKUlT_T0_E_clISt17integral_constantIbLb1EES16_IbLb0EEEEDaS12_S13_EUlS12_E_NS1_11comp_targetILNS1_3genE2ELNS1_11target_archE906ELNS1_3gpuE6ELNS1_3repE0EEENS1_30default_config_static_selectorELNS0_4arch9wavefront6targetE1EEEvT1_.kd
    .uniform_work_group_size: 1
    .uses_dynamic_stack: false
    .vgpr_count:     0
    .vgpr_spill_count: 0
    .wavefront_size: 64
  - .agpr_count:     0
    .args:
      - .offset:         0
        .size:           112
        .value_kind:     by_value
    .group_segment_fixed_size: 0
    .kernarg_segment_align: 8
    .kernarg_segment_size: 112
    .language:       OpenCL C
    .language_version:
      - 2
      - 0
    .max_flat_workgroup_size: 384
    .name:           _ZN7rocprim17ROCPRIM_400000_NS6detail17trampoline_kernelINS0_14default_configENS1_25partition_config_selectorILNS1_17partition_subalgoE8EjNS0_10empty_typeEbEEZZNS1_14partition_implILS5_8ELb0ES3_jPKjPS6_PKS6_NS0_5tupleIJPjS6_EEENSE_IJSB_SB_EEENS0_18inequality_wrapperIN6hipcub16HIPCUB_304000_NS8EqualityEEEPlJS6_EEE10hipError_tPvRmT3_T4_T5_T6_T7_T9_mT8_P12ihipStream_tbDpT10_ENKUlT_T0_E_clISt17integral_constantIbLb1EES16_IbLb0EEEEDaS12_S13_EUlS12_E_NS1_11comp_targetILNS1_3genE10ELNS1_11target_archE1200ELNS1_3gpuE4ELNS1_3repE0EEENS1_30default_config_static_selectorELNS0_4arch9wavefront6targetE1EEEvT1_
    .private_segment_fixed_size: 0
    .sgpr_count:     4
    .sgpr_spill_count: 0
    .symbol:         _ZN7rocprim17ROCPRIM_400000_NS6detail17trampoline_kernelINS0_14default_configENS1_25partition_config_selectorILNS1_17partition_subalgoE8EjNS0_10empty_typeEbEEZZNS1_14partition_implILS5_8ELb0ES3_jPKjPS6_PKS6_NS0_5tupleIJPjS6_EEENSE_IJSB_SB_EEENS0_18inequality_wrapperIN6hipcub16HIPCUB_304000_NS8EqualityEEEPlJS6_EEE10hipError_tPvRmT3_T4_T5_T6_T7_T9_mT8_P12ihipStream_tbDpT10_ENKUlT_T0_E_clISt17integral_constantIbLb1EES16_IbLb0EEEEDaS12_S13_EUlS12_E_NS1_11comp_targetILNS1_3genE10ELNS1_11target_archE1200ELNS1_3gpuE4ELNS1_3repE0EEENS1_30default_config_static_selectorELNS0_4arch9wavefront6targetE1EEEvT1_.kd
    .uniform_work_group_size: 1
    .uses_dynamic_stack: false
    .vgpr_count:     0
    .vgpr_spill_count: 0
    .wavefront_size: 64
  - .agpr_count:     0
    .args:
      - .offset:         0
        .size:           112
        .value_kind:     by_value
    .group_segment_fixed_size: 0
    .kernarg_segment_align: 8
    .kernarg_segment_size: 112
    .language:       OpenCL C
    .language_version:
      - 2
      - 0
    .max_flat_workgroup_size: 384
    .name:           _ZN7rocprim17ROCPRIM_400000_NS6detail17trampoline_kernelINS0_14default_configENS1_25partition_config_selectorILNS1_17partition_subalgoE8EjNS0_10empty_typeEbEEZZNS1_14partition_implILS5_8ELb0ES3_jPKjPS6_PKS6_NS0_5tupleIJPjS6_EEENSE_IJSB_SB_EEENS0_18inequality_wrapperIN6hipcub16HIPCUB_304000_NS8EqualityEEEPlJS6_EEE10hipError_tPvRmT3_T4_T5_T6_T7_T9_mT8_P12ihipStream_tbDpT10_ENKUlT_T0_E_clISt17integral_constantIbLb1EES16_IbLb0EEEEDaS12_S13_EUlS12_E_NS1_11comp_targetILNS1_3genE9ELNS1_11target_archE1100ELNS1_3gpuE3ELNS1_3repE0EEENS1_30default_config_static_selectorELNS0_4arch9wavefront6targetE1EEEvT1_
    .private_segment_fixed_size: 0
    .sgpr_count:     4
    .sgpr_spill_count: 0
    .symbol:         _ZN7rocprim17ROCPRIM_400000_NS6detail17trampoline_kernelINS0_14default_configENS1_25partition_config_selectorILNS1_17partition_subalgoE8EjNS0_10empty_typeEbEEZZNS1_14partition_implILS5_8ELb0ES3_jPKjPS6_PKS6_NS0_5tupleIJPjS6_EEENSE_IJSB_SB_EEENS0_18inequality_wrapperIN6hipcub16HIPCUB_304000_NS8EqualityEEEPlJS6_EEE10hipError_tPvRmT3_T4_T5_T6_T7_T9_mT8_P12ihipStream_tbDpT10_ENKUlT_T0_E_clISt17integral_constantIbLb1EES16_IbLb0EEEEDaS12_S13_EUlS12_E_NS1_11comp_targetILNS1_3genE9ELNS1_11target_archE1100ELNS1_3gpuE3ELNS1_3repE0EEENS1_30default_config_static_selectorELNS0_4arch9wavefront6targetE1EEEvT1_.kd
    .uniform_work_group_size: 1
    .uses_dynamic_stack: false
    .vgpr_count:     0
    .vgpr_spill_count: 0
    .wavefront_size: 64
  - .agpr_count:     0
    .args:
      - .offset:         0
        .size:           112
        .value_kind:     by_value
    .group_segment_fixed_size: 0
    .kernarg_segment_align: 8
    .kernarg_segment_size: 112
    .language:       OpenCL C
    .language_version:
      - 2
      - 0
    .max_flat_workgroup_size: 512
    .name:           _ZN7rocprim17ROCPRIM_400000_NS6detail17trampoline_kernelINS0_14default_configENS1_25partition_config_selectorILNS1_17partition_subalgoE8EjNS0_10empty_typeEbEEZZNS1_14partition_implILS5_8ELb0ES3_jPKjPS6_PKS6_NS0_5tupleIJPjS6_EEENSE_IJSB_SB_EEENS0_18inequality_wrapperIN6hipcub16HIPCUB_304000_NS8EqualityEEEPlJS6_EEE10hipError_tPvRmT3_T4_T5_T6_T7_T9_mT8_P12ihipStream_tbDpT10_ENKUlT_T0_E_clISt17integral_constantIbLb1EES16_IbLb0EEEEDaS12_S13_EUlS12_E_NS1_11comp_targetILNS1_3genE8ELNS1_11target_archE1030ELNS1_3gpuE2ELNS1_3repE0EEENS1_30default_config_static_selectorELNS0_4arch9wavefront6targetE1EEEvT1_
    .private_segment_fixed_size: 0
    .sgpr_count:     4
    .sgpr_spill_count: 0
    .symbol:         _ZN7rocprim17ROCPRIM_400000_NS6detail17trampoline_kernelINS0_14default_configENS1_25partition_config_selectorILNS1_17partition_subalgoE8EjNS0_10empty_typeEbEEZZNS1_14partition_implILS5_8ELb0ES3_jPKjPS6_PKS6_NS0_5tupleIJPjS6_EEENSE_IJSB_SB_EEENS0_18inequality_wrapperIN6hipcub16HIPCUB_304000_NS8EqualityEEEPlJS6_EEE10hipError_tPvRmT3_T4_T5_T6_T7_T9_mT8_P12ihipStream_tbDpT10_ENKUlT_T0_E_clISt17integral_constantIbLb1EES16_IbLb0EEEEDaS12_S13_EUlS12_E_NS1_11comp_targetILNS1_3genE8ELNS1_11target_archE1030ELNS1_3gpuE2ELNS1_3repE0EEENS1_30default_config_static_selectorELNS0_4arch9wavefront6targetE1EEEvT1_.kd
    .uniform_work_group_size: 1
    .uses_dynamic_stack: false
    .vgpr_count:     0
    .vgpr_spill_count: 0
    .wavefront_size: 64
  - .agpr_count:     0
    .args:
      - .offset:         0
        .size:           128
        .value_kind:     by_value
    .group_segment_fixed_size: 0
    .kernarg_segment_align: 8
    .kernarg_segment_size: 128
    .language:       OpenCL C
    .language_version:
      - 2
      - 0
    .max_flat_workgroup_size: 512
    .name:           _ZN7rocprim17ROCPRIM_400000_NS6detail17trampoline_kernelINS0_14default_configENS1_25partition_config_selectorILNS1_17partition_subalgoE8EjNS0_10empty_typeEbEEZZNS1_14partition_implILS5_8ELb0ES3_jPKjPS6_PKS6_NS0_5tupleIJPjS6_EEENSE_IJSB_SB_EEENS0_18inequality_wrapperIN6hipcub16HIPCUB_304000_NS8EqualityEEEPlJS6_EEE10hipError_tPvRmT3_T4_T5_T6_T7_T9_mT8_P12ihipStream_tbDpT10_ENKUlT_T0_E_clISt17integral_constantIbLb0EES16_IbLb1EEEEDaS12_S13_EUlS12_E_NS1_11comp_targetILNS1_3genE0ELNS1_11target_archE4294967295ELNS1_3gpuE0ELNS1_3repE0EEENS1_30default_config_static_selectorELNS0_4arch9wavefront6targetE1EEEvT1_
    .private_segment_fixed_size: 0
    .sgpr_count:     4
    .sgpr_spill_count: 0
    .symbol:         _ZN7rocprim17ROCPRIM_400000_NS6detail17trampoline_kernelINS0_14default_configENS1_25partition_config_selectorILNS1_17partition_subalgoE8EjNS0_10empty_typeEbEEZZNS1_14partition_implILS5_8ELb0ES3_jPKjPS6_PKS6_NS0_5tupleIJPjS6_EEENSE_IJSB_SB_EEENS0_18inequality_wrapperIN6hipcub16HIPCUB_304000_NS8EqualityEEEPlJS6_EEE10hipError_tPvRmT3_T4_T5_T6_T7_T9_mT8_P12ihipStream_tbDpT10_ENKUlT_T0_E_clISt17integral_constantIbLb0EES16_IbLb1EEEEDaS12_S13_EUlS12_E_NS1_11comp_targetILNS1_3genE0ELNS1_11target_archE4294967295ELNS1_3gpuE0ELNS1_3repE0EEENS1_30default_config_static_selectorELNS0_4arch9wavefront6targetE1EEEvT1_.kd
    .uniform_work_group_size: 1
    .uses_dynamic_stack: false
    .vgpr_count:     0
    .vgpr_spill_count: 0
    .wavefront_size: 64
  - .agpr_count:     0
    .args:
      - .offset:         0
        .size:           128
        .value_kind:     by_value
    .group_segment_fixed_size: 0
    .kernarg_segment_align: 8
    .kernarg_segment_size: 128
    .language:       OpenCL C
    .language_version:
      - 2
      - 0
    .max_flat_workgroup_size: 512
    .name:           _ZN7rocprim17ROCPRIM_400000_NS6detail17trampoline_kernelINS0_14default_configENS1_25partition_config_selectorILNS1_17partition_subalgoE8EjNS0_10empty_typeEbEEZZNS1_14partition_implILS5_8ELb0ES3_jPKjPS6_PKS6_NS0_5tupleIJPjS6_EEENSE_IJSB_SB_EEENS0_18inequality_wrapperIN6hipcub16HIPCUB_304000_NS8EqualityEEEPlJS6_EEE10hipError_tPvRmT3_T4_T5_T6_T7_T9_mT8_P12ihipStream_tbDpT10_ENKUlT_T0_E_clISt17integral_constantIbLb0EES16_IbLb1EEEEDaS12_S13_EUlS12_E_NS1_11comp_targetILNS1_3genE5ELNS1_11target_archE942ELNS1_3gpuE9ELNS1_3repE0EEENS1_30default_config_static_selectorELNS0_4arch9wavefront6targetE1EEEvT1_
    .private_segment_fixed_size: 0
    .sgpr_count:     4
    .sgpr_spill_count: 0
    .symbol:         _ZN7rocprim17ROCPRIM_400000_NS6detail17trampoline_kernelINS0_14default_configENS1_25partition_config_selectorILNS1_17partition_subalgoE8EjNS0_10empty_typeEbEEZZNS1_14partition_implILS5_8ELb0ES3_jPKjPS6_PKS6_NS0_5tupleIJPjS6_EEENSE_IJSB_SB_EEENS0_18inequality_wrapperIN6hipcub16HIPCUB_304000_NS8EqualityEEEPlJS6_EEE10hipError_tPvRmT3_T4_T5_T6_T7_T9_mT8_P12ihipStream_tbDpT10_ENKUlT_T0_E_clISt17integral_constantIbLb0EES16_IbLb1EEEEDaS12_S13_EUlS12_E_NS1_11comp_targetILNS1_3genE5ELNS1_11target_archE942ELNS1_3gpuE9ELNS1_3repE0EEENS1_30default_config_static_selectorELNS0_4arch9wavefront6targetE1EEEvT1_.kd
    .uniform_work_group_size: 1
    .uses_dynamic_stack: false
    .vgpr_count:     0
    .vgpr_spill_count: 0
    .wavefront_size: 64
  - .agpr_count:     0
    .args:
      - .offset:         0
        .size:           128
        .value_kind:     by_value
    .group_segment_fixed_size: 10248
    .kernarg_segment_align: 8
    .kernarg_segment_size: 128
    .language:       OpenCL C
    .language_version:
      - 2
      - 0
    .max_flat_workgroup_size: 256
    .name:           _ZN7rocprim17ROCPRIM_400000_NS6detail17trampoline_kernelINS0_14default_configENS1_25partition_config_selectorILNS1_17partition_subalgoE8EjNS0_10empty_typeEbEEZZNS1_14partition_implILS5_8ELb0ES3_jPKjPS6_PKS6_NS0_5tupleIJPjS6_EEENSE_IJSB_SB_EEENS0_18inequality_wrapperIN6hipcub16HIPCUB_304000_NS8EqualityEEEPlJS6_EEE10hipError_tPvRmT3_T4_T5_T6_T7_T9_mT8_P12ihipStream_tbDpT10_ENKUlT_T0_E_clISt17integral_constantIbLb0EES16_IbLb1EEEEDaS12_S13_EUlS12_E_NS1_11comp_targetILNS1_3genE4ELNS1_11target_archE910ELNS1_3gpuE8ELNS1_3repE0EEENS1_30default_config_static_selectorELNS0_4arch9wavefront6targetE1EEEvT1_
    .private_segment_fixed_size: 0
    .sgpr_count:     45
    .sgpr_spill_count: 0
    .symbol:         _ZN7rocprim17ROCPRIM_400000_NS6detail17trampoline_kernelINS0_14default_configENS1_25partition_config_selectorILNS1_17partition_subalgoE8EjNS0_10empty_typeEbEEZZNS1_14partition_implILS5_8ELb0ES3_jPKjPS6_PKS6_NS0_5tupleIJPjS6_EEENSE_IJSB_SB_EEENS0_18inequality_wrapperIN6hipcub16HIPCUB_304000_NS8EqualityEEEPlJS6_EEE10hipError_tPvRmT3_T4_T5_T6_T7_T9_mT8_P12ihipStream_tbDpT10_ENKUlT_T0_E_clISt17integral_constantIbLb0EES16_IbLb1EEEEDaS12_S13_EUlS12_E_NS1_11comp_targetILNS1_3genE4ELNS1_11target_archE910ELNS1_3gpuE8ELNS1_3repE0EEENS1_30default_config_static_selectorELNS0_4arch9wavefront6targetE1EEEvT1_.kd
    .uniform_work_group_size: 1
    .uses_dynamic_stack: false
    .vgpr_count:     58
    .vgpr_spill_count: 0
    .wavefront_size: 64
  - .agpr_count:     0
    .args:
      - .offset:         0
        .size:           128
        .value_kind:     by_value
    .group_segment_fixed_size: 0
    .kernarg_segment_align: 8
    .kernarg_segment_size: 128
    .language:       OpenCL C
    .language_version:
      - 2
      - 0
    .max_flat_workgroup_size: 512
    .name:           _ZN7rocprim17ROCPRIM_400000_NS6detail17trampoline_kernelINS0_14default_configENS1_25partition_config_selectorILNS1_17partition_subalgoE8EjNS0_10empty_typeEbEEZZNS1_14partition_implILS5_8ELb0ES3_jPKjPS6_PKS6_NS0_5tupleIJPjS6_EEENSE_IJSB_SB_EEENS0_18inequality_wrapperIN6hipcub16HIPCUB_304000_NS8EqualityEEEPlJS6_EEE10hipError_tPvRmT3_T4_T5_T6_T7_T9_mT8_P12ihipStream_tbDpT10_ENKUlT_T0_E_clISt17integral_constantIbLb0EES16_IbLb1EEEEDaS12_S13_EUlS12_E_NS1_11comp_targetILNS1_3genE3ELNS1_11target_archE908ELNS1_3gpuE7ELNS1_3repE0EEENS1_30default_config_static_selectorELNS0_4arch9wavefront6targetE1EEEvT1_
    .private_segment_fixed_size: 0
    .sgpr_count:     4
    .sgpr_spill_count: 0
    .symbol:         _ZN7rocprim17ROCPRIM_400000_NS6detail17trampoline_kernelINS0_14default_configENS1_25partition_config_selectorILNS1_17partition_subalgoE8EjNS0_10empty_typeEbEEZZNS1_14partition_implILS5_8ELb0ES3_jPKjPS6_PKS6_NS0_5tupleIJPjS6_EEENSE_IJSB_SB_EEENS0_18inequality_wrapperIN6hipcub16HIPCUB_304000_NS8EqualityEEEPlJS6_EEE10hipError_tPvRmT3_T4_T5_T6_T7_T9_mT8_P12ihipStream_tbDpT10_ENKUlT_T0_E_clISt17integral_constantIbLb0EES16_IbLb1EEEEDaS12_S13_EUlS12_E_NS1_11comp_targetILNS1_3genE3ELNS1_11target_archE908ELNS1_3gpuE7ELNS1_3repE0EEENS1_30default_config_static_selectorELNS0_4arch9wavefront6targetE1EEEvT1_.kd
    .uniform_work_group_size: 1
    .uses_dynamic_stack: false
    .vgpr_count:     0
    .vgpr_spill_count: 0
    .wavefront_size: 64
  - .agpr_count:     0
    .args:
      - .offset:         0
        .size:           128
        .value_kind:     by_value
    .group_segment_fixed_size: 0
    .kernarg_segment_align: 8
    .kernarg_segment_size: 128
    .language:       OpenCL C
    .language_version:
      - 2
      - 0
    .max_flat_workgroup_size: 256
    .name:           _ZN7rocprim17ROCPRIM_400000_NS6detail17trampoline_kernelINS0_14default_configENS1_25partition_config_selectorILNS1_17partition_subalgoE8EjNS0_10empty_typeEbEEZZNS1_14partition_implILS5_8ELb0ES3_jPKjPS6_PKS6_NS0_5tupleIJPjS6_EEENSE_IJSB_SB_EEENS0_18inequality_wrapperIN6hipcub16HIPCUB_304000_NS8EqualityEEEPlJS6_EEE10hipError_tPvRmT3_T4_T5_T6_T7_T9_mT8_P12ihipStream_tbDpT10_ENKUlT_T0_E_clISt17integral_constantIbLb0EES16_IbLb1EEEEDaS12_S13_EUlS12_E_NS1_11comp_targetILNS1_3genE2ELNS1_11target_archE906ELNS1_3gpuE6ELNS1_3repE0EEENS1_30default_config_static_selectorELNS0_4arch9wavefront6targetE1EEEvT1_
    .private_segment_fixed_size: 0
    .sgpr_count:     4
    .sgpr_spill_count: 0
    .symbol:         _ZN7rocprim17ROCPRIM_400000_NS6detail17trampoline_kernelINS0_14default_configENS1_25partition_config_selectorILNS1_17partition_subalgoE8EjNS0_10empty_typeEbEEZZNS1_14partition_implILS5_8ELb0ES3_jPKjPS6_PKS6_NS0_5tupleIJPjS6_EEENSE_IJSB_SB_EEENS0_18inequality_wrapperIN6hipcub16HIPCUB_304000_NS8EqualityEEEPlJS6_EEE10hipError_tPvRmT3_T4_T5_T6_T7_T9_mT8_P12ihipStream_tbDpT10_ENKUlT_T0_E_clISt17integral_constantIbLb0EES16_IbLb1EEEEDaS12_S13_EUlS12_E_NS1_11comp_targetILNS1_3genE2ELNS1_11target_archE906ELNS1_3gpuE6ELNS1_3repE0EEENS1_30default_config_static_selectorELNS0_4arch9wavefront6targetE1EEEvT1_.kd
    .uniform_work_group_size: 1
    .uses_dynamic_stack: false
    .vgpr_count:     0
    .vgpr_spill_count: 0
    .wavefront_size: 64
  - .agpr_count:     0
    .args:
      - .offset:         0
        .size:           128
        .value_kind:     by_value
    .group_segment_fixed_size: 0
    .kernarg_segment_align: 8
    .kernarg_segment_size: 128
    .language:       OpenCL C
    .language_version:
      - 2
      - 0
    .max_flat_workgroup_size: 384
    .name:           _ZN7rocprim17ROCPRIM_400000_NS6detail17trampoline_kernelINS0_14default_configENS1_25partition_config_selectorILNS1_17partition_subalgoE8EjNS0_10empty_typeEbEEZZNS1_14partition_implILS5_8ELb0ES3_jPKjPS6_PKS6_NS0_5tupleIJPjS6_EEENSE_IJSB_SB_EEENS0_18inequality_wrapperIN6hipcub16HIPCUB_304000_NS8EqualityEEEPlJS6_EEE10hipError_tPvRmT3_T4_T5_T6_T7_T9_mT8_P12ihipStream_tbDpT10_ENKUlT_T0_E_clISt17integral_constantIbLb0EES16_IbLb1EEEEDaS12_S13_EUlS12_E_NS1_11comp_targetILNS1_3genE10ELNS1_11target_archE1200ELNS1_3gpuE4ELNS1_3repE0EEENS1_30default_config_static_selectorELNS0_4arch9wavefront6targetE1EEEvT1_
    .private_segment_fixed_size: 0
    .sgpr_count:     4
    .sgpr_spill_count: 0
    .symbol:         _ZN7rocprim17ROCPRIM_400000_NS6detail17trampoline_kernelINS0_14default_configENS1_25partition_config_selectorILNS1_17partition_subalgoE8EjNS0_10empty_typeEbEEZZNS1_14partition_implILS5_8ELb0ES3_jPKjPS6_PKS6_NS0_5tupleIJPjS6_EEENSE_IJSB_SB_EEENS0_18inequality_wrapperIN6hipcub16HIPCUB_304000_NS8EqualityEEEPlJS6_EEE10hipError_tPvRmT3_T4_T5_T6_T7_T9_mT8_P12ihipStream_tbDpT10_ENKUlT_T0_E_clISt17integral_constantIbLb0EES16_IbLb1EEEEDaS12_S13_EUlS12_E_NS1_11comp_targetILNS1_3genE10ELNS1_11target_archE1200ELNS1_3gpuE4ELNS1_3repE0EEENS1_30default_config_static_selectorELNS0_4arch9wavefront6targetE1EEEvT1_.kd
    .uniform_work_group_size: 1
    .uses_dynamic_stack: false
    .vgpr_count:     0
    .vgpr_spill_count: 0
    .wavefront_size: 64
  - .agpr_count:     0
    .args:
      - .offset:         0
        .size:           128
        .value_kind:     by_value
    .group_segment_fixed_size: 0
    .kernarg_segment_align: 8
    .kernarg_segment_size: 128
    .language:       OpenCL C
    .language_version:
      - 2
      - 0
    .max_flat_workgroup_size: 384
    .name:           _ZN7rocprim17ROCPRIM_400000_NS6detail17trampoline_kernelINS0_14default_configENS1_25partition_config_selectorILNS1_17partition_subalgoE8EjNS0_10empty_typeEbEEZZNS1_14partition_implILS5_8ELb0ES3_jPKjPS6_PKS6_NS0_5tupleIJPjS6_EEENSE_IJSB_SB_EEENS0_18inequality_wrapperIN6hipcub16HIPCUB_304000_NS8EqualityEEEPlJS6_EEE10hipError_tPvRmT3_T4_T5_T6_T7_T9_mT8_P12ihipStream_tbDpT10_ENKUlT_T0_E_clISt17integral_constantIbLb0EES16_IbLb1EEEEDaS12_S13_EUlS12_E_NS1_11comp_targetILNS1_3genE9ELNS1_11target_archE1100ELNS1_3gpuE3ELNS1_3repE0EEENS1_30default_config_static_selectorELNS0_4arch9wavefront6targetE1EEEvT1_
    .private_segment_fixed_size: 0
    .sgpr_count:     4
    .sgpr_spill_count: 0
    .symbol:         _ZN7rocprim17ROCPRIM_400000_NS6detail17trampoline_kernelINS0_14default_configENS1_25partition_config_selectorILNS1_17partition_subalgoE8EjNS0_10empty_typeEbEEZZNS1_14partition_implILS5_8ELb0ES3_jPKjPS6_PKS6_NS0_5tupleIJPjS6_EEENSE_IJSB_SB_EEENS0_18inequality_wrapperIN6hipcub16HIPCUB_304000_NS8EqualityEEEPlJS6_EEE10hipError_tPvRmT3_T4_T5_T6_T7_T9_mT8_P12ihipStream_tbDpT10_ENKUlT_T0_E_clISt17integral_constantIbLb0EES16_IbLb1EEEEDaS12_S13_EUlS12_E_NS1_11comp_targetILNS1_3genE9ELNS1_11target_archE1100ELNS1_3gpuE3ELNS1_3repE0EEENS1_30default_config_static_selectorELNS0_4arch9wavefront6targetE1EEEvT1_.kd
    .uniform_work_group_size: 1
    .uses_dynamic_stack: false
    .vgpr_count:     0
    .vgpr_spill_count: 0
    .wavefront_size: 64
  - .agpr_count:     0
    .args:
      - .offset:         0
        .size:           128
        .value_kind:     by_value
    .group_segment_fixed_size: 0
    .kernarg_segment_align: 8
    .kernarg_segment_size: 128
    .language:       OpenCL C
    .language_version:
      - 2
      - 0
    .max_flat_workgroup_size: 512
    .name:           _ZN7rocprim17ROCPRIM_400000_NS6detail17trampoline_kernelINS0_14default_configENS1_25partition_config_selectorILNS1_17partition_subalgoE8EjNS0_10empty_typeEbEEZZNS1_14partition_implILS5_8ELb0ES3_jPKjPS6_PKS6_NS0_5tupleIJPjS6_EEENSE_IJSB_SB_EEENS0_18inequality_wrapperIN6hipcub16HIPCUB_304000_NS8EqualityEEEPlJS6_EEE10hipError_tPvRmT3_T4_T5_T6_T7_T9_mT8_P12ihipStream_tbDpT10_ENKUlT_T0_E_clISt17integral_constantIbLb0EES16_IbLb1EEEEDaS12_S13_EUlS12_E_NS1_11comp_targetILNS1_3genE8ELNS1_11target_archE1030ELNS1_3gpuE2ELNS1_3repE0EEENS1_30default_config_static_selectorELNS0_4arch9wavefront6targetE1EEEvT1_
    .private_segment_fixed_size: 0
    .sgpr_count:     4
    .sgpr_spill_count: 0
    .symbol:         _ZN7rocprim17ROCPRIM_400000_NS6detail17trampoline_kernelINS0_14default_configENS1_25partition_config_selectorILNS1_17partition_subalgoE8EjNS0_10empty_typeEbEEZZNS1_14partition_implILS5_8ELb0ES3_jPKjPS6_PKS6_NS0_5tupleIJPjS6_EEENSE_IJSB_SB_EEENS0_18inequality_wrapperIN6hipcub16HIPCUB_304000_NS8EqualityEEEPlJS6_EEE10hipError_tPvRmT3_T4_T5_T6_T7_T9_mT8_P12ihipStream_tbDpT10_ENKUlT_T0_E_clISt17integral_constantIbLb0EES16_IbLb1EEEEDaS12_S13_EUlS12_E_NS1_11comp_targetILNS1_3genE8ELNS1_11target_archE1030ELNS1_3gpuE2ELNS1_3repE0EEENS1_30default_config_static_selectorELNS0_4arch9wavefront6targetE1EEEvT1_.kd
    .uniform_work_group_size: 1
    .uses_dynamic_stack: false
    .vgpr_count:     0
    .vgpr_spill_count: 0
    .wavefront_size: 64
  - .agpr_count:     0
    .args:
      - .offset:         0
        .size:           128
        .value_kind:     by_value
    .group_segment_fixed_size: 0
    .kernarg_segment_align: 8
    .kernarg_segment_size: 128
    .language:       OpenCL C
    .language_version:
      - 2
      - 0
    .max_flat_workgroup_size: 256
    .name:           _ZN7rocprim17ROCPRIM_400000_NS6detail17trampoline_kernelINS0_14default_configENS1_33run_length_encode_config_selectorIjjNS0_4plusIjEEEEZZNS1_33reduce_by_key_impl_wrapped_configILNS1_25lookback_scan_determinismE0ES3_S7_PKjNS0_17constant_iteratorIjlEEPjPlSF_S6_NS0_8equal_toIjEEEE10hipError_tPvRmT2_T3_mT4_T5_T6_T7_T8_P12ihipStream_tbENKUlT_T0_E_clISt17integral_constantIbLb0EESZ_EEDaSU_SV_EUlSU_E_NS1_11comp_targetILNS1_3genE0ELNS1_11target_archE4294967295ELNS1_3gpuE0ELNS1_3repE0EEENS1_30default_config_static_selectorELNS0_4arch9wavefront6targetE1EEEvT1_
    .private_segment_fixed_size: 0
    .sgpr_count:     4
    .sgpr_spill_count: 0
    .symbol:         _ZN7rocprim17ROCPRIM_400000_NS6detail17trampoline_kernelINS0_14default_configENS1_33run_length_encode_config_selectorIjjNS0_4plusIjEEEEZZNS1_33reduce_by_key_impl_wrapped_configILNS1_25lookback_scan_determinismE0ES3_S7_PKjNS0_17constant_iteratorIjlEEPjPlSF_S6_NS0_8equal_toIjEEEE10hipError_tPvRmT2_T3_mT4_T5_T6_T7_T8_P12ihipStream_tbENKUlT_T0_E_clISt17integral_constantIbLb0EESZ_EEDaSU_SV_EUlSU_E_NS1_11comp_targetILNS1_3genE0ELNS1_11target_archE4294967295ELNS1_3gpuE0ELNS1_3repE0EEENS1_30default_config_static_selectorELNS0_4arch9wavefront6targetE1EEEvT1_.kd
    .uniform_work_group_size: 1
    .uses_dynamic_stack: false
    .vgpr_count:     0
    .vgpr_spill_count: 0
    .wavefront_size: 64
  - .agpr_count:     0
    .args:
      - .offset:         0
        .size:           128
        .value_kind:     by_value
    .group_segment_fixed_size: 0
    .kernarg_segment_align: 8
    .kernarg_segment_size: 128
    .language:       OpenCL C
    .language_version:
      - 2
      - 0
    .max_flat_workgroup_size: 512
    .name:           _ZN7rocprim17ROCPRIM_400000_NS6detail17trampoline_kernelINS0_14default_configENS1_33run_length_encode_config_selectorIjjNS0_4plusIjEEEEZZNS1_33reduce_by_key_impl_wrapped_configILNS1_25lookback_scan_determinismE0ES3_S7_PKjNS0_17constant_iteratorIjlEEPjPlSF_S6_NS0_8equal_toIjEEEE10hipError_tPvRmT2_T3_mT4_T5_T6_T7_T8_P12ihipStream_tbENKUlT_T0_E_clISt17integral_constantIbLb0EESZ_EEDaSU_SV_EUlSU_E_NS1_11comp_targetILNS1_3genE5ELNS1_11target_archE942ELNS1_3gpuE9ELNS1_3repE0EEENS1_30default_config_static_selectorELNS0_4arch9wavefront6targetE1EEEvT1_
    .private_segment_fixed_size: 0
    .sgpr_count:     4
    .sgpr_spill_count: 0
    .symbol:         _ZN7rocprim17ROCPRIM_400000_NS6detail17trampoline_kernelINS0_14default_configENS1_33run_length_encode_config_selectorIjjNS0_4plusIjEEEEZZNS1_33reduce_by_key_impl_wrapped_configILNS1_25lookback_scan_determinismE0ES3_S7_PKjNS0_17constant_iteratorIjlEEPjPlSF_S6_NS0_8equal_toIjEEEE10hipError_tPvRmT2_T3_mT4_T5_T6_T7_T8_P12ihipStream_tbENKUlT_T0_E_clISt17integral_constantIbLb0EESZ_EEDaSU_SV_EUlSU_E_NS1_11comp_targetILNS1_3genE5ELNS1_11target_archE942ELNS1_3gpuE9ELNS1_3repE0EEENS1_30default_config_static_selectorELNS0_4arch9wavefront6targetE1EEEvT1_.kd
    .uniform_work_group_size: 1
    .uses_dynamic_stack: false
    .vgpr_count:     0
    .vgpr_spill_count: 0
    .wavefront_size: 64
  - .agpr_count:     0
    .args:
      - .offset:         0
        .size:           128
        .value_kind:     by_value
    .group_segment_fixed_size: 15360
    .kernarg_segment_align: 8
    .kernarg_segment_size: 128
    .language:       OpenCL C
    .language_version:
      - 2
      - 0
    .max_flat_workgroup_size: 256
    .name:           _ZN7rocprim17ROCPRIM_400000_NS6detail17trampoline_kernelINS0_14default_configENS1_33run_length_encode_config_selectorIjjNS0_4plusIjEEEEZZNS1_33reduce_by_key_impl_wrapped_configILNS1_25lookback_scan_determinismE0ES3_S7_PKjNS0_17constant_iteratorIjlEEPjPlSF_S6_NS0_8equal_toIjEEEE10hipError_tPvRmT2_T3_mT4_T5_T6_T7_T8_P12ihipStream_tbENKUlT_T0_E_clISt17integral_constantIbLb0EESZ_EEDaSU_SV_EUlSU_E_NS1_11comp_targetILNS1_3genE4ELNS1_11target_archE910ELNS1_3gpuE8ELNS1_3repE0EEENS1_30default_config_static_selectorELNS0_4arch9wavefront6targetE1EEEvT1_
    .private_segment_fixed_size: 0
    .sgpr_count:     68
    .sgpr_spill_count: 0
    .symbol:         _ZN7rocprim17ROCPRIM_400000_NS6detail17trampoline_kernelINS0_14default_configENS1_33run_length_encode_config_selectorIjjNS0_4plusIjEEEEZZNS1_33reduce_by_key_impl_wrapped_configILNS1_25lookback_scan_determinismE0ES3_S7_PKjNS0_17constant_iteratorIjlEEPjPlSF_S6_NS0_8equal_toIjEEEE10hipError_tPvRmT2_T3_mT4_T5_T6_T7_T8_P12ihipStream_tbENKUlT_T0_E_clISt17integral_constantIbLb0EESZ_EEDaSU_SV_EUlSU_E_NS1_11comp_targetILNS1_3genE4ELNS1_11target_archE910ELNS1_3gpuE8ELNS1_3repE0EEENS1_30default_config_static_selectorELNS0_4arch9wavefront6targetE1EEEvT1_.kd
    .uniform_work_group_size: 1
    .uses_dynamic_stack: false
    .vgpr_count:     104
    .vgpr_spill_count: 0
    .wavefront_size: 64
  - .agpr_count:     0
    .args:
      - .offset:         0
        .size:           128
        .value_kind:     by_value
    .group_segment_fixed_size: 0
    .kernarg_segment_align: 8
    .kernarg_segment_size: 128
    .language:       OpenCL C
    .language_version:
      - 2
      - 0
    .max_flat_workgroup_size: 256
    .name:           _ZN7rocprim17ROCPRIM_400000_NS6detail17trampoline_kernelINS0_14default_configENS1_33run_length_encode_config_selectorIjjNS0_4plusIjEEEEZZNS1_33reduce_by_key_impl_wrapped_configILNS1_25lookback_scan_determinismE0ES3_S7_PKjNS0_17constant_iteratorIjlEEPjPlSF_S6_NS0_8equal_toIjEEEE10hipError_tPvRmT2_T3_mT4_T5_T6_T7_T8_P12ihipStream_tbENKUlT_T0_E_clISt17integral_constantIbLb0EESZ_EEDaSU_SV_EUlSU_E_NS1_11comp_targetILNS1_3genE3ELNS1_11target_archE908ELNS1_3gpuE7ELNS1_3repE0EEENS1_30default_config_static_selectorELNS0_4arch9wavefront6targetE1EEEvT1_
    .private_segment_fixed_size: 0
    .sgpr_count:     4
    .sgpr_spill_count: 0
    .symbol:         _ZN7rocprim17ROCPRIM_400000_NS6detail17trampoline_kernelINS0_14default_configENS1_33run_length_encode_config_selectorIjjNS0_4plusIjEEEEZZNS1_33reduce_by_key_impl_wrapped_configILNS1_25lookback_scan_determinismE0ES3_S7_PKjNS0_17constant_iteratorIjlEEPjPlSF_S6_NS0_8equal_toIjEEEE10hipError_tPvRmT2_T3_mT4_T5_T6_T7_T8_P12ihipStream_tbENKUlT_T0_E_clISt17integral_constantIbLb0EESZ_EEDaSU_SV_EUlSU_E_NS1_11comp_targetILNS1_3genE3ELNS1_11target_archE908ELNS1_3gpuE7ELNS1_3repE0EEENS1_30default_config_static_selectorELNS0_4arch9wavefront6targetE1EEEvT1_.kd
    .uniform_work_group_size: 1
    .uses_dynamic_stack: false
    .vgpr_count:     0
    .vgpr_spill_count: 0
    .wavefront_size: 64
  - .agpr_count:     0
    .args:
      - .offset:         0
        .size:           128
        .value_kind:     by_value
    .group_segment_fixed_size: 0
    .kernarg_segment_align: 8
    .kernarg_segment_size: 128
    .language:       OpenCL C
    .language_version:
      - 2
      - 0
    .max_flat_workgroup_size: 256
    .name:           _ZN7rocprim17ROCPRIM_400000_NS6detail17trampoline_kernelINS0_14default_configENS1_33run_length_encode_config_selectorIjjNS0_4plusIjEEEEZZNS1_33reduce_by_key_impl_wrapped_configILNS1_25lookback_scan_determinismE0ES3_S7_PKjNS0_17constant_iteratorIjlEEPjPlSF_S6_NS0_8equal_toIjEEEE10hipError_tPvRmT2_T3_mT4_T5_T6_T7_T8_P12ihipStream_tbENKUlT_T0_E_clISt17integral_constantIbLb0EESZ_EEDaSU_SV_EUlSU_E_NS1_11comp_targetILNS1_3genE2ELNS1_11target_archE906ELNS1_3gpuE6ELNS1_3repE0EEENS1_30default_config_static_selectorELNS0_4arch9wavefront6targetE1EEEvT1_
    .private_segment_fixed_size: 0
    .sgpr_count:     4
    .sgpr_spill_count: 0
    .symbol:         _ZN7rocprim17ROCPRIM_400000_NS6detail17trampoline_kernelINS0_14default_configENS1_33run_length_encode_config_selectorIjjNS0_4plusIjEEEEZZNS1_33reduce_by_key_impl_wrapped_configILNS1_25lookback_scan_determinismE0ES3_S7_PKjNS0_17constant_iteratorIjlEEPjPlSF_S6_NS0_8equal_toIjEEEE10hipError_tPvRmT2_T3_mT4_T5_T6_T7_T8_P12ihipStream_tbENKUlT_T0_E_clISt17integral_constantIbLb0EESZ_EEDaSU_SV_EUlSU_E_NS1_11comp_targetILNS1_3genE2ELNS1_11target_archE906ELNS1_3gpuE6ELNS1_3repE0EEENS1_30default_config_static_selectorELNS0_4arch9wavefront6targetE1EEEvT1_.kd
    .uniform_work_group_size: 1
    .uses_dynamic_stack: false
    .vgpr_count:     0
    .vgpr_spill_count: 0
    .wavefront_size: 64
  - .agpr_count:     0
    .args:
      - .offset:         0
        .size:           128
        .value_kind:     by_value
    .group_segment_fixed_size: 0
    .kernarg_segment_align: 8
    .kernarg_segment_size: 128
    .language:       OpenCL C
    .language_version:
      - 2
      - 0
    .max_flat_workgroup_size: 384
    .name:           _ZN7rocprim17ROCPRIM_400000_NS6detail17trampoline_kernelINS0_14default_configENS1_33run_length_encode_config_selectorIjjNS0_4plusIjEEEEZZNS1_33reduce_by_key_impl_wrapped_configILNS1_25lookback_scan_determinismE0ES3_S7_PKjNS0_17constant_iteratorIjlEEPjPlSF_S6_NS0_8equal_toIjEEEE10hipError_tPvRmT2_T3_mT4_T5_T6_T7_T8_P12ihipStream_tbENKUlT_T0_E_clISt17integral_constantIbLb0EESZ_EEDaSU_SV_EUlSU_E_NS1_11comp_targetILNS1_3genE10ELNS1_11target_archE1201ELNS1_3gpuE5ELNS1_3repE0EEENS1_30default_config_static_selectorELNS0_4arch9wavefront6targetE1EEEvT1_
    .private_segment_fixed_size: 0
    .sgpr_count:     4
    .sgpr_spill_count: 0
    .symbol:         _ZN7rocprim17ROCPRIM_400000_NS6detail17trampoline_kernelINS0_14default_configENS1_33run_length_encode_config_selectorIjjNS0_4plusIjEEEEZZNS1_33reduce_by_key_impl_wrapped_configILNS1_25lookback_scan_determinismE0ES3_S7_PKjNS0_17constant_iteratorIjlEEPjPlSF_S6_NS0_8equal_toIjEEEE10hipError_tPvRmT2_T3_mT4_T5_T6_T7_T8_P12ihipStream_tbENKUlT_T0_E_clISt17integral_constantIbLb0EESZ_EEDaSU_SV_EUlSU_E_NS1_11comp_targetILNS1_3genE10ELNS1_11target_archE1201ELNS1_3gpuE5ELNS1_3repE0EEENS1_30default_config_static_selectorELNS0_4arch9wavefront6targetE1EEEvT1_.kd
    .uniform_work_group_size: 1
    .uses_dynamic_stack: false
    .vgpr_count:     0
    .vgpr_spill_count: 0
    .wavefront_size: 64
  - .agpr_count:     0
    .args:
      - .offset:         0
        .size:           128
        .value_kind:     by_value
    .group_segment_fixed_size: 0
    .kernarg_segment_align: 8
    .kernarg_segment_size: 128
    .language:       OpenCL C
    .language_version:
      - 2
      - 0
    .max_flat_workgroup_size: 256
    .name:           _ZN7rocprim17ROCPRIM_400000_NS6detail17trampoline_kernelINS0_14default_configENS1_33run_length_encode_config_selectorIjjNS0_4plusIjEEEEZZNS1_33reduce_by_key_impl_wrapped_configILNS1_25lookback_scan_determinismE0ES3_S7_PKjNS0_17constant_iteratorIjlEEPjPlSF_S6_NS0_8equal_toIjEEEE10hipError_tPvRmT2_T3_mT4_T5_T6_T7_T8_P12ihipStream_tbENKUlT_T0_E_clISt17integral_constantIbLb0EESZ_EEDaSU_SV_EUlSU_E_NS1_11comp_targetILNS1_3genE10ELNS1_11target_archE1200ELNS1_3gpuE4ELNS1_3repE0EEENS1_30default_config_static_selectorELNS0_4arch9wavefront6targetE1EEEvT1_
    .private_segment_fixed_size: 0
    .sgpr_count:     4
    .sgpr_spill_count: 0
    .symbol:         _ZN7rocprim17ROCPRIM_400000_NS6detail17trampoline_kernelINS0_14default_configENS1_33run_length_encode_config_selectorIjjNS0_4plusIjEEEEZZNS1_33reduce_by_key_impl_wrapped_configILNS1_25lookback_scan_determinismE0ES3_S7_PKjNS0_17constant_iteratorIjlEEPjPlSF_S6_NS0_8equal_toIjEEEE10hipError_tPvRmT2_T3_mT4_T5_T6_T7_T8_P12ihipStream_tbENKUlT_T0_E_clISt17integral_constantIbLb0EESZ_EEDaSU_SV_EUlSU_E_NS1_11comp_targetILNS1_3genE10ELNS1_11target_archE1200ELNS1_3gpuE4ELNS1_3repE0EEENS1_30default_config_static_selectorELNS0_4arch9wavefront6targetE1EEEvT1_.kd
    .uniform_work_group_size: 1
    .uses_dynamic_stack: false
    .vgpr_count:     0
    .vgpr_spill_count: 0
    .wavefront_size: 64
  - .agpr_count:     0
    .args:
      - .offset:         0
        .size:           128
        .value_kind:     by_value
    .group_segment_fixed_size: 0
    .kernarg_segment_align: 8
    .kernarg_segment_size: 128
    .language:       OpenCL C
    .language_version:
      - 2
      - 0
    .max_flat_workgroup_size: 512
    .name:           _ZN7rocprim17ROCPRIM_400000_NS6detail17trampoline_kernelINS0_14default_configENS1_33run_length_encode_config_selectorIjjNS0_4plusIjEEEEZZNS1_33reduce_by_key_impl_wrapped_configILNS1_25lookback_scan_determinismE0ES3_S7_PKjNS0_17constant_iteratorIjlEEPjPlSF_S6_NS0_8equal_toIjEEEE10hipError_tPvRmT2_T3_mT4_T5_T6_T7_T8_P12ihipStream_tbENKUlT_T0_E_clISt17integral_constantIbLb0EESZ_EEDaSU_SV_EUlSU_E_NS1_11comp_targetILNS1_3genE9ELNS1_11target_archE1100ELNS1_3gpuE3ELNS1_3repE0EEENS1_30default_config_static_selectorELNS0_4arch9wavefront6targetE1EEEvT1_
    .private_segment_fixed_size: 0
    .sgpr_count:     4
    .sgpr_spill_count: 0
    .symbol:         _ZN7rocprim17ROCPRIM_400000_NS6detail17trampoline_kernelINS0_14default_configENS1_33run_length_encode_config_selectorIjjNS0_4plusIjEEEEZZNS1_33reduce_by_key_impl_wrapped_configILNS1_25lookback_scan_determinismE0ES3_S7_PKjNS0_17constant_iteratorIjlEEPjPlSF_S6_NS0_8equal_toIjEEEE10hipError_tPvRmT2_T3_mT4_T5_T6_T7_T8_P12ihipStream_tbENKUlT_T0_E_clISt17integral_constantIbLb0EESZ_EEDaSU_SV_EUlSU_E_NS1_11comp_targetILNS1_3genE9ELNS1_11target_archE1100ELNS1_3gpuE3ELNS1_3repE0EEENS1_30default_config_static_selectorELNS0_4arch9wavefront6targetE1EEEvT1_.kd
    .uniform_work_group_size: 1
    .uses_dynamic_stack: false
    .vgpr_count:     0
    .vgpr_spill_count: 0
    .wavefront_size: 64
  - .agpr_count:     0
    .args:
      - .offset:         0
        .size:           128
        .value_kind:     by_value
    .group_segment_fixed_size: 0
    .kernarg_segment_align: 8
    .kernarg_segment_size: 128
    .language:       OpenCL C
    .language_version:
      - 2
      - 0
    .max_flat_workgroup_size: 192
    .name:           _ZN7rocprim17ROCPRIM_400000_NS6detail17trampoline_kernelINS0_14default_configENS1_33run_length_encode_config_selectorIjjNS0_4plusIjEEEEZZNS1_33reduce_by_key_impl_wrapped_configILNS1_25lookback_scan_determinismE0ES3_S7_PKjNS0_17constant_iteratorIjlEEPjPlSF_S6_NS0_8equal_toIjEEEE10hipError_tPvRmT2_T3_mT4_T5_T6_T7_T8_P12ihipStream_tbENKUlT_T0_E_clISt17integral_constantIbLb0EESZ_EEDaSU_SV_EUlSU_E_NS1_11comp_targetILNS1_3genE8ELNS1_11target_archE1030ELNS1_3gpuE2ELNS1_3repE0EEENS1_30default_config_static_selectorELNS0_4arch9wavefront6targetE1EEEvT1_
    .private_segment_fixed_size: 0
    .sgpr_count:     4
    .sgpr_spill_count: 0
    .symbol:         _ZN7rocprim17ROCPRIM_400000_NS6detail17trampoline_kernelINS0_14default_configENS1_33run_length_encode_config_selectorIjjNS0_4plusIjEEEEZZNS1_33reduce_by_key_impl_wrapped_configILNS1_25lookback_scan_determinismE0ES3_S7_PKjNS0_17constant_iteratorIjlEEPjPlSF_S6_NS0_8equal_toIjEEEE10hipError_tPvRmT2_T3_mT4_T5_T6_T7_T8_P12ihipStream_tbENKUlT_T0_E_clISt17integral_constantIbLb0EESZ_EEDaSU_SV_EUlSU_E_NS1_11comp_targetILNS1_3genE8ELNS1_11target_archE1030ELNS1_3gpuE2ELNS1_3repE0EEENS1_30default_config_static_selectorELNS0_4arch9wavefront6targetE1EEEvT1_.kd
    .uniform_work_group_size: 1
    .uses_dynamic_stack: false
    .vgpr_count:     0
    .vgpr_spill_count: 0
    .wavefront_size: 64
  - .agpr_count:     0
    .args:
      - .offset:         0
        .size:           128
        .value_kind:     by_value
    .group_segment_fixed_size: 0
    .kernarg_segment_align: 8
    .kernarg_segment_size: 128
    .language:       OpenCL C
    .language_version:
      - 2
      - 0
    .max_flat_workgroup_size: 256
    .name:           _ZN7rocprim17ROCPRIM_400000_NS6detail17trampoline_kernelINS0_14default_configENS1_33run_length_encode_config_selectorIjjNS0_4plusIjEEEEZZNS1_33reduce_by_key_impl_wrapped_configILNS1_25lookback_scan_determinismE0ES3_S7_PKjNS0_17constant_iteratorIjlEEPjPlSF_S6_NS0_8equal_toIjEEEE10hipError_tPvRmT2_T3_mT4_T5_T6_T7_T8_P12ihipStream_tbENKUlT_T0_E_clISt17integral_constantIbLb1EESZ_EEDaSU_SV_EUlSU_E_NS1_11comp_targetILNS1_3genE0ELNS1_11target_archE4294967295ELNS1_3gpuE0ELNS1_3repE0EEENS1_30default_config_static_selectorELNS0_4arch9wavefront6targetE1EEEvT1_
    .private_segment_fixed_size: 0
    .sgpr_count:     4
    .sgpr_spill_count: 0
    .symbol:         _ZN7rocprim17ROCPRIM_400000_NS6detail17trampoline_kernelINS0_14default_configENS1_33run_length_encode_config_selectorIjjNS0_4plusIjEEEEZZNS1_33reduce_by_key_impl_wrapped_configILNS1_25lookback_scan_determinismE0ES3_S7_PKjNS0_17constant_iteratorIjlEEPjPlSF_S6_NS0_8equal_toIjEEEE10hipError_tPvRmT2_T3_mT4_T5_T6_T7_T8_P12ihipStream_tbENKUlT_T0_E_clISt17integral_constantIbLb1EESZ_EEDaSU_SV_EUlSU_E_NS1_11comp_targetILNS1_3genE0ELNS1_11target_archE4294967295ELNS1_3gpuE0ELNS1_3repE0EEENS1_30default_config_static_selectorELNS0_4arch9wavefront6targetE1EEEvT1_.kd
    .uniform_work_group_size: 1
    .uses_dynamic_stack: false
    .vgpr_count:     0
    .vgpr_spill_count: 0
    .wavefront_size: 64
  - .agpr_count:     0
    .args:
      - .offset:         0
        .size:           128
        .value_kind:     by_value
    .group_segment_fixed_size: 0
    .kernarg_segment_align: 8
    .kernarg_segment_size: 128
    .language:       OpenCL C
    .language_version:
      - 2
      - 0
    .max_flat_workgroup_size: 512
    .name:           _ZN7rocprim17ROCPRIM_400000_NS6detail17trampoline_kernelINS0_14default_configENS1_33run_length_encode_config_selectorIjjNS0_4plusIjEEEEZZNS1_33reduce_by_key_impl_wrapped_configILNS1_25lookback_scan_determinismE0ES3_S7_PKjNS0_17constant_iteratorIjlEEPjPlSF_S6_NS0_8equal_toIjEEEE10hipError_tPvRmT2_T3_mT4_T5_T6_T7_T8_P12ihipStream_tbENKUlT_T0_E_clISt17integral_constantIbLb1EESZ_EEDaSU_SV_EUlSU_E_NS1_11comp_targetILNS1_3genE5ELNS1_11target_archE942ELNS1_3gpuE9ELNS1_3repE0EEENS1_30default_config_static_selectorELNS0_4arch9wavefront6targetE1EEEvT1_
    .private_segment_fixed_size: 0
    .sgpr_count:     4
    .sgpr_spill_count: 0
    .symbol:         _ZN7rocprim17ROCPRIM_400000_NS6detail17trampoline_kernelINS0_14default_configENS1_33run_length_encode_config_selectorIjjNS0_4plusIjEEEEZZNS1_33reduce_by_key_impl_wrapped_configILNS1_25lookback_scan_determinismE0ES3_S7_PKjNS0_17constant_iteratorIjlEEPjPlSF_S6_NS0_8equal_toIjEEEE10hipError_tPvRmT2_T3_mT4_T5_T6_T7_T8_P12ihipStream_tbENKUlT_T0_E_clISt17integral_constantIbLb1EESZ_EEDaSU_SV_EUlSU_E_NS1_11comp_targetILNS1_3genE5ELNS1_11target_archE942ELNS1_3gpuE9ELNS1_3repE0EEENS1_30default_config_static_selectorELNS0_4arch9wavefront6targetE1EEEvT1_.kd
    .uniform_work_group_size: 1
    .uses_dynamic_stack: false
    .vgpr_count:     0
    .vgpr_spill_count: 0
    .wavefront_size: 64
  - .agpr_count:     0
    .args:
      - .offset:         0
        .size:           128
        .value_kind:     by_value
    .group_segment_fixed_size: 15360
    .kernarg_segment_align: 8
    .kernarg_segment_size: 128
    .language:       OpenCL C
    .language_version:
      - 2
      - 0
    .max_flat_workgroup_size: 256
    .name:           _ZN7rocprim17ROCPRIM_400000_NS6detail17trampoline_kernelINS0_14default_configENS1_33run_length_encode_config_selectorIjjNS0_4plusIjEEEEZZNS1_33reduce_by_key_impl_wrapped_configILNS1_25lookback_scan_determinismE0ES3_S7_PKjNS0_17constant_iteratorIjlEEPjPlSF_S6_NS0_8equal_toIjEEEE10hipError_tPvRmT2_T3_mT4_T5_T6_T7_T8_P12ihipStream_tbENKUlT_T0_E_clISt17integral_constantIbLb1EESZ_EEDaSU_SV_EUlSU_E_NS1_11comp_targetILNS1_3genE4ELNS1_11target_archE910ELNS1_3gpuE8ELNS1_3repE0EEENS1_30default_config_static_selectorELNS0_4arch9wavefront6targetE1EEEvT1_
    .private_segment_fixed_size: 0
    .sgpr_count:     70
    .sgpr_spill_count: 0
    .symbol:         _ZN7rocprim17ROCPRIM_400000_NS6detail17trampoline_kernelINS0_14default_configENS1_33run_length_encode_config_selectorIjjNS0_4plusIjEEEEZZNS1_33reduce_by_key_impl_wrapped_configILNS1_25lookback_scan_determinismE0ES3_S7_PKjNS0_17constant_iteratorIjlEEPjPlSF_S6_NS0_8equal_toIjEEEE10hipError_tPvRmT2_T3_mT4_T5_T6_T7_T8_P12ihipStream_tbENKUlT_T0_E_clISt17integral_constantIbLb1EESZ_EEDaSU_SV_EUlSU_E_NS1_11comp_targetILNS1_3genE4ELNS1_11target_archE910ELNS1_3gpuE8ELNS1_3repE0EEENS1_30default_config_static_selectorELNS0_4arch9wavefront6targetE1EEEvT1_.kd
    .uniform_work_group_size: 1
    .uses_dynamic_stack: false
    .vgpr_count:     104
    .vgpr_spill_count: 0
    .wavefront_size: 64
  - .agpr_count:     0
    .args:
      - .offset:         0
        .size:           128
        .value_kind:     by_value
    .group_segment_fixed_size: 0
    .kernarg_segment_align: 8
    .kernarg_segment_size: 128
    .language:       OpenCL C
    .language_version:
      - 2
      - 0
    .max_flat_workgroup_size: 256
    .name:           _ZN7rocprim17ROCPRIM_400000_NS6detail17trampoline_kernelINS0_14default_configENS1_33run_length_encode_config_selectorIjjNS0_4plusIjEEEEZZNS1_33reduce_by_key_impl_wrapped_configILNS1_25lookback_scan_determinismE0ES3_S7_PKjNS0_17constant_iteratorIjlEEPjPlSF_S6_NS0_8equal_toIjEEEE10hipError_tPvRmT2_T3_mT4_T5_T6_T7_T8_P12ihipStream_tbENKUlT_T0_E_clISt17integral_constantIbLb1EESZ_EEDaSU_SV_EUlSU_E_NS1_11comp_targetILNS1_3genE3ELNS1_11target_archE908ELNS1_3gpuE7ELNS1_3repE0EEENS1_30default_config_static_selectorELNS0_4arch9wavefront6targetE1EEEvT1_
    .private_segment_fixed_size: 0
    .sgpr_count:     4
    .sgpr_spill_count: 0
    .symbol:         _ZN7rocprim17ROCPRIM_400000_NS6detail17trampoline_kernelINS0_14default_configENS1_33run_length_encode_config_selectorIjjNS0_4plusIjEEEEZZNS1_33reduce_by_key_impl_wrapped_configILNS1_25lookback_scan_determinismE0ES3_S7_PKjNS0_17constant_iteratorIjlEEPjPlSF_S6_NS0_8equal_toIjEEEE10hipError_tPvRmT2_T3_mT4_T5_T6_T7_T8_P12ihipStream_tbENKUlT_T0_E_clISt17integral_constantIbLb1EESZ_EEDaSU_SV_EUlSU_E_NS1_11comp_targetILNS1_3genE3ELNS1_11target_archE908ELNS1_3gpuE7ELNS1_3repE0EEENS1_30default_config_static_selectorELNS0_4arch9wavefront6targetE1EEEvT1_.kd
    .uniform_work_group_size: 1
    .uses_dynamic_stack: false
    .vgpr_count:     0
    .vgpr_spill_count: 0
    .wavefront_size: 64
  - .agpr_count:     0
    .args:
      - .offset:         0
        .size:           128
        .value_kind:     by_value
    .group_segment_fixed_size: 0
    .kernarg_segment_align: 8
    .kernarg_segment_size: 128
    .language:       OpenCL C
    .language_version:
      - 2
      - 0
    .max_flat_workgroup_size: 256
    .name:           _ZN7rocprim17ROCPRIM_400000_NS6detail17trampoline_kernelINS0_14default_configENS1_33run_length_encode_config_selectorIjjNS0_4plusIjEEEEZZNS1_33reduce_by_key_impl_wrapped_configILNS1_25lookback_scan_determinismE0ES3_S7_PKjNS0_17constant_iteratorIjlEEPjPlSF_S6_NS0_8equal_toIjEEEE10hipError_tPvRmT2_T3_mT4_T5_T6_T7_T8_P12ihipStream_tbENKUlT_T0_E_clISt17integral_constantIbLb1EESZ_EEDaSU_SV_EUlSU_E_NS1_11comp_targetILNS1_3genE2ELNS1_11target_archE906ELNS1_3gpuE6ELNS1_3repE0EEENS1_30default_config_static_selectorELNS0_4arch9wavefront6targetE1EEEvT1_
    .private_segment_fixed_size: 0
    .sgpr_count:     4
    .sgpr_spill_count: 0
    .symbol:         _ZN7rocprim17ROCPRIM_400000_NS6detail17trampoline_kernelINS0_14default_configENS1_33run_length_encode_config_selectorIjjNS0_4plusIjEEEEZZNS1_33reduce_by_key_impl_wrapped_configILNS1_25lookback_scan_determinismE0ES3_S7_PKjNS0_17constant_iteratorIjlEEPjPlSF_S6_NS0_8equal_toIjEEEE10hipError_tPvRmT2_T3_mT4_T5_T6_T7_T8_P12ihipStream_tbENKUlT_T0_E_clISt17integral_constantIbLb1EESZ_EEDaSU_SV_EUlSU_E_NS1_11comp_targetILNS1_3genE2ELNS1_11target_archE906ELNS1_3gpuE6ELNS1_3repE0EEENS1_30default_config_static_selectorELNS0_4arch9wavefront6targetE1EEEvT1_.kd
    .uniform_work_group_size: 1
    .uses_dynamic_stack: false
    .vgpr_count:     0
    .vgpr_spill_count: 0
    .wavefront_size: 64
  - .agpr_count:     0
    .args:
      - .offset:         0
        .size:           128
        .value_kind:     by_value
    .group_segment_fixed_size: 0
    .kernarg_segment_align: 8
    .kernarg_segment_size: 128
    .language:       OpenCL C
    .language_version:
      - 2
      - 0
    .max_flat_workgroup_size: 384
    .name:           _ZN7rocprim17ROCPRIM_400000_NS6detail17trampoline_kernelINS0_14default_configENS1_33run_length_encode_config_selectorIjjNS0_4plusIjEEEEZZNS1_33reduce_by_key_impl_wrapped_configILNS1_25lookback_scan_determinismE0ES3_S7_PKjNS0_17constant_iteratorIjlEEPjPlSF_S6_NS0_8equal_toIjEEEE10hipError_tPvRmT2_T3_mT4_T5_T6_T7_T8_P12ihipStream_tbENKUlT_T0_E_clISt17integral_constantIbLb1EESZ_EEDaSU_SV_EUlSU_E_NS1_11comp_targetILNS1_3genE10ELNS1_11target_archE1201ELNS1_3gpuE5ELNS1_3repE0EEENS1_30default_config_static_selectorELNS0_4arch9wavefront6targetE1EEEvT1_
    .private_segment_fixed_size: 0
    .sgpr_count:     4
    .sgpr_spill_count: 0
    .symbol:         _ZN7rocprim17ROCPRIM_400000_NS6detail17trampoline_kernelINS0_14default_configENS1_33run_length_encode_config_selectorIjjNS0_4plusIjEEEEZZNS1_33reduce_by_key_impl_wrapped_configILNS1_25lookback_scan_determinismE0ES3_S7_PKjNS0_17constant_iteratorIjlEEPjPlSF_S6_NS0_8equal_toIjEEEE10hipError_tPvRmT2_T3_mT4_T5_T6_T7_T8_P12ihipStream_tbENKUlT_T0_E_clISt17integral_constantIbLb1EESZ_EEDaSU_SV_EUlSU_E_NS1_11comp_targetILNS1_3genE10ELNS1_11target_archE1201ELNS1_3gpuE5ELNS1_3repE0EEENS1_30default_config_static_selectorELNS0_4arch9wavefront6targetE1EEEvT1_.kd
    .uniform_work_group_size: 1
    .uses_dynamic_stack: false
    .vgpr_count:     0
    .vgpr_spill_count: 0
    .wavefront_size: 64
  - .agpr_count:     0
    .args:
      - .offset:         0
        .size:           128
        .value_kind:     by_value
    .group_segment_fixed_size: 0
    .kernarg_segment_align: 8
    .kernarg_segment_size: 128
    .language:       OpenCL C
    .language_version:
      - 2
      - 0
    .max_flat_workgroup_size: 256
    .name:           _ZN7rocprim17ROCPRIM_400000_NS6detail17trampoline_kernelINS0_14default_configENS1_33run_length_encode_config_selectorIjjNS0_4plusIjEEEEZZNS1_33reduce_by_key_impl_wrapped_configILNS1_25lookback_scan_determinismE0ES3_S7_PKjNS0_17constant_iteratorIjlEEPjPlSF_S6_NS0_8equal_toIjEEEE10hipError_tPvRmT2_T3_mT4_T5_T6_T7_T8_P12ihipStream_tbENKUlT_T0_E_clISt17integral_constantIbLb1EESZ_EEDaSU_SV_EUlSU_E_NS1_11comp_targetILNS1_3genE10ELNS1_11target_archE1200ELNS1_3gpuE4ELNS1_3repE0EEENS1_30default_config_static_selectorELNS0_4arch9wavefront6targetE1EEEvT1_
    .private_segment_fixed_size: 0
    .sgpr_count:     4
    .sgpr_spill_count: 0
    .symbol:         _ZN7rocprim17ROCPRIM_400000_NS6detail17trampoline_kernelINS0_14default_configENS1_33run_length_encode_config_selectorIjjNS0_4plusIjEEEEZZNS1_33reduce_by_key_impl_wrapped_configILNS1_25lookback_scan_determinismE0ES3_S7_PKjNS0_17constant_iteratorIjlEEPjPlSF_S6_NS0_8equal_toIjEEEE10hipError_tPvRmT2_T3_mT4_T5_T6_T7_T8_P12ihipStream_tbENKUlT_T0_E_clISt17integral_constantIbLb1EESZ_EEDaSU_SV_EUlSU_E_NS1_11comp_targetILNS1_3genE10ELNS1_11target_archE1200ELNS1_3gpuE4ELNS1_3repE0EEENS1_30default_config_static_selectorELNS0_4arch9wavefront6targetE1EEEvT1_.kd
    .uniform_work_group_size: 1
    .uses_dynamic_stack: false
    .vgpr_count:     0
    .vgpr_spill_count: 0
    .wavefront_size: 64
  - .agpr_count:     0
    .args:
      - .offset:         0
        .size:           128
        .value_kind:     by_value
    .group_segment_fixed_size: 0
    .kernarg_segment_align: 8
    .kernarg_segment_size: 128
    .language:       OpenCL C
    .language_version:
      - 2
      - 0
    .max_flat_workgroup_size: 512
    .name:           _ZN7rocprim17ROCPRIM_400000_NS6detail17trampoline_kernelINS0_14default_configENS1_33run_length_encode_config_selectorIjjNS0_4plusIjEEEEZZNS1_33reduce_by_key_impl_wrapped_configILNS1_25lookback_scan_determinismE0ES3_S7_PKjNS0_17constant_iteratorIjlEEPjPlSF_S6_NS0_8equal_toIjEEEE10hipError_tPvRmT2_T3_mT4_T5_T6_T7_T8_P12ihipStream_tbENKUlT_T0_E_clISt17integral_constantIbLb1EESZ_EEDaSU_SV_EUlSU_E_NS1_11comp_targetILNS1_3genE9ELNS1_11target_archE1100ELNS1_3gpuE3ELNS1_3repE0EEENS1_30default_config_static_selectorELNS0_4arch9wavefront6targetE1EEEvT1_
    .private_segment_fixed_size: 0
    .sgpr_count:     4
    .sgpr_spill_count: 0
    .symbol:         _ZN7rocprim17ROCPRIM_400000_NS6detail17trampoline_kernelINS0_14default_configENS1_33run_length_encode_config_selectorIjjNS0_4plusIjEEEEZZNS1_33reduce_by_key_impl_wrapped_configILNS1_25lookback_scan_determinismE0ES3_S7_PKjNS0_17constant_iteratorIjlEEPjPlSF_S6_NS0_8equal_toIjEEEE10hipError_tPvRmT2_T3_mT4_T5_T6_T7_T8_P12ihipStream_tbENKUlT_T0_E_clISt17integral_constantIbLb1EESZ_EEDaSU_SV_EUlSU_E_NS1_11comp_targetILNS1_3genE9ELNS1_11target_archE1100ELNS1_3gpuE3ELNS1_3repE0EEENS1_30default_config_static_selectorELNS0_4arch9wavefront6targetE1EEEvT1_.kd
    .uniform_work_group_size: 1
    .uses_dynamic_stack: false
    .vgpr_count:     0
    .vgpr_spill_count: 0
    .wavefront_size: 64
  - .agpr_count:     0
    .args:
      - .offset:         0
        .size:           128
        .value_kind:     by_value
    .group_segment_fixed_size: 0
    .kernarg_segment_align: 8
    .kernarg_segment_size: 128
    .language:       OpenCL C
    .language_version:
      - 2
      - 0
    .max_flat_workgroup_size: 192
    .name:           _ZN7rocprim17ROCPRIM_400000_NS6detail17trampoline_kernelINS0_14default_configENS1_33run_length_encode_config_selectorIjjNS0_4plusIjEEEEZZNS1_33reduce_by_key_impl_wrapped_configILNS1_25lookback_scan_determinismE0ES3_S7_PKjNS0_17constant_iteratorIjlEEPjPlSF_S6_NS0_8equal_toIjEEEE10hipError_tPvRmT2_T3_mT4_T5_T6_T7_T8_P12ihipStream_tbENKUlT_T0_E_clISt17integral_constantIbLb1EESZ_EEDaSU_SV_EUlSU_E_NS1_11comp_targetILNS1_3genE8ELNS1_11target_archE1030ELNS1_3gpuE2ELNS1_3repE0EEENS1_30default_config_static_selectorELNS0_4arch9wavefront6targetE1EEEvT1_
    .private_segment_fixed_size: 0
    .sgpr_count:     4
    .sgpr_spill_count: 0
    .symbol:         _ZN7rocprim17ROCPRIM_400000_NS6detail17trampoline_kernelINS0_14default_configENS1_33run_length_encode_config_selectorIjjNS0_4plusIjEEEEZZNS1_33reduce_by_key_impl_wrapped_configILNS1_25lookback_scan_determinismE0ES3_S7_PKjNS0_17constant_iteratorIjlEEPjPlSF_S6_NS0_8equal_toIjEEEE10hipError_tPvRmT2_T3_mT4_T5_T6_T7_T8_P12ihipStream_tbENKUlT_T0_E_clISt17integral_constantIbLb1EESZ_EEDaSU_SV_EUlSU_E_NS1_11comp_targetILNS1_3genE8ELNS1_11target_archE1030ELNS1_3gpuE2ELNS1_3repE0EEENS1_30default_config_static_selectorELNS0_4arch9wavefront6targetE1EEEvT1_.kd
    .uniform_work_group_size: 1
    .uses_dynamic_stack: false
    .vgpr_count:     0
    .vgpr_spill_count: 0
    .wavefront_size: 64
  - .agpr_count:     0
    .args:
      - .offset:         0
        .size:           128
        .value_kind:     by_value
    .group_segment_fixed_size: 0
    .kernarg_segment_align: 8
    .kernarg_segment_size: 128
    .language:       OpenCL C
    .language_version:
      - 2
      - 0
    .max_flat_workgroup_size: 256
    .name:           _ZN7rocprim17ROCPRIM_400000_NS6detail17trampoline_kernelINS0_14default_configENS1_33run_length_encode_config_selectorIjjNS0_4plusIjEEEEZZNS1_33reduce_by_key_impl_wrapped_configILNS1_25lookback_scan_determinismE0ES3_S7_PKjNS0_17constant_iteratorIjlEEPjPlSF_S6_NS0_8equal_toIjEEEE10hipError_tPvRmT2_T3_mT4_T5_T6_T7_T8_P12ihipStream_tbENKUlT_T0_E_clISt17integral_constantIbLb1EESY_IbLb0EEEEDaSU_SV_EUlSU_E_NS1_11comp_targetILNS1_3genE0ELNS1_11target_archE4294967295ELNS1_3gpuE0ELNS1_3repE0EEENS1_30default_config_static_selectorELNS0_4arch9wavefront6targetE1EEEvT1_
    .private_segment_fixed_size: 0
    .sgpr_count:     4
    .sgpr_spill_count: 0
    .symbol:         _ZN7rocprim17ROCPRIM_400000_NS6detail17trampoline_kernelINS0_14default_configENS1_33run_length_encode_config_selectorIjjNS0_4plusIjEEEEZZNS1_33reduce_by_key_impl_wrapped_configILNS1_25lookback_scan_determinismE0ES3_S7_PKjNS0_17constant_iteratorIjlEEPjPlSF_S6_NS0_8equal_toIjEEEE10hipError_tPvRmT2_T3_mT4_T5_T6_T7_T8_P12ihipStream_tbENKUlT_T0_E_clISt17integral_constantIbLb1EESY_IbLb0EEEEDaSU_SV_EUlSU_E_NS1_11comp_targetILNS1_3genE0ELNS1_11target_archE4294967295ELNS1_3gpuE0ELNS1_3repE0EEENS1_30default_config_static_selectorELNS0_4arch9wavefront6targetE1EEEvT1_.kd
    .uniform_work_group_size: 1
    .uses_dynamic_stack: false
    .vgpr_count:     0
    .vgpr_spill_count: 0
    .wavefront_size: 64
  - .agpr_count:     0
    .args:
      - .offset:         0
        .size:           128
        .value_kind:     by_value
    .group_segment_fixed_size: 0
    .kernarg_segment_align: 8
    .kernarg_segment_size: 128
    .language:       OpenCL C
    .language_version:
      - 2
      - 0
    .max_flat_workgroup_size: 512
    .name:           _ZN7rocprim17ROCPRIM_400000_NS6detail17trampoline_kernelINS0_14default_configENS1_33run_length_encode_config_selectorIjjNS0_4plusIjEEEEZZNS1_33reduce_by_key_impl_wrapped_configILNS1_25lookback_scan_determinismE0ES3_S7_PKjNS0_17constant_iteratorIjlEEPjPlSF_S6_NS0_8equal_toIjEEEE10hipError_tPvRmT2_T3_mT4_T5_T6_T7_T8_P12ihipStream_tbENKUlT_T0_E_clISt17integral_constantIbLb1EESY_IbLb0EEEEDaSU_SV_EUlSU_E_NS1_11comp_targetILNS1_3genE5ELNS1_11target_archE942ELNS1_3gpuE9ELNS1_3repE0EEENS1_30default_config_static_selectorELNS0_4arch9wavefront6targetE1EEEvT1_
    .private_segment_fixed_size: 0
    .sgpr_count:     4
    .sgpr_spill_count: 0
    .symbol:         _ZN7rocprim17ROCPRIM_400000_NS6detail17trampoline_kernelINS0_14default_configENS1_33run_length_encode_config_selectorIjjNS0_4plusIjEEEEZZNS1_33reduce_by_key_impl_wrapped_configILNS1_25lookback_scan_determinismE0ES3_S7_PKjNS0_17constant_iteratorIjlEEPjPlSF_S6_NS0_8equal_toIjEEEE10hipError_tPvRmT2_T3_mT4_T5_T6_T7_T8_P12ihipStream_tbENKUlT_T0_E_clISt17integral_constantIbLb1EESY_IbLb0EEEEDaSU_SV_EUlSU_E_NS1_11comp_targetILNS1_3genE5ELNS1_11target_archE942ELNS1_3gpuE9ELNS1_3repE0EEENS1_30default_config_static_selectorELNS0_4arch9wavefront6targetE1EEEvT1_.kd
    .uniform_work_group_size: 1
    .uses_dynamic_stack: false
    .vgpr_count:     0
    .vgpr_spill_count: 0
    .wavefront_size: 64
  - .agpr_count:     0
    .args:
      - .offset:         0
        .size:           128
        .value_kind:     by_value
    .group_segment_fixed_size: 15360
    .kernarg_segment_align: 8
    .kernarg_segment_size: 128
    .language:       OpenCL C
    .language_version:
      - 2
      - 0
    .max_flat_workgroup_size: 256
    .name:           _ZN7rocprim17ROCPRIM_400000_NS6detail17trampoline_kernelINS0_14default_configENS1_33run_length_encode_config_selectorIjjNS0_4plusIjEEEEZZNS1_33reduce_by_key_impl_wrapped_configILNS1_25lookback_scan_determinismE0ES3_S7_PKjNS0_17constant_iteratorIjlEEPjPlSF_S6_NS0_8equal_toIjEEEE10hipError_tPvRmT2_T3_mT4_T5_T6_T7_T8_P12ihipStream_tbENKUlT_T0_E_clISt17integral_constantIbLb1EESY_IbLb0EEEEDaSU_SV_EUlSU_E_NS1_11comp_targetILNS1_3genE4ELNS1_11target_archE910ELNS1_3gpuE8ELNS1_3repE0EEENS1_30default_config_static_selectorELNS0_4arch9wavefront6targetE1EEEvT1_
    .private_segment_fixed_size: 0
    .sgpr_count:     68
    .sgpr_spill_count: 0
    .symbol:         _ZN7rocprim17ROCPRIM_400000_NS6detail17trampoline_kernelINS0_14default_configENS1_33run_length_encode_config_selectorIjjNS0_4plusIjEEEEZZNS1_33reduce_by_key_impl_wrapped_configILNS1_25lookback_scan_determinismE0ES3_S7_PKjNS0_17constant_iteratorIjlEEPjPlSF_S6_NS0_8equal_toIjEEEE10hipError_tPvRmT2_T3_mT4_T5_T6_T7_T8_P12ihipStream_tbENKUlT_T0_E_clISt17integral_constantIbLb1EESY_IbLb0EEEEDaSU_SV_EUlSU_E_NS1_11comp_targetILNS1_3genE4ELNS1_11target_archE910ELNS1_3gpuE8ELNS1_3repE0EEENS1_30default_config_static_selectorELNS0_4arch9wavefront6targetE1EEEvT1_.kd
    .uniform_work_group_size: 1
    .uses_dynamic_stack: false
    .vgpr_count:     104
    .vgpr_spill_count: 0
    .wavefront_size: 64
  - .agpr_count:     0
    .args:
      - .offset:         0
        .size:           128
        .value_kind:     by_value
    .group_segment_fixed_size: 0
    .kernarg_segment_align: 8
    .kernarg_segment_size: 128
    .language:       OpenCL C
    .language_version:
      - 2
      - 0
    .max_flat_workgroup_size: 256
    .name:           _ZN7rocprim17ROCPRIM_400000_NS6detail17trampoline_kernelINS0_14default_configENS1_33run_length_encode_config_selectorIjjNS0_4plusIjEEEEZZNS1_33reduce_by_key_impl_wrapped_configILNS1_25lookback_scan_determinismE0ES3_S7_PKjNS0_17constant_iteratorIjlEEPjPlSF_S6_NS0_8equal_toIjEEEE10hipError_tPvRmT2_T3_mT4_T5_T6_T7_T8_P12ihipStream_tbENKUlT_T0_E_clISt17integral_constantIbLb1EESY_IbLb0EEEEDaSU_SV_EUlSU_E_NS1_11comp_targetILNS1_3genE3ELNS1_11target_archE908ELNS1_3gpuE7ELNS1_3repE0EEENS1_30default_config_static_selectorELNS0_4arch9wavefront6targetE1EEEvT1_
    .private_segment_fixed_size: 0
    .sgpr_count:     4
    .sgpr_spill_count: 0
    .symbol:         _ZN7rocprim17ROCPRIM_400000_NS6detail17trampoline_kernelINS0_14default_configENS1_33run_length_encode_config_selectorIjjNS0_4plusIjEEEEZZNS1_33reduce_by_key_impl_wrapped_configILNS1_25lookback_scan_determinismE0ES3_S7_PKjNS0_17constant_iteratorIjlEEPjPlSF_S6_NS0_8equal_toIjEEEE10hipError_tPvRmT2_T3_mT4_T5_T6_T7_T8_P12ihipStream_tbENKUlT_T0_E_clISt17integral_constantIbLb1EESY_IbLb0EEEEDaSU_SV_EUlSU_E_NS1_11comp_targetILNS1_3genE3ELNS1_11target_archE908ELNS1_3gpuE7ELNS1_3repE0EEENS1_30default_config_static_selectorELNS0_4arch9wavefront6targetE1EEEvT1_.kd
    .uniform_work_group_size: 1
    .uses_dynamic_stack: false
    .vgpr_count:     0
    .vgpr_spill_count: 0
    .wavefront_size: 64
  - .agpr_count:     0
    .args:
      - .offset:         0
        .size:           128
        .value_kind:     by_value
    .group_segment_fixed_size: 0
    .kernarg_segment_align: 8
    .kernarg_segment_size: 128
    .language:       OpenCL C
    .language_version:
      - 2
      - 0
    .max_flat_workgroup_size: 256
    .name:           _ZN7rocprim17ROCPRIM_400000_NS6detail17trampoline_kernelINS0_14default_configENS1_33run_length_encode_config_selectorIjjNS0_4plusIjEEEEZZNS1_33reduce_by_key_impl_wrapped_configILNS1_25lookback_scan_determinismE0ES3_S7_PKjNS0_17constant_iteratorIjlEEPjPlSF_S6_NS0_8equal_toIjEEEE10hipError_tPvRmT2_T3_mT4_T5_T6_T7_T8_P12ihipStream_tbENKUlT_T0_E_clISt17integral_constantIbLb1EESY_IbLb0EEEEDaSU_SV_EUlSU_E_NS1_11comp_targetILNS1_3genE2ELNS1_11target_archE906ELNS1_3gpuE6ELNS1_3repE0EEENS1_30default_config_static_selectorELNS0_4arch9wavefront6targetE1EEEvT1_
    .private_segment_fixed_size: 0
    .sgpr_count:     4
    .sgpr_spill_count: 0
    .symbol:         _ZN7rocprim17ROCPRIM_400000_NS6detail17trampoline_kernelINS0_14default_configENS1_33run_length_encode_config_selectorIjjNS0_4plusIjEEEEZZNS1_33reduce_by_key_impl_wrapped_configILNS1_25lookback_scan_determinismE0ES3_S7_PKjNS0_17constant_iteratorIjlEEPjPlSF_S6_NS0_8equal_toIjEEEE10hipError_tPvRmT2_T3_mT4_T5_T6_T7_T8_P12ihipStream_tbENKUlT_T0_E_clISt17integral_constantIbLb1EESY_IbLb0EEEEDaSU_SV_EUlSU_E_NS1_11comp_targetILNS1_3genE2ELNS1_11target_archE906ELNS1_3gpuE6ELNS1_3repE0EEENS1_30default_config_static_selectorELNS0_4arch9wavefront6targetE1EEEvT1_.kd
    .uniform_work_group_size: 1
    .uses_dynamic_stack: false
    .vgpr_count:     0
    .vgpr_spill_count: 0
    .wavefront_size: 64
  - .agpr_count:     0
    .args:
      - .offset:         0
        .size:           128
        .value_kind:     by_value
    .group_segment_fixed_size: 0
    .kernarg_segment_align: 8
    .kernarg_segment_size: 128
    .language:       OpenCL C
    .language_version:
      - 2
      - 0
    .max_flat_workgroup_size: 384
    .name:           _ZN7rocprim17ROCPRIM_400000_NS6detail17trampoline_kernelINS0_14default_configENS1_33run_length_encode_config_selectorIjjNS0_4plusIjEEEEZZNS1_33reduce_by_key_impl_wrapped_configILNS1_25lookback_scan_determinismE0ES3_S7_PKjNS0_17constant_iteratorIjlEEPjPlSF_S6_NS0_8equal_toIjEEEE10hipError_tPvRmT2_T3_mT4_T5_T6_T7_T8_P12ihipStream_tbENKUlT_T0_E_clISt17integral_constantIbLb1EESY_IbLb0EEEEDaSU_SV_EUlSU_E_NS1_11comp_targetILNS1_3genE10ELNS1_11target_archE1201ELNS1_3gpuE5ELNS1_3repE0EEENS1_30default_config_static_selectorELNS0_4arch9wavefront6targetE1EEEvT1_
    .private_segment_fixed_size: 0
    .sgpr_count:     4
    .sgpr_spill_count: 0
    .symbol:         _ZN7rocprim17ROCPRIM_400000_NS6detail17trampoline_kernelINS0_14default_configENS1_33run_length_encode_config_selectorIjjNS0_4plusIjEEEEZZNS1_33reduce_by_key_impl_wrapped_configILNS1_25lookback_scan_determinismE0ES3_S7_PKjNS0_17constant_iteratorIjlEEPjPlSF_S6_NS0_8equal_toIjEEEE10hipError_tPvRmT2_T3_mT4_T5_T6_T7_T8_P12ihipStream_tbENKUlT_T0_E_clISt17integral_constantIbLb1EESY_IbLb0EEEEDaSU_SV_EUlSU_E_NS1_11comp_targetILNS1_3genE10ELNS1_11target_archE1201ELNS1_3gpuE5ELNS1_3repE0EEENS1_30default_config_static_selectorELNS0_4arch9wavefront6targetE1EEEvT1_.kd
    .uniform_work_group_size: 1
    .uses_dynamic_stack: false
    .vgpr_count:     0
    .vgpr_spill_count: 0
    .wavefront_size: 64
  - .agpr_count:     0
    .args:
      - .offset:         0
        .size:           128
        .value_kind:     by_value
    .group_segment_fixed_size: 0
    .kernarg_segment_align: 8
    .kernarg_segment_size: 128
    .language:       OpenCL C
    .language_version:
      - 2
      - 0
    .max_flat_workgroup_size: 256
    .name:           _ZN7rocprim17ROCPRIM_400000_NS6detail17trampoline_kernelINS0_14default_configENS1_33run_length_encode_config_selectorIjjNS0_4plusIjEEEEZZNS1_33reduce_by_key_impl_wrapped_configILNS1_25lookback_scan_determinismE0ES3_S7_PKjNS0_17constant_iteratorIjlEEPjPlSF_S6_NS0_8equal_toIjEEEE10hipError_tPvRmT2_T3_mT4_T5_T6_T7_T8_P12ihipStream_tbENKUlT_T0_E_clISt17integral_constantIbLb1EESY_IbLb0EEEEDaSU_SV_EUlSU_E_NS1_11comp_targetILNS1_3genE10ELNS1_11target_archE1200ELNS1_3gpuE4ELNS1_3repE0EEENS1_30default_config_static_selectorELNS0_4arch9wavefront6targetE1EEEvT1_
    .private_segment_fixed_size: 0
    .sgpr_count:     4
    .sgpr_spill_count: 0
    .symbol:         _ZN7rocprim17ROCPRIM_400000_NS6detail17trampoline_kernelINS0_14default_configENS1_33run_length_encode_config_selectorIjjNS0_4plusIjEEEEZZNS1_33reduce_by_key_impl_wrapped_configILNS1_25lookback_scan_determinismE0ES3_S7_PKjNS0_17constant_iteratorIjlEEPjPlSF_S6_NS0_8equal_toIjEEEE10hipError_tPvRmT2_T3_mT4_T5_T6_T7_T8_P12ihipStream_tbENKUlT_T0_E_clISt17integral_constantIbLb1EESY_IbLb0EEEEDaSU_SV_EUlSU_E_NS1_11comp_targetILNS1_3genE10ELNS1_11target_archE1200ELNS1_3gpuE4ELNS1_3repE0EEENS1_30default_config_static_selectorELNS0_4arch9wavefront6targetE1EEEvT1_.kd
    .uniform_work_group_size: 1
    .uses_dynamic_stack: false
    .vgpr_count:     0
    .vgpr_spill_count: 0
    .wavefront_size: 64
  - .agpr_count:     0
    .args:
      - .offset:         0
        .size:           128
        .value_kind:     by_value
    .group_segment_fixed_size: 0
    .kernarg_segment_align: 8
    .kernarg_segment_size: 128
    .language:       OpenCL C
    .language_version:
      - 2
      - 0
    .max_flat_workgroup_size: 512
    .name:           _ZN7rocprim17ROCPRIM_400000_NS6detail17trampoline_kernelINS0_14default_configENS1_33run_length_encode_config_selectorIjjNS0_4plusIjEEEEZZNS1_33reduce_by_key_impl_wrapped_configILNS1_25lookback_scan_determinismE0ES3_S7_PKjNS0_17constant_iteratorIjlEEPjPlSF_S6_NS0_8equal_toIjEEEE10hipError_tPvRmT2_T3_mT4_T5_T6_T7_T8_P12ihipStream_tbENKUlT_T0_E_clISt17integral_constantIbLb1EESY_IbLb0EEEEDaSU_SV_EUlSU_E_NS1_11comp_targetILNS1_3genE9ELNS1_11target_archE1100ELNS1_3gpuE3ELNS1_3repE0EEENS1_30default_config_static_selectorELNS0_4arch9wavefront6targetE1EEEvT1_
    .private_segment_fixed_size: 0
    .sgpr_count:     4
    .sgpr_spill_count: 0
    .symbol:         _ZN7rocprim17ROCPRIM_400000_NS6detail17trampoline_kernelINS0_14default_configENS1_33run_length_encode_config_selectorIjjNS0_4plusIjEEEEZZNS1_33reduce_by_key_impl_wrapped_configILNS1_25lookback_scan_determinismE0ES3_S7_PKjNS0_17constant_iteratorIjlEEPjPlSF_S6_NS0_8equal_toIjEEEE10hipError_tPvRmT2_T3_mT4_T5_T6_T7_T8_P12ihipStream_tbENKUlT_T0_E_clISt17integral_constantIbLb1EESY_IbLb0EEEEDaSU_SV_EUlSU_E_NS1_11comp_targetILNS1_3genE9ELNS1_11target_archE1100ELNS1_3gpuE3ELNS1_3repE0EEENS1_30default_config_static_selectorELNS0_4arch9wavefront6targetE1EEEvT1_.kd
    .uniform_work_group_size: 1
    .uses_dynamic_stack: false
    .vgpr_count:     0
    .vgpr_spill_count: 0
    .wavefront_size: 64
  - .agpr_count:     0
    .args:
      - .offset:         0
        .size:           128
        .value_kind:     by_value
    .group_segment_fixed_size: 0
    .kernarg_segment_align: 8
    .kernarg_segment_size: 128
    .language:       OpenCL C
    .language_version:
      - 2
      - 0
    .max_flat_workgroup_size: 192
    .name:           _ZN7rocprim17ROCPRIM_400000_NS6detail17trampoline_kernelINS0_14default_configENS1_33run_length_encode_config_selectorIjjNS0_4plusIjEEEEZZNS1_33reduce_by_key_impl_wrapped_configILNS1_25lookback_scan_determinismE0ES3_S7_PKjNS0_17constant_iteratorIjlEEPjPlSF_S6_NS0_8equal_toIjEEEE10hipError_tPvRmT2_T3_mT4_T5_T6_T7_T8_P12ihipStream_tbENKUlT_T0_E_clISt17integral_constantIbLb1EESY_IbLb0EEEEDaSU_SV_EUlSU_E_NS1_11comp_targetILNS1_3genE8ELNS1_11target_archE1030ELNS1_3gpuE2ELNS1_3repE0EEENS1_30default_config_static_selectorELNS0_4arch9wavefront6targetE1EEEvT1_
    .private_segment_fixed_size: 0
    .sgpr_count:     4
    .sgpr_spill_count: 0
    .symbol:         _ZN7rocprim17ROCPRIM_400000_NS6detail17trampoline_kernelINS0_14default_configENS1_33run_length_encode_config_selectorIjjNS0_4plusIjEEEEZZNS1_33reduce_by_key_impl_wrapped_configILNS1_25lookback_scan_determinismE0ES3_S7_PKjNS0_17constant_iteratorIjlEEPjPlSF_S6_NS0_8equal_toIjEEEE10hipError_tPvRmT2_T3_mT4_T5_T6_T7_T8_P12ihipStream_tbENKUlT_T0_E_clISt17integral_constantIbLb1EESY_IbLb0EEEEDaSU_SV_EUlSU_E_NS1_11comp_targetILNS1_3genE8ELNS1_11target_archE1030ELNS1_3gpuE2ELNS1_3repE0EEENS1_30default_config_static_selectorELNS0_4arch9wavefront6targetE1EEEvT1_.kd
    .uniform_work_group_size: 1
    .uses_dynamic_stack: false
    .vgpr_count:     0
    .vgpr_spill_count: 0
    .wavefront_size: 64
  - .agpr_count:     0
    .args:
      - .offset:         0
        .size:           128
        .value_kind:     by_value
    .group_segment_fixed_size: 0
    .kernarg_segment_align: 8
    .kernarg_segment_size: 128
    .language:       OpenCL C
    .language_version:
      - 2
      - 0
    .max_flat_workgroup_size: 256
    .name:           _ZN7rocprim17ROCPRIM_400000_NS6detail17trampoline_kernelINS0_14default_configENS1_33run_length_encode_config_selectorIjjNS0_4plusIjEEEEZZNS1_33reduce_by_key_impl_wrapped_configILNS1_25lookback_scan_determinismE0ES3_S7_PKjNS0_17constant_iteratorIjlEEPjPlSF_S6_NS0_8equal_toIjEEEE10hipError_tPvRmT2_T3_mT4_T5_T6_T7_T8_P12ihipStream_tbENKUlT_T0_E_clISt17integral_constantIbLb0EESY_IbLb1EEEEDaSU_SV_EUlSU_E_NS1_11comp_targetILNS1_3genE0ELNS1_11target_archE4294967295ELNS1_3gpuE0ELNS1_3repE0EEENS1_30default_config_static_selectorELNS0_4arch9wavefront6targetE1EEEvT1_
    .private_segment_fixed_size: 0
    .sgpr_count:     4
    .sgpr_spill_count: 0
    .symbol:         _ZN7rocprim17ROCPRIM_400000_NS6detail17trampoline_kernelINS0_14default_configENS1_33run_length_encode_config_selectorIjjNS0_4plusIjEEEEZZNS1_33reduce_by_key_impl_wrapped_configILNS1_25lookback_scan_determinismE0ES3_S7_PKjNS0_17constant_iteratorIjlEEPjPlSF_S6_NS0_8equal_toIjEEEE10hipError_tPvRmT2_T3_mT4_T5_T6_T7_T8_P12ihipStream_tbENKUlT_T0_E_clISt17integral_constantIbLb0EESY_IbLb1EEEEDaSU_SV_EUlSU_E_NS1_11comp_targetILNS1_3genE0ELNS1_11target_archE4294967295ELNS1_3gpuE0ELNS1_3repE0EEENS1_30default_config_static_selectorELNS0_4arch9wavefront6targetE1EEEvT1_.kd
    .uniform_work_group_size: 1
    .uses_dynamic_stack: false
    .vgpr_count:     0
    .vgpr_spill_count: 0
    .wavefront_size: 64
  - .agpr_count:     0
    .args:
      - .offset:         0
        .size:           128
        .value_kind:     by_value
    .group_segment_fixed_size: 0
    .kernarg_segment_align: 8
    .kernarg_segment_size: 128
    .language:       OpenCL C
    .language_version:
      - 2
      - 0
    .max_flat_workgroup_size: 512
    .name:           _ZN7rocprim17ROCPRIM_400000_NS6detail17trampoline_kernelINS0_14default_configENS1_33run_length_encode_config_selectorIjjNS0_4plusIjEEEEZZNS1_33reduce_by_key_impl_wrapped_configILNS1_25lookback_scan_determinismE0ES3_S7_PKjNS0_17constant_iteratorIjlEEPjPlSF_S6_NS0_8equal_toIjEEEE10hipError_tPvRmT2_T3_mT4_T5_T6_T7_T8_P12ihipStream_tbENKUlT_T0_E_clISt17integral_constantIbLb0EESY_IbLb1EEEEDaSU_SV_EUlSU_E_NS1_11comp_targetILNS1_3genE5ELNS1_11target_archE942ELNS1_3gpuE9ELNS1_3repE0EEENS1_30default_config_static_selectorELNS0_4arch9wavefront6targetE1EEEvT1_
    .private_segment_fixed_size: 0
    .sgpr_count:     4
    .sgpr_spill_count: 0
    .symbol:         _ZN7rocprim17ROCPRIM_400000_NS6detail17trampoline_kernelINS0_14default_configENS1_33run_length_encode_config_selectorIjjNS0_4plusIjEEEEZZNS1_33reduce_by_key_impl_wrapped_configILNS1_25lookback_scan_determinismE0ES3_S7_PKjNS0_17constant_iteratorIjlEEPjPlSF_S6_NS0_8equal_toIjEEEE10hipError_tPvRmT2_T3_mT4_T5_T6_T7_T8_P12ihipStream_tbENKUlT_T0_E_clISt17integral_constantIbLb0EESY_IbLb1EEEEDaSU_SV_EUlSU_E_NS1_11comp_targetILNS1_3genE5ELNS1_11target_archE942ELNS1_3gpuE9ELNS1_3repE0EEENS1_30default_config_static_selectorELNS0_4arch9wavefront6targetE1EEEvT1_.kd
    .uniform_work_group_size: 1
    .uses_dynamic_stack: false
    .vgpr_count:     0
    .vgpr_spill_count: 0
    .wavefront_size: 64
  - .agpr_count:     0
    .args:
      - .offset:         0
        .size:           128
        .value_kind:     by_value
    .group_segment_fixed_size: 15360
    .kernarg_segment_align: 8
    .kernarg_segment_size: 128
    .language:       OpenCL C
    .language_version:
      - 2
      - 0
    .max_flat_workgroup_size: 256
    .name:           _ZN7rocprim17ROCPRIM_400000_NS6detail17trampoline_kernelINS0_14default_configENS1_33run_length_encode_config_selectorIjjNS0_4plusIjEEEEZZNS1_33reduce_by_key_impl_wrapped_configILNS1_25lookback_scan_determinismE0ES3_S7_PKjNS0_17constant_iteratorIjlEEPjPlSF_S6_NS0_8equal_toIjEEEE10hipError_tPvRmT2_T3_mT4_T5_T6_T7_T8_P12ihipStream_tbENKUlT_T0_E_clISt17integral_constantIbLb0EESY_IbLb1EEEEDaSU_SV_EUlSU_E_NS1_11comp_targetILNS1_3genE4ELNS1_11target_archE910ELNS1_3gpuE8ELNS1_3repE0EEENS1_30default_config_static_selectorELNS0_4arch9wavefront6targetE1EEEvT1_
    .private_segment_fixed_size: 0
    .sgpr_count:     70
    .sgpr_spill_count: 0
    .symbol:         _ZN7rocprim17ROCPRIM_400000_NS6detail17trampoline_kernelINS0_14default_configENS1_33run_length_encode_config_selectorIjjNS0_4plusIjEEEEZZNS1_33reduce_by_key_impl_wrapped_configILNS1_25lookback_scan_determinismE0ES3_S7_PKjNS0_17constant_iteratorIjlEEPjPlSF_S6_NS0_8equal_toIjEEEE10hipError_tPvRmT2_T3_mT4_T5_T6_T7_T8_P12ihipStream_tbENKUlT_T0_E_clISt17integral_constantIbLb0EESY_IbLb1EEEEDaSU_SV_EUlSU_E_NS1_11comp_targetILNS1_3genE4ELNS1_11target_archE910ELNS1_3gpuE8ELNS1_3repE0EEENS1_30default_config_static_selectorELNS0_4arch9wavefront6targetE1EEEvT1_.kd
    .uniform_work_group_size: 1
    .uses_dynamic_stack: false
    .vgpr_count:     104
    .vgpr_spill_count: 0
    .wavefront_size: 64
  - .agpr_count:     0
    .args:
      - .offset:         0
        .size:           128
        .value_kind:     by_value
    .group_segment_fixed_size: 0
    .kernarg_segment_align: 8
    .kernarg_segment_size: 128
    .language:       OpenCL C
    .language_version:
      - 2
      - 0
    .max_flat_workgroup_size: 256
    .name:           _ZN7rocprim17ROCPRIM_400000_NS6detail17trampoline_kernelINS0_14default_configENS1_33run_length_encode_config_selectorIjjNS0_4plusIjEEEEZZNS1_33reduce_by_key_impl_wrapped_configILNS1_25lookback_scan_determinismE0ES3_S7_PKjNS0_17constant_iteratorIjlEEPjPlSF_S6_NS0_8equal_toIjEEEE10hipError_tPvRmT2_T3_mT4_T5_T6_T7_T8_P12ihipStream_tbENKUlT_T0_E_clISt17integral_constantIbLb0EESY_IbLb1EEEEDaSU_SV_EUlSU_E_NS1_11comp_targetILNS1_3genE3ELNS1_11target_archE908ELNS1_3gpuE7ELNS1_3repE0EEENS1_30default_config_static_selectorELNS0_4arch9wavefront6targetE1EEEvT1_
    .private_segment_fixed_size: 0
    .sgpr_count:     4
    .sgpr_spill_count: 0
    .symbol:         _ZN7rocprim17ROCPRIM_400000_NS6detail17trampoline_kernelINS0_14default_configENS1_33run_length_encode_config_selectorIjjNS0_4plusIjEEEEZZNS1_33reduce_by_key_impl_wrapped_configILNS1_25lookback_scan_determinismE0ES3_S7_PKjNS0_17constant_iteratorIjlEEPjPlSF_S6_NS0_8equal_toIjEEEE10hipError_tPvRmT2_T3_mT4_T5_T6_T7_T8_P12ihipStream_tbENKUlT_T0_E_clISt17integral_constantIbLb0EESY_IbLb1EEEEDaSU_SV_EUlSU_E_NS1_11comp_targetILNS1_3genE3ELNS1_11target_archE908ELNS1_3gpuE7ELNS1_3repE0EEENS1_30default_config_static_selectorELNS0_4arch9wavefront6targetE1EEEvT1_.kd
    .uniform_work_group_size: 1
    .uses_dynamic_stack: false
    .vgpr_count:     0
    .vgpr_spill_count: 0
    .wavefront_size: 64
  - .agpr_count:     0
    .args:
      - .offset:         0
        .size:           128
        .value_kind:     by_value
    .group_segment_fixed_size: 0
    .kernarg_segment_align: 8
    .kernarg_segment_size: 128
    .language:       OpenCL C
    .language_version:
      - 2
      - 0
    .max_flat_workgroup_size: 256
    .name:           _ZN7rocprim17ROCPRIM_400000_NS6detail17trampoline_kernelINS0_14default_configENS1_33run_length_encode_config_selectorIjjNS0_4plusIjEEEEZZNS1_33reduce_by_key_impl_wrapped_configILNS1_25lookback_scan_determinismE0ES3_S7_PKjNS0_17constant_iteratorIjlEEPjPlSF_S6_NS0_8equal_toIjEEEE10hipError_tPvRmT2_T3_mT4_T5_T6_T7_T8_P12ihipStream_tbENKUlT_T0_E_clISt17integral_constantIbLb0EESY_IbLb1EEEEDaSU_SV_EUlSU_E_NS1_11comp_targetILNS1_3genE2ELNS1_11target_archE906ELNS1_3gpuE6ELNS1_3repE0EEENS1_30default_config_static_selectorELNS0_4arch9wavefront6targetE1EEEvT1_
    .private_segment_fixed_size: 0
    .sgpr_count:     4
    .sgpr_spill_count: 0
    .symbol:         _ZN7rocprim17ROCPRIM_400000_NS6detail17trampoline_kernelINS0_14default_configENS1_33run_length_encode_config_selectorIjjNS0_4plusIjEEEEZZNS1_33reduce_by_key_impl_wrapped_configILNS1_25lookback_scan_determinismE0ES3_S7_PKjNS0_17constant_iteratorIjlEEPjPlSF_S6_NS0_8equal_toIjEEEE10hipError_tPvRmT2_T3_mT4_T5_T6_T7_T8_P12ihipStream_tbENKUlT_T0_E_clISt17integral_constantIbLb0EESY_IbLb1EEEEDaSU_SV_EUlSU_E_NS1_11comp_targetILNS1_3genE2ELNS1_11target_archE906ELNS1_3gpuE6ELNS1_3repE0EEENS1_30default_config_static_selectorELNS0_4arch9wavefront6targetE1EEEvT1_.kd
    .uniform_work_group_size: 1
    .uses_dynamic_stack: false
    .vgpr_count:     0
    .vgpr_spill_count: 0
    .wavefront_size: 64
  - .agpr_count:     0
    .args:
      - .offset:         0
        .size:           128
        .value_kind:     by_value
    .group_segment_fixed_size: 0
    .kernarg_segment_align: 8
    .kernarg_segment_size: 128
    .language:       OpenCL C
    .language_version:
      - 2
      - 0
    .max_flat_workgroup_size: 384
    .name:           _ZN7rocprim17ROCPRIM_400000_NS6detail17trampoline_kernelINS0_14default_configENS1_33run_length_encode_config_selectorIjjNS0_4plusIjEEEEZZNS1_33reduce_by_key_impl_wrapped_configILNS1_25lookback_scan_determinismE0ES3_S7_PKjNS0_17constant_iteratorIjlEEPjPlSF_S6_NS0_8equal_toIjEEEE10hipError_tPvRmT2_T3_mT4_T5_T6_T7_T8_P12ihipStream_tbENKUlT_T0_E_clISt17integral_constantIbLb0EESY_IbLb1EEEEDaSU_SV_EUlSU_E_NS1_11comp_targetILNS1_3genE10ELNS1_11target_archE1201ELNS1_3gpuE5ELNS1_3repE0EEENS1_30default_config_static_selectorELNS0_4arch9wavefront6targetE1EEEvT1_
    .private_segment_fixed_size: 0
    .sgpr_count:     4
    .sgpr_spill_count: 0
    .symbol:         _ZN7rocprim17ROCPRIM_400000_NS6detail17trampoline_kernelINS0_14default_configENS1_33run_length_encode_config_selectorIjjNS0_4plusIjEEEEZZNS1_33reduce_by_key_impl_wrapped_configILNS1_25lookback_scan_determinismE0ES3_S7_PKjNS0_17constant_iteratorIjlEEPjPlSF_S6_NS0_8equal_toIjEEEE10hipError_tPvRmT2_T3_mT4_T5_T6_T7_T8_P12ihipStream_tbENKUlT_T0_E_clISt17integral_constantIbLb0EESY_IbLb1EEEEDaSU_SV_EUlSU_E_NS1_11comp_targetILNS1_3genE10ELNS1_11target_archE1201ELNS1_3gpuE5ELNS1_3repE0EEENS1_30default_config_static_selectorELNS0_4arch9wavefront6targetE1EEEvT1_.kd
    .uniform_work_group_size: 1
    .uses_dynamic_stack: false
    .vgpr_count:     0
    .vgpr_spill_count: 0
    .wavefront_size: 64
  - .agpr_count:     0
    .args:
      - .offset:         0
        .size:           128
        .value_kind:     by_value
    .group_segment_fixed_size: 0
    .kernarg_segment_align: 8
    .kernarg_segment_size: 128
    .language:       OpenCL C
    .language_version:
      - 2
      - 0
    .max_flat_workgroup_size: 256
    .name:           _ZN7rocprim17ROCPRIM_400000_NS6detail17trampoline_kernelINS0_14default_configENS1_33run_length_encode_config_selectorIjjNS0_4plusIjEEEEZZNS1_33reduce_by_key_impl_wrapped_configILNS1_25lookback_scan_determinismE0ES3_S7_PKjNS0_17constant_iteratorIjlEEPjPlSF_S6_NS0_8equal_toIjEEEE10hipError_tPvRmT2_T3_mT4_T5_T6_T7_T8_P12ihipStream_tbENKUlT_T0_E_clISt17integral_constantIbLb0EESY_IbLb1EEEEDaSU_SV_EUlSU_E_NS1_11comp_targetILNS1_3genE10ELNS1_11target_archE1200ELNS1_3gpuE4ELNS1_3repE0EEENS1_30default_config_static_selectorELNS0_4arch9wavefront6targetE1EEEvT1_
    .private_segment_fixed_size: 0
    .sgpr_count:     4
    .sgpr_spill_count: 0
    .symbol:         _ZN7rocprim17ROCPRIM_400000_NS6detail17trampoline_kernelINS0_14default_configENS1_33run_length_encode_config_selectorIjjNS0_4plusIjEEEEZZNS1_33reduce_by_key_impl_wrapped_configILNS1_25lookback_scan_determinismE0ES3_S7_PKjNS0_17constant_iteratorIjlEEPjPlSF_S6_NS0_8equal_toIjEEEE10hipError_tPvRmT2_T3_mT4_T5_T6_T7_T8_P12ihipStream_tbENKUlT_T0_E_clISt17integral_constantIbLb0EESY_IbLb1EEEEDaSU_SV_EUlSU_E_NS1_11comp_targetILNS1_3genE10ELNS1_11target_archE1200ELNS1_3gpuE4ELNS1_3repE0EEENS1_30default_config_static_selectorELNS0_4arch9wavefront6targetE1EEEvT1_.kd
    .uniform_work_group_size: 1
    .uses_dynamic_stack: false
    .vgpr_count:     0
    .vgpr_spill_count: 0
    .wavefront_size: 64
  - .agpr_count:     0
    .args:
      - .offset:         0
        .size:           128
        .value_kind:     by_value
    .group_segment_fixed_size: 0
    .kernarg_segment_align: 8
    .kernarg_segment_size: 128
    .language:       OpenCL C
    .language_version:
      - 2
      - 0
    .max_flat_workgroup_size: 512
    .name:           _ZN7rocprim17ROCPRIM_400000_NS6detail17trampoline_kernelINS0_14default_configENS1_33run_length_encode_config_selectorIjjNS0_4plusIjEEEEZZNS1_33reduce_by_key_impl_wrapped_configILNS1_25lookback_scan_determinismE0ES3_S7_PKjNS0_17constant_iteratorIjlEEPjPlSF_S6_NS0_8equal_toIjEEEE10hipError_tPvRmT2_T3_mT4_T5_T6_T7_T8_P12ihipStream_tbENKUlT_T0_E_clISt17integral_constantIbLb0EESY_IbLb1EEEEDaSU_SV_EUlSU_E_NS1_11comp_targetILNS1_3genE9ELNS1_11target_archE1100ELNS1_3gpuE3ELNS1_3repE0EEENS1_30default_config_static_selectorELNS0_4arch9wavefront6targetE1EEEvT1_
    .private_segment_fixed_size: 0
    .sgpr_count:     4
    .sgpr_spill_count: 0
    .symbol:         _ZN7rocprim17ROCPRIM_400000_NS6detail17trampoline_kernelINS0_14default_configENS1_33run_length_encode_config_selectorIjjNS0_4plusIjEEEEZZNS1_33reduce_by_key_impl_wrapped_configILNS1_25lookback_scan_determinismE0ES3_S7_PKjNS0_17constant_iteratorIjlEEPjPlSF_S6_NS0_8equal_toIjEEEE10hipError_tPvRmT2_T3_mT4_T5_T6_T7_T8_P12ihipStream_tbENKUlT_T0_E_clISt17integral_constantIbLb0EESY_IbLb1EEEEDaSU_SV_EUlSU_E_NS1_11comp_targetILNS1_3genE9ELNS1_11target_archE1100ELNS1_3gpuE3ELNS1_3repE0EEENS1_30default_config_static_selectorELNS0_4arch9wavefront6targetE1EEEvT1_.kd
    .uniform_work_group_size: 1
    .uses_dynamic_stack: false
    .vgpr_count:     0
    .vgpr_spill_count: 0
    .wavefront_size: 64
  - .agpr_count:     0
    .args:
      - .offset:         0
        .size:           128
        .value_kind:     by_value
    .group_segment_fixed_size: 0
    .kernarg_segment_align: 8
    .kernarg_segment_size: 128
    .language:       OpenCL C
    .language_version:
      - 2
      - 0
    .max_flat_workgroup_size: 192
    .name:           _ZN7rocprim17ROCPRIM_400000_NS6detail17trampoline_kernelINS0_14default_configENS1_33run_length_encode_config_selectorIjjNS0_4plusIjEEEEZZNS1_33reduce_by_key_impl_wrapped_configILNS1_25lookback_scan_determinismE0ES3_S7_PKjNS0_17constant_iteratorIjlEEPjPlSF_S6_NS0_8equal_toIjEEEE10hipError_tPvRmT2_T3_mT4_T5_T6_T7_T8_P12ihipStream_tbENKUlT_T0_E_clISt17integral_constantIbLb0EESY_IbLb1EEEEDaSU_SV_EUlSU_E_NS1_11comp_targetILNS1_3genE8ELNS1_11target_archE1030ELNS1_3gpuE2ELNS1_3repE0EEENS1_30default_config_static_selectorELNS0_4arch9wavefront6targetE1EEEvT1_
    .private_segment_fixed_size: 0
    .sgpr_count:     4
    .sgpr_spill_count: 0
    .symbol:         _ZN7rocprim17ROCPRIM_400000_NS6detail17trampoline_kernelINS0_14default_configENS1_33run_length_encode_config_selectorIjjNS0_4plusIjEEEEZZNS1_33reduce_by_key_impl_wrapped_configILNS1_25lookback_scan_determinismE0ES3_S7_PKjNS0_17constant_iteratorIjlEEPjPlSF_S6_NS0_8equal_toIjEEEE10hipError_tPvRmT2_T3_mT4_T5_T6_T7_T8_P12ihipStream_tbENKUlT_T0_E_clISt17integral_constantIbLb0EESY_IbLb1EEEEDaSU_SV_EUlSU_E_NS1_11comp_targetILNS1_3genE8ELNS1_11target_archE1030ELNS1_3gpuE2ELNS1_3repE0EEENS1_30default_config_static_selectorELNS0_4arch9wavefront6targetE1EEEvT1_.kd
    .uniform_work_group_size: 1
    .uses_dynamic_stack: false
    .vgpr_count:     0
    .vgpr_spill_count: 0
    .wavefront_size: 64
  - .agpr_count:     0
    .args:
      - .offset:         0
        .size:           8
        .value_kind:     by_value
      - .address_space:  global
        .offset:         8
        .size:           8
        .value_kind:     global_buffer
      - .address_space:  global
        .offset:         16
        .size:           8
        .value_kind:     global_buffer
      - .offset:         24
        .size:           4
        .value_kind:     hidden_block_count_x
      - .offset:         28
        .size:           4
        .value_kind:     hidden_block_count_y
      - .offset:         32
        .size:           4
        .value_kind:     hidden_block_count_z
      - .offset:         36
        .size:           2
        .value_kind:     hidden_group_size_x
      - .offset:         38
        .size:           2
        .value_kind:     hidden_group_size_y
      - .offset:         40
        .size:           2
        .value_kind:     hidden_group_size_z
      - .offset:         42
        .size:           2
        .value_kind:     hidden_remainder_x
      - .offset:         44
        .size:           2
        .value_kind:     hidden_remainder_y
      - .offset:         46
        .size:           2
        .value_kind:     hidden_remainder_z
      - .offset:         64
        .size:           8
        .value_kind:     hidden_global_offset_x
      - .offset:         72
        .size:           8
        .value_kind:     hidden_global_offset_y
      - .offset:         80
        .size:           8
        .value_kind:     hidden_global_offset_z
      - .offset:         88
        .size:           2
        .value_kind:     hidden_grid_dims
    .group_segment_fixed_size: 0
    .kernarg_segment_align: 8
    .kernarg_segment_size: 280
    .language:       OpenCL C
    .language_version:
      - 2
      - 0
    .max_flat_workgroup_size: 1024
    .name:           _ZN2at6native8internal12_GLOBAL__N_126adjacent_difference_kernelIPKmEEvlT_Pi
    .private_segment_fixed_size: 0
    .sgpr_count:     18
    .sgpr_spill_count: 0
    .symbol:         _ZN2at6native8internal12_GLOBAL__N_126adjacent_difference_kernelIPKmEEvlT_Pi.kd
    .uniform_work_group_size: 1
    .uses_dynamic_stack: false
    .vgpr_count:     18
    .vgpr_spill_count: 0
    .wavefront_size: 64
  - .agpr_count:     0
    .args:
      - .offset:         0
        .size:           112
        .value_kind:     by_value
    .group_segment_fixed_size: 0
    .kernarg_segment_align: 8
    .kernarg_segment_size: 112
    .language:       OpenCL C
    .language_version:
      - 2
      - 0
    .max_flat_workgroup_size: 512
    .name:           _ZN7rocprim17ROCPRIM_400000_NS6detail17trampoline_kernelINS0_14default_configENS1_25partition_config_selectorILNS1_17partition_subalgoE8EmNS0_10empty_typeEbEEZZNS1_14partition_implILS5_8ELb0ES3_jPKmPS6_PKS6_NS0_5tupleIJPmS6_EEENSE_IJSB_SB_EEENS0_18inequality_wrapperIN6hipcub16HIPCUB_304000_NS8EqualityEEEPlJS6_EEE10hipError_tPvRmT3_T4_T5_T6_T7_T9_mT8_P12ihipStream_tbDpT10_ENKUlT_T0_E_clISt17integral_constantIbLb0EES17_EEDaS12_S13_EUlS12_E_NS1_11comp_targetILNS1_3genE0ELNS1_11target_archE4294967295ELNS1_3gpuE0ELNS1_3repE0EEENS1_30default_config_static_selectorELNS0_4arch9wavefront6targetE1EEEvT1_
    .private_segment_fixed_size: 0
    .sgpr_count:     4
    .sgpr_spill_count: 0
    .symbol:         _ZN7rocprim17ROCPRIM_400000_NS6detail17trampoline_kernelINS0_14default_configENS1_25partition_config_selectorILNS1_17partition_subalgoE8EmNS0_10empty_typeEbEEZZNS1_14partition_implILS5_8ELb0ES3_jPKmPS6_PKS6_NS0_5tupleIJPmS6_EEENSE_IJSB_SB_EEENS0_18inequality_wrapperIN6hipcub16HIPCUB_304000_NS8EqualityEEEPlJS6_EEE10hipError_tPvRmT3_T4_T5_T6_T7_T9_mT8_P12ihipStream_tbDpT10_ENKUlT_T0_E_clISt17integral_constantIbLb0EES17_EEDaS12_S13_EUlS12_E_NS1_11comp_targetILNS1_3genE0ELNS1_11target_archE4294967295ELNS1_3gpuE0ELNS1_3repE0EEENS1_30default_config_static_selectorELNS0_4arch9wavefront6targetE1EEEvT1_.kd
    .uniform_work_group_size: 1
    .uses_dynamic_stack: false
    .vgpr_count:     0
    .vgpr_spill_count: 0
    .wavefront_size: 64
  - .agpr_count:     0
    .args:
      - .offset:         0
        .size:           112
        .value_kind:     by_value
    .group_segment_fixed_size: 0
    .kernarg_segment_align: 8
    .kernarg_segment_size: 112
    .language:       OpenCL C
    .language_version:
      - 2
      - 0
    .max_flat_workgroup_size: 512
    .name:           _ZN7rocprim17ROCPRIM_400000_NS6detail17trampoline_kernelINS0_14default_configENS1_25partition_config_selectorILNS1_17partition_subalgoE8EmNS0_10empty_typeEbEEZZNS1_14partition_implILS5_8ELb0ES3_jPKmPS6_PKS6_NS0_5tupleIJPmS6_EEENSE_IJSB_SB_EEENS0_18inequality_wrapperIN6hipcub16HIPCUB_304000_NS8EqualityEEEPlJS6_EEE10hipError_tPvRmT3_T4_T5_T6_T7_T9_mT8_P12ihipStream_tbDpT10_ENKUlT_T0_E_clISt17integral_constantIbLb0EES17_EEDaS12_S13_EUlS12_E_NS1_11comp_targetILNS1_3genE5ELNS1_11target_archE942ELNS1_3gpuE9ELNS1_3repE0EEENS1_30default_config_static_selectorELNS0_4arch9wavefront6targetE1EEEvT1_
    .private_segment_fixed_size: 0
    .sgpr_count:     4
    .sgpr_spill_count: 0
    .symbol:         _ZN7rocprim17ROCPRIM_400000_NS6detail17trampoline_kernelINS0_14default_configENS1_25partition_config_selectorILNS1_17partition_subalgoE8EmNS0_10empty_typeEbEEZZNS1_14partition_implILS5_8ELb0ES3_jPKmPS6_PKS6_NS0_5tupleIJPmS6_EEENSE_IJSB_SB_EEENS0_18inequality_wrapperIN6hipcub16HIPCUB_304000_NS8EqualityEEEPlJS6_EEE10hipError_tPvRmT3_T4_T5_T6_T7_T9_mT8_P12ihipStream_tbDpT10_ENKUlT_T0_E_clISt17integral_constantIbLb0EES17_EEDaS12_S13_EUlS12_E_NS1_11comp_targetILNS1_3genE5ELNS1_11target_archE942ELNS1_3gpuE9ELNS1_3repE0EEENS1_30default_config_static_selectorELNS0_4arch9wavefront6targetE1EEEvT1_.kd
    .uniform_work_group_size: 1
    .uses_dynamic_stack: false
    .vgpr_count:     0
    .vgpr_spill_count: 0
    .wavefront_size: 64
  - .agpr_count:     0
    .args:
      - .offset:         0
        .size:           112
        .value_kind:     by_value
    .group_segment_fixed_size: 10248
    .kernarg_segment_align: 8
    .kernarg_segment_size: 112
    .language:       OpenCL C
    .language_version:
      - 2
      - 0
    .max_flat_workgroup_size: 256
    .name:           _ZN7rocprim17ROCPRIM_400000_NS6detail17trampoline_kernelINS0_14default_configENS1_25partition_config_selectorILNS1_17partition_subalgoE8EmNS0_10empty_typeEbEEZZNS1_14partition_implILS5_8ELb0ES3_jPKmPS6_PKS6_NS0_5tupleIJPmS6_EEENSE_IJSB_SB_EEENS0_18inequality_wrapperIN6hipcub16HIPCUB_304000_NS8EqualityEEEPlJS6_EEE10hipError_tPvRmT3_T4_T5_T6_T7_T9_mT8_P12ihipStream_tbDpT10_ENKUlT_T0_E_clISt17integral_constantIbLb0EES17_EEDaS12_S13_EUlS12_E_NS1_11comp_targetILNS1_3genE4ELNS1_11target_archE910ELNS1_3gpuE8ELNS1_3repE0EEENS1_30default_config_static_selectorELNS0_4arch9wavefront6targetE1EEEvT1_
    .private_segment_fixed_size: 0
    .sgpr_count:     44
    .sgpr_spill_count: 0
    .symbol:         _ZN7rocprim17ROCPRIM_400000_NS6detail17trampoline_kernelINS0_14default_configENS1_25partition_config_selectorILNS1_17partition_subalgoE8EmNS0_10empty_typeEbEEZZNS1_14partition_implILS5_8ELb0ES3_jPKmPS6_PKS6_NS0_5tupleIJPmS6_EEENSE_IJSB_SB_EEENS0_18inequality_wrapperIN6hipcub16HIPCUB_304000_NS8EqualityEEEPlJS6_EEE10hipError_tPvRmT3_T4_T5_T6_T7_T9_mT8_P12ihipStream_tbDpT10_ENKUlT_T0_E_clISt17integral_constantIbLb0EES17_EEDaS12_S13_EUlS12_E_NS1_11comp_targetILNS1_3genE4ELNS1_11target_archE910ELNS1_3gpuE8ELNS1_3repE0EEENS1_30default_config_static_selectorELNS0_4arch9wavefront6targetE1EEEvT1_.kd
    .uniform_work_group_size: 1
    .uses_dynamic_stack: false
    .vgpr_count:     47
    .vgpr_spill_count: 0
    .wavefront_size: 64
  - .agpr_count:     0
    .args:
      - .offset:         0
        .size:           112
        .value_kind:     by_value
    .group_segment_fixed_size: 0
    .kernarg_segment_align: 8
    .kernarg_segment_size: 112
    .language:       OpenCL C
    .language_version:
      - 2
      - 0
    .max_flat_workgroup_size: 512
    .name:           _ZN7rocprim17ROCPRIM_400000_NS6detail17trampoline_kernelINS0_14default_configENS1_25partition_config_selectorILNS1_17partition_subalgoE8EmNS0_10empty_typeEbEEZZNS1_14partition_implILS5_8ELb0ES3_jPKmPS6_PKS6_NS0_5tupleIJPmS6_EEENSE_IJSB_SB_EEENS0_18inequality_wrapperIN6hipcub16HIPCUB_304000_NS8EqualityEEEPlJS6_EEE10hipError_tPvRmT3_T4_T5_T6_T7_T9_mT8_P12ihipStream_tbDpT10_ENKUlT_T0_E_clISt17integral_constantIbLb0EES17_EEDaS12_S13_EUlS12_E_NS1_11comp_targetILNS1_3genE3ELNS1_11target_archE908ELNS1_3gpuE7ELNS1_3repE0EEENS1_30default_config_static_selectorELNS0_4arch9wavefront6targetE1EEEvT1_
    .private_segment_fixed_size: 0
    .sgpr_count:     4
    .sgpr_spill_count: 0
    .symbol:         _ZN7rocprim17ROCPRIM_400000_NS6detail17trampoline_kernelINS0_14default_configENS1_25partition_config_selectorILNS1_17partition_subalgoE8EmNS0_10empty_typeEbEEZZNS1_14partition_implILS5_8ELb0ES3_jPKmPS6_PKS6_NS0_5tupleIJPmS6_EEENSE_IJSB_SB_EEENS0_18inequality_wrapperIN6hipcub16HIPCUB_304000_NS8EqualityEEEPlJS6_EEE10hipError_tPvRmT3_T4_T5_T6_T7_T9_mT8_P12ihipStream_tbDpT10_ENKUlT_T0_E_clISt17integral_constantIbLb0EES17_EEDaS12_S13_EUlS12_E_NS1_11comp_targetILNS1_3genE3ELNS1_11target_archE908ELNS1_3gpuE7ELNS1_3repE0EEENS1_30default_config_static_selectorELNS0_4arch9wavefront6targetE1EEEvT1_.kd
    .uniform_work_group_size: 1
    .uses_dynamic_stack: false
    .vgpr_count:     0
    .vgpr_spill_count: 0
    .wavefront_size: 64
  - .agpr_count:     0
    .args:
      - .offset:         0
        .size:           112
        .value_kind:     by_value
    .group_segment_fixed_size: 0
    .kernarg_segment_align: 8
    .kernarg_segment_size: 112
    .language:       OpenCL C
    .language_version:
      - 2
      - 0
    .max_flat_workgroup_size: 256
    .name:           _ZN7rocprim17ROCPRIM_400000_NS6detail17trampoline_kernelINS0_14default_configENS1_25partition_config_selectorILNS1_17partition_subalgoE8EmNS0_10empty_typeEbEEZZNS1_14partition_implILS5_8ELb0ES3_jPKmPS6_PKS6_NS0_5tupleIJPmS6_EEENSE_IJSB_SB_EEENS0_18inequality_wrapperIN6hipcub16HIPCUB_304000_NS8EqualityEEEPlJS6_EEE10hipError_tPvRmT3_T4_T5_T6_T7_T9_mT8_P12ihipStream_tbDpT10_ENKUlT_T0_E_clISt17integral_constantIbLb0EES17_EEDaS12_S13_EUlS12_E_NS1_11comp_targetILNS1_3genE2ELNS1_11target_archE906ELNS1_3gpuE6ELNS1_3repE0EEENS1_30default_config_static_selectorELNS0_4arch9wavefront6targetE1EEEvT1_
    .private_segment_fixed_size: 0
    .sgpr_count:     4
    .sgpr_spill_count: 0
    .symbol:         _ZN7rocprim17ROCPRIM_400000_NS6detail17trampoline_kernelINS0_14default_configENS1_25partition_config_selectorILNS1_17partition_subalgoE8EmNS0_10empty_typeEbEEZZNS1_14partition_implILS5_8ELb0ES3_jPKmPS6_PKS6_NS0_5tupleIJPmS6_EEENSE_IJSB_SB_EEENS0_18inequality_wrapperIN6hipcub16HIPCUB_304000_NS8EqualityEEEPlJS6_EEE10hipError_tPvRmT3_T4_T5_T6_T7_T9_mT8_P12ihipStream_tbDpT10_ENKUlT_T0_E_clISt17integral_constantIbLb0EES17_EEDaS12_S13_EUlS12_E_NS1_11comp_targetILNS1_3genE2ELNS1_11target_archE906ELNS1_3gpuE6ELNS1_3repE0EEENS1_30default_config_static_selectorELNS0_4arch9wavefront6targetE1EEEvT1_.kd
    .uniform_work_group_size: 1
    .uses_dynamic_stack: false
    .vgpr_count:     0
    .vgpr_spill_count: 0
    .wavefront_size: 64
  - .agpr_count:     0
    .args:
      - .offset:         0
        .size:           112
        .value_kind:     by_value
    .group_segment_fixed_size: 0
    .kernarg_segment_align: 8
    .kernarg_segment_size: 112
    .language:       OpenCL C
    .language_version:
      - 2
      - 0
    .max_flat_workgroup_size: 384
    .name:           _ZN7rocprim17ROCPRIM_400000_NS6detail17trampoline_kernelINS0_14default_configENS1_25partition_config_selectorILNS1_17partition_subalgoE8EmNS0_10empty_typeEbEEZZNS1_14partition_implILS5_8ELb0ES3_jPKmPS6_PKS6_NS0_5tupleIJPmS6_EEENSE_IJSB_SB_EEENS0_18inequality_wrapperIN6hipcub16HIPCUB_304000_NS8EqualityEEEPlJS6_EEE10hipError_tPvRmT3_T4_T5_T6_T7_T9_mT8_P12ihipStream_tbDpT10_ENKUlT_T0_E_clISt17integral_constantIbLb0EES17_EEDaS12_S13_EUlS12_E_NS1_11comp_targetILNS1_3genE10ELNS1_11target_archE1200ELNS1_3gpuE4ELNS1_3repE0EEENS1_30default_config_static_selectorELNS0_4arch9wavefront6targetE1EEEvT1_
    .private_segment_fixed_size: 0
    .sgpr_count:     4
    .sgpr_spill_count: 0
    .symbol:         _ZN7rocprim17ROCPRIM_400000_NS6detail17trampoline_kernelINS0_14default_configENS1_25partition_config_selectorILNS1_17partition_subalgoE8EmNS0_10empty_typeEbEEZZNS1_14partition_implILS5_8ELb0ES3_jPKmPS6_PKS6_NS0_5tupleIJPmS6_EEENSE_IJSB_SB_EEENS0_18inequality_wrapperIN6hipcub16HIPCUB_304000_NS8EqualityEEEPlJS6_EEE10hipError_tPvRmT3_T4_T5_T6_T7_T9_mT8_P12ihipStream_tbDpT10_ENKUlT_T0_E_clISt17integral_constantIbLb0EES17_EEDaS12_S13_EUlS12_E_NS1_11comp_targetILNS1_3genE10ELNS1_11target_archE1200ELNS1_3gpuE4ELNS1_3repE0EEENS1_30default_config_static_selectorELNS0_4arch9wavefront6targetE1EEEvT1_.kd
    .uniform_work_group_size: 1
    .uses_dynamic_stack: false
    .vgpr_count:     0
    .vgpr_spill_count: 0
    .wavefront_size: 64
  - .agpr_count:     0
    .args:
      - .offset:         0
        .size:           112
        .value_kind:     by_value
    .group_segment_fixed_size: 0
    .kernarg_segment_align: 8
    .kernarg_segment_size: 112
    .language:       OpenCL C
    .language_version:
      - 2
      - 0
    .max_flat_workgroup_size: 512
    .name:           _ZN7rocprim17ROCPRIM_400000_NS6detail17trampoline_kernelINS0_14default_configENS1_25partition_config_selectorILNS1_17partition_subalgoE8EmNS0_10empty_typeEbEEZZNS1_14partition_implILS5_8ELb0ES3_jPKmPS6_PKS6_NS0_5tupleIJPmS6_EEENSE_IJSB_SB_EEENS0_18inequality_wrapperIN6hipcub16HIPCUB_304000_NS8EqualityEEEPlJS6_EEE10hipError_tPvRmT3_T4_T5_T6_T7_T9_mT8_P12ihipStream_tbDpT10_ENKUlT_T0_E_clISt17integral_constantIbLb0EES17_EEDaS12_S13_EUlS12_E_NS1_11comp_targetILNS1_3genE9ELNS1_11target_archE1100ELNS1_3gpuE3ELNS1_3repE0EEENS1_30default_config_static_selectorELNS0_4arch9wavefront6targetE1EEEvT1_
    .private_segment_fixed_size: 0
    .sgpr_count:     4
    .sgpr_spill_count: 0
    .symbol:         _ZN7rocprim17ROCPRIM_400000_NS6detail17trampoline_kernelINS0_14default_configENS1_25partition_config_selectorILNS1_17partition_subalgoE8EmNS0_10empty_typeEbEEZZNS1_14partition_implILS5_8ELb0ES3_jPKmPS6_PKS6_NS0_5tupleIJPmS6_EEENSE_IJSB_SB_EEENS0_18inequality_wrapperIN6hipcub16HIPCUB_304000_NS8EqualityEEEPlJS6_EEE10hipError_tPvRmT3_T4_T5_T6_T7_T9_mT8_P12ihipStream_tbDpT10_ENKUlT_T0_E_clISt17integral_constantIbLb0EES17_EEDaS12_S13_EUlS12_E_NS1_11comp_targetILNS1_3genE9ELNS1_11target_archE1100ELNS1_3gpuE3ELNS1_3repE0EEENS1_30default_config_static_selectorELNS0_4arch9wavefront6targetE1EEEvT1_.kd
    .uniform_work_group_size: 1
    .uses_dynamic_stack: false
    .vgpr_count:     0
    .vgpr_spill_count: 0
    .wavefront_size: 64
  - .agpr_count:     0
    .args:
      - .offset:         0
        .size:           112
        .value_kind:     by_value
    .group_segment_fixed_size: 0
    .kernarg_segment_align: 8
    .kernarg_segment_size: 112
    .language:       OpenCL C
    .language_version:
      - 2
      - 0
    .max_flat_workgroup_size: 512
    .name:           _ZN7rocprim17ROCPRIM_400000_NS6detail17trampoline_kernelINS0_14default_configENS1_25partition_config_selectorILNS1_17partition_subalgoE8EmNS0_10empty_typeEbEEZZNS1_14partition_implILS5_8ELb0ES3_jPKmPS6_PKS6_NS0_5tupleIJPmS6_EEENSE_IJSB_SB_EEENS0_18inequality_wrapperIN6hipcub16HIPCUB_304000_NS8EqualityEEEPlJS6_EEE10hipError_tPvRmT3_T4_T5_T6_T7_T9_mT8_P12ihipStream_tbDpT10_ENKUlT_T0_E_clISt17integral_constantIbLb0EES17_EEDaS12_S13_EUlS12_E_NS1_11comp_targetILNS1_3genE8ELNS1_11target_archE1030ELNS1_3gpuE2ELNS1_3repE0EEENS1_30default_config_static_selectorELNS0_4arch9wavefront6targetE1EEEvT1_
    .private_segment_fixed_size: 0
    .sgpr_count:     4
    .sgpr_spill_count: 0
    .symbol:         _ZN7rocprim17ROCPRIM_400000_NS6detail17trampoline_kernelINS0_14default_configENS1_25partition_config_selectorILNS1_17partition_subalgoE8EmNS0_10empty_typeEbEEZZNS1_14partition_implILS5_8ELb0ES3_jPKmPS6_PKS6_NS0_5tupleIJPmS6_EEENSE_IJSB_SB_EEENS0_18inequality_wrapperIN6hipcub16HIPCUB_304000_NS8EqualityEEEPlJS6_EEE10hipError_tPvRmT3_T4_T5_T6_T7_T9_mT8_P12ihipStream_tbDpT10_ENKUlT_T0_E_clISt17integral_constantIbLb0EES17_EEDaS12_S13_EUlS12_E_NS1_11comp_targetILNS1_3genE8ELNS1_11target_archE1030ELNS1_3gpuE2ELNS1_3repE0EEENS1_30default_config_static_selectorELNS0_4arch9wavefront6targetE1EEEvT1_.kd
    .uniform_work_group_size: 1
    .uses_dynamic_stack: false
    .vgpr_count:     0
    .vgpr_spill_count: 0
    .wavefront_size: 64
  - .agpr_count:     0
    .args:
      - .offset:         0
        .size:           128
        .value_kind:     by_value
    .group_segment_fixed_size: 0
    .kernarg_segment_align: 8
    .kernarg_segment_size: 128
    .language:       OpenCL C
    .language_version:
      - 2
      - 0
    .max_flat_workgroup_size: 512
    .name:           _ZN7rocprim17ROCPRIM_400000_NS6detail17trampoline_kernelINS0_14default_configENS1_25partition_config_selectorILNS1_17partition_subalgoE8EmNS0_10empty_typeEbEEZZNS1_14partition_implILS5_8ELb0ES3_jPKmPS6_PKS6_NS0_5tupleIJPmS6_EEENSE_IJSB_SB_EEENS0_18inequality_wrapperIN6hipcub16HIPCUB_304000_NS8EqualityEEEPlJS6_EEE10hipError_tPvRmT3_T4_T5_T6_T7_T9_mT8_P12ihipStream_tbDpT10_ENKUlT_T0_E_clISt17integral_constantIbLb1EES17_EEDaS12_S13_EUlS12_E_NS1_11comp_targetILNS1_3genE0ELNS1_11target_archE4294967295ELNS1_3gpuE0ELNS1_3repE0EEENS1_30default_config_static_selectorELNS0_4arch9wavefront6targetE1EEEvT1_
    .private_segment_fixed_size: 0
    .sgpr_count:     4
    .sgpr_spill_count: 0
    .symbol:         _ZN7rocprim17ROCPRIM_400000_NS6detail17trampoline_kernelINS0_14default_configENS1_25partition_config_selectorILNS1_17partition_subalgoE8EmNS0_10empty_typeEbEEZZNS1_14partition_implILS5_8ELb0ES3_jPKmPS6_PKS6_NS0_5tupleIJPmS6_EEENSE_IJSB_SB_EEENS0_18inequality_wrapperIN6hipcub16HIPCUB_304000_NS8EqualityEEEPlJS6_EEE10hipError_tPvRmT3_T4_T5_T6_T7_T9_mT8_P12ihipStream_tbDpT10_ENKUlT_T0_E_clISt17integral_constantIbLb1EES17_EEDaS12_S13_EUlS12_E_NS1_11comp_targetILNS1_3genE0ELNS1_11target_archE4294967295ELNS1_3gpuE0ELNS1_3repE0EEENS1_30default_config_static_selectorELNS0_4arch9wavefront6targetE1EEEvT1_.kd
    .uniform_work_group_size: 1
    .uses_dynamic_stack: false
    .vgpr_count:     0
    .vgpr_spill_count: 0
    .wavefront_size: 64
  - .agpr_count:     0
    .args:
      - .offset:         0
        .size:           128
        .value_kind:     by_value
    .group_segment_fixed_size: 0
    .kernarg_segment_align: 8
    .kernarg_segment_size: 128
    .language:       OpenCL C
    .language_version:
      - 2
      - 0
    .max_flat_workgroup_size: 512
    .name:           _ZN7rocprim17ROCPRIM_400000_NS6detail17trampoline_kernelINS0_14default_configENS1_25partition_config_selectorILNS1_17partition_subalgoE8EmNS0_10empty_typeEbEEZZNS1_14partition_implILS5_8ELb0ES3_jPKmPS6_PKS6_NS0_5tupleIJPmS6_EEENSE_IJSB_SB_EEENS0_18inequality_wrapperIN6hipcub16HIPCUB_304000_NS8EqualityEEEPlJS6_EEE10hipError_tPvRmT3_T4_T5_T6_T7_T9_mT8_P12ihipStream_tbDpT10_ENKUlT_T0_E_clISt17integral_constantIbLb1EES17_EEDaS12_S13_EUlS12_E_NS1_11comp_targetILNS1_3genE5ELNS1_11target_archE942ELNS1_3gpuE9ELNS1_3repE0EEENS1_30default_config_static_selectorELNS0_4arch9wavefront6targetE1EEEvT1_
    .private_segment_fixed_size: 0
    .sgpr_count:     4
    .sgpr_spill_count: 0
    .symbol:         _ZN7rocprim17ROCPRIM_400000_NS6detail17trampoline_kernelINS0_14default_configENS1_25partition_config_selectorILNS1_17partition_subalgoE8EmNS0_10empty_typeEbEEZZNS1_14partition_implILS5_8ELb0ES3_jPKmPS6_PKS6_NS0_5tupleIJPmS6_EEENSE_IJSB_SB_EEENS0_18inequality_wrapperIN6hipcub16HIPCUB_304000_NS8EqualityEEEPlJS6_EEE10hipError_tPvRmT3_T4_T5_T6_T7_T9_mT8_P12ihipStream_tbDpT10_ENKUlT_T0_E_clISt17integral_constantIbLb1EES17_EEDaS12_S13_EUlS12_E_NS1_11comp_targetILNS1_3genE5ELNS1_11target_archE942ELNS1_3gpuE9ELNS1_3repE0EEENS1_30default_config_static_selectorELNS0_4arch9wavefront6targetE1EEEvT1_.kd
    .uniform_work_group_size: 1
    .uses_dynamic_stack: false
    .vgpr_count:     0
    .vgpr_spill_count: 0
    .wavefront_size: 64
  - .agpr_count:     0
    .args:
      - .offset:         0
        .size:           128
        .value_kind:     by_value
    .group_segment_fixed_size: 10248
    .kernarg_segment_align: 8
    .kernarg_segment_size: 128
    .language:       OpenCL C
    .language_version:
      - 2
      - 0
    .max_flat_workgroup_size: 256
    .name:           _ZN7rocprim17ROCPRIM_400000_NS6detail17trampoline_kernelINS0_14default_configENS1_25partition_config_selectorILNS1_17partition_subalgoE8EmNS0_10empty_typeEbEEZZNS1_14partition_implILS5_8ELb0ES3_jPKmPS6_PKS6_NS0_5tupleIJPmS6_EEENSE_IJSB_SB_EEENS0_18inequality_wrapperIN6hipcub16HIPCUB_304000_NS8EqualityEEEPlJS6_EEE10hipError_tPvRmT3_T4_T5_T6_T7_T9_mT8_P12ihipStream_tbDpT10_ENKUlT_T0_E_clISt17integral_constantIbLb1EES17_EEDaS12_S13_EUlS12_E_NS1_11comp_targetILNS1_3genE4ELNS1_11target_archE910ELNS1_3gpuE8ELNS1_3repE0EEENS1_30default_config_static_selectorELNS0_4arch9wavefront6targetE1EEEvT1_
    .private_segment_fixed_size: 0
    .sgpr_count:     46
    .sgpr_spill_count: 0
    .symbol:         _ZN7rocprim17ROCPRIM_400000_NS6detail17trampoline_kernelINS0_14default_configENS1_25partition_config_selectorILNS1_17partition_subalgoE8EmNS0_10empty_typeEbEEZZNS1_14partition_implILS5_8ELb0ES3_jPKmPS6_PKS6_NS0_5tupleIJPmS6_EEENSE_IJSB_SB_EEENS0_18inequality_wrapperIN6hipcub16HIPCUB_304000_NS8EqualityEEEPlJS6_EEE10hipError_tPvRmT3_T4_T5_T6_T7_T9_mT8_P12ihipStream_tbDpT10_ENKUlT_T0_E_clISt17integral_constantIbLb1EES17_EEDaS12_S13_EUlS12_E_NS1_11comp_targetILNS1_3genE4ELNS1_11target_archE910ELNS1_3gpuE8ELNS1_3repE0EEENS1_30default_config_static_selectorELNS0_4arch9wavefront6targetE1EEEvT1_.kd
    .uniform_work_group_size: 1
    .uses_dynamic_stack: false
    .vgpr_count:     47
    .vgpr_spill_count: 0
    .wavefront_size: 64
  - .agpr_count:     0
    .args:
      - .offset:         0
        .size:           128
        .value_kind:     by_value
    .group_segment_fixed_size: 0
    .kernarg_segment_align: 8
    .kernarg_segment_size: 128
    .language:       OpenCL C
    .language_version:
      - 2
      - 0
    .max_flat_workgroup_size: 512
    .name:           _ZN7rocprim17ROCPRIM_400000_NS6detail17trampoline_kernelINS0_14default_configENS1_25partition_config_selectorILNS1_17partition_subalgoE8EmNS0_10empty_typeEbEEZZNS1_14partition_implILS5_8ELb0ES3_jPKmPS6_PKS6_NS0_5tupleIJPmS6_EEENSE_IJSB_SB_EEENS0_18inequality_wrapperIN6hipcub16HIPCUB_304000_NS8EqualityEEEPlJS6_EEE10hipError_tPvRmT3_T4_T5_T6_T7_T9_mT8_P12ihipStream_tbDpT10_ENKUlT_T0_E_clISt17integral_constantIbLb1EES17_EEDaS12_S13_EUlS12_E_NS1_11comp_targetILNS1_3genE3ELNS1_11target_archE908ELNS1_3gpuE7ELNS1_3repE0EEENS1_30default_config_static_selectorELNS0_4arch9wavefront6targetE1EEEvT1_
    .private_segment_fixed_size: 0
    .sgpr_count:     4
    .sgpr_spill_count: 0
    .symbol:         _ZN7rocprim17ROCPRIM_400000_NS6detail17trampoline_kernelINS0_14default_configENS1_25partition_config_selectorILNS1_17partition_subalgoE8EmNS0_10empty_typeEbEEZZNS1_14partition_implILS5_8ELb0ES3_jPKmPS6_PKS6_NS0_5tupleIJPmS6_EEENSE_IJSB_SB_EEENS0_18inequality_wrapperIN6hipcub16HIPCUB_304000_NS8EqualityEEEPlJS6_EEE10hipError_tPvRmT3_T4_T5_T6_T7_T9_mT8_P12ihipStream_tbDpT10_ENKUlT_T0_E_clISt17integral_constantIbLb1EES17_EEDaS12_S13_EUlS12_E_NS1_11comp_targetILNS1_3genE3ELNS1_11target_archE908ELNS1_3gpuE7ELNS1_3repE0EEENS1_30default_config_static_selectorELNS0_4arch9wavefront6targetE1EEEvT1_.kd
    .uniform_work_group_size: 1
    .uses_dynamic_stack: false
    .vgpr_count:     0
    .vgpr_spill_count: 0
    .wavefront_size: 64
  - .agpr_count:     0
    .args:
      - .offset:         0
        .size:           128
        .value_kind:     by_value
    .group_segment_fixed_size: 0
    .kernarg_segment_align: 8
    .kernarg_segment_size: 128
    .language:       OpenCL C
    .language_version:
      - 2
      - 0
    .max_flat_workgroup_size: 256
    .name:           _ZN7rocprim17ROCPRIM_400000_NS6detail17trampoline_kernelINS0_14default_configENS1_25partition_config_selectorILNS1_17partition_subalgoE8EmNS0_10empty_typeEbEEZZNS1_14partition_implILS5_8ELb0ES3_jPKmPS6_PKS6_NS0_5tupleIJPmS6_EEENSE_IJSB_SB_EEENS0_18inequality_wrapperIN6hipcub16HIPCUB_304000_NS8EqualityEEEPlJS6_EEE10hipError_tPvRmT3_T4_T5_T6_T7_T9_mT8_P12ihipStream_tbDpT10_ENKUlT_T0_E_clISt17integral_constantIbLb1EES17_EEDaS12_S13_EUlS12_E_NS1_11comp_targetILNS1_3genE2ELNS1_11target_archE906ELNS1_3gpuE6ELNS1_3repE0EEENS1_30default_config_static_selectorELNS0_4arch9wavefront6targetE1EEEvT1_
    .private_segment_fixed_size: 0
    .sgpr_count:     4
    .sgpr_spill_count: 0
    .symbol:         _ZN7rocprim17ROCPRIM_400000_NS6detail17trampoline_kernelINS0_14default_configENS1_25partition_config_selectorILNS1_17partition_subalgoE8EmNS0_10empty_typeEbEEZZNS1_14partition_implILS5_8ELb0ES3_jPKmPS6_PKS6_NS0_5tupleIJPmS6_EEENSE_IJSB_SB_EEENS0_18inequality_wrapperIN6hipcub16HIPCUB_304000_NS8EqualityEEEPlJS6_EEE10hipError_tPvRmT3_T4_T5_T6_T7_T9_mT8_P12ihipStream_tbDpT10_ENKUlT_T0_E_clISt17integral_constantIbLb1EES17_EEDaS12_S13_EUlS12_E_NS1_11comp_targetILNS1_3genE2ELNS1_11target_archE906ELNS1_3gpuE6ELNS1_3repE0EEENS1_30default_config_static_selectorELNS0_4arch9wavefront6targetE1EEEvT1_.kd
    .uniform_work_group_size: 1
    .uses_dynamic_stack: false
    .vgpr_count:     0
    .vgpr_spill_count: 0
    .wavefront_size: 64
  - .agpr_count:     0
    .args:
      - .offset:         0
        .size:           128
        .value_kind:     by_value
    .group_segment_fixed_size: 0
    .kernarg_segment_align: 8
    .kernarg_segment_size: 128
    .language:       OpenCL C
    .language_version:
      - 2
      - 0
    .max_flat_workgroup_size: 384
    .name:           _ZN7rocprim17ROCPRIM_400000_NS6detail17trampoline_kernelINS0_14default_configENS1_25partition_config_selectorILNS1_17partition_subalgoE8EmNS0_10empty_typeEbEEZZNS1_14partition_implILS5_8ELb0ES3_jPKmPS6_PKS6_NS0_5tupleIJPmS6_EEENSE_IJSB_SB_EEENS0_18inequality_wrapperIN6hipcub16HIPCUB_304000_NS8EqualityEEEPlJS6_EEE10hipError_tPvRmT3_T4_T5_T6_T7_T9_mT8_P12ihipStream_tbDpT10_ENKUlT_T0_E_clISt17integral_constantIbLb1EES17_EEDaS12_S13_EUlS12_E_NS1_11comp_targetILNS1_3genE10ELNS1_11target_archE1200ELNS1_3gpuE4ELNS1_3repE0EEENS1_30default_config_static_selectorELNS0_4arch9wavefront6targetE1EEEvT1_
    .private_segment_fixed_size: 0
    .sgpr_count:     4
    .sgpr_spill_count: 0
    .symbol:         _ZN7rocprim17ROCPRIM_400000_NS6detail17trampoline_kernelINS0_14default_configENS1_25partition_config_selectorILNS1_17partition_subalgoE8EmNS0_10empty_typeEbEEZZNS1_14partition_implILS5_8ELb0ES3_jPKmPS6_PKS6_NS0_5tupleIJPmS6_EEENSE_IJSB_SB_EEENS0_18inequality_wrapperIN6hipcub16HIPCUB_304000_NS8EqualityEEEPlJS6_EEE10hipError_tPvRmT3_T4_T5_T6_T7_T9_mT8_P12ihipStream_tbDpT10_ENKUlT_T0_E_clISt17integral_constantIbLb1EES17_EEDaS12_S13_EUlS12_E_NS1_11comp_targetILNS1_3genE10ELNS1_11target_archE1200ELNS1_3gpuE4ELNS1_3repE0EEENS1_30default_config_static_selectorELNS0_4arch9wavefront6targetE1EEEvT1_.kd
    .uniform_work_group_size: 1
    .uses_dynamic_stack: false
    .vgpr_count:     0
    .vgpr_spill_count: 0
    .wavefront_size: 64
  - .agpr_count:     0
    .args:
      - .offset:         0
        .size:           128
        .value_kind:     by_value
    .group_segment_fixed_size: 0
    .kernarg_segment_align: 8
    .kernarg_segment_size: 128
    .language:       OpenCL C
    .language_version:
      - 2
      - 0
    .max_flat_workgroup_size: 512
    .name:           _ZN7rocprim17ROCPRIM_400000_NS6detail17trampoline_kernelINS0_14default_configENS1_25partition_config_selectorILNS1_17partition_subalgoE8EmNS0_10empty_typeEbEEZZNS1_14partition_implILS5_8ELb0ES3_jPKmPS6_PKS6_NS0_5tupleIJPmS6_EEENSE_IJSB_SB_EEENS0_18inequality_wrapperIN6hipcub16HIPCUB_304000_NS8EqualityEEEPlJS6_EEE10hipError_tPvRmT3_T4_T5_T6_T7_T9_mT8_P12ihipStream_tbDpT10_ENKUlT_T0_E_clISt17integral_constantIbLb1EES17_EEDaS12_S13_EUlS12_E_NS1_11comp_targetILNS1_3genE9ELNS1_11target_archE1100ELNS1_3gpuE3ELNS1_3repE0EEENS1_30default_config_static_selectorELNS0_4arch9wavefront6targetE1EEEvT1_
    .private_segment_fixed_size: 0
    .sgpr_count:     4
    .sgpr_spill_count: 0
    .symbol:         _ZN7rocprim17ROCPRIM_400000_NS6detail17trampoline_kernelINS0_14default_configENS1_25partition_config_selectorILNS1_17partition_subalgoE8EmNS0_10empty_typeEbEEZZNS1_14partition_implILS5_8ELb0ES3_jPKmPS6_PKS6_NS0_5tupleIJPmS6_EEENSE_IJSB_SB_EEENS0_18inequality_wrapperIN6hipcub16HIPCUB_304000_NS8EqualityEEEPlJS6_EEE10hipError_tPvRmT3_T4_T5_T6_T7_T9_mT8_P12ihipStream_tbDpT10_ENKUlT_T0_E_clISt17integral_constantIbLb1EES17_EEDaS12_S13_EUlS12_E_NS1_11comp_targetILNS1_3genE9ELNS1_11target_archE1100ELNS1_3gpuE3ELNS1_3repE0EEENS1_30default_config_static_selectorELNS0_4arch9wavefront6targetE1EEEvT1_.kd
    .uniform_work_group_size: 1
    .uses_dynamic_stack: false
    .vgpr_count:     0
    .vgpr_spill_count: 0
    .wavefront_size: 64
  - .agpr_count:     0
    .args:
      - .offset:         0
        .size:           128
        .value_kind:     by_value
    .group_segment_fixed_size: 0
    .kernarg_segment_align: 8
    .kernarg_segment_size: 128
    .language:       OpenCL C
    .language_version:
      - 2
      - 0
    .max_flat_workgroup_size: 512
    .name:           _ZN7rocprim17ROCPRIM_400000_NS6detail17trampoline_kernelINS0_14default_configENS1_25partition_config_selectorILNS1_17partition_subalgoE8EmNS0_10empty_typeEbEEZZNS1_14partition_implILS5_8ELb0ES3_jPKmPS6_PKS6_NS0_5tupleIJPmS6_EEENSE_IJSB_SB_EEENS0_18inequality_wrapperIN6hipcub16HIPCUB_304000_NS8EqualityEEEPlJS6_EEE10hipError_tPvRmT3_T4_T5_T6_T7_T9_mT8_P12ihipStream_tbDpT10_ENKUlT_T0_E_clISt17integral_constantIbLb1EES17_EEDaS12_S13_EUlS12_E_NS1_11comp_targetILNS1_3genE8ELNS1_11target_archE1030ELNS1_3gpuE2ELNS1_3repE0EEENS1_30default_config_static_selectorELNS0_4arch9wavefront6targetE1EEEvT1_
    .private_segment_fixed_size: 0
    .sgpr_count:     4
    .sgpr_spill_count: 0
    .symbol:         _ZN7rocprim17ROCPRIM_400000_NS6detail17trampoline_kernelINS0_14default_configENS1_25partition_config_selectorILNS1_17partition_subalgoE8EmNS0_10empty_typeEbEEZZNS1_14partition_implILS5_8ELb0ES3_jPKmPS6_PKS6_NS0_5tupleIJPmS6_EEENSE_IJSB_SB_EEENS0_18inequality_wrapperIN6hipcub16HIPCUB_304000_NS8EqualityEEEPlJS6_EEE10hipError_tPvRmT3_T4_T5_T6_T7_T9_mT8_P12ihipStream_tbDpT10_ENKUlT_T0_E_clISt17integral_constantIbLb1EES17_EEDaS12_S13_EUlS12_E_NS1_11comp_targetILNS1_3genE8ELNS1_11target_archE1030ELNS1_3gpuE2ELNS1_3repE0EEENS1_30default_config_static_selectorELNS0_4arch9wavefront6targetE1EEEvT1_.kd
    .uniform_work_group_size: 1
    .uses_dynamic_stack: false
    .vgpr_count:     0
    .vgpr_spill_count: 0
    .wavefront_size: 64
  - .agpr_count:     0
    .args:
      - .offset:         0
        .size:           112
        .value_kind:     by_value
    .group_segment_fixed_size: 0
    .kernarg_segment_align: 8
    .kernarg_segment_size: 112
    .language:       OpenCL C
    .language_version:
      - 2
      - 0
    .max_flat_workgroup_size: 512
    .name:           _ZN7rocprim17ROCPRIM_400000_NS6detail17trampoline_kernelINS0_14default_configENS1_25partition_config_selectorILNS1_17partition_subalgoE8EmNS0_10empty_typeEbEEZZNS1_14partition_implILS5_8ELb0ES3_jPKmPS6_PKS6_NS0_5tupleIJPmS6_EEENSE_IJSB_SB_EEENS0_18inequality_wrapperIN6hipcub16HIPCUB_304000_NS8EqualityEEEPlJS6_EEE10hipError_tPvRmT3_T4_T5_T6_T7_T9_mT8_P12ihipStream_tbDpT10_ENKUlT_T0_E_clISt17integral_constantIbLb1EES16_IbLb0EEEEDaS12_S13_EUlS12_E_NS1_11comp_targetILNS1_3genE0ELNS1_11target_archE4294967295ELNS1_3gpuE0ELNS1_3repE0EEENS1_30default_config_static_selectorELNS0_4arch9wavefront6targetE1EEEvT1_
    .private_segment_fixed_size: 0
    .sgpr_count:     4
    .sgpr_spill_count: 0
    .symbol:         _ZN7rocprim17ROCPRIM_400000_NS6detail17trampoline_kernelINS0_14default_configENS1_25partition_config_selectorILNS1_17partition_subalgoE8EmNS0_10empty_typeEbEEZZNS1_14partition_implILS5_8ELb0ES3_jPKmPS6_PKS6_NS0_5tupleIJPmS6_EEENSE_IJSB_SB_EEENS0_18inequality_wrapperIN6hipcub16HIPCUB_304000_NS8EqualityEEEPlJS6_EEE10hipError_tPvRmT3_T4_T5_T6_T7_T9_mT8_P12ihipStream_tbDpT10_ENKUlT_T0_E_clISt17integral_constantIbLb1EES16_IbLb0EEEEDaS12_S13_EUlS12_E_NS1_11comp_targetILNS1_3genE0ELNS1_11target_archE4294967295ELNS1_3gpuE0ELNS1_3repE0EEENS1_30default_config_static_selectorELNS0_4arch9wavefront6targetE1EEEvT1_.kd
    .uniform_work_group_size: 1
    .uses_dynamic_stack: false
    .vgpr_count:     0
    .vgpr_spill_count: 0
    .wavefront_size: 64
  - .agpr_count:     0
    .args:
      - .offset:         0
        .size:           112
        .value_kind:     by_value
    .group_segment_fixed_size: 0
    .kernarg_segment_align: 8
    .kernarg_segment_size: 112
    .language:       OpenCL C
    .language_version:
      - 2
      - 0
    .max_flat_workgroup_size: 512
    .name:           _ZN7rocprim17ROCPRIM_400000_NS6detail17trampoline_kernelINS0_14default_configENS1_25partition_config_selectorILNS1_17partition_subalgoE8EmNS0_10empty_typeEbEEZZNS1_14partition_implILS5_8ELb0ES3_jPKmPS6_PKS6_NS0_5tupleIJPmS6_EEENSE_IJSB_SB_EEENS0_18inequality_wrapperIN6hipcub16HIPCUB_304000_NS8EqualityEEEPlJS6_EEE10hipError_tPvRmT3_T4_T5_T6_T7_T9_mT8_P12ihipStream_tbDpT10_ENKUlT_T0_E_clISt17integral_constantIbLb1EES16_IbLb0EEEEDaS12_S13_EUlS12_E_NS1_11comp_targetILNS1_3genE5ELNS1_11target_archE942ELNS1_3gpuE9ELNS1_3repE0EEENS1_30default_config_static_selectorELNS0_4arch9wavefront6targetE1EEEvT1_
    .private_segment_fixed_size: 0
    .sgpr_count:     4
    .sgpr_spill_count: 0
    .symbol:         _ZN7rocprim17ROCPRIM_400000_NS6detail17trampoline_kernelINS0_14default_configENS1_25partition_config_selectorILNS1_17partition_subalgoE8EmNS0_10empty_typeEbEEZZNS1_14partition_implILS5_8ELb0ES3_jPKmPS6_PKS6_NS0_5tupleIJPmS6_EEENSE_IJSB_SB_EEENS0_18inequality_wrapperIN6hipcub16HIPCUB_304000_NS8EqualityEEEPlJS6_EEE10hipError_tPvRmT3_T4_T5_T6_T7_T9_mT8_P12ihipStream_tbDpT10_ENKUlT_T0_E_clISt17integral_constantIbLb1EES16_IbLb0EEEEDaS12_S13_EUlS12_E_NS1_11comp_targetILNS1_3genE5ELNS1_11target_archE942ELNS1_3gpuE9ELNS1_3repE0EEENS1_30default_config_static_selectorELNS0_4arch9wavefront6targetE1EEEvT1_.kd
    .uniform_work_group_size: 1
    .uses_dynamic_stack: false
    .vgpr_count:     0
    .vgpr_spill_count: 0
    .wavefront_size: 64
  - .agpr_count:     0
    .args:
      - .offset:         0
        .size:           112
        .value_kind:     by_value
    .group_segment_fixed_size: 10248
    .kernarg_segment_align: 8
    .kernarg_segment_size: 112
    .language:       OpenCL C
    .language_version:
      - 2
      - 0
    .max_flat_workgroup_size: 256
    .name:           _ZN7rocprim17ROCPRIM_400000_NS6detail17trampoline_kernelINS0_14default_configENS1_25partition_config_selectorILNS1_17partition_subalgoE8EmNS0_10empty_typeEbEEZZNS1_14partition_implILS5_8ELb0ES3_jPKmPS6_PKS6_NS0_5tupleIJPmS6_EEENSE_IJSB_SB_EEENS0_18inequality_wrapperIN6hipcub16HIPCUB_304000_NS8EqualityEEEPlJS6_EEE10hipError_tPvRmT3_T4_T5_T6_T7_T9_mT8_P12ihipStream_tbDpT10_ENKUlT_T0_E_clISt17integral_constantIbLb1EES16_IbLb0EEEEDaS12_S13_EUlS12_E_NS1_11comp_targetILNS1_3genE4ELNS1_11target_archE910ELNS1_3gpuE8ELNS1_3repE0EEENS1_30default_config_static_selectorELNS0_4arch9wavefront6targetE1EEEvT1_
    .private_segment_fixed_size: 0
    .sgpr_count:     44
    .sgpr_spill_count: 0
    .symbol:         _ZN7rocprim17ROCPRIM_400000_NS6detail17trampoline_kernelINS0_14default_configENS1_25partition_config_selectorILNS1_17partition_subalgoE8EmNS0_10empty_typeEbEEZZNS1_14partition_implILS5_8ELb0ES3_jPKmPS6_PKS6_NS0_5tupleIJPmS6_EEENSE_IJSB_SB_EEENS0_18inequality_wrapperIN6hipcub16HIPCUB_304000_NS8EqualityEEEPlJS6_EEE10hipError_tPvRmT3_T4_T5_T6_T7_T9_mT8_P12ihipStream_tbDpT10_ENKUlT_T0_E_clISt17integral_constantIbLb1EES16_IbLb0EEEEDaS12_S13_EUlS12_E_NS1_11comp_targetILNS1_3genE4ELNS1_11target_archE910ELNS1_3gpuE8ELNS1_3repE0EEENS1_30default_config_static_selectorELNS0_4arch9wavefront6targetE1EEEvT1_.kd
    .uniform_work_group_size: 1
    .uses_dynamic_stack: false
    .vgpr_count:     47
    .vgpr_spill_count: 0
    .wavefront_size: 64
  - .agpr_count:     0
    .args:
      - .offset:         0
        .size:           112
        .value_kind:     by_value
    .group_segment_fixed_size: 0
    .kernarg_segment_align: 8
    .kernarg_segment_size: 112
    .language:       OpenCL C
    .language_version:
      - 2
      - 0
    .max_flat_workgroup_size: 512
    .name:           _ZN7rocprim17ROCPRIM_400000_NS6detail17trampoline_kernelINS0_14default_configENS1_25partition_config_selectorILNS1_17partition_subalgoE8EmNS0_10empty_typeEbEEZZNS1_14partition_implILS5_8ELb0ES3_jPKmPS6_PKS6_NS0_5tupleIJPmS6_EEENSE_IJSB_SB_EEENS0_18inequality_wrapperIN6hipcub16HIPCUB_304000_NS8EqualityEEEPlJS6_EEE10hipError_tPvRmT3_T4_T5_T6_T7_T9_mT8_P12ihipStream_tbDpT10_ENKUlT_T0_E_clISt17integral_constantIbLb1EES16_IbLb0EEEEDaS12_S13_EUlS12_E_NS1_11comp_targetILNS1_3genE3ELNS1_11target_archE908ELNS1_3gpuE7ELNS1_3repE0EEENS1_30default_config_static_selectorELNS0_4arch9wavefront6targetE1EEEvT1_
    .private_segment_fixed_size: 0
    .sgpr_count:     4
    .sgpr_spill_count: 0
    .symbol:         _ZN7rocprim17ROCPRIM_400000_NS6detail17trampoline_kernelINS0_14default_configENS1_25partition_config_selectorILNS1_17partition_subalgoE8EmNS0_10empty_typeEbEEZZNS1_14partition_implILS5_8ELb0ES3_jPKmPS6_PKS6_NS0_5tupleIJPmS6_EEENSE_IJSB_SB_EEENS0_18inequality_wrapperIN6hipcub16HIPCUB_304000_NS8EqualityEEEPlJS6_EEE10hipError_tPvRmT3_T4_T5_T6_T7_T9_mT8_P12ihipStream_tbDpT10_ENKUlT_T0_E_clISt17integral_constantIbLb1EES16_IbLb0EEEEDaS12_S13_EUlS12_E_NS1_11comp_targetILNS1_3genE3ELNS1_11target_archE908ELNS1_3gpuE7ELNS1_3repE0EEENS1_30default_config_static_selectorELNS0_4arch9wavefront6targetE1EEEvT1_.kd
    .uniform_work_group_size: 1
    .uses_dynamic_stack: false
    .vgpr_count:     0
    .vgpr_spill_count: 0
    .wavefront_size: 64
  - .agpr_count:     0
    .args:
      - .offset:         0
        .size:           112
        .value_kind:     by_value
    .group_segment_fixed_size: 0
    .kernarg_segment_align: 8
    .kernarg_segment_size: 112
    .language:       OpenCL C
    .language_version:
      - 2
      - 0
    .max_flat_workgroup_size: 256
    .name:           _ZN7rocprim17ROCPRIM_400000_NS6detail17trampoline_kernelINS0_14default_configENS1_25partition_config_selectorILNS1_17partition_subalgoE8EmNS0_10empty_typeEbEEZZNS1_14partition_implILS5_8ELb0ES3_jPKmPS6_PKS6_NS0_5tupleIJPmS6_EEENSE_IJSB_SB_EEENS0_18inequality_wrapperIN6hipcub16HIPCUB_304000_NS8EqualityEEEPlJS6_EEE10hipError_tPvRmT3_T4_T5_T6_T7_T9_mT8_P12ihipStream_tbDpT10_ENKUlT_T0_E_clISt17integral_constantIbLb1EES16_IbLb0EEEEDaS12_S13_EUlS12_E_NS1_11comp_targetILNS1_3genE2ELNS1_11target_archE906ELNS1_3gpuE6ELNS1_3repE0EEENS1_30default_config_static_selectorELNS0_4arch9wavefront6targetE1EEEvT1_
    .private_segment_fixed_size: 0
    .sgpr_count:     4
    .sgpr_spill_count: 0
    .symbol:         _ZN7rocprim17ROCPRIM_400000_NS6detail17trampoline_kernelINS0_14default_configENS1_25partition_config_selectorILNS1_17partition_subalgoE8EmNS0_10empty_typeEbEEZZNS1_14partition_implILS5_8ELb0ES3_jPKmPS6_PKS6_NS0_5tupleIJPmS6_EEENSE_IJSB_SB_EEENS0_18inequality_wrapperIN6hipcub16HIPCUB_304000_NS8EqualityEEEPlJS6_EEE10hipError_tPvRmT3_T4_T5_T6_T7_T9_mT8_P12ihipStream_tbDpT10_ENKUlT_T0_E_clISt17integral_constantIbLb1EES16_IbLb0EEEEDaS12_S13_EUlS12_E_NS1_11comp_targetILNS1_3genE2ELNS1_11target_archE906ELNS1_3gpuE6ELNS1_3repE0EEENS1_30default_config_static_selectorELNS0_4arch9wavefront6targetE1EEEvT1_.kd
    .uniform_work_group_size: 1
    .uses_dynamic_stack: false
    .vgpr_count:     0
    .vgpr_spill_count: 0
    .wavefront_size: 64
  - .agpr_count:     0
    .args:
      - .offset:         0
        .size:           112
        .value_kind:     by_value
    .group_segment_fixed_size: 0
    .kernarg_segment_align: 8
    .kernarg_segment_size: 112
    .language:       OpenCL C
    .language_version:
      - 2
      - 0
    .max_flat_workgroup_size: 384
    .name:           _ZN7rocprim17ROCPRIM_400000_NS6detail17trampoline_kernelINS0_14default_configENS1_25partition_config_selectorILNS1_17partition_subalgoE8EmNS0_10empty_typeEbEEZZNS1_14partition_implILS5_8ELb0ES3_jPKmPS6_PKS6_NS0_5tupleIJPmS6_EEENSE_IJSB_SB_EEENS0_18inequality_wrapperIN6hipcub16HIPCUB_304000_NS8EqualityEEEPlJS6_EEE10hipError_tPvRmT3_T4_T5_T6_T7_T9_mT8_P12ihipStream_tbDpT10_ENKUlT_T0_E_clISt17integral_constantIbLb1EES16_IbLb0EEEEDaS12_S13_EUlS12_E_NS1_11comp_targetILNS1_3genE10ELNS1_11target_archE1200ELNS1_3gpuE4ELNS1_3repE0EEENS1_30default_config_static_selectorELNS0_4arch9wavefront6targetE1EEEvT1_
    .private_segment_fixed_size: 0
    .sgpr_count:     4
    .sgpr_spill_count: 0
    .symbol:         _ZN7rocprim17ROCPRIM_400000_NS6detail17trampoline_kernelINS0_14default_configENS1_25partition_config_selectorILNS1_17partition_subalgoE8EmNS0_10empty_typeEbEEZZNS1_14partition_implILS5_8ELb0ES3_jPKmPS6_PKS6_NS0_5tupleIJPmS6_EEENSE_IJSB_SB_EEENS0_18inequality_wrapperIN6hipcub16HIPCUB_304000_NS8EqualityEEEPlJS6_EEE10hipError_tPvRmT3_T4_T5_T6_T7_T9_mT8_P12ihipStream_tbDpT10_ENKUlT_T0_E_clISt17integral_constantIbLb1EES16_IbLb0EEEEDaS12_S13_EUlS12_E_NS1_11comp_targetILNS1_3genE10ELNS1_11target_archE1200ELNS1_3gpuE4ELNS1_3repE0EEENS1_30default_config_static_selectorELNS0_4arch9wavefront6targetE1EEEvT1_.kd
    .uniform_work_group_size: 1
    .uses_dynamic_stack: false
    .vgpr_count:     0
    .vgpr_spill_count: 0
    .wavefront_size: 64
  - .agpr_count:     0
    .args:
      - .offset:         0
        .size:           112
        .value_kind:     by_value
    .group_segment_fixed_size: 0
    .kernarg_segment_align: 8
    .kernarg_segment_size: 112
    .language:       OpenCL C
    .language_version:
      - 2
      - 0
    .max_flat_workgroup_size: 512
    .name:           _ZN7rocprim17ROCPRIM_400000_NS6detail17trampoline_kernelINS0_14default_configENS1_25partition_config_selectorILNS1_17partition_subalgoE8EmNS0_10empty_typeEbEEZZNS1_14partition_implILS5_8ELb0ES3_jPKmPS6_PKS6_NS0_5tupleIJPmS6_EEENSE_IJSB_SB_EEENS0_18inequality_wrapperIN6hipcub16HIPCUB_304000_NS8EqualityEEEPlJS6_EEE10hipError_tPvRmT3_T4_T5_T6_T7_T9_mT8_P12ihipStream_tbDpT10_ENKUlT_T0_E_clISt17integral_constantIbLb1EES16_IbLb0EEEEDaS12_S13_EUlS12_E_NS1_11comp_targetILNS1_3genE9ELNS1_11target_archE1100ELNS1_3gpuE3ELNS1_3repE0EEENS1_30default_config_static_selectorELNS0_4arch9wavefront6targetE1EEEvT1_
    .private_segment_fixed_size: 0
    .sgpr_count:     4
    .sgpr_spill_count: 0
    .symbol:         _ZN7rocprim17ROCPRIM_400000_NS6detail17trampoline_kernelINS0_14default_configENS1_25partition_config_selectorILNS1_17partition_subalgoE8EmNS0_10empty_typeEbEEZZNS1_14partition_implILS5_8ELb0ES3_jPKmPS6_PKS6_NS0_5tupleIJPmS6_EEENSE_IJSB_SB_EEENS0_18inequality_wrapperIN6hipcub16HIPCUB_304000_NS8EqualityEEEPlJS6_EEE10hipError_tPvRmT3_T4_T5_T6_T7_T9_mT8_P12ihipStream_tbDpT10_ENKUlT_T0_E_clISt17integral_constantIbLb1EES16_IbLb0EEEEDaS12_S13_EUlS12_E_NS1_11comp_targetILNS1_3genE9ELNS1_11target_archE1100ELNS1_3gpuE3ELNS1_3repE0EEENS1_30default_config_static_selectorELNS0_4arch9wavefront6targetE1EEEvT1_.kd
    .uniform_work_group_size: 1
    .uses_dynamic_stack: false
    .vgpr_count:     0
    .vgpr_spill_count: 0
    .wavefront_size: 64
  - .agpr_count:     0
    .args:
      - .offset:         0
        .size:           112
        .value_kind:     by_value
    .group_segment_fixed_size: 0
    .kernarg_segment_align: 8
    .kernarg_segment_size: 112
    .language:       OpenCL C
    .language_version:
      - 2
      - 0
    .max_flat_workgroup_size: 512
    .name:           _ZN7rocprim17ROCPRIM_400000_NS6detail17trampoline_kernelINS0_14default_configENS1_25partition_config_selectorILNS1_17partition_subalgoE8EmNS0_10empty_typeEbEEZZNS1_14partition_implILS5_8ELb0ES3_jPKmPS6_PKS6_NS0_5tupleIJPmS6_EEENSE_IJSB_SB_EEENS0_18inequality_wrapperIN6hipcub16HIPCUB_304000_NS8EqualityEEEPlJS6_EEE10hipError_tPvRmT3_T4_T5_T6_T7_T9_mT8_P12ihipStream_tbDpT10_ENKUlT_T0_E_clISt17integral_constantIbLb1EES16_IbLb0EEEEDaS12_S13_EUlS12_E_NS1_11comp_targetILNS1_3genE8ELNS1_11target_archE1030ELNS1_3gpuE2ELNS1_3repE0EEENS1_30default_config_static_selectorELNS0_4arch9wavefront6targetE1EEEvT1_
    .private_segment_fixed_size: 0
    .sgpr_count:     4
    .sgpr_spill_count: 0
    .symbol:         _ZN7rocprim17ROCPRIM_400000_NS6detail17trampoline_kernelINS0_14default_configENS1_25partition_config_selectorILNS1_17partition_subalgoE8EmNS0_10empty_typeEbEEZZNS1_14partition_implILS5_8ELb0ES3_jPKmPS6_PKS6_NS0_5tupleIJPmS6_EEENSE_IJSB_SB_EEENS0_18inequality_wrapperIN6hipcub16HIPCUB_304000_NS8EqualityEEEPlJS6_EEE10hipError_tPvRmT3_T4_T5_T6_T7_T9_mT8_P12ihipStream_tbDpT10_ENKUlT_T0_E_clISt17integral_constantIbLb1EES16_IbLb0EEEEDaS12_S13_EUlS12_E_NS1_11comp_targetILNS1_3genE8ELNS1_11target_archE1030ELNS1_3gpuE2ELNS1_3repE0EEENS1_30default_config_static_selectorELNS0_4arch9wavefront6targetE1EEEvT1_.kd
    .uniform_work_group_size: 1
    .uses_dynamic_stack: false
    .vgpr_count:     0
    .vgpr_spill_count: 0
    .wavefront_size: 64
  - .agpr_count:     0
    .args:
      - .offset:         0
        .size:           128
        .value_kind:     by_value
    .group_segment_fixed_size: 0
    .kernarg_segment_align: 8
    .kernarg_segment_size: 128
    .language:       OpenCL C
    .language_version:
      - 2
      - 0
    .max_flat_workgroup_size: 512
    .name:           _ZN7rocprim17ROCPRIM_400000_NS6detail17trampoline_kernelINS0_14default_configENS1_25partition_config_selectorILNS1_17partition_subalgoE8EmNS0_10empty_typeEbEEZZNS1_14partition_implILS5_8ELb0ES3_jPKmPS6_PKS6_NS0_5tupleIJPmS6_EEENSE_IJSB_SB_EEENS0_18inequality_wrapperIN6hipcub16HIPCUB_304000_NS8EqualityEEEPlJS6_EEE10hipError_tPvRmT3_T4_T5_T6_T7_T9_mT8_P12ihipStream_tbDpT10_ENKUlT_T0_E_clISt17integral_constantIbLb0EES16_IbLb1EEEEDaS12_S13_EUlS12_E_NS1_11comp_targetILNS1_3genE0ELNS1_11target_archE4294967295ELNS1_3gpuE0ELNS1_3repE0EEENS1_30default_config_static_selectorELNS0_4arch9wavefront6targetE1EEEvT1_
    .private_segment_fixed_size: 0
    .sgpr_count:     4
    .sgpr_spill_count: 0
    .symbol:         _ZN7rocprim17ROCPRIM_400000_NS6detail17trampoline_kernelINS0_14default_configENS1_25partition_config_selectorILNS1_17partition_subalgoE8EmNS0_10empty_typeEbEEZZNS1_14partition_implILS5_8ELb0ES3_jPKmPS6_PKS6_NS0_5tupleIJPmS6_EEENSE_IJSB_SB_EEENS0_18inequality_wrapperIN6hipcub16HIPCUB_304000_NS8EqualityEEEPlJS6_EEE10hipError_tPvRmT3_T4_T5_T6_T7_T9_mT8_P12ihipStream_tbDpT10_ENKUlT_T0_E_clISt17integral_constantIbLb0EES16_IbLb1EEEEDaS12_S13_EUlS12_E_NS1_11comp_targetILNS1_3genE0ELNS1_11target_archE4294967295ELNS1_3gpuE0ELNS1_3repE0EEENS1_30default_config_static_selectorELNS0_4arch9wavefront6targetE1EEEvT1_.kd
    .uniform_work_group_size: 1
    .uses_dynamic_stack: false
    .vgpr_count:     0
    .vgpr_spill_count: 0
    .wavefront_size: 64
  - .agpr_count:     0
    .args:
      - .offset:         0
        .size:           128
        .value_kind:     by_value
    .group_segment_fixed_size: 0
    .kernarg_segment_align: 8
    .kernarg_segment_size: 128
    .language:       OpenCL C
    .language_version:
      - 2
      - 0
    .max_flat_workgroup_size: 512
    .name:           _ZN7rocprim17ROCPRIM_400000_NS6detail17trampoline_kernelINS0_14default_configENS1_25partition_config_selectorILNS1_17partition_subalgoE8EmNS0_10empty_typeEbEEZZNS1_14partition_implILS5_8ELb0ES3_jPKmPS6_PKS6_NS0_5tupleIJPmS6_EEENSE_IJSB_SB_EEENS0_18inequality_wrapperIN6hipcub16HIPCUB_304000_NS8EqualityEEEPlJS6_EEE10hipError_tPvRmT3_T4_T5_T6_T7_T9_mT8_P12ihipStream_tbDpT10_ENKUlT_T0_E_clISt17integral_constantIbLb0EES16_IbLb1EEEEDaS12_S13_EUlS12_E_NS1_11comp_targetILNS1_3genE5ELNS1_11target_archE942ELNS1_3gpuE9ELNS1_3repE0EEENS1_30default_config_static_selectorELNS0_4arch9wavefront6targetE1EEEvT1_
    .private_segment_fixed_size: 0
    .sgpr_count:     4
    .sgpr_spill_count: 0
    .symbol:         _ZN7rocprim17ROCPRIM_400000_NS6detail17trampoline_kernelINS0_14default_configENS1_25partition_config_selectorILNS1_17partition_subalgoE8EmNS0_10empty_typeEbEEZZNS1_14partition_implILS5_8ELb0ES3_jPKmPS6_PKS6_NS0_5tupleIJPmS6_EEENSE_IJSB_SB_EEENS0_18inequality_wrapperIN6hipcub16HIPCUB_304000_NS8EqualityEEEPlJS6_EEE10hipError_tPvRmT3_T4_T5_T6_T7_T9_mT8_P12ihipStream_tbDpT10_ENKUlT_T0_E_clISt17integral_constantIbLb0EES16_IbLb1EEEEDaS12_S13_EUlS12_E_NS1_11comp_targetILNS1_3genE5ELNS1_11target_archE942ELNS1_3gpuE9ELNS1_3repE0EEENS1_30default_config_static_selectorELNS0_4arch9wavefront6targetE1EEEvT1_.kd
    .uniform_work_group_size: 1
    .uses_dynamic_stack: false
    .vgpr_count:     0
    .vgpr_spill_count: 0
    .wavefront_size: 64
  - .agpr_count:     0
    .args:
      - .offset:         0
        .size:           128
        .value_kind:     by_value
    .group_segment_fixed_size: 10248
    .kernarg_segment_align: 8
    .kernarg_segment_size: 128
    .language:       OpenCL C
    .language_version:
      - 2
      - 0
    .max_flat_workgroup_size: 256
    .name:           _ZN7rocprim17ROCPRIM_400000_NS6detail17trampoline_kernelINS0_14default_configENS1_25partition_config_selectorILNS1_17partition_subalgoE8EmNS0_10empty_typeEbEEZZNS1_14partition_implILS5_8ELb0ES3_jPKmPS6_PKS6_NS0_5tupleIJPmS6_EEENSE_IJSB_SB_EEENS0_18inequality_wrapperIN6hipcub16HIPCUB_304000_NS8EqualityEEEPlJS6_EEE10hipError_tPvRmT3_T4_T5_T6_T7_T9_mT8_P12ihipStream_tbDpT10_ENKUlT_T0_E_clISt17integral_constantIbLb0EES16_IbLb1EEEEDaS12_S13_EUlS12_E_NS1_11comp_targetILNS1_3genE4ELNS1_11target_archE910ELNS1_3gpuE8ELNS1_3repE0EEENS1_30default_config_static_selectorELNS0_4arch9wavefront6targetE1EEEvT1_
    .private_segment_fixed_size: 0
    .sgpr_count:     44
    .sgpr_spill_count: 0
    .symbol:         _ZN7rocprim17ROCPRIM_400000_NS6detail17trampoline_kernelINS0_14default_configENS1_25partition_config_selectorILNS1_17partition_subalgoE8EmNS0_10empty_typeEbEEZZNS1_14partition_implILS5_8ELb0ES3_jPKmPS6_PKS6_NS0_5tupleIJPmS6_EEENSE_IJSB_SB_EEENS0_18inequality_wrapperIN6hipcub16HIPCUB_304000_NS8EqualityEEEPlJS6_EEE10hipError_tPvRmT3_T4_T5_T6_T7_T9_mT8_P12ihipStream_tbDpT10_ENKUlT_T0_E_clISt17integral_constantIbLb0EES16_IbLb1EEEEDaS12_S13_EUlS12_E_NS1_11comp_targetILNS1_3genE4ELNS1_11target_archE910ELNS1_3gpuE8ELNS1_3repE0EEENS1_30default_config_static_selectorELNS0_4arch9wavefront6targetE1EEEvT1_.kd
    .uniform_work_group_size: 1
    .uses_dynamic_stack: false
    .vgpr_count:     47
    .vgpr_spill_count: 0
    .wavefront_size: 64
  - .agpr_count:     0
    .args:
      - .offset:         0
        .size:           128
        .value_kind:     by_value
    .group_segment_fixed_size: 0
    .kernarg_segment_align: 8
    .kernarg_segment_size: 128
    .language:       OpenCL C
    .language_version:
      - 2
      - 0
    .max_flat_workgroup_size: 512
    .name:           _ZN7rocprim17ROCPRIM_400000_NS6detail17trampoline_kernelINS0_14default_configENS1_25partition_config_selectorILNS1_17partition_subalgoE8EmNS0_10empty_typeEbEEZZNS1_14partition_implILS5_8ELb0ES3_jPKmPS6_PKS6_NS0_5tupleIJPmS6_EEENSE_IJSB_SB_EEENS0_18inequality_wrapperIN6hipcub16HIPCUB_304000_NS8EqualityEEEPlJS6_EEE10hipError_tPvRmT3_T4_T5_T6_T7_T9_mT8_P12ihipStream_tbDpT10_ENKUlT_T0_E_clISt17integral_constantIbLb0EES16_IbLb1EEEEDaS12_S13_EUlS12_E_NS1_11comp_targetILNS1_3genE3ELNS1_11target_archE908ELNS1_3gpuE7ELNS1_3repE0EEENS1_30default_config_static_selectorELNS0_4arch9wavefront6targetE1EEEvT1_
    .private_segment_fixed_size: 0
    .sgpr_count:     4
    .sgpr_spill_count: 0
    .symbol:         _ZN7rocprim17ROCPRIM_400000_NS6detail17trampoline_kernelINS0_14default_configENS1_25partition_config_selectorILNS1_17partition_subalgoE8EmNS0_10empty_typeEbEEZZNS1_14partition_implILS5_8ELb0ES3_jPKmPS6_PKS6_NS0_5tupleIJPmS6_EEENSE_IJSB_SB_EEENS0_18inequality_wrapperIN6hipcub16HIPCUB_304000_NS8EqualityEEEPlJS6_EEE10hipError_tPvRmT3_T4_T5_T6_T7_T9_mT8_P12ihipStream_tbDpT10_ENKUlT_T0_E_clISt17integral_constantIbLb0EES16_IbLb1EEEEDaS12_S13_EUlS12_E_NS1_11comp_targetILNS1_3genE3ELNS1_11target_archE908ELNS1_3gpuE7ELNS1_3repE0EEENS1_30default_config_static_selectorELNS0_4arch9wavefront6targetE1EEEvT1_.kd
    .uniform_work_group_size: 1
    .uses_dynamic_stack: false
    .vgpr_count:     0
    .vgpr_spill_count: 0
    .wavefront_size: 64
  - .agpr_count:     0
    .args:
      - .offset:         0
        .size:           128
        .value_kind:     by_value
    .group_segment_fixed_size: 0
    .kernarg_segment_align: 8
    .kernarg_segment_size: 128
    .language:       OpenCL C
    .language_version:
      - 2
      - 0
    .max_flat_workgroup_size: 256
    .name:           _ZN7rocprim17ROCPRIM_400000_NS6detail17trampoline_kernelINS0_14default_configENS1_25partition_config_selectorILNS1_17partition_subalgoE8EmNS0_10empty_typeEbEEZZNS1_14partition_implILS5_8ELb0ES3_jPKmPS6_PKS6_NS0_5tupleIJPmS6_EEENSE_IJSB_SB_EEENS0_18inequality_wrapperIN6hipcub16HIPCUB_304000_NS8EqualityEEEPlJS6_EEE10hipError_tPvRmT3_T4_T5_T6_T7_T9_mT8_P12ihipStream_tbDpT10_ENKUlT_T0_E_clISt17integral_constantIbLb0EES16_IbLb1EEEEDaS12_S13_EUlS12_E_NS1_11comp_targetILNS1_3genE2ELNS1_11target_archE906ELNS1_3gpuE6ELNS1_3repE0EEENS1_30default_config_static_selectorELNS0_4arch9wavefront6targetE1EEEvT1_
    .private_segment_fixed_size: 0
    .sgpr_count:     4
    .sgpr_spill_count: 0
    .symbol:         _ZN7rocprim17ROCPRIM_400000_NS6detail17trampoline_kernelINS0_14default_configENS1_25partition_config_selectorILNS1_17partition_subalgoE8EmNS0_10empty_typeEbEEZZNS1_14partition_implILS5_8ELb0ES3_jPKmPS6_PKS6_NS0_5tupleIJPmS6_EEENSE_IJSB_SB_EEENS0_18inequality_wrapperIN6hipcub16HIPCUB_304000_NS8EqualityEEEPlJS6_EEE10hipError_tPvRmT3_T4_T5_T6_T7_T9_mT8_P12ihipStream_tbDpT10_ENKUlT_T0_E_clISt17integral_constantIbLb0EES16_IbLb1EEEEDaS12_S13_EUlS12_E_NS1_11comp_targetILNS1_3genE2ELNS1_11target_archE906ELNS1_3gpuE6ELNS1_3repE0EEENS1_30default_config_static_selectorELNS0_4arch9wavefront6targetE1EEEvT1_.kd
    .uniform_work_group_size: 1
    .uses_dynamic_stack: false
    .vgpr_count:     0
    .vgpr_spill_count: 0
    .wavefront_size: 64
  - .agpr_count:     0
    .args:
      - .offset:         0
        .size:           128
        .value_kind:     by_value
    .group_segment_fixed_size: 0
    .kernarg_segment_align: 8
    .kernarg_segment_size: 128
    .language:       OpenCL C
    .language_version:
      - 2
      - 0
    .max_flat_workgroup_size: 384
    .name:           _ZN7rocprim17ROCPRIM_400000_NS6detail17trampoline_kernelINS0_14default_configENS1_25partition_config_selectorILNS1_17partition_subalgoE8EmNS0_10empty_typeEbEEZZNS1_14partition_implILS5_8ELb0ES3_jPKmPS6_PKS6_NS0_5tupleIJPmS6_EEENSE_IJSB_SB_EEENS0_18inequality_wrapperIN6hipcub16HIPCUB_304000_NS8EqualityEEEPlJS6_EEE10hipError_tPvRmT3_T4_T5_T6_T7_T9_mT8_P12ihipStream_tbDpT10_ENKUlT_T0_E_clISt17integral_constantIbLb0EES16_IbLb1EEEEDaS12_S13_EUlS12_E_NS1_11comp_targetILNS1_3genE10ELNS1_11target_archE1200ELNS1_3gpuE4ELNS1_3repE0EEENS1_30default_config_static_selectorELNS0_4arch9wavefront6targetE1EEEvT1_
    .private_segment_fixed_size: 0
    .sgpr_count:     4
    .sgpr_spill_count: 0
    .symbol:         _ZN7rocprim17ROCPRIM_400000_NS6detail17trampoline_kernelINS0_14default_configENS1_25partition_config_selectorILNS1_17partition_subalgoE8EmNS0_10empty_typeEbEEZZNS1_14partition_implILS5_8ELb0ES3_jPKmPS6_PKS6_NS0_5tupleIJPmS6_EEENSE_IJSB_SB_EEENS0_18inequality_wrapperIN6hipcub16HIPCUB_304000_NS8EqualityEEEPlJS6_EEE10hipError_tPvRmT3_T4_T5_T6_T7_T9_mT8_P12ihipStream_tbDpT10_ENKUlT_T0_E_clISt17integral_constantIbLb0EES16_IbLb1EEEEDaS12_S13_EUlS12_E_NS1_11comp_targetILNS1_3genE10ELNS1_11target_archE1200ELNS1_3gpuE4ELNS1_3repE0EEENS1_30default_config_static_selectorELNS0_4arch9wavefront6targetE1EEEvT1_.kd
    .uniform_work_group_size: 1
    .uses_dynamic_stack: false
    .vgpr_count:     0
    .vgpr_spill_count: 0
    .wavefront_size: 64
  - .agpr_count:     0
    .args:
      - .offset:         0
        .size:           128
        .value_kind:     by_value
    .group_segment_fixed_size: 0
    .kernarg_segment_align: 8
    .kernarg_segment_size: 128
    .language:       OpenCL C
    .language_version:
      - 2
      - 0
    .max_flat_workgroup_size: 512
    .name:           _ZN7rocprim17ROCPRIM_400000_NS6detail17trampoline_kernelINS0_14default_configENS1_25partition_config_selectorILNS1_17partition_subalgoE8EmNS0_10empty_typeEbEEZZNS1_14partition_implILS5_8ELb0ES3_jPKmPS6_PKS6_NS0_5tupleIJPmS6_EEENSE_IJSB_SB_EEENS0_18inequality_wrapperIN6hipcub16HIPCUB_304000_NS8EqualityEEEPlJS6_EEE10hipError_tPvRmT3_T4_T5_T6_T7_T9_mT8_P12ihipStream_tbDpT10_ENKUlT_T0_E_clISt17integral_constantIbLb0EES16_IbLb1EEEEDaS12_S13_EUlS12_E_NS1_11comp_targetILNS1_3genE9ELNS1_11target_archE1100ELNS1_3gpuE3ELNS1_3repE0EEENS1_30default_config_static_selectorELNS0_4arch9wavefront6targetE1EEEvT1_
    .private_segment_fixed_size: 0
    .sgpr_count:     4
    .sgpr_spill_count: 0
    .symbol:         _ZN7rocprim17ROCPRIM_400000_NS6detail17trampoline_kernelINS0_14default_configENS1_25partition_config_selectorILNS1_17partition_subalgoE8EmNS0_10empty_typeEbEEZZNS1_14partition_implILS5_8ELb0ES3_jPKmPS6_PKS6_NS0_5tupleIJPmS6_EEENSE_IJSB_SB_EEENS0_18inequality_wrapperIN6hipcub16HIPCUB_304000_NS8EqualityEEEPlJS6_EEE10hipError_tPvRmT3_T4_T5_T6_T7_T9_mT8_P12ihipStream_tbDpT10_ENKUlT_T0_E_clISt17integral_constantIbLb0EES16_IbLb1EEEEDaS12_S13_EUlS12_E_NS1_11comp_targetILNS1_3genE9ELNS1_11target_archE1100ELNS1_3gpuE3ELNS1_3repE0EEENS1_30default_config_static_selectorELNS0_4arch9wavefront6targetE1EEEvT1_.kd
    .uniform_work_group_size: 1
    .uses_dynamic_stack: false
    .vgpr_count:     0
    .vgpr_spill_count: 0
    .wavefront_size: 64
  - .agpr_count:     0
    .args:
      - .offset:         0
        .size:           128
        .value_kind:     by_value
    .group_segment_fixed_size: 0
    .kernarg_segment_align: 8
    .kernarg_segment_size: 128
    .language:       OpenCL C
    .language_version:
      - 2
      - 0
    .max_flat_workgroup_size: 512
    .name:           _ZN7rocprim17ROCPRIM_400000_NS6detail17trampoline_kernelINS0_14default_configENS1_25partition_config_selectorILNS1_17partition_subalgoE8EmNS0_10empty_typeEbEEZZNS1_14partition_implILS5_8ELb0ES3_jPKmPS6_PKS6_NS0_5tupleIJPmS6_EEENSE_IJSB_SB_EEENS0_18inequality_wrapperIN6hipcub16HIPCUB_304000_NS8EqualityEEEPlJS6_EEE10hipError_tPvRmT3_T4_T5_T6_T7_T9_mT8_P12ihipStream_tbDpT10_ENKUlT_T0_E_clISt17integral_constantIbLb0EES16_IbLb1EEEEDaS12_S13_EUlS12_E_NS1_11comp_targetILNS1_3genE8ELNS1_11target_archE1030ELNS1_3gpuE2ELNS1_3repE0EEENS1_30default_config_static_selectorELNS0_4arch9wavefront6targetE1EEEvT1_
    .private_segment_fixed_size: 0
    .sgpr_count:     4
    .sgpr_spill_count: 0
    .symbol:         _ZN7rocprim17ROCPRIM_400000_NS6detail17trampoline_kernelINS0_14default_configENS1_25partition_config_selectorILNS1_17partition_subalgoE8EmNS0_10empty_typeEbEEZZNS1_14partition_implILS5_8ELb0ES3_jPKmPS6_PKS6_NS0_5tupleIJPmS6_EEENSE_IJSB_SB_EEENS0_18inequality_wrapperIN6hipcub16HIPCUB_304000_NS8EqualityEEEPlJS6_EEE10hipError_tPvRmT3_T4_T5_T6_T7_T9_mT8_P12ihipStream_tbDpT10_ENKUlT_T0_E_clISt17integral_constantIbLb0EES16_IbLb1EEEEDaS12_S13_EUlS12_E_NS1_11comp_targetILNS1_3genE8ELNS1_11target_archE1030ELNS1_3gpuE2ELNS1_3repE0EEENS1_30default_config_static_selectorELNS0_4arch9wavefront6targetE1EEEvT1_.kd
    .uniform_work_group_size: 1
    .uses_dynamic_stack: false
    .vgpr_count:     0
    .vgpr_spill_count: 0
    .wavefront_size: 64
  - .agpr_count:     0
    .args:
      - .offset:         0
        .size:           128
        .value_kind:     by_value
    .group_segment_fixed_size: 0
    .kernarg_segment_align: 8
    .kernarg_segment_size: 128
    .language:       OpenCL C
    .language_version:
      - 2
      - 0
    .max_flat_workgroup_size: 256
    .name:           _ZN7rocprim17ROCPRIM_400000_NS6detail17trampoline_kernelINS0_14default_configENS1_33run_length_encode_config_selectorImjNS0_4plusIjEEEEZZNS1_33reduce_by_key_impl_wrapped_configILNS1_25lookback_scan_determinismE0ES3_S7_PKmNS0_17constant_iteratorIjlEEPmPlSF_S6_NS0_8equal_toImEEEE10hipError_tPvRmT2_T3_mT4_T5_T6_T7_T8_P12ihipStream_tbENKUlT_T0_E_clISt17integral_constantIbLb0EESZ_EEDaSU_SV_EUlSU_E_NS1_11comp_targetILNS1_3genE0ELNS1_11target_archE4294967295ELNS1_3gpuE0ELNS1_3repE0EEENS1_30default_config_static_selectorELNS0_4arch9wavefront6targetE1EEEvT1_
    .private_segment_fixed_size: 0
    .sgpr_count:     4
    .sgpr_spill_count: 0
    .symbol:         _ZN7rocprim17ROCPRIM_400000_NS6detail17trampoline_kernelINS0_14default_configENS1_33run_length_encode_config_selectorImjNS0_4plusIjEEEEZZNS1_33reduce_by_key_impl_wrapped_configILNS1_25lookback_scan_determinismE0ES3_S7_PKmNS0_17constant_iteratorIjlEEPmPlSF_S6_NS0_8equal_toImEEEE10hipError_tPvRmT2_T3_mT4_T5_T6_T7_T8_P12ihipStream_tbENKUlT_T0_E_clISt17integral_constantIbLb0EESZ_EEDaSU_SV_EUlSU_E_NS1_11comp_targetILNS1_3genE0ELNS1_11target_archE4294967295ELNS1_3gpuE0ELNS1_3repE0EEENS1_30default_config_static_selectorELNS0_4arch9wavefront6targetE1EEEvT1_.kd
    .uniform_work_group_size: 1
    .uses_dynamic_stack: false
    .vgpr_count:     0
    .vgpr_spill_count: 0
    .wavefront_size: 64
  - .agpr_count:     0
    .args:
      - .offset:         0
        .size:           128
        .value_kind:     by_value
    .group_segment_fixed_size: 0
    .kernarg_segment_align: 8
    .kernarg_segment_size: 128
    .language:       OpenCL C
    .language_version:
      - 2
      - 0
    .max_flat_workgroup_size: 512
    .name:           _ZN7rocprim17ROCPRIM_400000_NS6detail17trampoline_kernelINS0_14default_configENS1_33run_length_encode_config_selectorImjNS0_4plusIjEEEEZZNS1_33reduce_by_key_impl_wrapped_configILNS1_25lookback_scan_determinismE0ES3_S7_PKmNS0_17constant_iteratorIjlEEPmPlSF_S6_NS0_8equal_toImEEEE10hipError_tPvRmT2_T3_mT4_T5_T6_T7_T8_P12ihipStream_tbENKUlT_T0_E_clISt17integral_constantIbLb0EESZ_EEDaSU_SV_EUlSU_E_NS1_11comp_targetILNS1_3genE5ELNS1_11target_archE942ELNS1_3gpuE9ELNS1_3repE0EEENS1_30default_config_static_selectorELNS0_4arch9wavefront6targetE1EEEvT1_
    .private_segment_fixed_size: 0
    .sgpr_count:     4
    .sgpr_spill_count: 0
    .symbol:         _ZN7rocprim17ROCPRIM_400000_NS6detail17trampoline_kernelINS0_14default_configENS1_33run_length_encode_config_selectorImjNS0_4plusIjEEEEZZNS1_33reduce_by_key_impl_wrapped_configILNS1_25lookback_scan_determinismE0ES3_S7_PKmNS0_17constant_iteratorIjlEEPmPlSF_S6_NS0_8equal_toImEEEE10hipError_tPvRmT2_T3_mT4_T5_T6_T7_T8_P12ihipStream_tbENKUlT_T0_E_clISt17integral_constantIbLb0EESZ_EEDaSU_SV_EUlSU_E_NS1_11comp_targetILNS1_3genE5ELNS1_11target_archE942ELNS1_3gpuE9ELNS1_3repE0EEENS1_30default_config_static_selectorELNS0_4arch9wavefront6targetE1EEEvT1_.kd
    .uniform_work_group_size: 1
    .uses_dynamic_stack: false
    .vgpr_count:     0
    .vgpr_spill_count: 0
    .wavefront_size: 64
  - .agpr_count:     0
    .args:
      - .offset:         0
        .size:           128
        .value_kind:     by_value
    .group_segment_fixed_size: 20480
    .kernarg_segment_align: 8
    .kernarg_segment_size: 128
    .language:       OpenCL C
    .language_version:
      - 2
      - 0
    .max_flat_workgroup_size: 256
    .name:           _ZN7rocprim17ROCPRIM_400000_NS6detail17trampoline_kernelINS0_14default_configENS1_33run_length_encode_config_selectorImjNS0_4plusIjEEEEZZNS1_33reduce_by_key_impl_wrapped_configILNS1_25lookback_scan_determinismE0ES3_S7_PKmNS0_17constant_iteratorIjlEEPmPlSF_S6_NS0_8equal_toImEEEE10hipError_tPvRmT2_T3_mT4_T5_T6_T7_T8_P12ihipStream_tbENKUlT_T0_E_clISt17integral_constantIbLb0EESZ_EEDaSU_SV_EUlSU_E_NS1_11comp_targetILNS1_3genE4ELNS1_11target_archE910ELNS1_3gpuE8ELNS1_3repE0EEENS1_30default_config_static_selectorELNS0_4arch9wavefront6targetE1EEEvT1_
    .private_segment_fixed_size: 0
    .sgpr_count:     58
    .sgpr_spill_count: 0
    .symbol:         _ZN7rocprim17ROCPRIM_400000_NS6detail17trampoline_kernelINS0_14default_configENS1_33run_length_encode_config_selectorImjNS0_4plusIjEEEEZZNS1_33reduce_by_key_impl_wrapped_configILNS1_25lookback_scan_determinismE0ES3_S7_PKmNS0_17constant_iteratorIjlEEPmPlSF_S6_NS0_8equal_toImEEEE10hipError_tPvRmT2_T3_mT4_T5_T6_T7_T8_P12ihipStream_tbENKUlT_T0_E_clISt17integral_constantIbLb0EESZ_EEDaSU_SV_EUlSU_E_NS1_11comp_targetILNS1_3genE4ELNS1_11target_archE910ELNS1_3gpuE8ELNS1_3repE0EEENS1_30default_config_static_selectorELNS0_4arch9wavefront6targetE1EEEvT1_.kd
    .uniform_work_group_size: 1
    .uses_dynamic_stack: false
    .vgpr_count:     68
    .vgpr_spill_count: 0
    .wavefront_size: 64
  - .agpr_count:     0
    .args:
      - .offset:         0
        .size:           128
        .value_kind:     by_value
    .group_segment_fixed_size: 0
    .kernarg_segment_align: 8
    .kernarg_segment_size: 128
    .language:       OpenCL C
    .language_version:
      - 2
      - 0
    .max_flat_workgroup_size: 256
    .name:           _ZN7rocprim17ROCPRIM_400000_NS6detail17trampoline_kernelINS0_14default_configENS1_33run_length_encode_config_selectorImjNS0_4plusIjEEEEZZNS1_33reduce_by_key_impl_wrapped_configILNS1_25lookback_scan_determinismE0ES3_S7_PKmNS0_17constant_iteratorIjlEEPmPlSF_S6_NS0_8equal_toImEEEE10hipError_tPvRmT2_T3_mT4_T5_T6_T7_T8_P12ihipStream_tbENKUlT_T0_E_clISt17integral_constantIbLb0EESZ_EEDaSU_SV_EUlSU_E_NS1_11comp_targetILNS1_3genE3ELNS1_11target_archE908ELNS1_3gpuE7ELNS1_3repE0EEENS1_30default_config_static_selectorELNS0_4arch9wavefront6targetE1EEEvT1_
    .private_segment_fixed_size: 0
    .sgpr_count:     4
    .sgpr_spill_count: 0
    .symbol:         _ZN7rocprim17ROCPRIM_400000_NS6detail17trampoline_kernelINS0_14default_configENS1_33run_length_encode_config_selectorImjNS0_4plusIjEEEEZZNS1_33reduce_by_key_impl_wrapped_configILNS1_25lookback_scan_determinismE0ES3_S7_PKmNS0_17constant_iteratorIjlEEPmPlSF_S6_NS0_8equal_toImEEEE10hipError_tPvRmT2_T3_mT4_T5_T6_T7_T8_P12ihipStream_tbENKUlT_T0_E_clISt17integral_constantIbLb0EESZ_EEDaSU_SV_EUlSU_E_NS1_11comp_targetILNS1_3genE3ELNS1_11target_archE908ELNS1_3gpuE7ELNS1_3repE0EEENS1_30default_config_static_selectorELNS0_4arch9wavefront6targetE1EEEvT1_.kd
    .uniform_work_group_size: 1
    .uses_dynamic_stack: false
    .vgpr_count:     0
    .vgpr_spill_count: 0
    .wavefront_size: 64
  - .agpr_count:     0
    .args:
      - .offset:         0
        .size:           128
        .value_kind:     by_value
    .group_segment_fixed_size: 0
    .kernarg_segment_align: 8
    .kernarg_segment_size: 128
    .language:       OpenCL C
    .language_version:
      - 2
      - 0
    .max_flat_workgroup_size: 256
    .name:           _ZN7rocprim17ROCPRIM_400000_NS6detail17trampoline_kernelINS0_14default_configENS1_33run_length_encode_config_selectorImjNS0_4plusIjEEEEZZNS1_33reduce_by_key_impl_wrapped_configILNS1_25lookback_scan_determinismE0ES3_S7_PKmNS0_17constant_iteratorIjlEEPmPlSF_S6_NS0_8equal_toImEEEE10hipError_tPvRmT2_T3_mT4_T5_T6_T7_T8_P12ihipStream_tbENKUlT_T0_E_clISt17integral_constantIbLb0EESZ_EEDaSU_SV_EUlSU_E_NS1_11comp_targetILNS1_3genE2ELNS1_11target_archE906ELNS1_3gpuE6ELNS1_3repE0EEENS1_30default_config_static_selectorELNS0_4arch9wavefront6targetE1EEEvT1_
    .private_segment_fixed_size: 0
    .sgpr_count:     4
    .sgpr_spill_count: 0
    .symbol:         _ZN7rocprim17ROCPRIM_400000_NS6detail17trampoline_kernelINS0_14default_configENS1_33run_length_encode_config_selectorImjNS0_4plusIjEEEEZZNS1_33reduce_by_key_impl_wrapped_configILNS1_25lookback_scan_determinismE0ES3_S7_PKmNS0_17constant_iteratorIjlEEPmPlSF_S6_NS0_8equal_toImEEEE10hipError_tPvRmT2_T3_mT4_T5_T6_T7_T8_P12ihipStream_tbENKUlT_T0_E_clISt17integral_constantIbLb0EESZ_EEDaSU_SV_EUlSU_E_NS1_11comp_targetILNS1_3genE2ELNS1_11target_archE906ELNS1_3gpuE6ELNS1_3repE0EEENS1_30default_config_static_selectorELNS0_4arch9wavefront6targetE1EEEvT1_.kd
    .uniform_work_group_size: 1
    .uses_dynamic_stack: false
    .vgpr_count:     0
    .vgpr_spill_count: 0
    .wavefront_size: 64
  - .agpr_count:     0
    .args:
      - .offset:         0
        .size:           128
        .value_kind:     by_value
    .group_segment_fixed_size: 0
    .kernarg_segment_align: 8
    .kernarg_segment_size: 128
    .language:       OpenCL C
    .language_version:
      - 2
      - 0
    .max_flat_workgroup_size: 512
    .name:           _ZN7rocprim17ROCPRIM_400000_NS6detail17trampoline_kernelINS0_14default_configENS1_33run_length_encode_config_selectorImjNS0_4plusIjEEEEZZNS1_33reduce_by_key_impl_wrapped_configILNS1_25lookback_scan_determinismE0ES3_S7_PKmNS0_17constant_iteratorIjlEEPmPlSF_S6_NS0_8equal_toImEEEE10hipError_tPvRmT2_T3_mT4_T5_T6_T7_T8_P12ihipStream_tbENKUlT_T0_E_clISt17integral_constantIbLb0EESZ_EEDaSU_SV_EUlSU_E_NS1_11comp_targetILNS1_3genE10ELNS1_11target_archE1201ELNS1_3gpuE5ELNS1_3repE0EEENS1_30default_config_static_selectorELNS0_4arch9wavefront6targetE1EEEvT1_
    .private_segment_fixed_size: 0
    .sgpr_count:     4
    .sgpr_spill_count: 0
    .symbol:         _ZN7rocprim17ROCPRIM_400000_NS6detail17trampoline_kernelINS0_14default_configENS1_33run_length_encode_config_selectorImjNS0_4plusIjEEEEZZNS1_33reduce_by_key_impl_wrapped_configILNS1_25lookback_scan_determinismE0ES3_S7_PKmNS0_17constant_iteratorIjlEEPmPlSF_S6_NS0_8equal_toImEEEE10hipError_tPvRmT2_T3_mT4_T5_T6_T7_T8_P12ihipStream_tbENKUlT_T0_E_clISt17integral_constantIbLb0EESZ_EEDaSU_SV_EUlSU_E_NS1_11comp_targetILNS1_3genE10ELNS1_11target_archE1201ELNS1_3gpuE5ELNS1_3repE0EEENS1_30default_config_static_selectorELNS0_4arch9wavefront6targetE1EEEvT1_.kd
    .uniform_work_group_size: 1
    .uses_dynamic_stack: false
    .vgpr_count:     0
    .vgpr_spill_count: 0
    .wavefront_size: 64
  - .agpr_count:     0
    .args:
      - .offset:         0
        .size:           128
        .value_kind:     by_value
    .group_segment_fixed_size: 0
    .kernarg_segment_align: 8
    .kernarg_segment_size: 128
    .language:       OpenCL C
    .language_version:
      - 2
      - 0
    .max_flat_workgroup_size: 512
    .name:           _ZN7rocprim17ROCPRIM_400000_NS6detail17trampoline_kernelINS0_14default_configENS1_33run_length_encode_config_selectorImjNS0_4plusIjEEEEZZNS1_33reduce_by_key_impl_wrapped_configILNS1_25lookback_scan_determinismE0ES3_S7_PKmNS0_17constant_iteratorIjlEEPmPlSF_S6_NS0_8equal_toImEEEE10hipError_tPvRmT2_T3_mT4_T5_T6_T7_T8_P12ihipStream_tbENKUlT_T0_E_clISt17integral_constantIbLb0EESZ_EEDaSU_SV_EUlSU_E_NS1_11comp_targetILNS1_3genE10ELNS1_11target_archE1200ELNS1_3gpuE4ELNS1_3repE0EEENS1_30default_config_static_selectorELNS0_4arch9wavefront6targetE1EEEvT1_
    .private_segment_fixed_size: 0
    .sgpr_count:     4
    .sgpr_spill_count: 0
    .symbol:         _ZN7rocprim17ROCPRIM_400000_NS6detail17trampoline_kernelINS0_14default_configENS1_33run_length_encode_config_selectorImjNS0_4plusIjEEEEZZNS1_33reduce_by_key_impl_wrapped_configILNS1_25lookback_scan_determinismE0ES3_S7_PKmNS0_17constant_iteratorIjlEEPmPlSF_S6_NS0_8equal_toImEEEE10hipError_tPvRmT2_T3_mT4_T5_T6_T7_T8_P12ihipStream_tbENKUlT_T0_E_clISt17integral_constantIbLb0EESZ_EEDaSU_SV_EUlSU_E_NS1_11comp_targetILNS1_3genE10ELNS1_11target_archE1200ELNS1_3gpuE4ELNS1_3repE0EEENS1_30default_config_static_selectorELNS0_4arch9wavefront6targetE1EEEvT1_.kd
    .uniform_work_group_size: 1
    .uses_dynamic_stack: false
    .vgpr_count:     0
    .vgpr_spill_count: 0
    .wavefront_size: 64
  - .agpr_count:     0
    .args:
      - .offset:         0
        .size:           128
        .value_kind:     by_value
    .group_segment_fixed_size: 0
    .kernarg_segment_align: 8
    .kernarg_segment_size: 128
    .language:       OpenCL C
    .language_version:
      - 2
      - 0
    .max_flat_workgroup_size: 512
    .name:           _ZN7rocprim17ROCPRIM_400000_NS6detail17trampoline_kernelINS0_14default_configENS1_33run_length_encode_config_selectorImjNS0_4plusIjEEEEZZNS1_33reduce_by_key_impl_wrapped_configILNS1_25lookback_scan_determinismE0ES3_S7_PKmNS0_17constant_iteratorIjlEEPmPlSF_S6_NS0_8equal_toImEEEE10hipError_tPvRmT2_T3_mT4_T5_T6_T7_T8_P12ihipStream_tbENKUlT_T0_E_clISt17integral_constantIbLb0EESZ_EEDaSU_SV_EUlSU_E_NS1_11comp_targetILNS1_3genE9ELNS1_11target_archE1100ELNS1_3gpuE3ELNS1_3repE0EEENS1_30default_config_static_selectorELNS0_4arch9wavefront6targetE1EEEvT1_
    .private_segment_fixed_size: 0
    .sgpr_count:     4
    .sgpr_spill_count: 0
    .symbol:         _ZN7rocprim17ROCPRIM_400000_NS6detail17trampoline_kernelINS0_14default_configENS1_33run_length_encode_config_selectorImjNS0_4plusIjEEEEZZNS1_33reduce_by_key_impl_wrapped_configILNS1_25lookback_scan_determinismE0ES3_S7_PKmNS0_17constant_iteratorIjlEEPmPlSF_S6_NS0_8equal_toImEEEE10hipError_tPvRmT2_T3_mT4_T5_T6_T7_T8_P12ihipStream_tbENKUlT_T0_E_clISt17integral_constantIbLb0EESZ_EEDaSU_SV_EUlSU_E_NS1_11comp_targetILNS1_3genE9ELNS1_11target_archE1100ELNS1_3gpuE3ELNS1_3repE0EEENS1_30default_config_static_selectorELNS0_4arch9wavefront6targetE1EEEvT1_.kd
    .uniform_work_group_size: 1
    .uses_dynamic_stack: false
    .vgpr_count:     0
    .vgpr_spill_count: 0
    .wavefront_size: 64
  - .agpr_count:     0
    .args:
      - .offset:         0
        .size:           128
        .value_kind:     by_value
    .group_segment_fixed_size: 0
    .kernarg_segment_align: 8
    .kernarg_segment_size: 128
    .language:       OpenCL C
    .language_version:
      - 2
      - 0
    .max_flat_workgroup_size: 512
    .name:           _ZN7rocprim17ROCPRIM_400000_NS6detail17trampoline_kernelINS0_14default_configENS1_33run_length_encode_config_selectorImjNS0_4plusIjEEEEZZNS1_33reduce_by_key_impl_wrapped_configILNS1_25lookback_scan_determinismE0ES3_S7_PKmNS0_17constant_iteratorIjlEEPmPlSF_S6_NS0_8equal_toImEEEE10hipError_tPvRmT2_T3_mT4_T5_T6_T7_T8_P12ihipStream_tbENKUlT_T0_E_clISt17integral_constantIbLb0EESZ_EEDaSU_SV_EUlSU_E_NS1_11comp_targetILNS1_3genE8ELNS1_11target_archE1030ELNS1_3gpuE2ELNS1_3repE0EEENS1_30default_config_static_selectorELNS0_4arch9wavefront6targetE1EEEvT1_
    .private_segment_fixed_size: 0
    .sgpr_count:     4
    .sgpr_spill_count: 0
    .symbol:         _ZN7rocprim17ROCPRIM_400000_NS6detail17trampoline_kernelINS0_14default_configENS1_33run_length_encode_config_selectorImjNS0_4plusIjEEEEZZNS1_33reduce_by_key_impl_wrapped_configILNS1_25lookback_scan_determinismE0ES3_S7_PKmNS0_17constant_iteratorIjlEEPmPlSF_S6_NS0_8equal_toImEEEE10hipError_tPvRmT2_T3_mT4_T5_T6_T7_T8_P12ihipStream_tbENKUlT_T0_E_clISt17integral_constantIbLb0EESZ_EEDaSU_SV_EUlSU_E_NS1_11comp_targetILNS1_3genE8ELNS1_11target_archE1030ELNS1_3gpuE2ELNS1_3repE0EEENS1_30default_config_static_selectorELNS0_4arch9wavefront6targetE1EEEvT1_.kd
    .uniform_work_group_size: 1
    .uses_dynamic_stack: false
    .vgpr_count:     0
    .vgpr_spill_count: 0
    .wavefront_size: 64
  - .agpr_count:     0
    .args:
      - .offset:         0
        .size:           128
        .value_kind:     by_value
    .group_segment_fixed_size: 0
    .kernarg_segment_align: 8
    .kernarg_segment_size: 128
    .language:       OpenCL C
    .language_version:
      - 2
      - 0
    .max_flat_workgroup_size: 256
    .name:           _ZN7rocprim17ROCPRIM_400000_NS6detail17trampoline_kernelINS0_14default_configENS1_33run_length_encode_config_selectorImjNS0_4plusIjEEEEZZNS1_33reduce_by_key_impl_wrapped_configILNS1_25lookback_scan_determinismE0ES3_S7_PKmNS0_17constant_iteratorIjlEEPmPlSF_S6_NS0_8equal_toImEEEE10hipError_tPvRmT2_T3_mT4_T5_T6_T7_T8_P12ihipStream_tbENKUlT_T0_E_clISt17integral_constantIbLb1EESZ_EEDaSU_SV_EUlSU_E_NS1_11comp_targetILNS1_3genE0ELNS1_11target_archE4294967295ELNS1_3gpuE0ELNS1_3repE0EEENS1_30default_config_static_selectorELNS0_4arch9wavefront6targetE1EEEvT1_
    .private_segment_fixed_size: 0
    .sgpr_count:     4
    .sgpr_spill_count: 0
    .symbol:         _ZN7rocprim17ROCPRIM_400000_NS6detail17trampoline_kernelINS0_14default_configENS1_33run_length_encode_config_selectorImjNS0_4plusIjEEEEZZNS1_33reduce_by_key_impl_wrapped_configILNS1_25lookback_scan_determinismE0ES3_S7_PKmNS0_17constant_iteratorIjlEEPmPlSF_S6_NS0_8equal_toImEEEE10hipError_tPvRmT2_T3_mT4_T5_T6_T7_T8_P12ihipStream_tbENKUlT_T0_E_clISt17integral_constantIbLb1EESZ_EEDaSU_SV_EUlSU_E_NS1_11comp_targetILNS1_3genE0ELNS1_11target_archE4294967295ELNS1_3gpuE0ELNS1_3repE0EEENS1_30default_config_static_selectorELNS0_4arch9wavefront6targetE1EEEvT1_.kd
    .uniform_work_group_size: 1
    .uses_dynamic_stack: false
    .vgpr_count:     0
    .vgpr_spill_count: 0
    .wavefront_size: 64
  - .agpr_count:     0
    .args:
      - .offset:         0
        .size:           128
        .value_kind:     by_value
    .group_segment_fixed_size: 0
    .kernarg_segment_align: 8
    .kernarg_segment_size: 128
    .language:       OpenCL C
    .language_version:
      - 2
      - 0
    .max_flat_workgroup_size: 512
    .name:           _ZN7rocprim17ROCPRIM_400000_NS6detail17trampoline_kernelINS0_14default_configENS1_33run_length_encode_config_selectorImjNS0_4plusIjEEEEZZNS1_33reduce_by_key_impl_wrapped_configILNS1_25lookback_scan_determinismE0ES3_S7_PKmNS0_17constant_iteratorIjlEEPmPlSF_S6_NS0_8equal_toImEEEE10hipError_tPvRmT2_T3_mT4_T5_T6_T7_T8_P12ihipStream_tbENKUlT_T0_E_clISt17integral_constantIbLb1EESZ_EEDaSU_SV_EUlSU_E_NS1_11comp_targetILNS1_3genE5ELNS1_11target_archE942ELNS1_3gpuE9ELNS1_3repE0EEENS1_30default_config_static_selectorELNS0_4arch9wavefront6targetE1EEEvT1_
    .private_segment_fixed_size: 0
    .sgpr_count:     4
    .sgpr_spill_count: 0
    .symbol:         _ZN7rocprim17ROCPRIM_400000_NS6detail17trampoline_kernelINS0_14default_configENS1_33run_length_encode_config_selectorImjNS0_4plusIjEEEEZZNS1_33reduce_by_key_impl_wrapped_configILNS1_25lookback_scan_determinismE0ES3_S7_PKmNS0_17constant_iteratorIjlEEPmPlSF_S6_NS0_8equal_toImEEEE10hipError_tPvRmT2_T3_mT4_T5_T6_T7_T8_P12ihipStream_tbENKUlT_T0_E_clISt17integral_constantIbLb1EESZ_EEDaSU_SV_EUlSU_E_NS1_11comp_targetILNS1_3genE5ELNS1_11target_archE942ELNS1_3gpuE9ELNS1_3repE0EEENS1_30default_config_static_selectorELNS0_4arch9wavefront6targetE1EEEvT1_.kd
    .uniform_work_group_size: 1
    .uses_dynamic_stack: false
    .vgpr_count:     0
    .vgpr_spill_count: 0
    .wavefront_size: 64
  - .agpr_count:     0
    .args:
      - .offset:         0
        .size:           128
        .value_kind:     by_value
    .group_segment_fixed_size: 20480
    .kernarg_segment_align: 8
    .kernarg_segment_size: 128
    .language:       OpenCL C
    .language_version:
      - 2
      - 0
    .max_flat_workgroup_size: 256
    .name:           _ZN7rocprim17ROCPRIM_400000_NS6detail17trampoline_kernelINS0_14default_configENS1_33run_length_encode_config_selectorImjNS0_4plusIjEEEEZZNS1_33reduce_by_key_impl_wrapped_configILNS1_25lookback_scan_determinismE0ES3_S7_PKmNS0_17constant_iteratorIjlEEPmPlSF_S6_NS0_8equal_toImEEEE10hipError_tPvRmT2_T3_mT4_T5_T6_T7_T8_P12ihipStream_tbENKUlT_T0_E_clISt17integral_constantIbLb1EESZ_EEDaSU_SV_EUlSU_E_NS1_11comp_targetILNS1_3genE4ELNS1_11target_archE910ELNS1_3gpuE8ELNS1_3repE0EEENS1_30default_config_static_selectorELNS0_4arch9wavefront6targetE1EEEvT1_
    .private_segment_fixed_size: 0
    .sgpr_count:     60
    .sgpr_spill_count: 0
    .symbol:         _ZN7rocprim17ROCPRIM_400000_NS6detail17trampoline_kernelINS0_14default_configENS1_33run_length_encode_config_selectorImjNS0_4plusIjEEEEZZNS1_33reduce_by_key_impl_wrapped_configILNS1_25lookback_scan_determinismE0ES3_S7_PKmNS0_17constant_iteratorIjlEEPmPlSF_S6_NS0_8equal_toImEEEE10hipError_tPvRmT2_T3_mT4_T5_T6_T7_T8_P12ihipStream_tbENKUlT_T0_E_clISt17integral_constantIbLb1EESZ_EEDaSU_SV_EUlSU_E_NS1_11comp_targetILNS1_3genE4ELNS1_11target_archE910ELNS1_3gpuE8ELNS1_3repE0EEENS1_30default_config_static_selectorELNS0_4arch9wavefront6targetE1EEEvT1_.kd
    .uniform_work_group_size: 1
    .uses_dynamic_stack: false
    .vgpr_count:     68
    .vgpr_spill_count: 0
    .wavefront_size: 64
  - .agpr_count:     0
    .args:
      - .offset:         0
        .size:           128
        .value_kind:     by_value
    .group_segment_fixed_size: 0
    .kernarg_segment_align: 8
    .kernarg_segment_size: 128
    .language:       OpenCL C
    .language_version:
      - 2
      - 0
    .max_flat_workgroup_size: 256
    .name:           _ZN7rocprim17ROCPRIM_400000_NS6detail17trampoline_kernelINS0_14default_configENS1_33run_length_encode_config_selectorImjNS0_4plusIjEEEEZZNS1_33reduce_by_key_impl_wrapped_configILNS1_25lookback_scan_determinismE0ES3_S7_PKmNS0_17constant_iteratorIjlEEPmPlSF_S6_NS0_8equal_toImEEEE10hipError_tPvRmT2_T3_mT4_T5_T6_T7_T8_P12ihipStream_tbENKUlT_T0_E_clISt17integral_constantIbLb1EESZ_EEDaSU_SV_EUlSU_E_NS1_11comp_targetILNS1_3genE3ELNS1_11target_archE908ELNS1_3gpuE7ELNS1_3repE0EEENS1_30default_config_static_selectorELNS0_4arch9wavefront6targetE1EEEvT1_
    .private_segment_fixed_size: 0
    .sgpr_count:     4
    .sgpr_spill_count: 0
    .symbol:         _ZN7rocprim17ROCPRIM_400000_NS6detail17trampoline_kernelINS0_14default_configENS1_33run_length_encode_config_selectorImjNS0_4plusIjEEEEZZNS1_33reduce_by_key_impl_wrapped_configILNS1_25lookback_scan_determinismE0ES3_S7_PKmNS0_17constant_iteratorIjlEEPmPlSF_S6_NS0_8equal_toImEEEE10hipError_tPvRmT2_T3_mT4_T5_T6_T7_T8_P12ihipStream_tbENKUlT_T0_E_clISt17integral_constantIbLb1EESZ_EEDaSU_SV_EUlSU_E_NS1_11comp_targetILNS1_3genE3ELNS1_11target_archE908ELNS1_3gpuE7ELNS1_3repE0EEENS1_30default_config_static_selectorELNS0_4arch9wavefront6targetE1EEEvT1_.kd
    .uniform_work_group_size: 1
    .uses_dynamic_stack: false
    .vgpr_count:     0
    .vgpr_spill_count: 0
    .wavefront_size: 64
  - .agpr_count:     0
    .args:
      - .offset:         0
        .size:           128
        .value_kind:     by_value
    .group_segment_fixed_size: 0
    .kernarg_segment_align: 8
    .kernarg_segment_size: 128
    .language:       OpenCL C
    .language_version:
      - 2
      - 0
    .max_flat_workgroup_size: 256
    .name:           _ZN7rocprim17ROCPRIM_400000_NS6detail17trampoline_kernelINS0_14default_configENS1_33run_length_encode_config_selectorImjNS0_4plusIjEEEEZZNS1_33reduce_by_key_impl_wrapped_configILNS1_25lookback_scan_determinismE0ES3_S7_PKmNS0_17constant_iteratorIjlEEPmPlSF_S6_NS0_8equal_toImEEEE10hipError_tPvRmT2_T3_mT4_T5_T6_T7_T8_P12ihipStream_tbENKUlT_T0_E_clISt17integral_constantIbLb1EESZ_EEDaSU_SV_EUlSU_E_NS1_11comp_targetILNS1_3genE2ELNS1_11target_archE906ELNS1_3gpuE6ELNS1_3repE0EEENS1_30default_config_static_selectorELNS0_4arch9wavefront6targetE1EEEvT1_
    .private_segment_fixed_size: 0
    .sgpr_count:     4
    .sgpr_spill_count: 0
    .symbol:         _ZN7rocprim17ROCPRIM_400000_NS6detail17trampoline_kernelINS0_14default_configENS1_33run_length_encode_config_selectorImjNS0_4plusIjEEEEZZNS1_33reduce_by_key_impl_wrapped_configILNS1_25lookback_scan_determinismE0ES3_S7_PKmNS0_17constant_iteratorIjlEEPmPlSF_S6_NS0_8equal_toImEEEE10hipError_tPvRmT2_T3_mT4_T5_T6_T7_T8_P12ihipStream_tbENKUlT_T0_E_clISt17integral_constantIbLb1EESZ_EEDaSU_SV_EUlSU_E_NS1_11comp_targetILNS1_3genE2ELNS1_11target_archE906ELNS1_3gpuE6ELNS1_3repE0EEENS1_30default_config_static_selectorELNS0_4arch9wavefront6targetE1EEEvT1_.kd
    .uniform_work_group_size: 1
    .uses_dynamic_stack: false
    .vgpr_count:     0
    .vgpr_spill_count: 0
    .wavefront_size: 64
  - .agpr_count:     0
    .args:
      - .offset:         0
        .size:           128
        .value_kind:     by_value
    .group_segment_fixed_size: 0
    .kernarg_segment_align: 8
    .kernarg_segment_size: 128
    .language:       OpenCL C
    .language_version:
      - 2
      - 0
    .max_flat_workgroup_size: 512
    .name:           _ZN7rocprim17ROCPRIM_400000_NS6detail17trampoline_kernelINS0_14default_configENS1_33run_length_encode_config_selectorImjNS0_4plusIjEEEEZZNS1_33reduce_by_key_impl_wrapped_configILNS1_25lookback_scan_determinismE0ES3_S7_PKmNS0_17constant_iteratorIjlEEPmPlSF_S6_NS0_8equal_toImEEEE10hipError_tPvRmT2_T3_mT4_T5_T6_T7_T8_P12ihipStream_tbENKUlT_T0_E_clISt17integral_constantIbLb1EESZ_EEDaSU_SV_EUlSU_E_NS1_11comp_targetILNS1_3genE10ELNS1_11target_archE1201ELNS1_3gpuE5ELNS1_3repE0EEENS1_30default_config_static_selectorELNS0_4arch9wavefront6targetE1EEEvT1_
    .private_segment_fixed_size: 0
    .sgpr_count:     4
    .sgpr_spill_count: 0
    .symbol:         _ZN7rocprim17ROCPRIM_400000_NS6detail17trampoline_kernelINS0_14default_configENS1_33run_length_encode_config_selectorImjNS0_4plusIjEEEEZZNS1_33reduce_by_key_impl_wrapped_configILNS1_25lookback_scan_determinismE0ES3_S7_PKmNS0_17constant_iteratorIjlEEPmPlSF_S6_NS0_8equal_toImEEEE10hipError_tPvRmT2_T3_mT4_T5_T6_T7_T8_P12ihipStream_tbENKUlT_T0_E_clISt17integral_constantIbLb1EESZ_EEDaSU_SV_EUlSU_E_NS1_11comp_targetILNS1_3genE10ELNS1_11target_archE1201ELNS1_3gpuE5ELNS1_3repE0EEENS1_30default_config_static_selectorELNS0_4arch9wavefront6targetE1EEEvT1_.kd
    .uniform_work_group_size: 1
    .uses_dynamic_stack: false
    .vgpr_count:     0
    .vgpr_spill_count: 0
    .wavefront_size: 64
  - .agpr_count:     0
    .args:
      - .offset:         0
        .size:           128
        .value_kind:     by_value
    .group_segment_fixed_size: 0
    .kernarg_segment_align: 8
    .kernarg_segment_size: 128
    .language:       OpenCL C
    .language_version:
      - 2
      - 0
    .max_flat_workgroup_size: 512
    .name:           _ZN7rocprim17ROCPRIM_400000_NS6detail17trampoline_kernelINS0_14default_configENS1_33run_length_encode_config_selectorImjNS0_4plusIjEEEEZZNS1_33reduce_by_key_impl_wrapped_configILNS1_25lookback_scan_determinismE0ES3_S7_PKmNS0_17constant_iteratorIjlEEPmPlSF_S6_NS0_8equal_toImEEEE10hipError_tPvRmT2_T3_mT4_T5_T6_T7_T8_P12ihipStream_tbENKUlT_T0_E_clISt17integral_constantIbLb1EESZ_EEDaSU_SV_EUlSU_E_NS1_11comp_targetILNS1_3genE10ELNS1_11target_archE1200ELNS1_3gpuE4ELNS1_3repE0EEENS1_30default_config_static_selectorELNS0_4arch9wavefront6targetE1EEEvT1_
    .private_segment_fixed_size: 0
    .sgpr_count:     4
    .sgpr_spill_count: 0
    .symbol:         _ZN7rocprim17ROCPRIM_400000_NS6detail17trampoline_kernelINS0_14default_configENS1_33run_length_encode_config_selectorImjNS0_4plusIjEEEEZZNS1_33reduce_by_key_impl_wrapped_configILNS1_25lookback_scan_determinismE0ES3_S7_PKmNS0_17constant_iteratorIjlEEPmPlSF_S6_NS0_8equal_toImEEEE10hipError_tPvRmT2_T3_mT4_T5_T6_T7_T8_P12ihipStream_tbENKUlT_T0_E_clISt17integral_constantIbLb1EESZ_EEDaSU_SV_EUlSU_E_NS1_11comp_targetILNS1_3genE10ELNS1_11target_archE1200ELNS1_3gpuE4ELNS1_3repE0EEENS1_30default_config_static_selectorELNS0_4arch9wavefront6targetE1EEEvT1_.kd
    .uniform_work_group_size: 1
    .uses_dynamic_stack: false
    .vgpr_count:     0
    .vgpr_spill_count: 0
    .wavefront_size: 64
  - .agpr_count:     0
    .args:
      - .offset:         0
        .size:           128
        .value_kind:     by_value
    .group_segment_fixed_size: 0
    .kernarg_segment_align: 8
    .kernarg_segment_size: 128
    .language:       OpenCL C
    .language_version:
      - 2
      - 0
    .max_flat_workgroup_size: 512
    .name:           _ZN7rocprim17ROCPRIM_400000_NS6detail17trampoline_kernelINS0_14default_configENS1_33run_length_encode_config_selectorImjNS0_4plusIjEEEEZZNS1_33reduce_by_key_impl_wrapped_configILNS1_25lookback_scan_determinismE0ES3_S7_PKmNS0_17constant_iteratorIjlEEPmPlSF_S6_NS0_8equal_toImEEEE10hipError_tPvRmT2_T3_mT4_T5_T6_T7_T8_P12ihipStream_tbENKUlT_T0_E_clISt17integral_constantIbLb1EESZ_EEDaSU_SV_EUlSU_E_NS1_11comp_targetILNS1_3genE9ELNS1_11target_archE1100ELNS1_3gpuE3ELNS1_3repE0EEENS1_30default_config_static_selectorELNS0_4arch9wavefront6targetE1EEEvT1_
    .private_segment_fixed_size: 0
    .sgpr_count:     4
    .sgpr_spill_count: 0
    .symbol:         _ZN7rocprim17ROCPRIM_400000_NS6detail17trampoline_kernelINS0_14default_configENS1_33run_length_encode_config_selectorImjNS0_4plusIjEEEEZZNS1_33reduce_by_key_impl_wrapped_configILNS1_25lookback_scan_determinismE0ES3_S7_PKmNS0_17constant_iteratorIjlEEPmPlSF_S6_NS0_8equal_toImEEEE10hipError_tPvRmT2_T3_mT4_T5_T6_T7_T8_P12ihipStream_tbENKUlT_T0_E_clISt17integral_constantIbLb1EESZ_EEDaSU_SV_EUlSU_E_NS1_11comp_targetILNS1_3genE9ELNS1_11target_archE1100ELNS1_3gpuE3ELNS1_3repE0EEENS1_30default_config_static_selectorELNS0_4arch9wavefront6targetE1EEEvT1_.kd
    .uniform_work_group_size: 1
    .uses_dynamic_stack: false
    .vgpr_count:     0
    .vgpr_spill_count: 0
    .wavefront_size: 64
  - .agpr_count:     0
    .args:
      - .offset:         0
        .size:           128
        .value_kind:     by_value
    .group_segment_fixed_size: 0
    .kernarg_segment_align: 8
    .kernarg_segment_size: 128
    .language:       OpenCL C
    .language_version:
      - 2
      - 0
    .max_flat_workgroup_size: 512
    .name:           _ZN7rocprim17ROCPRIM_400000_NS6detail17trampoline_kernelINS0_14default_configENS1_33run_length_encode_config_selectorImjNS0_4plusIjEEEEZZNS1_33reduce_by_key_impl_wrapped_configILNS1_25lookback_scan_determinismE0ES3_S7_PKmNS0_17constant_iteratorIjlEEPmPlSF_S6_NS0_8equal_toImEEEE10hipError_tPvRmT2_T3_mT4_T5_T6_T7_T8_P12ihipStream_tbENKUlT_T0_E_clISt17integral_constantIbLb1EESZ_EEDaSU_SV_EUlSU_E_NS1_11comp_targetILNS1_3genE8ELNS1_11target_archE1030ELNS1_3gpuE2ELNS1_3repE0EEENS1_30default_config_static_selectorELNS0_4arch9wavefront6targetE1EEEvT1_
    .private_segment_fixed_size: 0
    .sgpr_count:     4
    .sgpr_spill_count: 0
    .symbol:         _ZN7rocprim17ROCPRIM_400000_NS6detail17trampoline_kernelINS0_14default_configENS1_33run_length_encode_config_selectorImjNS0_4plusIjEEEEZZNS1_33reduce_by_key_impl_wrapped_configILNS1_25lookback_scan_determinismE0ES3_S7_PKmNS0_17constant_iteratorIjlEEPmPlSF_S6_NS0_8equal_toImEEEE10hipError_tPvRmT2_T3_mT4_T5_T6_T7_T8_P12ihipStream_tbENKUlT_T0_E_clISt17integral_constantIbLb1EESZ_EEDaSU_SV_EUlSU_E_NS1_11comp_targetILNS1_3genE8ELNS1_11target_archE1030ELNS1_3gpuE2ELNS1_3repE0EEENS1_30default_config_static_selectorELNS0_4arch9wavefront6targetE1EEEvT1_.kd
    .uniform_work_group_size: 1
    .uses_dynamic_stack: false
    .vgpr_count:     0
    .vgpr_spill_count: 0
    .wavefront_size: 64
  - .agpr_count:     0
    .args:
      - .offset:         0
        .size:           128
        .value_kind:     by_value
    .group_segment_fixed_size: 0
    .kernarg_segment_align: 8
    .kernarg_segment_size: 128
    .language:       OpenCL C
    .language_version:
      - 2
      - 0
    .max_flat_workgroup_size: 256
    .name:           _ZN7rocprim17ROCPRIM_400000_NS6detail17trampoline_kernelINS0_14default_configENS1_33run_length_encode_config_selectorImjNS0_4plusIjEEEEZZNS1_33reduce_by_key_impl_wrapped_configILNS1_25lookback_scan_determinismE0ES3_S7_PKmNS0_17constant_iteratorIjlEEPmPlSF_S6_NS0_8equal_toImEEEE10hipError_tPvRmT2_T3_mT4_T5_T6_T7_T8_P12ihipStream_tbENKUlT_T0_E_clISt17integral_constantIbLb1EESY_IbLb0EEEEDaSU_SV_EUlSU_E_NS1_11comp_targetILNS1_3genE0ELNS1_11target_archE4294967295ELNS1_3gpuE0ELNS1_3repE0EEENS1_30default_config_static_selectorELNS0_4arch9wavefront6targetE1EEEvT1_
    .private_segment_fixed_size: 0
    .sgpr_count:     4
    .sgpr_spill_count: 0
    .symbol:         _ZN7rocprim17ROCPRIM_400000_NS6detail17trampoline_kernelINS0_14default_configENS1_33run_length_encode_config_selectorImjNS0_4plusIjEEEEZZNS1_33reduce_by_key_impl_wrapped_configILNS1_25lookback_scan_determinismE0ES3_S7_PKmNS0_17constant_iteratorIjlEEPmPlSF_S6_NS0_8equal_toImEEEE10hipError_tPvRmT2_T3_mT4_T5_T6_T7_T8_P12ihipStream_tbENKUlT_T0_E_clISt17integral_constantIbLb1EESY_IbLb0EEEEDaSU_SV_EUlSU_E_NS1_11comp_targetILNS1_3genE0ELNS1_11target_archE4294967295ELNS1_3gpuE0ELNS1_3repE0EEENS1_30default_config_static_selectorELNS0_4arch9wavefront6targetE1EEEvT1_.kd
    .uniform_work_group_size: 1
    .uses_dynamic_stack: false
    .vgpr_count:     0
    .vgpr_spill_count: 0
    .wavefront_size: 64
  - .agpr_count:     0
    .args:
      - .offset:         0
        .size:           128
        .value_kind:     by_value
    .group_segment_fixed_size: 0
    .kernarg_segment_align: 8
    .kernarg_segment_size: 128
    .language:       OpenCL C
    .language_version:
      - 2
      - 0
    .max_flat_workgroup_size: 512
    .name:           _ZN7rocprim17ROCPRIM_400000_NS6detail17trampoline_kernelINS0_14default_configENS1_33run_length_encode_config_selectorImjNS0_4plusIjEEEEZZNS1_33reduce_by_key_impl_wrapped_configILNS1_25lookback_scan_determinismE0ES3_S7_PKmNS0_17constant_iteratorIjlEEPmPlSF_S6_NS0_8equal_toImEEEE10hipError_tPvRmT2_T3_mT4_T5_T6_T7_T8_P12ihipStream_tbENKUlT_T0_E_clISt17integral_constantIbLb1EESY_IbLb0EEEEDaSU_SV_EUlSU_E_NS1_11comp_targetILNS1_3genE5ELNS1_11target_archE942ELNS1_3gpuE9ELNS1_3repE0EEENS1_30default_config_static_selectorELNS0_4arch9wavefront6targetE1EEEvT1_
    .private_segment_fixed_size: 0
    .sgpr_count:     4
    .sgpr_spill_count: 0
    .symbol:         _ZN7rocprim17ROCPRIM_400000_NS6detail17trampoline_kernelINS0_14default_configENS1_33run_length_encode_config_selectorImjNS0_4plusIjEEEEZZNS1_33reduce_by_key_impl_wrapped_configILNS1_25lookback_scan_determinismE0ES3_S7_PKmNS0_17constant_iteratorIjlEEPmPlSF_S6_NS0_8equal_toImEEEE10hipError_tPvRmT2_T3_mT4_T5_T6_T7_T8_P12ihipStream_tbENKUlT_T0_E_clISt17integral_constantIbLb1EESY_IbLb0EEEEDaSU_SV_EUlSU_E_NS1_11comp_targetILNS1_3genE5ELNS1_11target_archE942ELNS1_3gpuE9ELNS1_3repE0EEENS1_30default_config_static_selectorELNS0_4arch9wavefront6targetE1EEEvT1_.kd
    .uniform_work_group_size: 1
    .uses_dynamic_stack: false
    .vgpr_count:     0
    .vgpr_spill_count: 0
    .wavefront_size: 64
  - .agpr_count:     0
    .args:
      - .offset:         0
        .size:           128
        .value_kind:     by_value
    .group_segment_fixed_size: 20480
    .kernarg_segment_align: 8
    .kernarg_segment_size: 128
    .language:       OpenCL C
    .language_version:
      - 2
      - 0
    .max_flat_workgroup_size: 256
    .name:           _ZN7rocprim17ROCPRIM_400000_NS6detail17trampoline_kernelINS0_14default_configENS1_33run_length_encode_config_selectorImjNS0_4plusIjEEEEZZNS1_33reduce_by_key_impl_wrapped_configILNS1_25lookback_scan_determinismE0ES3_S7_PKmNS0_17constant_iteratorIjlEEPmPlSF_S6_NS0_8equal_toImEEEE10hipError_tPvRmT2_T3_mT4_T5_T6_T7_T8_P12ihipStream_tbENKUlT_T0_E_clISt17integral_constantIbLb1EESY_IbLb0EEEEDaSU_SV_EUlSU_E_NS1_11comp_targetILNS1_3genE4ELNS1_11target_archE910ELNS1_3gpuE8ELNS1_3repE0EEENS1_30default_config_static_selectorELNS0_4arch9wavefront6targetE1EEEvT1_
    .private_segment_fixed_size: 0
    .sgpr_count:     58
    .sgpr_spill_count: 0
    .symbol:         _ZN7rocprim17ROCPRIM_400000_NS6detail17trampoline_kernelINS0_14default_configENS1_33run_length_encode_config_selectorImjNS0_4plusIjEEEEZZNS1_33reduce_by_key_impl_wrapped_configILNS1_25lookback_scan_determinismE0ES3_S7_PKmNS0_17constant_iteratorIjlEEPmPlSF_S6_NS0_8equal_toImEEEE10hipError_tPvRmT2_T3_mT4_T5_T6_T7_T8_P12ihipStream_tbENKUlT_T0_E_clISt17integral_constantIbLb1EESY_IbLb0EEEEDaSU_SV_EUlSU_E_NS1_11comp_targetILNS1_3genE4ELNS1_11target_archE910ELNS1_3gpuE8ELNS1_3repE0EEENS1_30default_config_static_selectorELNS0_4arch9wavefront6targetE1EEEvT1_.kd
    .uniform_work_group_size: 1
    .uses_dynamic_stack: false
    .vgpr_count:     68
    .vgpr_spill_count: 0
    .wavefront_size: 64
  - .agpr_count:     0
    .args:
      - .offset:         0
        .size:           128
        .value_kind:     by_value
    .group_segment_fixed_size: 0
    .kernarg_segment_align: 8
    .kernarg_segment_size: 128
    .language:       OpenCL C
    .language_version:
      - 2
      - 0
    .max_flat_workgroup_size: 256
    .name:           _ZN7rocprim17ROCPRIM_400000_NS6detail17trampoline_kernelINS0_14default_configENS1_33run_length_encode_config_selectorImjNS0_4plusIjEEEEZZNS1_33reduce_by_key_impl_wrapped_configILNS1_25lookback_scan_determinismE0ES3_S7_PKmNS0_17constant_iteratorIjlEEPmPlSF_S6_NS0_8equal_toImEEEE10hipError_tPvRmT2_T3_mT4_T5_T6_T7_T8_P12ihipStream_tbENKUlT_T0_E_clISt17integral_constantIbLb1EESY_IbLb0EEEEDaSU_SV_EUlSU_E_NS1_11comp_targetILNS1_3genE3ELNS1_11target_archE908ELNS1_3gpuE7ELNS1_3repE0EEENS1_30default_config_static_selectorELNS0_4arch9wavefront6targetE1EEEvT1_
    .private_segment_fixed_size: 0
    .sgpr_count:     4
    .sgpr_spill_count: 0
    .symbol:         _ZN7rocprim17ROCPRIM_400000_NS6detail17trampoline_kernelINS0_14default_configENS1_33run_length_encode_config_selectorImjNS0_4plusIjEEEEZZNS1_33reduce_by_key_impl_wrapped_configILNS1_25lookback_scan_determinismE0ES3_S7_PKmNS0_17constant_iteratorIjlEEPmPlSF_S6_NS0_8equal_toImEEEE10hipError_tPvRmT2_T3_mT4_T5_T6_T7_T8_P12ihipStream_tbENKUlT_T0_E_clISt17integral_constantIbLb1EESY_IbLb0EEEEDaSU_SV_EUlSU_E_NS1_11comp_targetILNS1_3genE3ELNS1_11target_archE908ELNS1_3gpuE7ELNS1_3repE0EEENS1_30default_config_static_selectorELNS0_4arch9wavefront6targetE1EEEvT1_.kd
    .uniform_work_group_size: 1
    .uses_dynamic_stack: false
    .vgpr_count:     0
    .vgpr_spill_count: 0
    .wavefront_size: 64
  - .agpr_count:     0
    .args:
      - .offset:         0
        .size:           128
        .value_kind:     by_value
    .group_segment_fixed_size: 0
    .kernarg_segment_align: 8
    .kernarg_segment_size: 128
    .language:       OpenCL C
    .language_version:
      - 2
      - 0
    .max_flat_workgroup_size: 256
    .name:           _ZN7rocprim17ROCPRIM_400000_NS6detail17trampoline_kernelINS0_14default_configENS1_33run_length_encode_config_selectorImjNS0_4plusIjEEEEZZNS1_33reduce_by_key_impl_wrapped_configILNS1_25lookback_scan_determinismE0ES3_S7_PKmNS0_17constant_iteratorIjlEEPmPlSF_S6_NS0_8equal_toImEEEE10hipError_tPvRmT2_T3_mT4_T5_T6_T7_T8_P12ihipStream_tbENKUlT_T0_E_clISt17integral_constantIbLb1EESY_IbLb0EEEEDaSU_SV_EUlSU_E_NS1_11comp_targetILNS1_3genE2ELNS1_11target_archE906ELNS1_3gpuE6ELNS1_3repE0EEENS1_30default_config_static_selectorELNS0_4arch9wavefront6targetE1EEEvT1_
    .private_segment_fixed_size: 0
    .sgpr_count:     4
    .sgpr_spill_count: 0
    .symbol:         _ZN7rocprim17ROCPRIM_400000_NS6detail17trampoline_kernelINS0_14default_configENS1_33run_length_encode_config_selectorImjNS0_4plusIjEEEEZZNS1_33reduce_by_key_impl_wrapped_configILNS1_25lookback_scan_determinismE0ES3_S7_PKmNS0_17constant_iteratorIjlEEPmPlSF_S6_NS0_8equal_toImEEEE10hipError_tPvRmT2_T3_mT4_T5_T6_T7_T8_P12ihipStream_tbENKUlT_T0_E_clISt17integral_constantIbLb1EESY_IbLb0EEEEDaSU_SV_EUlSU_E_NS1_11comp_targetILNS1_3genE2ELNS1_11target_archE906ELNS1_3gpuE6ELNS1_3repE0EEENS1_30default_config_static_selectorELNS0_4arch9wavefront6targetE1EEEvT1_.kd
    .uniform_work_group_size: 1
    .uses_dynamic_stack: false
    .vgpr_count:     0
    .vgpr_spill_count: 0
    .wavefront_size: 64
  - .agpr_count:     0
    .args:
      - .offset:         0
        .size:           128
        .value_kind:     by_value
    .group_segment_fixed_size: 0
    .kernarg_segment_align: 8
    .kernarg_segment_size: 128
    .language:       OpenCL C
    .language_version:
      - 2
      - 0
    .max_flat_workgroup_size: 512
    .name:           _ZN7rocprim17ROCPRIM_400000_NS6detail17trampoline_kernelINS0_14default_configENS1_33run_length_encode_config_selectorImjNS0_4plusIjEEEEZZNS1_33reduce_by_key_impl_wrapped_configILNS1_25lookback_scan_determinismE0ES3_S7_PKmNS0_17constant_iteratorIjlEEPmPlSF_S6_NS0_8equal_toImEEEE10hipError_tPvRmT2_T3_mT4_T5_T6_T7_T8_P12ihipStream_tbENKUlT_T0_E_clISt17integral_constantIbLb1EESY_IbLb0EEEEDaSU_SV_EUlSU_E_NS1_11comp_targetILNS1_3genE10ELNS1_11target_archE1201ELNS1_3gpuE5ELNS1_3repE0EEENS1_30default_config_static_selectorELNS0_4arch9wavefront6targetE1EEEvT1_
    .private_segment_fixed_size: 0
    .sgpr_count:     4
    .sgpr_spill_count: 0
    .symbol:         _ZN7rocprim17ROCPRIM_400000_NS6detail17trampoline_kernelINS0_14default_configENS1_33run_length_encode_config_selectorImjNS0_4plusIjEEEEZZNS1_33reduce_by_key_impl_wrapped_configILNS1_25lookback_scan_determinismE0ES3_S7_PKmNS0_17constant_iteratorIjlEEPmPlSF_S6_NS0_8equal_toImEEEE10hipError_tPvRmT2_T3_mT4_T5_T6_T7_T8_P12ihipStream_tbENKUlT_T0_E_clISt17integral_constantIbLb1EESY_IbLb0EEEEDaSU_SV_EUlSU_E_NS1_11comp_targetILNS1_3genE10ELNS1_11target_archE1201ELNS1_3gpuE5ELNS1_3repE0EEENS1_30default_config_static_selectorELNS0_4arch9wavefront6targetE1EEEvT1_.kd
    .uniform_work_group_size: 1
    .uses_dynamic_stack: false
    .vgpr_count:     0
    .vgpr_spill_count: 0
    .wavefront_size: 64
  - .agpr_count:     0
    .args:
      - .offset:         0
        .size:           128
        .value_kind:     by_value
    .group_segment_fixed_size: 0
    .kernarg_segment_align: 8
    .kernarg_segment_size: 128
    .language:       OpenCL C
    .language_version:
      - 2
      - 0
    .max_flat_workgroup_size: 512
    .name:           _ZN7rocprim17ROCPRIM_400000_NS6detail17trampoline_kernelINS0_14default_configENS1_33run_length_encode_config_selectorImjNS0_4plusIjEEEEZZNS1_33reduce_by_key_impl_wrapped_configILNS1_25lookback_scan_determinismE0ES3_S7_PKmNS0_17constant_iteratorIjlEEPmPlSF_S6_NS0_8equal_toImEEEE10hipError_tPvRmT2_T3_mT4_T5_T6_T7_T8_P12ihipStream_tbENKUlT_T0_E_clISt17integral_constantIbLb1EESY_IbLb0EEEEDaSU_SV_EUlSU_E_NS1_11comp_targetILNS1_3genE10ELNS1_11target_archE1200ELNS1_3gpuE4ELNS1_3repE0EEENS1_30default_config_static_selectorELNS0_4arch9wavefront6targetE1EEEvT1_
    .private_segment_fixed_size: 0
    .sgpr_count:     4
    .sgpr_spill_count: 0
    .symbol:         _ZN7rocprim17ROCPRIM_400000_NS6detail17trampoline_kernelINS0_14default_configENS1_33run_length_encode_config_selectorImjNS0_4plusIjEEEEZZNS1_33reduce_by_key_impl_wrapped_configILNS1_25lookback_scan_determinismE0ES3_S7_PKmNS0_17constant_iteratorIjlEEPmPlSF_S6_NS0_8equal_toImEEEE10hipError_tPvRmT2_T3_mT4_T5_T6_T7_T8_P12ihipStream_tbENKUlT_T0_E_clISt17integral_constantIbLb1EESY_IbLb0EEEEDaSU_SV_EUlSU_E_NS1_11comp_targetILNS1_3genE10ELNS1_11target_archE1200ELNS1_3gpuE4ELNS1_3repE0EEENS1_30default_config_static_selectorELNS0_4arch9wavefront6targetE1EEEvT1_.kd
    .uniform_work_group_size: 1
    .uses_dynamic_stack: false
    .vgpr_count:     0
    .vgpr_spill_count: 0
    .wavefront_size: 64
  - .agpr_count:     0
    .args:
      - .offset:         0
        .size:           128
        .value_kind:     by_value
    .group_segment_fixed_size: 0
    .kernarg_segment_align: 8
    .kernarg_segment_size: 128
    .language:       OpenCL C
    .language_version:
      - 2
      - 0
    .max_flat_workgroup_size: 512
    .name:           _ZN7rocprim17ROCPRIM_400000_NS6detail17trampoline_kernelINS0_14default_configENS1_33run_length_encode_config_selectorImjNS0_4plusIjEEEEZZNS1_33reduce_by_key_impl_wrapped_configILNS1_25lookback_scan_determinismE0ES3_S7_PKmNS0_17constant_iteratorIjlEEPmPlSF_S6_NS0_8equal_toImEEEE10hipError_tPvRmT2_T3_mT4_T5_T6_T7_T8_P12ihipStream_tbENKUlT_T0_E_clISt17integral_constantIbLb1EESY_IbLb0EEEEDaSU_SV_EUlSU_E_NS1_11comp_targetILNS1_3genE9ELNS1_11target_archE1100ELNS1_3gpuE3ELNS1_3repE0EEENS1_30default_config_static_selectorELNS0_4arch9wavefront6targetE1EEEvT1_
    .private_segment_fixed_size: 0
    .sgpr_count:     4
    .sgpr_spill_count: 0
    .symbol:         _ZN7rocprim17ROCPRIM_400000_NS6detail17trampoline_kernelINS0_14default_configENS1_33run_length_encode_config_selectorImjNS0_4plusIjEEEEZZNS1_33reduce_by_key_impl_wrapped_configILNS1_25lookback_scan_determinismE0ES3_S7_PKmNS0_17constant_iteratorIjlEEPmPlSF_S6_NS0_8equal_toImEEEE10hipError_tPvRmT2_T3_mT4_T5_T6_T7_T8_P12ihipStream_tbENKUlT_T0_E_clISt17integral_constantIbLb1EESY_IbLb0EEEEDaSU_SV_EUlSU_E_NS1_11comp_targetILNS1_3genE9ELNS1_11target_archE1100ELNS1_3gpuE3ELNS1_3repE0EEENS1_30default_config_static_selectorELNS0_4arch9wavefront6targetE1EEEvT1_.kd
    .uniform_work_group_size: 1
    .uses_dynamic_stack: false
    .vgpr_count:     0
    .vgpr_spill_count: 0
    .wavefront_size: 64
  - .agpr_count:     0
    .args:
      - .offset:         0
        .size:           128
        .value_kind:     by_value
    .group_segment_fixed_size: 0
    .kernarg_segment_align: 8
    .kernarg_segment_size: 128
    .language:       OpenCL C
    .language_version:
      - 2
      - 0
    .max_flat_workgroup_size: 512
    .name:           _ZN7rocprim17ROCPRIM_400000_NS6detail17trampoline_kernelINS0_14default_configENS1_33run_length_encode_config_selectorImjNS0_4plusIjEEEEZZNS1_33reduce_by_key_impl_wrapped_configILNS1_25lookback_scan_determinismE0ES3_S7_PKmNS0_17constant_iteratorIjlEEPmPlSF_S6_NS0_8equal_toImEEEE10hipError_tPvRmT2_T3_mT4_T5_T6_T7_T8_P12ihipStream_tbENKUlT_T0_E_clISt17integral_constantIbLb1EESY_IbLb0EEEEDaSU_SV_EUlSU_E_NS1_11comp_targetILNS1_3genE8ELNS1_11target_archE1030ELNS1_3gpuE2ELNS1_3repE0EEENS1_30default_config_static_selectorELNS0_4arch9wavefront6targetE1EEEvT1_
    .private_segment_fixed_size: 0
    .sgpr_count:     4
    .sgpr_spill_count: 0
    .symbol:         _ZN7rocprim17ROCPRIM_400000_NS6detail17trampoline_kernelINS0_14default_configENS1_33run_length_encode_config_selectorImjNS0_4plusIjEEEEZZNS1_33reduce_by_key_impl_wrapped_configILNS1_25lookback_scan_determinismE0ES3_S7_PKmNS0_17constant_iteratorIjlEEPmPlSF_S6_NS0_8equal_toImEEEE10hipError_tPvRmT2_T3_mT4_T5_T6_T7_T8_P12ihipStream_tbENKUlT_T0_E_clISt17integral_constantIbLb1EESY_IbLb0EEEEDaSU_SV_EUlSU_E_NS1_11comp_targetILNS1_3genE8ELNS1_11target_archE1030ELNS1_3gpuE2ELNS1_3repE0EEENS1_30default_config_static_selectorELNS0_4arch9wavefront6targetE1EEEvT1_.kd
    .uniform_work_group_size: 1
    .uses_dynamic_stack: false
    .vgpr_count:     0
    .vgpr_spill_count: 0
    .wavefront_size: 64
  - .agpr_count:     0
    .args:
      - .offset:         0
        .size:           128
        .value_kind:     by_value
    .group_segment_fixed_size: 0
    .kernarg_segment_align: 8
    .kernarg_segment_size: 128
    .language:       OpenCL C
    .language_version:
      - 2
      - 0
    .max_flat_workgroup_size: 256
    .name:           _ZN7rocprim17ROCPRIM_400000_NS6detail17trampoline_kernelINS0_14default_configENS1_33run_length_encode_config_selectorImjNS0_4plusIjEEEEZZNS1_33reduce_by_key_impl_wrapped_configILNS1_25lookback_scan_determinismE0ES3_S7_PKmNS0_17constant_iteratorIjlEEPmPlSF_S6_NS0_8equal_toImEEEE10hipError_tPvRmT2_T3_mT4_T5_T6_T7_T8_P12ihipStream_tbENKUlT_T0_E_clISt17integral_constantIbLb0EESY_IbLb1EEEEDaSU_SV_EUlSU_E_NS1_11comp_targetILNS1_3genE0ELNS1_11target_archE4294967295ELNS1_3gpuE0ELNS1_3repE0EEENS1_30default_config_static_selectorELNS0_4arch9wavefront6targetE1EEEvT1_
    .private_segment_fixed_size: 0
    .sgpr_count:     4
    .sgpr_spill_count: 0
    .symbol:         _ZN7rocprim17ROCPRIM_400000_NS6detail17trampoline_kernelINS0_14default_configENS1_33run_length_encode_config_selectorImjNS0_4plusIjEEEEZZNS1_33reduce_by_key_impl_wrapped_configILNS1_25lookback_scan_determinismE0ES3_S7_PKmNS0_17constant_iteratorIjlEEPmPlSF_S6_NS0_8equal_toImEEEE10hipError_tPvRmT2_T3_mT4_T5_T6_T7_T8_P12ihipStream_tbENKUlT_T0_E_clISt17integral_constantIbLb0EESY_IbLb1EEEEDaSU_SV_EUlSU_E_NS1_11comp_targetILNS1_3genE0ELNS1_11target_archE4294967295ELNS1_3gpuE0ELNS1_3repE0EEENS1_30default_config_static_selectorELNS0_4arch9wavefront6targetE1EEEvT1_.kd
    .uniform_work_group_size: 1
    .uses_dynamic_stack: false
    .vgpr_count:     0
    .vgpr_spill_count: 0
    .wavefront_size: 64
  - .agpr_count:     0
    .args:
      - .offset:         0
        .size:           128
        .value_kind:     by_value
    .group_segment_fixed_size: 0
    .kernarg_segment_align: 8
    .kernarg_segment_size: 128
    .language:       OpenCL C
    .language_version:
      - 2
      - 0
    .max_flat_workgroup_size: 512
    .name:           _ZN7rocprim17ROCPRIM_400000_NS6detail17trampoline_kernelINS0_14default_configENS1_33run_length_encode_config_selectorImjNS0_4plusIjEEEEZZNS1_33reduce_by_key_impl_wrapped_configILNS1_25lookback_scan_determinismE0ES3_S7_PKmNS0_17constant_iteratorIjlEEPmPlSF_S6_NS0_8equal_toImEEEE10hipError_tPvRmT2_T3_mT4_T5_T6_T7_T8_P12ihipStream_tbENKUlT_T0_E_clISt17integral_constantIbLb0EESY_IbLb1EEEEDaSU_SV_EUlSU_E_NS1_11comp_targetILNS1_3genE5ELNS1_11target_archE942ELNS1_3gpuE9ELNS1_3repE0EEENS1_30default_config_static_selectorELNS0_4arch9wavefront6targetE1EEEvT1_
    .private_segment_fixed_size: 0
    .sgpr_count:     4
    .sgpr_spill_count: 0
    .symbol:         _ZN7rocprim17ROCPRIM_400000_NS6detail17trampoline_kernelINS0_14default_configENS1_33run_length_encode_config_selectorImjNS0_4plusIjEEEEZZNS1_33reduce_by_key_impl_wrapped_configILNS1_25lookback_scan_determinismE0ES3_S7_PKmNS0_17constant_iteratorIjlEEPmPlSF_S6_NS0_8equal_toImEEEE10hipError_tPvRmT2_T3_mT4_T5_T6_T7_T8_P12ihipStream_tbENKUlT_T0_E_clISt17integral_constantIbLb0EESY_IbLb1EEEEDaSU_SV_EUlSU_E_NS1_11comp_targetILNS1_3genE5ELNS1_11target_archE942ELNS1_3gpuE9ELNS1_3repE0EEENS1_30default_config_static_selectorELNS0_4arch9wavefront6targetE1EEEvT1_.kd
    .uniform_work_group_size: 1
    .uses_dynamic_stack: false
    .vgpr_count:     0
    .vgpr_spill_count: 0
    .wavefront_size: 64
  - .agpr_count:     0
    .args:
      - .offset:         0
        .size:           128
        .value_kind:     by_value
    .group_segment_fixed_size: 20480
    .kernarg_segment_align: 8
    .kernarg_segment_size: 128
    .language:       OpenCL C
    .language_version:
      - 2
      - 0
    .max_flat_workgroup_size: 256
    .name:           _ZN7rocprim17ROCPRIM_400000_NS6detail17trampoline_kernelINS0_14default_configENS1_33run_length_encode_config_selectorImjNS0_4plusIjEEEEZZNS1_33reduce_by_key_impl_wrapped_configILNS1_25lookback_scan_determinismE0ES3_S7_PKmNS0_17constant_iteratorIjlEEPmPlSF_S6_NS0_8equal_toImEEEE10hipError_tPvRmT2_T3_mT4_T5_T6_T7_T8_P12ihipStream_tbENKUlT_T0_E_clISt17integral_constantIbLb0EESY_IbLb1EEEEDaSU_SV_EUlSU_E_NS1_11comp_targetILNS1_3genE4ELNS1_11target_archE910ELNS1_3gpuE8ELNS1_3repE0EEENS1_30default_config_static_selectorELNS0_4arch9wavefront6targetE1EEEvT1_
    .private_segment_fixed_size: 0
    .sgpr_count:     60
    .sgpr_spill_count: 0
    .symbol:         _ZN7rocprim17ROCPRIM_400000_NS6detail17trampoline_kernelINS0_14default_configENS1_33run_length_encode_config_selectorImjNS0_4plusIjEEEEZZNS1_33reduce_by_key_impl_wrapped_configILNS1_25lookback_scan_determinismE0ES3_S7_PKmNS0_17constant_iteratorIjlEEPmPlSF_S6_NS0_8equal_toImEEEE10hipError_tPvRmT2_T3_mT4_T5_T6_T7_T8_P12ihipStream_tbENKUlT_T0_E_clISt17integral_constantIbLb0EESY_IbLb1EEEEDaSU_SV_EUlSU_E_NS1_11comp_targetILNS1_3genE4ELNS1_11target_archE910ELNS1_3gpuE8ELNS1_3repE0EEENS1_30default_config_static_selectorELNS0_4arch9wavefront6targetE1EEEvT1_.kd
    .uniform_work_group_size: 1
    .uses_dynamic_stack: false
    .vgpr_count:     68
    .vgpr_spill_count: 0
    .wavefront_size: 64
  - .agpr_count:     0
    .args:
      - .offset:         0
        .size:           128
        .value_kind:     by_value
    .group_segment_fixed_size: 0
    .kernarg_segment_align: 8
    .kernarg_segment_size: 128
    .language:       OpenCL C
    .language_version:
      - 2
      - 0
    .max_flat_workgroup_size: 256
    .name:           _ZN7rocprim17ROCPRIM_400000_NS6detail17trampoline_kernelINS0_14default_configENS1_33run_length_encode_config_selectorImjNS0_4plusIjEEEEZZNS1_33reduce_by_key_impl_wrapped_configILNS1_25lookback_scan_determinismE0ES3_S7_PKmNS0_17constant_iteratorIjlEEPmPlSF_S6_NS0_8equal_toImEEEE10hipError_tPvRmT2_T3_mT4_T5_T6_T7_T8_P12ihipStream_tbENKUlT_T0_E_clISt17integral_constantIbLb0EESY_IbLb1EEEEDaSU_SV_EUlSU_E_NS1_11comp_targetILNS1_3genE3ELNS1_11target_archE908ELNS1_3gpuE7ELNS1_3repE0EEENS1_30default_config_static_selectorELNS0_4arch9wavefront6targetE1EEEvT1_
    .private_segment_fixed_size: 0
    .sgpr_count:     4
    .sgpr_spill_count: 0
    .symbol:         _ZN7rocprim17ROCPRIM_400000_NS6detail17trampoline_kernelINS0_14default_configENS1_33run_length_encode_config_selectorImjNS0_4plusIjEEEEZZNS1_33reduce_by_key_impl_wrapped_configILNS1_25lookback_scan_determinismE0ES3_S7_PKmNS0_17constant_iteratorIjlEEPmPlSF_S6_NS0_8equal_toImEEEE10hipError_tPvRmT2_T3_mT4_T5_T6_T7_T8_P12ihipStream_tbENKUlT_T0_E_clISt17integral_constantIbLb0EESY_IbLb1EEEEDaSU_SV_EUlSU_E_NS1_11comp_targetILNS1_3genE3ELNS1_11target_archE908ELNS1_3gpuE7ELNS1_3repE0EEENS1_30default_config_static_selectorELNS0_4arch9wavefront6targetE1EEEvT1_.kd
    .uniform_work_group_size: 1
    .uses_dynamic_stack: false
    .vgpr_count:     0
    .vgpr_spill_count: 0
    .wavefront_size: 64
  - .agpr_count:     0
    .args:
      - .offset:         0
        .size:           128
        .value_kind:     by_value
    .group_segment_fixed_size: 0
    .kernarg_segment_align: 8
    .kernarg_segment_size: 128
    .language:       OpenCL C
    .language_version:
      - 2
      - 0
    .max_flat_workgroup_size: 256
    .name:           _ZN7rocprim17ROCPRIM_400000_NS6detail17trampoline_kernelINS0_14default_configENS1_33run_length_encode_config_selectorImjNS0_4plusIjEEEEZZNS1_33reduce_by_key_impl_wrapped_configILNS1_25lookback_scan_determinismE0ES3_S7_PKmNS0_17constant_iteratorIjlEEPmPlSF_S6_NS0_8equal_toImEEEE10hipError_tPvRmT2_T3_mT4_T5_T6_T7_T8_P12ihipStream_tbENKUlT_T0_E_clISt17integral_constantIbLb0EESY_IbLb1EEEEDaSU_SV_EUlSU_E_NS1_11comp_targetILNS1_3genE2ELNS1_11target_archE906ELNS1_3gpuE6ELNS1_3repE0EEENS1_30default_config_static_selectorELNS0_4arch9wavefront6targetE1EEEvT1_
    .private_segment_fixed_size: 0
    .sgpr_count:     4
    .sgpr_spill_count: 0
    .symbol:         _ZN7rocprim17ROCPRIM_400000_NS6detail17trampoline_kernelINS0_14default_configENS1_33run_length_encode_config_selectorImjNS0_4plusIjEEEEZZNS1_33reduce_by_key_impl_wrapped_configILNS1_25lookback_scan_determinismE0ES3_S7_PKmNS0_17constant_iteratorIjlEEPmPlSF_S6_NS0_8equal_toImEEEE10hipError_tPvRmT2_T3_mT4_T5_T6_T7_T8_P12ihipStream_tbENKUlT_T0_E_clISt17integral_constantIbLb0EESY_IbLb1EEEEDaSU_SV_EUlSU_E_NS1_11comp_targetILNS1_3genE2ELNS1_11target_archE906ELNS1_3gpuE6ELNS1_3repE0EEENS1_30default_config_static_selectorELNS0_4arch9wavefront6targetE1EEEvT1_.kd
    .uniform_work_group_size: 1
    .uses_dynamic_stack: false
    .vgpr_count:     0
    .vgpr_spill_count: 0
    .wavefront_size: 64
  - .agpr_count:     0
    .args:
      - .offset:         0
        .size:           128
        .value_kind:     by_value
    .group_segment_fixed_size: 0
    .kernarg_segment_align: 8
    .kernarg_segment_size: 128
    .language:       OpenCL C
    .language_version:
      - 2
      - 0
    .max_flat_workgroup_size: 512
    .name:           _ZN7rocprim17ROCPRIM_400000_NS6detail17trampoline_kernelINS0_14default_configENS1_33run_length_encode_config_selectorImjNS0_4plusIjEEEEZZNS1_33reduce_by_key_impl_wrapped_configILNS1_25lookback_scan_determinismE0ES3_S7_PKmNS0_17constant_iteratorIjlEEPmPlSF_S6_NS0_8equal_toImEEEE10hipError_tPvRmT2_T3_mT4_T5_T6_T7_T8_P12ihipStream_tbENKUlT_T0_E_clISt17integral_constantIbLb0EESY_IbLb1EEEEDaSU_SV_EUlSU_E_NS1_11comp_targetILNS1_3genE10ELNS1_11target_archE1201ELNS1_3gpuE5ELNS1_3repE0EEENS1_30default_config_static_selectorELNS0_4arch9wavefront6targetE1EEEvT1_
    .private_segment_fixed_size: 0
    .sgpr_count:     4
    .sgpr_spill_count: 0
    .symbol:         _ZN7rocprim17ROCPRIM_400000_NS6detail17trampoline_kernelINS0_14default_configENS1_33run_length_encode_config_selectorImjNS0_4plusIjEEEEZZNS1_33reduce_by_key_impl_wrapped_configILNS1_25lookback_scan_determinismE0ES3_S7_PKmNS0_17constant_iteratorIjlEEPmPlSF_S6_NS0_8equal_toImEEEE10hipError_tPvRmT2_T3_mT4_T5_T6_T7_T8_P12ihipStream_tbENKUlT_T0_E_clISt17integral_constantIbLb0EESY_IbLb1EEEEDaSU_SV_EUlSU_E_NS1_11comp_targetILNS1_3genE10ELNS1_11target_archE1201ELNS1_3gpuE5ELNS1_3repE0EEENS1_30default_config_static_selectorELNS0_4arch9wavefront6targetE1EEEvT1_.kd
    .uniform_work_group_size: 1
    .uses_dynamic_stack: false
    .vgpr_count:     0
    .vgpr_spill_count: 0
    .wavefront_size: 64
  - .agpr_count:     0
    .args:
      - .offset:         0
        .size:           128
        .value_kind:     by_value
    .group_segment_fixed_size: 0
    .kernarg_segment_align: 8
    .kernarg_segment_size: 128
    .language:       OpenCL C
    .language_version:
      - 2
      - 0
    .max_flat_workgroup_size: 512
    .name:           _ZN7rocprim17ROCPRIM_400000_NS6detail17trampoline_kernelINS0_14default_configENS1_33run_length_encode_config_selectorImjNS0_4plusIjEEEEZZNS1_33reduce_by_key_impl_wrapped_configILNS1_25lookback_scan_determinismE0ES3_S7_PKmNS0_17constant_iteratorIjlEEPmPlSF_S6_NS0_8equal_toImEEEE10hipError_tPvRmT2_T3_mT4_T5_T6_T7_T8_P12ihipStream_tbENKUlT_T0_E_clISt17integral_constantIbLb0EESY_IbLb1EEEEDaSU_SV_EUlSU_E_NS1_11comp_targetILNS1_3genE10ELNS1_11target_archE1200ELNS1_3gpuE4ELNS1_3repE0EEENS1_30default_config_static_selectorELNS0_4arch9wavefront6targetE1EEEvT1_
    .private_segment_fixed_size: 0
    .sgpr_count:     4
    .sgpr_spill_count: 0
    .symbol:         _ZN7rocprim17ROCPRIM_400000_NS6detail17trampoline_kernelINS0_14default_configENS1_33run_length_encode_config_selectorImjNS0_4plusIjEEEEZZNS1_33reduce_by_key_impl_wrapped_configILNS1_25lookback_scan_determinismE0ES3_S7_PKmNS0_17constant_iteratorIjlEEPmPlSF_S6_NS0_8equal_toImEEEE10hipError_tPvRmT2_T3_mT4_T5_T6_T7_T8_P12ihipStream_tbENKUlT_T0_E_clISt17integral_constantIbLb0EESY_IbLb1EEEEDaSU_SV_EUlSU_E_NS1_11comp_targetILNS1_3genE10ELNS1_11target_archE1200ELNS1_3gpuE4ELNS1_3repE0EEENS1_30default_config_static_selectorELNS0_4arch9wavefront6targetE1EEEvT1_.kd
    .uniform_work_group_size: 1
    .uses_dynamic_stack: false
    .vgpr_count:     0
    .vgpr_spill_count: 0
    .wavefront_size: 64
  - .agpr_count:     0
    .args:
      - .offset:         0
        .size:           128
        .value_kind:     by_value
    .group_segment_fixed_size: 0
    .kernarg_segment_align: 8
    .kernarg_segment_size: 128
    .language:       OpenCL C
    .language_version:
      - 2
      - 0
    .max_flat_workgroup_size: 512
    .name:           _ZN7rocprim17ROCPRIM_400000_NS6detail17trampoline_kernelINS0_14default_configENS1_33run_length_encode_config_selectorImjNS0_4plusIjEEEEZZNS1_33reduce_by_key_impl_wrapped_configILNS1_25lookback_scan_determinismE0ES3_S7_PKmNS0_17constant_iteratorIjlEEPmPlSF_S6_NS0_8equal_toImEEEE10hipError_tPvRmT2_T3_mT4_T5_T6_T7_T8_P12ihipStream_tbENKUlT_T0_E_clISt17integral_constantIbLb0EESY_IbLb1EEEEDaSU_SV_EUlSU_E_NS1_11comp_targetILNS1_3genE9ELNS1_11target_archE1100ELNS1_3gpuE3ELNS1_3repE0EEENS1_30default_config_static_selectorELNS0_4arch9wavefront6targetE1EEEvT1_
    .private_segment_fixed_size: 0
    .sgpr_count:     4
    .sgpr_spill_count: 0
    .symbol:         _ZN7rocprim17ROCPRIM_400000_NS6detail17trampoline_kernelINS0_14default_configENS1_33run_length_encode_config_selectorImjNS0_4plusIjEEEEZZNS1_33reduce_by_key_impl_wrapped_configILNS1_25lookback_scan_determinismE0ES3_S7_PKmNS0_17constant_iteratorIjlEEPmPlSF_S6_NS0_8equal_toImEEEE10hipError_tPvRmT2_T3_mT4_T5_T6_T7_T8_P12ihipStream_tbENKUlT_T0_E_clISt17integral_constantIbLb0EESY_IbLb1EEEEDaSU_SV_EUlSU_E_NS1_11comp_targetILNS1_3genE9ELNS1_11target_archE1100ELNS1_3gpuE3ELNS1_3repE0EEENS1_30default_config_static_selectorELNS0_4arch9wavefront6targetE1EEEvT1_.kd
    .uniform_work_group_size: 1
    .uses_dynamic_stack: false
    .vgpr_count:     0
    .vgpr_spill_count: 0
    .wavefront_size: 64
  - .agpr_count:     0
    .args:
      - .offset:         0
        .size:           128
        .value_kind:     by_value
    .group_segment_fixed_size: 0
    .kernarg_segment_align: 8
    .kernarg_segment_size: 128
    .language:       OpenCL C
    .language_version:
      - 2
      - 0
    .max_flat_workgroup_size: 512
    .name:           _ZN7rocprim17ROCPRIM_400000_NS6detail17trampoline_kernelINS0_14default_configENS1_33run_length_encode_config_selectorImjNS0_4plusIjEEEEZZNS1_33reduce_by_key_impl_wrapped_configILNS1_25lookback_scan_determinismE0ES3_S7_PKmNS0_17constant_iteratorIjlEEPmPlSF_S6_NS0_8equal_toImEEEE10hipError_tPvRmT2_T3_mT4_T5_T6_T7_T8_P12ihipStream_tbENKUlT_T0_E_clISt17integral_constantIbLb0EESY_IbLb1EEEEDaSU_SV_EUlSU_E_NS1_11comp_targetILNS1_3genE8ELNS1_11target_archE1030ELNS1_3gpuE2ELNS1_3repE0EEENS1_30default_config_static_selectorELNS0_4arch9wavefront6targetE1EEEvT1_
    .private_segment_fixed_size: 0
    .sgpr_count:     4
    .sgpr_spill_count: 0
    .symbol:         _ZN7rocprim17ROCPRIM_400000_NS6detail17trampoline_kernelINS0_14default_configENS1_33run_length_encode_config_selectorImjNS0_4plusIjEEEEZZNS1_33reduce_by_key_impl_wrapped_configILNS1_25lookback_scan_determinismE0ES3_S7_PKmNS0_17constant_iteratorIjlEEPmPlSF_S6_NS0_8equal_toImEEEE10hipError_tPvRmT2_T3_mT4_T5_T6_T7_T8_P12ihipStream_tbENKUlT_T0_E_clISt17integral_constantIbLb0EESY_IbLb1EEEEDaSU_SV_EUlSU_E_NS1_11comp_targetILNS1_3genE8ELNS1_11target_archE1030ELNS1_3gpuE2ELNS1_3repE0EEENS1_30default_config_static_selectorELNS0_4arch9wavefront6targetE1EEEvT1_.kd
    .uniform_work_group_size: 1
    .uses_dynamic_stack: false
    .vgpr_count:     0
    .vgpr_spill_count: 0
    .wavefront_size: 64
  - .agpr_count:     0
    .args:
      - .offset:         0
        .size:           8
        .value_kind:     by_value
      - .address_space:  global
        .offset:         8
        .size:           8
        .value_kind:     global_buffer
      - .address_space:  global
        .offset:         16
        .size:           8
        .value_kind:     global_buffer
      - .offset:         24
        .size:           4
        .value_kind:     hidden_block_count_x
      - .offset:         28
        .size:           4
        .value_kind:     hidden_block_count_y
      - .offset:         32
        .size:           4
        .value_kind:     hidden_block_count_z
      - .offset:         36
        .size:           2
        .value_kind:     hidden_group_size_x
      - .offset:         38
        .size:           2
        .value_kind:     hidden_group_size_y
      - .offset:         40
        .size:           2
        .value_kind:     hidden_group_size_z
      - .offset:         42
        .size:           2
        .value_kind:     hidden_remainder_x
      - .offset:         44
        .size:           2
        .value_kind:     hidden_remainder_y
      - .offset:         46
        .size:           2
        .value_kind:     hidden_remainder_z
      - .offset:         64
        .size:           8
        .value_kind:     hidden_global_offset_x
      - .offset:         72
        .size:           8
        .value_kind:     hidden_global_offset_y
      - .offset:         80
        .size:           8
        .value_kind:     hidden_global_offset_z
      - .offset:         88
        .size:           2
        .value_kind:     hidden_grid_dims
    .group_segment_fixed_size: 0
    .kernarg_segment_align: 8
    .kernarg_segment_size: 280
    .language:       OpenCL C
    .language_version:
      - 2
      - 0
    .max_flat_workgroup_size: 1024
    .name:           _ZN2at6native8internal12_GLOBAL__N_126adjacent_difference_kernelIPKtEEvlT_Pi
    .private_segment_fixed_size: 0
    .sgpr_count:     18
    .sgpr_spill_count: 0
    .symbol:         _ZN2at6native8internal12_GLOBAL__N_126adjacent_difference_kernelIPKtEEvlT_Pi.kd
    .uniform_work_group_size: 1
    .uses_dynamic_stack: false
    .vgpr_count:     14
    .vgpr_spill_count: 0
    .wavefront_size: 64
  - .agpr_count:     0
    .args:
      - .offset:         0
        .size:           112
        .value_kind:     by_value
    .group_segment_fixed_size: 0
    .kernarg_segment_align: 8
    .kernarg_segment_size: 112
    .language:       OpenCL C
    .language_version:
      - 2
      - 0
    .max_flat_workgroup_size: 256
    .name:           _ZN7rocprim17ROCPRIM_400000_NS6detail17trampoline_kernelINS0_14default_configENS1_25partition_config_selectorILNS1_17partition_subalgoE8EtNS0_10empty_typeEbEEZZNS1_14partition_implILS5_8ELb0ES3_jPKtPS6_PKS6_NS0_5tupleIJPtS6_EEENSE_IJSB_SB_EEENS0_18inequality_wrapperIN6hipcub16HIPCUB_304000_NS8EqualityEEEPlJS6_EEE10hipError_tPvRmT3_T4_T5_T6_T7_T9_mT8_P12ihipStream_tbDpT10_ENKUlT_T0_E_clISt17integral_constantIbLb0EES17_EEDaS12_S13_EUlS12_E_NS1_11comp_targetILNS1_3genE0ELNS1_11target_archE4294967295ELNS1_3gpuE0ELNS1_3repE0EEENS1_30default_config_static_selectorELNS0_4arch9wavefront6targetE1EEEvT1_
    .private_segment_fixed_size: 0
    .sgpr_count:     4
    .sgpr_spill_count: 0
    .symbol:         _ZN7rocprim17ROCPRIM_400000_NS6detail17trampoline_kernelINS0_14default_configENS1_25partition_config_selectorILNS1_17partition_subalgoE8EtNS0_10empty_typeEbEEZZNS1_14partition_implILS5_8ELb0ES3_jPKtPS6_PKS6_NS0_5tupleIJPtS6_EEENSE_IJSB_SB_EEENS0_18inequality_wrapperIN6hipcub16HIPCUB_304000_NS8EqualityEEEPlJS6_EEE10hipError_tPvRmT3_T4_T5_T6_T7_T9_mT8_P12ihipStream_tbDpT10_ENKUlT_T0_E_clISt17integral_constantIbLb0EES17_EEDaS12_S13_EUlS12_E_NS1_11comp_targetILNS1_3genE0ELNS1_11target_archE4294967295ELNS1_3gpuE0ELNS1_3repE0EEENS1_30default_config_static_selectorELNS0_4arch9wavefront6targetE1EEEvT1_.kd
    .uniform_work_group_size: 1
    .uses_dynamic_stack: false
    .vgpr_count:     0
    .vgpr_spill_count: 0
    .wavefront_size: 64
  - .agpr_count:     0
    .args:
      - .offset:         0
        .size:           112
        .value_kind:     by_value
    .group_segment_fixed_size: 0
    .kernarg_segment_align: 8
    .kernarg_segment_size: 112
    .language:       OpenCL C
    .language_version:
      - 2
      - 0
    .max_flat_workgroup_size: 512
    .name:           _ZN7rocprim17ROCPRIM_400000_NS6detail17trampoline_kernelINS0_14default_configENS1_25partition_config_selectorILNS1_17partition_subalgoE8EtNS0_10empty_typeEbEEZZNS1_14partition_implILS5_8ELb0ES3_jPKtPS6_PKS6_NS0_5tupleIJPtS6_EEENSE_IJSB_SB_EEENS0_18inequality_wrapperIN6hipcub16HIPCUB_304000_NS8EqualityEEEPlJS6_EEE10hipError_tPvRmT3_T4_T5_T6_T7_T9_mT8_P12ihipStream_tbDpT10_ENKUlT_T0_E_clISt17integral_constantIbLb0EES17_EEDaS12_S13_EUlS12_E_NS1_11comp_targetILNS1_3genE5ELNS1_11target_archE942ELNS1_3gpuE9ELNS1_3repE0EEENS1_30default_config_static_selectorELNS0_4arch9wavefront6targetE1EEEvT1_
    .private_segment_fixed_size: 0
    .sgpr_count:     4
    .sgpr_spill_count: 0
    .symbol:         _ZN7rocprim17ROCPRIM_400000_NS6detail17trampoline_kernelINS0_14default_configENS1_25partition_config_selectorILNS1_17partition_subalgoE8EtNS0_10empty_typeEbEEZZNS1_14partition_implILS5_8ELb0ES3_jPKtPS6_PKS6_NS0_5tupleIJPtS6_EEENSE_IJSB_SB_EEENS0_18inequality_wrapperIN6hipcub16HIPCUB_304000_NS8EqualityEEEPlJS6_EEE10hipError_tPvRmT3_T4_T5_T6_T7_T9_mT8_P12ihipStream_tbDpT10_ENKUlT_T0_E_clISt17integral_constantIbLb0EES17_EEDaS12_S13_EUlS12_E_NS1_11comp_targetILNS1_3genE5ELNS1_11target_archE942ELNS1_3gpuE9ELNS1_3repE0EEENS1_30default_config_static_selectorELNS0_4arch9wavefront6targetE1EEEvT1_.kd
    .uniform_work_group_size: 1
    .uses_dynamic_stack: false
    .vgpr_count:     0
    .vgpr_spill_count: 0
    .wavefront_size: 64
  - .agpr_count:     0
    .args:
      - .offset:         0
        .size:           112
        .value_kind:     by_value
    .group_segment_fixed_size: 11272
    .kernarg_segment_align: 8
    .kernarg_segment_size: 112
    .language:       OpenCL C
    .language_version:
      - 2
      - 0
    .max_flat_workgroup_size: 256
    .name:           _ZN7rocprim17ROCPRIM_400000_NS6detail17trampoline_kernelINS0_14default_configENS1_25partition_config_selectorILNS1_17partition_subalgoE8EtNS0_10empty_typeEbEEZZNS1_14partition_implILS5_8ELb0ES3_jPKtPS6_PKS6_NS0_5tupleIJPtS6_EEENSE_IJSB_SB_EEENS0_18inequality_wrapperIN6hipcub16HIPCUB_304000_NS8EqualityEEEPlJS6_EEE10hipError_tPvRmT3_T4_T5_T6_T7_T9_mT8_P12ihipStream_tbDpT10_ENKUlT_T0_E_clISt17integral_constantIbLb0EES17_EEDaS12_S13_EUlS12_E_NS1_11comp_targetILNS1_3genE4ELNS1_11target_archE910ELNS1_3gpuE8ELNS1_3repE0EEENS1_30default_config_static_selectorELNS0_4arch9wavefront6targetE1EEEvT1_
    .private_segment_fixed_size: 0
    .sgpr_count:     66
    .sgpr_spill_count: 0
    .symbol:         _ZN7rocprim17ROCPRIM_400000_NS6detail17trampoline_kernelINS0_14default_configENS1_25partition_config_selectorILNS1_17partition_subalgoE8EtNS0_10empty_typeEbEEZZNS1_14partition_implILS5_8ELb0ES3_jPKtPS6_PKS6_NS0_5tupleIJPtS6_EEENSE_IJSB_SB_EEENS0_18inequality_wrapperIN6hipcub16HIPCUB_304000_NS8EqualityEEEPlJS6_EEE10hipError_tPvRmT3_T4_T5_T6_T7_T9_mT8_P12ihipStream_tbDpT10_ENKUlT_T0_E_clISt17integral_constantIbLb0EES17_EEDaS12_S13_EUlS12_E_NS1_11comp_targetILNS1_3genE4ELNS1_11target_archE910ELNS1_3gpuE8ELNS1_3repE0EEENS1_30default_config_static_selectorELNS0_4arch9wavefront6targetE1EEEvT1_.kd
    .uniform_work_group_size: 1
    .uses_dynamic_stack: false
    .vgpr_count:     96
    .vgpr_spill_count: 0
    .wavefront_size: 64
  - .agpr_count:     0
    .args:
      - .offset:         0
        .size:           112
        .value_kind:     by_value
    .group_segment_fixed_size: 0
    .kernarg_segment_align: 8
    .kernarg_segment_size: 112
    .language:       OpenCL C
    .language_version:
      - 2
      - 0
    .max_flat_workgroup_size: 256
    .name:           _ZN7rocprim17ROCPRIM_400000_NS6detail17trampoline_kernelINS0_14default_configENS1_25partition_config_selectorILNS1_17partition_subalgoE8EtNS0_10empty_typeEbEEZZNS1_14partition_implILS5_8ELb0ES3_jPKtPS6_PKS6_NS0_5tupleIJPtS6_EEENSE_IJSB_SB_EEENS0_18inequality_wrapperIN6hipcub16HIPCUB_304000_NS8EqualityEEEPlJS6_EEE10hipError_tPvRmT3_T4_T5_T6_T7_T9_mT8_P12ihipStream_tbDpT10_ENKUlT_T0_E_clISt17integral_constantIbLb0EES17_EEDaS12_S13_EUlS12_E_NS1_11comp_targetILNS1_3genE3ELNS1_11target_archE908ELNS1_3gpuE7ELNS1_3repE0EEENS1_30default_config_static_selectorELNS0_4arch9wavefront6targetE1EEEvT1_
    .private_segment_fixed_size: 0
    .sgpr_count:     4
    .sgpr_spill_count: 0
    .symbol:         _ZN7rocprim17ROCPRIM_400000_NS6detail17trampoline_kernelINS0_14default_configENS1_25partition_config_selectorILNS1_17partition_subalgoE8EtNS0_10empty_typeEbEEZZNS1_14partition_implILS5_8ELb0ES3_jPKtPS6_PKS6_NS0_5tupleIJPtS6_EEENSE_IJSB_SB_EEENS0_18inequality_wrapperIN6hipcub16HIPCUB_304000_NS8EqualityEEEPlJS6_EEE10hipError_tPvRmT3_T4_T5_T6_T7_T9_mT8_P12ihipStream_tbDpT10_ENKUlT_T0_E_clISt17integral_constantIbLb0EES17_EEDaS12_S13_EUlS12_E_NS1_11comp_targetILNS1_3genE3ELNS1_11target_archE908ELNS1_3gpuE7ELNS1_3repE0EEENS1_30default_config_static_selectorELNS0_4arch9wavefront6targetE1EEEvT1_.kd
    .uniform_work_group_size: 1
    .uses_dynamic_stack: false
    .vgpr_count:     0
    .vgpr_spill_count: 0
    .wavefront_size: 64
  - .agpr_count:     0
    .args:
      - .offset:         0
        .size:           112
        .value_kind:     by_value
    .group_segment_fixed_size: 0
    .kernarg_segment_align: 8
    .kernarg_segment_size: 112
    .language:       OpenCL C
    .language_version:
      - 2
      - 0
    .max_flat_workgroup_size: 192
    .name:           _ZN7rocprim17ROCPRIM_400000_NS6detail17trampoline_kernelINS0_14default_configENS1_25partition_config_selectorILNS1_17partition_subalgoE8EtNS0_10empty_typeEbEEZZNS1_14partition_implILS5_8ELb0ES3_jPKtPS6_PKS6_NS0_5tupleIJPtS6_EEENSE_IJSB_SB_EEENS0_18inequality_wrapperIN6hipcub16HIPCUB_304000_NS8EqualityEEEPlJS6_EEE10hipError_tPvRmT3_T4_T5_T6_T7_T9_mT8_P12ihipStream_tbDpT10_ENKUlT_T0_E_clISt17integral_constantIbLb0EES17_EEDaS12_S13_EUlS12_E_NS1_11comp_targetILNS1_3genE2ELNS1_11target_archE906ELNS1_3gpuE6ELNS1_3repE0EEENS1_30default_config_static_selectorELNS0_4arch9wavefront6targetE1EEEvT1_
    .private_segment_fixed_size: 0
    .sgpr_count:     4
    .sgpr_spill_count: 0
    .symbol:         _ZN7rocprim17ROCPRIM_400000_NS6detail17trampoline_kernelINS0_14default_configENS1_25partition_config_selectorILNS1_17partition_subalgoE8EtNS0_10empty_typeEbEEZZNS1_14partition_implILS5_8ELb0ES3_jPKtPS6_PKS6_NS0_5tupleIJPtS6_EEENSE_IJSB_SB_EEENS0_18inequality_wrapperIN6hipcub16HIPCUB_304000_NS8EqualityEEEPlJS6_EEE10hipError_tPvRmT3_T4_T5_T6_T7_T9_mT8_P12ihipStream_tbDpT10_ENKUlT_T0_E_clISt17integral_constantIbLb0EES17_EEDaS12_S13_EUlS12_E_NS1_11comp_targetILNS1_3genE2ELNS1_11target_archE906ELNS1_3gpuE6ELNS1_3repE0EEENS1_30default_config_static_selectorELNS0_4arch9wavefront6targetE1EEEvT1_.kd
    .uniform_work_group_size: 1
    .uses_dynamic_stack: false
    .vgpr_count:     0
    .vgpr_spill_count: 0
    .wavefront_size: 64
  - .agpr_count:     0
    .args:
      - .offset:         0
        .size:           112
        .value_kind:     by_value
    .group_segment_fixed_size: 0
    .kernarg_segment_align: 8
    .kernarg_segment_size: 112
    .language:       OpenCL C
    .language_version:
      - 2
      - 0
    .max_flat_workgroup_size: 256
    .name:           _ZN7rocprim17ROCPRIM_400000_NS6detail17trampoline_kernelINS0_14default_configENS1_25partition_config_selectorILNS1_17partition_subalgoE8EtNS0_10empty_typeEbEEZZNS1_14partition_implILS5_8ELb0ES3_jPKtPS6_PKS6_NS0_5tupleIJPtS6_EEENSE_IJSB_SB_EEENS0_18inequality_wrapperIN6hipcub16HIPCUB_304000_NS8EqualityEEEPlJS6_EEE10hipError_tPvRmT3_T4_T5_T6_T7_T9_mT8_P12ihipStream_tbDpT10_ENKUlT_T0_E_clISt17integral_constantIbLb0EES17_EEDaS12_S13_EUlS12_E_NS1_11comp_targetILNS1_3genE10ELNS1_11target_archE1200ELNS1_3gpuE4ELNS1_3repE0EEENS1_30default_config_static_selectorELNS0_4arch9wavefront6targetE1EEEvT1_
    .private_segment_fixed_size: 0
    .sgpr_count:     4
    .sgpr_spill_count: 0
    .symbol:         _ZN7rocprim17ROCPRIM_400000_NS6detail17trampoline_kernelINS0_14default_configENS1_25partition_config_selectorILNS1_17partition_subalgoE8EtNS0_10empty_typeEbEEZZNS1_14partition_implILS5_8ELb0ES3_jPKtPS6_PKS6_NS0_5tupleIJPtS6_EEENSE_IJSB_SB_EEENS0_18inequality_wrapperIN6hipcub16HIPCUB_304000_NS8EqualityEEEPlJS6_EEE10hipError_tPvRmT3_T4_T5_T6_T7_T9_mT8_P12ihipStream_tbDpT10_ENKUlT_T0_E_clISt17integral_constantIbLb0EES17_EEDaS12_S13_EUlS12_E_NS1_11comp_targetILNS1_3genE10ELNS1_11target_archE1200ELNS1_3gpuE4ELNS1_3repE0EEENS1_30default_config_static_selectorELNS0_4arch9wavefront6targetE1EEEvT1_.kd
    .uniform_work_group_size: 1
    .uses_dynamic_stack: false
    .vgpr_count:     0
    .vgpr_spill_count: 0
    .wavefront_size: 64
  - .agpr_count:     0
    .args:
      - .offset:         0
        .size:           112
        .value_kind:     by_value
    .group_segment_fixed_size: 0
    .kernarg_segment_align: 8
    .kernarg_segment_size: 112
    .language:       OpenCL C
    .language_version:
      - 2
      - 0
    .max_flat_workgroup_size: 128
    .name:           _ZN7rocprim17ROCPRIM_400000_NS6detail17trampoline_kernelINS0_14default_configENS1_25partition_config_selectorILNS1_17partition_subalgoE8EtNS0_10empty_typeEbEEZZNS1_14partition_implILS5_8ELb0ES3_jPKtPS6_PKS6_NS0_5tupleIJPtS6_EEENSE_IJSB_SB_EEENS0_18inequality_wrapperIN6hipcub16HIPCUB_304000_NS8EqualityEEEPlJS6_EEE10hipError_tPvRmT3_T4_T5_T6_T7_T9_mT8_P12ihipStream_tbDpT10_ENKUlT_T0_E_clISt17integral_constantIbLb0EES17_EEDaS12_S13_EUlS12_E_NS1_11comp_targetILNS1_3genE9ELNS1_11target_archE1100ELNS1_3gpuE3ELNS1_3repE0EEENS1_30default_config_static_selectorELNS0_4arch9wavefront6targetE1EEEvT1_
    .private_segment_fixed_size: 0
    .sgpr_count:     4
    .sgpr_spill_count: 0
    .symbol:         _ZN7rocprim17ROCPRIM_400000_NS6detail17trampoline_kernelINS0_14default_configENS1_25partition_config_selectorILNS1_17partition_subalgoE8EtNS0_10empty_typeEbEEZZNS1_14partition_implILS5_8ELb0ES3_jPKtPS6_PKS6_NS0_5tupleIJPtS6_EEENSE_IJSB_SB_EEENS0_18inequality_wrapperIN6hipcub16HIPCUB_304000_NS8EqualityEEEPlJS6_EEE10hipError_tPvRmT3_T4_T5_T6_T7_T9_mT8_P12ihipStream_tbDpT10_ENKUlT_T0_E_clISt17integral_constantIbLb0EES17_EEDaS12_S13_EUlS12_E_NS1_11comp_targetILNS1_3genE9ELNS1_11target_archE1100ELNS1_3gpuE3ELNS1_3repE0EEENS1_30default_config_static_selectorELNS0_4arch9wavefront6targetE1EEEvT1_.kd
    .uniform_work_group_size: 1
    .uses_dynamic_stack: false
    .vgpr_count:     0
    .vgpr_spill_count: 0
    .wavefront_size: 64
  - .agpr_count:     0
    .args:
      - .offset:         0
        .size:           112
        .value_kind:     by_value
    .group_segment_fixed_size: 0
    .kernarg_segment_align: 8
    .kernarg_segment_size: 112
    .language:       OpenCL C
    .language_version:
      - 2
      - 0
    .max_flat_workgroup_size: 384
    .name:           _ZN7rocprim17ROCPRIM_400000_NS6detail17trampoline_kernelINS0_14default_configENS1_25partition_config_selectorILNS1_17partition_subalgoE8EtNS0_10empty_typeEbEEZZNS1_14partition_implILS5_8ELb0ES3_jPKtPS6_PKS6_NS0_5tupleIJPtS6_EEENSE_IJSB_SB_EEENS0_18inequality_wrapperIN6hipcub16HIPCUB_304000_NS8EqualityEEEPlJS6_EEE10hipError_tPvRmT3_T4_T5_T6_T7_T9_mT8_P12ihipStream_tbDpT10_ENKUlT_T0_E_clISt17integral_constantIbLb0EES17_EEDaS12_S13_EUlS12_E_NS1_11comp_targetILNS1_3genE8ELNS1_11target_archE1030ELNS1_3gpuE2ELNS1_3repE0EEENS1_30default_config_static_selectorELNS0_4arch9wavefront6targetE1EEEvT1_
    .private_segment_fixed_size: 0
    .sgpr_count:     4
    .sgpr_spill_count: 0
    .symbol:         _ZN7rocprim17ROCPRIM_400000_NS6detail17trampoline_kernelINS0_14default_configENS1_25partition_config_selectorILNS1_17partition_subalgoE8EtNS0_10empty_typeEbEEZZNS1_14partition_implILS5_8ELb0ES3_jPKtPS6_PKS6_NS0_5tupleIJPtS6_EEENSE_IJSB_SB_EEENS0_18inequality_wrapperIN6hipcub16HIPCUB_304000_NS8EqualityEEEPlJS6_EEE10hipError_tPvRmT3_T4_T5_T6_T7_T9_mT8_P12ihipStream_tbDpT10_ENKUlT_T0_E_clISt17integral_constantIbLb0EES17_EEDaS12_S13_EUlS12_E_NS1_11comp_targetILNS1_3genE8ELNS1_11target_archE1030ELNS1_3gpuE2ELNS1_3repE0EEENS1_30default_config_static_selectorELNS0_4arch9wavefront6targetE1EEEvT1_.kd
    .uniform_work_group_size: 1
    .uses_dynamic_stack: false
    .vgpr_count:     0
    .vgpr_spill_count: 0
    .wavefront_size: 64
  - .agpr_count:     0
    .args:
      - .offset:         0
        .size:           128
        .value_kind:     by_value
    .group_segment_fixed_size: 0
    .kernarg_segment_align: 8
    .kernarg_segment_size: 128
    .language:       OpenCL C
    .language_version:
      - 2
      - 0
    .max_flat_workgroup_size: 256
    .name:           _ZN7rocprim17ROCPRIM_400000_NS6detail17trampoline_kernelINS0_14default_configENS1_25partition_config_selectorILNS1_17partition_subalgoE8EtNS0_10empty_typeEbEEZZNS1_14partition_implILS5_8ELb0ES3_jPKtPS6_PKS6_NS0_5tupleIJPtS6_EEENSE_IJSB_SB_EEENS0_18inequality_wrapperIN6hipcub16HIPCUB_304000_NS8EqualityEEEPlJS6_EEE10hipError_tPvRmT3_T4_T5_T6_T7_T9_mT8_P12ihipStream_tbDpT10_ENKUlT_T0_E_clISt17integral_constantIbLb1EES17_EEDaS12_S13_EUlS12_E_NS1_11comp_targetILNS1_3genE0ELNS1_11target_archE4294967295ELNS1_3gpuE0ELNS1_3repE0EEENS1_30default_config_static_selectorELNS0_4arch9wavefront6targetE1EEEvT1_
    .private_segment_fixed_size: 0
    .sgpr_count:     4
    .sgpr_spill_count: 0
    .symbol:         _ZN7rocprim17ROCPRIM_400000_NS6detail17trampoline_kernelINS0_14default_configENS1_25partition_config_selectorILNS1_17partition_subalgoE8EtNS0_10empty_typeEbEEZZNS1_14partition_implILS5_8ELb0ES3_jPKtPS6_PKS6_NS0_5tupleIJPtS6_EEENSE_IJSB_SB_EEENS0_18inequality_wrapperIN6hipcub16HIPCUB_304000_NS8EqualityEEEPlJS6_EEE10hipError_tPvRmT3_T4_T5_T6_T7_T9_mT8_P12ihipStream_tbDpT10_ENKUlT_T0_E_clISt17integral_constantIbLb1EES17_EEDaS12_S13_EUlS12_E_NS1_11comp_targetILNS1_3genE0ELNS1_11target_archE4294967295ELNS1_3gpuE0ELNS1_3repE0EEENS1_30default_config_static_selectorELNS0_4arch9wavefront6targetE1EEEvT1_.kd
    .uniform_work_group_size: 1
    .uses_dynamic_stack: false
    .vgpr_count:     0
    .vgpr_spill_count: 0
    .wavefront_size: 64
  - .agpr_count:     0
    .args:
      - .offset:         0
        .size:           128
        .value_kind:     by_value
    .group_segment_fixed_size: 0
    .kernarg_segment_align: 8
    .kernarg_segment_size: 128
    .language:       OpenCL C
    .language_version:
      - 2
      - 0
    .max_flat_workgroup_size: 512
    .name:           _ZN7rocprim17ROCPRIM_400000_NS6detail17trampoline_kernelINS0_14default_configENS1_25partition_config_selectorILNS1_17partition_subalgoE8EtNS0_10empty_typeEbEEZZNS1_14partition_implILS5_8ELb0ES3_jPKtPS6_PKS6_NS0_5tupleIJPtS6_EEENSE_IJSB_SB_EEENS0_18inequality_wrapperIN6hipcub16HIPCUB_304000_NS8EqualityEEEPlJS6_EEE10hipError_tPvRmT3_T4_T5_T6_T7_T9_mT8_P12ihipStream_tbDpT10_ENKUlT_T0_E_clISt17integral_constantIbLb1EES17_EEDaS12_S13_EUlS12_E_NS1_11comp_targetILNS1_3genE5ELNS1_11target_archE942ELNS1_3gpuE9ELNS1_3repE0EEENS1_30default_config_static_selectorELNS0_4arch9wavefront6targetE1EEEvT1_
    .private_segment_fixed_size: 0
    .sgpr_count:     4
    .sgpr_spill_count: 0
    .symbol:         _ZN7rocprim17ROCPRIM_400000_NS6detail17trampoline_kernelINS0_14default_configENS1_25partition_config_selectorILNS1_17partition_subalgoE8EtNS0_10empty_typeEbEEZZNS1_14partition_implILS5_8ELb0ES3_jPKtPS6_PKS6_NS0_5tupleIJPtS6_EEENSE_IJSB_SB_EEENS0_18inequality_wrapperIN6hipcub16HIPCUB_304000_NS8EqualityEEEPlJS6_EEE10hipError_tPvRmT3_T4_T5_T6_T7_T9_mT8_P12ihipStream_tbDpT10_ENKUlT_T0_E_clISt17integral_constantIbLb1EES17_EEDaS12_S13_EUlS12_E_NS1_11comp_targetILNS1_3genE5ELNS1_11target_archE942ELNS1_3gpuE9ELNS1_3repE0EEENS1_30default_config_static_selectorELNS0_4arch9wavefront6targetE1EEEvT1_.kd
    .uniform_work_group_size: 1
    .uses_dynamic_stack: false
    .vgpr_count:     0
    .vgpr_spill_count: 0
    .wavefront_size: 64
  - .agpr_count:     0
    .args:
      - .offset:         0
        .size:           128
        .value_kind:     by_value
    .group_segment_fixed_size: 11272
    .kernarg_segment_align: 8
    .kernarg_segment_size: 128
    .language:       OpenCL C
    .language_version:
      - 2
      - 0
    .max_flat_workgroup_size: 256
    .name:           _ZN7rocprim17ROCPRIM_400000_NS6detail17trampoline_kernelINS0_14default_configENS1_25partition_config_selectorILNS1_17partition_subalgoE8EtNS0_10empty_typeEbEEZZNS1_14partition_implILS5_8ELb0ES3_jPKtPS6_PKS6_NS0_5tupleIJPtS6_EEENSE_IJSB_SB_EEENS0_18inequality_wrapperIN6hipcub16HIPCUB_304000_NS8EqualityEEEPlJS6_EEE10hipError_tPvRmT3_T4_T5_T6_T7_T9_mT8_P12ihipStream_tbDpT10_ENKUlT_T0_E_clISt17integral_constantIbLb1EES17_EEDaS12_S13_EUlS12_E_NS1_11comp_targetILNS1_3genE4ELNS1_11target_archE910ELNS1_3gpuE8ELNS1_3repE0EEENS1_30default_config_static_selectorELNS0_4arch9wavefront6targetE1EEEvT1_
    .private_segment_fixed_size: 0
    .sgpr_count:     69
    .sgpr_spill_count: 0
    .symbol:         _ZN7rocprim17ROCPRIM_400000_NS6detail17trampoline_kernelINS0_14default_configENS1_25partition_config_selectorILNS1_17partition_subalgoE8EtNS0_10empty_typeEbEEZZNS1_14partition_implILS5_8ELb0ES3_jPKtPS6_PKS6_NS0_5tupleIJPtS6_EEENSE_IJSB_SB_EEENS0_18inequality_wrapperIN6hipcub16HIPCUB_304000_NS8EqualityEEEPlJS6_EEE10hipError_tPvRmT3_T4_T5_T6_T7_T9_mT8_P12ihipStream_tbDpT10_ENKUlT_T0_E_clISt17integral_constantIbLb1EES17_EEDaS12_S13_EUlS12_E_NS1_11comp_targetILNS1_3genE4ELNS1_11target_archE910ELNS1_3gpuE8ELNS1_3repE0EEENS1_30default_config_static_selectorELNS0_4arch9wavefront6targetE1EEEvT1_.kd
    .uniform_work_group_size: 1
    .uses_dynamic_stack: false
    .vgpr_count:     98
    .vgpr_spill_count: 0
    .wavefront_size: 64
  - .agpr_count:     0
    .args:
      - .offset:         0
        .size:           128
        .value_kind:     by_value
    .group_segment_fixed_size: 0
    .kernarg_segment_align: 8
    .kernarg_segment_size: 128
    .language:       OpenCL C
    .language_version:
      - 2
      - 0
    .max_flat_workgroup_size: 256
    .name:           _ZN7rocprim17ROCPRIM_400000_NS6detail17trampoline_kernelINS0_14default_configENS1_25partition_config_selectorILNS1_17partition_subalgoE8EtNS0_10empty_typeEbEEZZNS1_14partition_implILS5_8ELb0ES3_jPKtPS6_PKS6_NS0_5tupleIJPtS6_EEENSE_IJSB_SB_EEENS0_18inequality_wrapperIN6hipcub16HIPCUB_304000_NS8EqualityEEEPlJS6_EEE10hipError_tPvRmT3_T4_T5_T6_T7_T9_mT8_P12ihipStream_tbDpT10_ENKUlT_T0_E_clISt17integral_constantIbLb1EES17_EEDaS12_S13_EUlS12_E_NS1_11comp_targetILNS1_3genE3ELNS1_11target_archE908ELNS1_3gpuE7ELNS1_3repE0EEENS1_30default_config_static_selectorELNS0_4arch9wavefront6targetE1EEEvT1_
    .private_segment_fixed_size: 0
    .sgpr_count:     4
    .sgpr_spill_count: 0
    .symbol:         _ZN7rocprim17ROCPRIM_400000_NS6detail17trampoline_kernelINS0_14default_configENS1_25partition_config_selectorILNS1_17partition_subalgoE8EtNS0_10empty_typeEbEEZZNS1_14partition_implILS5_8ELb0ES3_jPKtPS6_PKS6_NS0_5tupleIJPtS6_EEENSE_IJSB_SB_EEENS0_18inequality_wrapperIN6hipcub16HIPCUB_304000_NS8EqualityEEEPlJS6_EEE10hipError_tPvRmT3_T4_T5_T6_T7_T9_mT8_P12ihipStream_tbDpT10_ENKUlT_T0_E_clISt17integral_constantIbLb1EES17_EEDaS12_S13_EUlS12_E_NS1_11comp_targetILNS1_3genE3ELNS1_11target_archE908ELNS1_3gpuE7ELNS1_3repE0EEENS1_30default_config_static_selectorELNS0_4arch9wavefront6targetE1EEEvT1_.kd
    .uniform_work_group_size: 1
    .uses_dynamic_stack: false
    .vgpr_count:     0
    .vgpr_spill_count: 0
    .wavefront_size: 64
  - .agpr_count:     0
    .args:
      - .offset:         0
        .size:           128
        .value_kind:     by_value
    .group_segment_fixed_size: 0
    .kernarg_segment_align: 8
    .kernarg_segment_size: 128
    .language:       OpenCL C
    .language_version:
      - 2
      - 0
    .max_flat_workgroup_size: 192
    .name:           _ZN7rocprim17ROCPRIM_400000_NS6detail17trampoline_kernelINS0_14default_configENS1_25partition_config_selectorILNS1_17partition_subalgoE8EtNS0_10empty_typeEbEEZZNS1_14partition_implILS5_8ELb0ES3_jPKtPS6_PKS6_NS0_5tupleIJPtS6_EEENSE_IJSB_SB_EEENS0_18inequality_wrapperIN6hipcub16HIPCUB_304000_NS8EqualityEEEPlJS6_EEE10hipError_tPvRmT3_T4_T5_T6_T7_T9_mT8_P12ihipStream_tbDpT10_ENKUlT_T0_E_clISt17integral_constantIbLb1EES17_EEDaS12_S13_EUlS12_E_NS1_11comp_targetILNS1_3genE2ELNS1_11target_archE906ELNS1_3gpuE6ELNS1_3repE0EEENS1_30default_config_static_selectorELNS0_4arch9wavefront6targetE1EEEvT1_
    .private_segment_fixed_size: 0
    .sgpr_count:     4
    .sgpr_spill_count: 0
    .symbol:         _ZN7rocprim17ROCPRIM_400000_NS6detail17trampoline_kernelINS0_14default_configENS1_25partition_config_selectorILNS1_17partition_subalgoE8EtNS0_10empty_typeEbEEZZNS1_14partition_implILS5_8ELb0ES3_jPKtPS6_PKS6_NS0_5tupleIJPtS6_EEENSE_IJSB_SB_EEENS0_18inequality_wrapperIN6hipcub16HIPCUB_304000_NS8EqualityEEEPlJS6_EEE10hipError_tPvRmT3_T4_T5_T6_T7_T9_mT8_P12ihipStream_tbDpT10_ENKUlT_T0_E_clISt17integral_constantIbLb1EES17_EEDaS12_S13_EUlS12_E_NS1_11comp_targetILNS1_3genE2ELNS1_11target_archE906ELNS1_3gpuE6ELNS1_3repE0EEENS1_30default_config_static_selectorELNS0_4arch9wavefront6targetE1EEEvT1_.kd
    .uniform_work_group_size: 1
    .uses_dynamic_stack: false
    .vgpr_count:     0
    .vgpr_spill_count: 0
    .wavefront_size: 64
  - .agpr_count:     0
    .args:
      - .offset:         0
        .size:           128
        .value_kind:     by_value
    .group_segment_fixed_size: 0
    .kernarg_segment_align: 8
    .kernarg_segment_size: 128
    .language:       OpenCL C
    .language_version:
      - 2
      - 0
    .max_flat_workgroup_size: 256
    .name:           _ZN7rocprim17ROCPRIM_400000_NS6detail17trampoline_kernelINS0_14default_configENS1_25partition_config_selectorILNS1_17partition_subalgoE8EtNS0_10empty_typeEbEEZZNS1_14partition_implILS5_8ELb0ES3_jPKtPS6_PKS6_NS0_5tupleIJPtS6_EEENSE_IJSB_SB_EEENS0_18inequality_wrapperIN6hipcub16HIPCUB_304000_NS8EqualityEEEPlJS6_EEE10hipError_tPvRmT3_T4_T5_T6_T7_T9_mT8_P12ihipStream_tbDpT10_ENKUlT_T0_E_clISt17integral_constantIbLb1EES17_EEDaS12_S13_EUlS12_E_NS1_11comp_targetILNS1_3genE10ELNS1_11target_archE1200ELNS1_3gpuE4ELNS1_3repE0EEENS1_30default_config_static_selectorELNS0_4arch9wavefront6targetE1EEEvT1_
    .private_segment_fixed_size: 0
    .sgpr_count:     4
    .sgpr_spill_count: 0
    .symbol:         _ZN7rocprim17ROCPRIM_400000_NS6detail17trampoline_kernelINS0_14default_configENS1_25partition_config_selectorILNS1_17partition_subalgoE8EtNS0_10empty_typeEbEEZZNS1_14partition_implILS5_8ELb0ES3_jPKtPS6_PKS6_NS0_5tupleIJPtS6_EEENSE_IJSB_SB_EEENS0_18inequality_wrapperIN6hipcub16HIPCUB_304000_NS8EqualityEEEPlJS6_EEE10hipError_tPvRmT3_T4_T5_T6_T7_T9_mT8_P12ihipStream_tbDpT10_ENKUlT_T0_E_clISt17integral_constantIbLb1EES17_EEDaS12_S13_EUlS12_E_NS1_11comp_targetILNS1_3genE10ELNS1_11target_archE1200ELNS1_3gpuE4ELNS1_3repE0EEENS1_30default_config_static_selectorELNS0_4arch9wavefront6targetE1EEEvT1_.kd
    .uniform_work_group_size: 1
    .uses_dynamic_stack: false
    .vgpr_count:     0
    .vgpr_spill_count: 0
    .wavefront_size: 64
  - .agpr_count:     0
    .args:
      - .offset:         0
        .size:           128
        .value_kind:     by_value
    .group_segment_fixed_size: 0
    .kernarg_segment_align: 8
    .kernarg_segment_size: 128
    .language:       OpenCL C
    .language_version:
      - 2
      - 0
    .max_flat_workgroup_size: 128
    .name:           _ZN7rocprim17ROCPRIM_400000_NS6detail17trampoline_kernelINS0_14default_configENS1_25partition_config_selectorILNS1_17partition_subalgoE8EtNS0_10empty_typeEbEEZZNS1_14partition_implILS5_8ELb0ES3_jPKtPS6_PKS6_NS0_5tupleIJPtS6_EEENSE_IJSB_SB_EEENS0_18inequality_wrapperIN6hipcub16HIPCUB_304000_NS8EqualityEEEPlJS6_EEE10hipError_tPvRmT3_T4_T5_T6_T7_T9_mT8_P12ihipStream_tbDpT10_ENKUlT_T0_E_clISt17integral_constantIbLb1EES17_EEDaS12_S13_EUlS12_E_NS1_11comp_targetILNS1_3genE9ELNS1_11target_archE1100ELNS1_3gpuE3ELNS1_3repE0EEENS1_30default_config_static_selectorELNS0_4arch9wavefront6targetE1EEEvT1_
    .private_segment_fixed_size: 0
    .sgpr_count:     4
    .sgpr_spill_count: 0
    .symbol:         _ZN7rocprim17ROCPRIM_400000_NS6detail17trampoline_kernelINS0_14default_configENS1_25partition_config_selectorILNS1_17partition_subalgoE8EtNS0_10empty_typeEbEEZZNS1_14partition_implILS5_8ELb0ES3_jPKtPS6_PKS6_NS0_5tupleIJPtS6_EEENSE_IJSB_SB_EEENS0_18inequality_wrapperIN6hipcub16HIPCUB_304000_NS8EqualityEEEPlJS6_EEE10hipError_tPvRmT3_T4_T5_T6_T7_T9_mT8_P12ihipStream_tbDpT10_ENKUlT_T0_E_clISt17integral_constantIbLb1EES17_EEDaS12_S13_EUlS12_E_NS1_11comp_targetILNS1_3genE9ELNS1_11target_archE1100ELNS1_3gpuE3ELNS1_3repE0EEENS1_30default_config_static_selectorELNS0_4arch9wavefront6targetE1EEEvT1_.kd
    .uniform_work_group_size: 1
    .uses_dynamic_stack: false
    .vgpr_count:     0
    .vgpr_spill_count: 0
    .wavefront_size: 64
  - .agpr_count:     0
    .args:
      - .offset:         0
        .size:           128
        .value_kind:     by_value
    .group_segment_fixed_size: 0
    .kernarg_segment_align: 8
    .kernarg_segment_size: 128
    .language:       OpenCL C
    .language_version:
      - 2
      - 0
    .max_flat_workgroup_size: 384
    .name:           _ZN7rocprim17ROCPRIM_400000_NS6detail17trampoline_kernelINS0_14default_configENS1_25partition_config_selectorILNS1_17partition_subalgoE8EtNS0_10empty_typeEbEEZZNS1_14partition_implILS5_8ELb0ES3_jPKtPS6_PKS6_NS0_5tupleIJPtS6_EEENSE_IJSB_SB_EEENS0_18inequality_wrapperIN6hipcub16HIPCUB_304000_NS8EqualityEEEPlJS6_EEE10hipError_tPvRmT3_T4_T5_T6_T7_T9_mT8_P12ihipStream_tbDpT10_ENKUlT_T0_E_clISt17integral_constantIbLb1EES17_EEDaS12_S13_EUlS12_E_NS1_11comp_targetILNS1_3genE8ELNS1_11target_archE1030ELNS1_3gpuE2ELNS1_3repE0EEENS1_30default_config_static_selectorELNS0_4arch9wavefront6targetE1EEEvT1_
    .private_segment_fixed_size: 0
    .sgpr_count:     4
    .sgpr_spill_count: 0
    .symbol:         _ZN7rocprim17ROCPRIM_400000_NS6detail17trampoline_kernelINS0_14default_configENS1_25partition_config_selectorILNS1_17partition_subalgoE8EtNS0_10empty_typeEbEEZZNS1_14partition_implILS5_8ELb0ES3_jPKtPS6_PKS6_NS0_5tupleIJPtS6_EEENSE_IJSB_SB_EEENS0_18inequality_wrapperIN6hipcub16HIPCUB_304000_NS8EqualityEEEPlJS6_EEE10hipError_tPvRmT3_T4_T5_T6_T7_T9_mT8_P12ihipStream_tbDpT10_ENKUlT_T0_E_clISt17integral_constantIbLb1EES17_EEDaS12_S13_EUlS12_E_NS1_11comp_targetILNS1_3genE8ELNS1_11target_archE1030ELNS1_3gpuE2ELNS1_3repE0EEENS1_30default_config_static_selectorELNS0_4arch9wavefront6targetE1EEEvT1_.kd
    .uniform_work_group_size: 1
    .uses_dynamic_stack: false
    .vgpr_count:     0
    .vgpr_spill_count: 0
    .wavefront_size: 64
  - .agpr_count:     0
    .args:
      - .offset:         0
        .size:           112
        .value_kind:     by_value
    .group_segment_fixed_size: 0
    .kernarg_segment_align: 8
    .kernarg_segment_size: 112
    .language:       OpenCL C
    .language_version:
      - 2
      - 0
    .max_flat_workgroup_size: 256
    .name:           _ZN7rocprim17ROCPRIM_400000_NS6detail17trampoline_kernelINS0_14default_configENS1_25partition_config_selectorILNS1_17partition_subalgoE8EtNS0_10empty_typeEbEEZZNS1_14partition_implILS5_8ELb0ES3_jPKtPS6_PKS6_NS0_5tupleIJPtS6_EEENSE_IJSB_SB_EEENS0_18inequality_wrapperIN6hipcub16HIPCUB_304000_NS8EqualityEEEPlJS6_EEE10hipError_tPvRmT3_T4_T5_T6_T7_T9_mT8_P12ihipStream_tbDpT10_ENKUlT_T0_E_clISt17integral_constantIbLb1EES16_IbLb0EEEEDaS12_S13_EUlS12_E_NS1_11comp_targetILNS1_3genE0ELNS1_11target_archE4294967295ELNS1_3gpuE0ELNS1_3repE0EEENS1_30default_config_static_selectorELNS0_4arch9wavefront6targetE1EEEvT1_
    .private_segment_fixed_size: 0
    .sgpr_count:     4
    .sgpr_spill_count: 0
    .symbol:         _ZN7rocprim17ROCPRIM_400000_NS6detail17trampoline_kernelINS0_14default_configENS1_25partition_config_selectorILNS1_17partition_subalgoE8EtNS0_10empty_typeEbEEZZNS1_14partition_implILS5_8ELb0ES3_jPKtPS6_PKS6_NS0_5tupleIJPtS6_EEENSE_IJSB_SB_EEENS0_18inequality_wrapperIN6hipcub16HIPCUB_304000_NS8EqualityEEEPlJS6_EEE10hipError_tPvRmT3_T4_T5_T6_T7_T9_mT8_P12ihipStream_tbDpT10_ENKUlT_T0_E_clISt17integral_constantIbLb1EES16_IbLb0EEEEDaS12_S13_EUlS12_E_NS1_11comp_targetILNS1_3genE0ELNS1_11target_archE4294967295ELNS1_3gpuE0ELNS1_3repE0EEENS1_30default_config_static_selectorELNS0_4arch9wavefront6targetE1EEEvT1_.kd
    .uniform_work_group_size: 1
    .uses_dynamic_stack: false
    .vgpr_count:     0
    .vgpr_spill_count: 0
    .wavefront_size: 64
  - .agpr_count:     0
    .args:
      - .offset:         0
        .size:           112
        .value_kind:     by_value
    .group_segment_fixed_size: 0
    .kernarg_segment_align: 8
    .kernarg_segment_size: 112
    .language:       OpenCL C
    .language_version:
      - 2
      - 0
    .max_flat_workgroup_size: 512
    .name:           _ZN7rocprim17ROCPRIM_400000_NS6detail17trampoline_kernelINS0_14default_configENS1_25partition_config_selectorILNS1_17partition_subalgoE8EtNS0_10empty_typeEbEEZZNS1_14partition_implILS5_8ELb0ES3_jPKtPS6_PKS6_NS0_5tupleIJPtS6_EEENSE_IJSB_SB_EEENS0_18inequality_wrapperIN6hipcub16HIPCUB_304000_NS8EqualityEEEPlJS6_EEE10hipError_tPvRmT3_T4_T5_T6_T7_T9_mT8_P12ihipStream_tbDpT10_ENKUlT_T0_E_clISt17integral_constantIbLb1EES16_IbLb0EEEEDaS12_S13_EUlS12_E_NS1_11comp_targetILNS1_3genE5ELNS1_11target_archE942ELNS1_3gpuE9ELNS1_3repE0EEENS1_30default_config_static_selectorELNS0_4arch9wavefront6targetE1EEEvT1_
    .private_segment_fixed_size: 0
    .sgpr_count:     4
    .sgpr_spill_count: 0
    .symbol:         _ZN7rocprim17ROCPRIM_400000_NS6detail17trampoline_kernelINS0_14default_configENS1_25partition_config_selectorILNS1_17partition_subalgoE8EtNS0_10empty_typeEbEEZZNS1_14partition_implILS5_8ELb0ES3_jPKtPS6_PKS6_NS0_5tupleIJPtS6_EEENSE_IJSB_SB_EEENS0_18inequality_wrapperIN6hipcub16HIPCUB_304000_NS8EqualityEEEPlJS6_EEE10hipError_tPvRmT3_T4_T5_T6_T7_T9_mT8_P12ihipStream_tbDpT10_ENKUlT_T0_E_clISt17integral_constantIbLb1EES16_IbLb0EEEEDaS12_S13_EUlS12_E_NS1_11comp_targetILNS1_3genE5ELNS1_11target_archE942ELNS1_3gpuE9ELNS1_3repE0EEENS1_30default_config_static_selectorELNS0_4arch9wavefront6targetE1EEEvT1_.kd
    .uniform_work_group_size: 1
    .uses_dynamic_stack: false
    .vgpr_count:     0
    .vgpr_spill_count: 0
    .wavefront_size: 64
  - .agpr_count:     0
    .args:
      - .offset:         0
        .size:           112
        .value_kind:     by_value
    .group_segment_fixed_size: 11272
    .kernarg_segment_align: 8
    .kernarg_segment_size: 112
    .language:       OpenCL C
    .language_version:
      - 2
      - 0
    .max_flat_workgroup_size: 256
    .name:           _ZN7rocprim17ROCPRIM_400000_NS6detail17trampoline_kernelINS0_14default_configENS1_25partition_config_selectorILNS1_17partition_subalgoE8EtNS0_10empty_typeEbEEZZNS1_14partition_implILS5_8ELb0ES3_jPKtPS6_PKS6_NS0_5tupleIJPtS6_EEENSE_IJSB_SB_EEENS0_18inequality_wrapperIN6hipcub16HIPCUB_304000_NS8EqualityEEEPlJS6_EEE10hipError_tPvRmT3_T4_T5_T6_T7_T9_mT8_P12ihipStream_tbDpT10_ENKUlT_T0_E_clISt17integral_constantIbLb1EES16_IbLb0EEEEDaS12_S13_EUlS12_E_NS1_11comp_targetILNS1_3genE4ELNS1_11target_archE910ELNS1_3gpuE8ELNS1_3repE0EEENS1_30default_config_static_selectorELNS0_4arch9wavefront6targetE1EEEvT1_
    .private_segment_fixed_size: 0
    .sgpr_count:     66
    .sgpr_spill_count: 0
    .symbol:         _ZN7rocprim17ROCPRIM_400000_NS6detail17trampoline_kernelINS0_14default_configENS1_25partition_config_selectorILNS1_17partition_subalgoE8EtNS0_10empty_typeEbEEZZNS1_14partition_implILS5_8ELb0ES3_jPKtPS6_PKS6_NS0_5tupleIJPtS6_EEENSE_IJSB_SB_EEENS0_18inequality_wrapperIN6hipcub16HIPCUB_304000_NS8EqualityEEEPlJS6_EEE10hipError_tPvRmT3_T4_T5_T6_T7_T9_mT8_P12ihipStream_tbDpT10_ENKUlT_T0_E_clISt17integral_constantIbLb1EES16_IbLb0EEEEDaS12_S13_EUlS12_E_NS1_11comp_targetILNS1_3genE4ELNS1_11target_archE910ELNS1_3gpuE8ELNS1_3repE0EEENS1_30default_config_static_selectorELNS0_4arch9wavefront6targetE1EEEvT1_.kd
    .uniform_work_group_size: 1
    .uses_dynamic_stack: false
    .vgpr_count:     96
    .vgpr_spill_count: 0
    .wavefront_size: 64
  - .agpr_count:     0
    .args:
      - .offset:         0
        .size:           112
        .value_kind:     by_value
    .group_segment_fixed_size: 0
    .kernarg_segment_align: 8
    .kernarg_segment_size: 112
    .language:       OpenCL C
    .language_version:
      - 2
      - 0
    .max_flat_workgroup_size: 256
    .name:           _ZN7rocprim17ROCPRIM_400000_NS6detail17trampoline_kernelINS0_14default_configENS1_25partition_config_selectorILNS1_17partition_subalgoE8EtNS0_10empty_typeEbEEZZNS1_14partition_implILS5_8ELb0ES3_jPKtPS6_PKS6_NS0_5tupleIJPtS6_EEENSE_IJSB_SB_EEENS0_18inequality_wrapperIN6hipcub16HIPCUB_304000_NS8EqualityEEEPlJS6_EEE10hipError_tPvRmT3_T4_T5_T6_T7_T9_mT8_P12ihipStream_tbDpT10_ENKUlT_T0_E_clISt17integral_constantIbLb1EES16_IbLb0EEEEDaS12_S13_EUlS12_E_NS1_11comp_targetILNS1_3genE3ELNS1_11target_archE908ELNS1_3gpuE7ELNS1_3repE0EEENS1_30default_config_static_selectorELNS0_4arch9wavefront6targetE1EEEvT1_
    .private_segment_fixed_size: 0
    .sgpr_count:     4
    .sgpr_spill_count: 0
    .symbol:         _ZN7rocprim17ROCPRIM_400000_NS6detail17trampoline_kernelINS0_14default_configENS1_25partition_config_selectorILNS1_17partition_subalgoE8EtNS0_10empty_typeEbEEZZNS1_14partition_implILS5_8ELb0ES3_jPKtPS6_PKS6_NS0_5tupleIJPtS6_EEENSE_IJSB_SB_EEENS0_18inequality_wrapperIN6hipcub16HIPCUB_304000_NS8EqualityEEEPlJS6_EEE10hipError_tPvRmT3_T4_T5_T6_T7_T9_mT8_P12ihipStream_tbDpT10_ENKUlT_T0_E_clISt17integral_constantIbLb1EES16_IbLb0EEEEDaS12_S13_EUlS12_E_NS1_11comp_targetILNS1_3genE3ELNS1_11target_archE908ELNS1_3gpuE7ELNS1_3repE0EEENS1_30default_config_static_selectorELNS0_4arch9wavefront6targetE1EEEvT1_.kd
    .uniform_work_group_size: 1
    .uses_dynamic_stack: false
    .vgpr_count:     0
    .vgpr_spill_count: 0
    .wavefront_size: 64
  - .agpr_count:     0
    .args:
      - .offset:         0
        .size:           112
        .value_kind:     by_value
    .group_segment_fixed_size: 0
    .kernarg_segment_align: 8
    .kernarg_segment_size: 112
    .language:       OpenCL C
    .language_version:
      - 2
      - 0
    .max_flat_workgroup_size: 192
    .name:           _ZN7rocprim17ROCPRIM_400000_NS6detail17trampoline_kernelINS0_14default_configENS1_25partition_config_selectorILNS1_17partition_subalgoE8EtNS0_10empty_typeEbEEZZNS1_14partition_implILS5_8ELb0ES3_jPKtPS6_PKS6_NS0_5tupleIJPtS6_EEENSE_IJSB_SB_EEENS0_18inequality_wrapperIN6hipcub16HIPCUB_304000_NS8EqualityEEEPlJS6_EEE10hipError_tPvRmT3_T4_T5_T6_T7_T9_mT8_P12ihipStream_tbDpT10_ENKUlT_T0_E_clISt17integral_constantIbLb1EES16_IbLb0EEEEDaS12_S13_EUlS12_E_NS1_11comp_targetILNS1_3genE2ELNS1_11target_archE906ELNS1_3gpuE6ELNS1_3repE0EEENS1_30default_config_static_selectorELNS0_4arch9wavefront6targetE1EEEvT1_
    .private_segment_fixed_size: 0
    .sgpr_count:     4
    .sgpr_spill_count: 0
    .symbol:         _ZN7rocprim17ROCPRIM_400000_NS6detail17trampoline_kernelINS0_14default_configENS1_25partition_config_selectorILNS1_17partition_subalgoE8EtNS0_10empty_typeEbEEZZNS1_14partition_implILS5_8ELb0ES3_jPKtPS6_PKS6_NS0_5tupleIJPtS6_EEENSE_IJSB_SB_EEENS0_18inequality_wrapperIN6hipcub16HIPCUB_304000_NS8EqualityEEEPlJS6_EEE10hipError_tPvRmT3_T4_T5_T6_T7_T9_mT8_P12ihipStream_tbDpT10_ENKUlT_T0_E_clISt17integral_constantIbLb1EES16_IbLb0EEEEDaS12_S13_EUlS12_E_NS1_11comp_targetILNS1_3genE2ELNS1_11target_archE906ELNS1_3gpuE6ELNS1_3repE0EEENS1_30default_config_static_selectorELNS0_4arch9wavefront6targetE1EEEvT1_.kd
    .uniform_work_group_size: 1
    .uses_dynamic_stack: false
    .vgpr_count:     0
    .vgpr_spill_count: 0
    .wavefront_size: 64
  - .agpr_count:     0
    .args:
      - .offset:         0
        .size:           112
        .value_kind:     by_value
    .group_segment_fixed_size: 0
    .kernarg_segment_align: 8
    .kernarg_segment_size: 112
    .language:       OpenCL C
    .language_version:
      - 2
      - 0
    .max_flat_workgroup_size: 256
    .name:           _ZN7rocprim17ROCPRIM_400000_NS6detail17trampoline_kernelINS0_14default_configENS1_25partition_config_selectorILNS1_17partition_subalgoE8EtNS0_10empty_typeEbEEZZNS1_14partition_implILS5_8ELb0ES3_jPKtPS6_PKS6_NS0_5tupleIJPtS6_EEENSE_IJSB_SB_EEENS0_18inequality_wrapperIN6hipcub16HIPCUB_304000_NS8EqualityEEEPlJS6_EEE10hipError_tPvRmT3_T4_T5_T6_T7_T9_mT8_P12ihipStream_tbDpT10_ENKUlT_T0_E_clISt17integral_constantIbLb1EES16_IbLb0EEEEDaS12_S13_EUlS12_E_NS1_11comp_targetILNS1_3genE10ELNS1_11target_archE1200ELNS1_3gpuE4ELNS1_3repE0EEENS1_30default_config_static_selectorELNS0_4arch9wavefront6targetE1EEEvT1_
    .private_segment_fixed_size: 0
    .sgpr_count:     4
    .sgpr_spill_count: 0
    .symbol:         _ZN7rocprim17ROCPRIM_400000_NS6detail17trampoline_kernelINS0_14default_configENS1_25partition_config_selectorILNS1_17partition_subalgoE8EtNS0_10empty_typeEbEEZZNS1_14partition_implILS5_8ELb0ES3_jPKtPS6_PKS6_NS0_5tupleIJPtS6_EEENSE_IJSB_SB_EEENS0_18inequality_wrapperIN6hipcub16HIPCUB_304000_NS8EqualityEEEPlJS6_EEE10hipError_tPvRmT3_T4_T5_T6_T7_T9_mT8_P12ihipStream_tbDpT10_ENKUlT_T0_E_clISt17integral_constantIbLb1EES16_IbLb0EEEEDaS12_S13_EUlS12_E_NS1_11comp_targetILNS1_3genE10ELNS1_11target_archE1200ELNS1_3gpuE4ELNS1_3repE0EEENS1_30default_config_static_selectorELNS0_4arch9wavefront6targetE1EEEvT1_.kd
    .uniform_work_group_size: 1
    .uses_dynamic_stack: false
    .vgpr_count:     0
    .vgpr_spill_count: 0
    .wavefront_size: 64
  - .agpr_count:     0
    .args:
      - .offset:         0
        .size:           112
        .value_kind:     by_value
    .group_segment_fixed_size: 0
    .kernarg_segment_align: 8
    .kernarg_segment_size: 112
    .language:       OpenCL C
    .language_version:
      - 2
      - 0
    .max_flat_workgroup_size: 128
    .name:           _ZN7rocprim17ROCPRIM_400000_NS6detail17trampoline_kernelINS0_14default_configENS1_25partition_config_selectorILNS1_17partition_subalgoE8EtNS0_10empty_typeEbEEZZNS1_14partition_implILS5_8ELb0ES3_jPKtPS6_PKS6_NS0_5tupleIJPtS6_EEENSE_IJSB_SB_EEENS0_18inequality_wrapperIN6hipcub16HIPCUB_304000_NS8EqualityEEEPlJS6_EEE10hipError_tPvRmT3_T4_T5_T6_T7_T9_mT8_P12ihipStream_tbDpT10_ENKUlT_T0_E_clISt17integral_constantIbLb1EES16_IbLb0EEEEDaS12_S13_EUlS12_E_NS1_11comp_targetILNS1_3genE9ELNS1_11target_archE1100ELNS1_3gpuE3ELNS1_3repE0EEENS1_30default_config_static_selectorELNS0_4arch9wavefront6targetE1EEEvT1_
    .private_segment_fixed_size: 0
    .sgpr_count:     4
    .sgpr_spill_count: 0
    .symbol:         _ZN7rocprim17ROCPRIM_400000_NS6detail17trampoline_kernelINS0_14default_configENS1_25partition_config_selectorILNS1_17partition_subalgoE8EtNS0_10empty_typeEbEEZZNS1_14partition_implILS5_8ELb0ES3_jPKtPS6_PKS6_NS0_5tupleIJPtS6_EEENSE_IJSB_SB_EEENS0_18inequality_wrapperIN6hipcub16HIPCUB_304000_NS8EqualityEEEPlJS6_EEE10hipError_tPvRmT3_T4_T5_T6_T7_T9_mT8_P12ihipStream_tbDpT10_ENKUlT_T0_E_clISt17integral_constantIbLb1EES16_IbLb0EEEEDaS12_S13_EUlS12_E_NS1_11comp_targetILNS1_3genE9ELNS1_11target_archE1100ELNS1_3gpuE3ELNS1_3repE0EEENS1_30default_config_static_selectorELNS0_4arch9wavefront6targetE1EEEvT1_.kd
    .uniform_work_group_size: 1
    .uses_dynamic_stack: false
    .vgpr_count:     0
    .vgpr_spill_count: 0
    .wavefront_size: 64
  - .agpr_count:     0
    .args:
      - .offset:         0
        .size:           112
        .value_kind:     by_value
    .group_segment_fixed_size: 0
    .kernarg_segment_align: 8
    .kernarg_segment_size: 112
    .language:       OpenCL C
    .language_version:
      - 2
      - 0
    .max_flat_workgroup_size: 384
    .name:           _ZN7rocprim17ROCPRIM_400000_NS6detail17trampoline_kernelINS0_14default_configENS1_25partition_config_selectorILNS1_17partition_subalgoE8EtNS0_10empty_typeEbEEZZNS1_14partition_implILS5_8ELb0ES3_jPKtPS6_PKS6_NS0_5tupleIJPtS6_EEENSE_IJSB_SB_EEENS0_18inequality_wrapperIN6hipcub16HIPCUB_304000_NS8EqualityEEEPlJS6_EEE10hipError_tPvRmT3_T4_T5_T6_T7_T9_mT8_P12ihipStream_tbDpT10_ENKUlT_T0_E_clISt17integral_constantIbLb1EES16_IbLb0EEEEDaS12_S13_EUlS12_E_NS1_11comp_targetILNS1_3genE8ELNS1_11target_archE1030ELNS1_3gpuE2ELNS1_3repE0EEENS1_30default_config_static_selectorELNS0_4arch9wavefront6targetE1EEEvT1_
    .private_segment_fixed_size: 0
    .sgpr_count:     4
    .sgpr_spill_count: 0
    .symbol:         _ZN7rocprim17ROCPRIM_400000_NS6detail17trampoline_kernelINS0_14default_configENS1_25partition_config_selectorILNS1_17partition_subalgoE8EtNS0_10empty_typeEbEEZZNS1_14partition_implILS5_8ELb0ES3_jPKtPS6_PKS6_NS0_5tupleIJPtS6_EEENSE_IJSB_SB_EEENS0_18inequality_wrapperIN6hipcub16HIPCUB_304000_NS8EqualityEEEPlJS6_EEE10hipError_tPvRmT3_T4_T5_T6_T7_T9_mT8_P12ihipStream_tbDpT10_ENKUlT_T0_E_clISt17integral_constantIbLb1EES16_IbLb0EEEEDaS12_S13_EUlS12_E_NS1_11comp_targetILNS1_3genE8ELNS1_11target_archE1030ELNS1_3gpuE2ELNS1_3repE0EEENS1_30default_config_static_selectorELNS0_4arch9wavefront6targetE1EEEvT1_.kd
    .uniform_work_group_size: 1
    .uses_dynamic_stack: false
    .vgpr_count:     0
    .vgpr_spill_count: 0
    .wavefront_size: 64
  - .agpr_count:     0
    .args:
      - .offset:         0
        .size:           128
        .value_kind:     by_value
    .group_segment_fixed_size: 0
    .kernarg_segment_align: 8
    .kernarg_segment_size: 128
    .language:       OpenCL C
    .language_version:
      - 2
      - 0
    .max_flat_workgroup_size: 256
    .name:           _ZN7rocprim17ROCPRIM_400000_NS6detail17trampoline_kernelINS0_14default_configENS1_25partition_config_selectorILNS1_17partition_subalgoE8EtNS0_10empty_typeEbEEZZNS1_14partition_implILS5_8ELb0ES3_jPKtPS6_PKS6_NS0_5tupleIJPtS6_EEENSE_IJSB_SB_EEENS0_18inequality_wrapperIN6hipcub16HIPCUB_304000_NS8EqualityEEEPlJS6_EEE10hipError_tPvRmT3_T4_T5_T6_T7_T9_mT8_P12ihipStream_tbDpT10_ENKUlT_T0_E_clISt17integral_constantIbLb0EES16_IbLb1EEEEDaS12_S13_EUlS12_E_NS1_11comp_targetILNS1_3genE0ELNS1_11target_archE4294967295ELNS1_3gpuE0ELNS1_3repE0EEENS1_30default_config_static_selectorELNS0_4arch9wavefront6targetE1EEEvT1_
    .private_segment_fixed_size: 0
    .sgpr_count:     4
    .sgpr_spill_count: 0
    .symbol:         _ZN7rocprim17ROCPRIM_400000_NS6detail17trampoline_kernelINS0_14default_configENS1_25partition_config_selectorILNS1_17partition_subalgoE8EtNS0_10empty_typeEbEEZZNS1_14partition_implILS5_8ELb0ES3_jPKtPS6_PKS6_NS0_5tupleIJPtS6_EEENSE_IJSB_SB_EEENS0_18inequality_wrapperIN6hipcub16HIPCUB_304000_NS8EqualityEEEPlJS6_EEE10hipError_tPvRmT3_T4_T5_T6_T7_T9_mT8_P12ihipStream_tbDpT10_ENKUlT_T0_E_clISt17integral_constantIbLb0EES16_IbLb1EEEEDaS12_S13_EUlS12_E_NS1_11comp_targetILNS1_3genE0ELNS1_11target_archE4294967295ELNS1_3gpuE0ELNS1_3repE0EEENS1_30default_config_static_selectorELNS0_4arch9wavefront6targetE1EEEvT1_.kd
    .uniform_work_group_size: 1
    .uses_dynamic_stack: false
    .vgpr_count:     0
    .vgpr_spill_count: 0
    .wavefront_size: 64
  - .agpr_count:     0
    .args:
      - .offset:         0
        .size:           128
        .value_kind:     by_value
    .group_segment_fixed_size: 0
    .kernarg_segment_align: 8
    .kernarg_segment_size: 128
    .language:       OpenCL C
    .language_version:
      - 2
      - 0
    .max_flat_workgroup_size: 512
    .name:           _ZN7rocprim17ROCPRIM_400000_NS6detail17trampoline_kernelINS0_14default_configENS1_25partition_config_selectorILNS1_17partition_subalgoE8EtNS0_10empty_typeEbEEZZNS1_14partition_implILS5_8ELb0ES3_jPKtPS6_PKS6_NS0_5tupleIJPtS6_EEENSE_IJSB_SB_EEENS0_18inequality_wrapperIN6hipcub16HIPCUB_304000_NS8EqualityEEEPlJS6_EEE10hipError_tPvRmT3_T4_T5_T6_T7_T9_mT8_P12ihipStream_tbDpT10_ENKUlT_T0_E_clISt17integral_constantIbLb0EES16_IbLb1EEEEDaS12_S13_EUlS12_E_NS1_11comp_targetILNS1_3genE5ELNS1_11target_archE942ELNS1_3gpuE9ELNS1_3repE0EEENS1_30default_config_static_selectorELNS0_4arch9wavefront6targetE1EEEvT1_
    .private_segment_fixed_size: 0
    .sgpr_count:     4
    .sgpr_spill_count: 0
    .symbol:         _ZN7rocprim17ROCPRIM_400000_NS6detail17trampoline_kernelINS0_14default_configENS1_25partition_config_selectorILNS1_17partition_subalgoE8EtNS0_10empty_typeEbEEZZNS1_14partition_implILS5_8ELb0ES3_jPKtPS6_PKS6_NS0_5tupleIJPtS6_EEENSE_IJSB_SB_EEENS0_18inequality_wrapperIN6hipcub16HIPCUB_304000_NS8EqualityEEEPlJS6_EEE10hipError_tPvRmT3_T4_T5_T6_T7_T9_mT8_P12ihipStream_tbDpT10_ENKUlT_T0_E_clISt17integral_constantIbLb0EES16_IbLb1EEEEDaS12_S13_EUlS12_E_NS1_11comp_targetILNS1_3genE5ELNS1_11target_archE942ELNS1_3gpuE9ELNS1_3repE0EEENS1_30default_config_static_selectorELNS0_4arch9wavefront6targetE1EEEvT1_.kd
    .uniform_work_group_size: 1
    .uses_dynamic_stack: false
    .vgpr_count:     0
    .vgpr_spill_count: 0
    .wavefront_size: 64
  - .agpr_count:     0
    .args:
      - .offset:         0
        .size:           128
        .value_kind:     by_value
    .group_segment_fixed_size: 11272
    .kernarg_segment_align: 8
    .kernarg_segment_size: 128
    .language:       OpenCL C
    .language_version:
      - 2
      - 0
    .max_flat_workgroup_size: 256
    .name:           _ZN7rocprim17ROCPRIM_400000_NS6detail17trampoline_kernelINS0_14default_configENS1_25partition_config_selectorILNS1_17partition_subalgoE8EtNS0_10empty_typeEbEEZZNS1_14partition_implILS5_8ELb0ES3_jPKtPS6_PKS6_NS0_5tupleIJPtS6_EEENSE_IJSB_SB_EEENS0_18inequality_wrapperIN6hipcub16HIPCUB_304000_NS8EqualityEEEPlJS6_EEE10hipError_tPvRmT3_T4_T5_T6_T7_T9_mT8_P12ihipStream_tbDpT10_ENKUlT_T0_E_clISt17integral_constantIbLb0EES16_IbLb1EEEEDaS12_S13_EUlS12_E_NS1_11comp_targetILNS1_3genE4ELNS1_11target_archE910ELNS1_3gpuE8ELNS1_3repE0EEENS1_30default_config_static_selectorELNS0_4arch9wavefront6targetE1EEEvT1_
    .private_segment_fixed_size: 0
    .sgpr_count:     69
    .sgpr_spill_count: 0
    .symbol:         _ZN7rocprim17ROCPRIM_400000_NS6detail17trampoline_kernelINS0_14default_configENS1_25partition_config_selectorILNS1_17partition_subalgoE8EtNS0_10empty_typeEbEEZZNS1_14partition_implILS5_8ELb0ES3_jPKtPS6_PKS6_NS0_5tupleIJPtS6_EEENSE_IJSB_SB_EEENS0_18inequality_wrapperIN6hipcub16HIPCUB_304000_NS8EqualityEEEPlJS6_EEE10hipError_tPvRmT3_T4_T5_T6_T7_T9_mT8_P12ihipStream_tbDpT10_ENKUlT_T0_E_clISt17integral_constantIbLb0EES16_IbLb1EEEEDaS12_S13_EUlS12_E_NS1_11comp_targetILNS1_3genE4ELNS1_11target_archE910ELNS1_3gpuE8ELNS1_3repE0EEENS1_30default_config_static_selectorELNS0_4arch9wavefront6targetE1EEEvT1_.kd
    .uniform_work_group_size: 1
    .uses_dynamic_stack: false
    .vgpr_count:     98
    .vgpr_spill_count: 0
    .wavefront_size: 64
  - .agpr_count:     0
    .args:
      - .offset:         0
        .size:           128
        .value_kind:     by_value
    .group_segment_fixed_size: 0
    .kernarg_segment_align: 8
    .kernarg_segment_size: 128
    .language:       OpenCL C
    .language_version:
      - 2
      - 0
    .max_flat_workgroup_size: 256
    .name:           _ZN7rocprim17ROCPRIM_400000_NS6detail17trampoline_kernelINS0_14default_configENS1_25partition_config_selectorILNS1_17partition_subalgoE8EtNS0_10empty_typeEbEEZZNS1_14partition_implILS5_8ELb0ES3_jPKtPS6_PKS6_NS0_5tupleIJPtS6_EEENSE_IJSB_SB_EEENS0_18inequality_wrapperIN6hipcub16HIPCUB_304000_NS8EqualityEEEPlJS6_EEE10hipError_tPvRmT3_T4_T5_T6_T7_T9_mT8_P12ihipStream_tbDpT10_ENKUlT_T0_E_clISt17integral_constantIbLb0EES16_IbLb1EEEEDaS12_S13_EUlS12_E_NS1_11comp_targetILNS1_3genE3ELNS1_11target_archE908ELNS1_3gpuE7ELNS1_3repE0EEENS1_30default_config_static_selectorELNS0_4arch9wavefront6targetE1EEEvT1_
    .private_segment_fixed_size: 0
    .sgpr_count:     4
    .sgpr_spill_count: 0
    .symbol:         _ZN7rocprim17ROCPRIM_400000_NS6detail17trampoline_kernelINS0_14default_configENS1_25partition_config_selectorILNS1_17partition_subalgoE8EtNS0_10empty_typeEbEEZZNS1_14partition_implILS5_8ELb0ES3_jPKtPS6_PKS6_NS0_5tupleIJPtS6_EEENSE_IJSB_SB_EEENS0_18inequality_wrapperIN6hipcub16HIPCUB_304000_NS8EqualityEEEPlJS6_EEE10hipError_tPvRmT3_T4_T5_T6_T7_T9_mT8_P12ihipStream_tbDpT10_ENKUlT_T0_E_clISt17integral_constantIbLb0EES16_IbLb1EEEEDaS12_S13_EUlS12_E_NS1_11comp_targetILNS1_3genE3ELNS1_11target_archE908ELNS1_3gpuE7ELNS1_3repE0EEENS1_30default_config_static_selectorELNS0_4arch9wavefront6targetE1EEEvT1_.kd
    .uniform_work_group_size: 1
    .uses_dynamic_stack: false
    .vgpr_count:     0
    .vgpr_spill_count: 0
    .wavefront_size: 64
  - .agpr_count:     0
    .args:
      - .offset:         0
        .size:           128
        .value_kind:     by_value
    .group_segment_fixed_size: 0
    .kernarg_segment_align: 8
    .kernarg_segment_size: 128
    .language:       OpenCL C
    .language_version:
      - 2
      - 0
    .max_flat_workgroup_size: 192
    .name:           _ZN7rocprim17ROCPRIM_400000_NS6detail17trampoline_kernelINS0_14default_configENS1_25partition_config_selectorILNS1_17partition_subalgoE8EtNS0_10empty_typeEbEEZZNS1_14partition_implILS5_8ELb0ES3_jPKtPS6_PKS6_NS0_5tupleIJPtS6_EEENSE_IJSB_SB_EEENS0_18inequality_wrapperIN6hipcub16HIPCUB_304000_NS8EqualityEEEPlJS6_EEE10hipError_tPvRmT3_T4_T5_T6_T7_T9_mT8_P12ihipStream_tbDpT10_ENKUlT_T0_E_clISt17integral_constantIbLb0EES16_IbLb1EEEEDaS12_S13_EUlS12_E_NS1_11comp_targetILNS1_3genE2ELNS1_11target_archE906ELNS1_3gpuE6ELNS1_3repE0EEENS1_30default_config_static_selectorELNS0_4arch9wavefront6targetE1EEEvT1_
    .private_segment_fixed_size: 0
    .sgpr_count:     4
    .sgpr_spill_count: 0
    .symbol:         _ZN7rocprim17ROCPRIM_400000_NS6detail17trampoline_kernelINS0_14default_configENS1_25partition_config_selectorILNS1_17partition_subalgoE8EtNS0_10empty_typeEbEEZZNS1_14partition_implILS5_8ELb0ES3_jPKtPS6_PKS6_NS0_5tupleIJPtS6_EEENSE_IJSB_SB_EEENS0_18inequality_wrapperIN6hipcub16HIPCUB_304000_NS8EqualityEEEPlJS6_EEE10hipError_tPvRmT3_T4_T5_T6_T7_T9_mT8_P12ihipStream_tbDpT10_ENKUlT_T0_E_clISt17integral_constantIbLb0EES16_IbLb1EEEEDaS12_S13_EUlS12_E_NS1_11comp_targetILNS1_3genE2ELNS1_11target_archE906ELNS1_3gpuE6ELNS1_3repE0EEENS1_30default_config_static_selectorELNS0_4arch9wavefront6targetE1EEEvT1_.kd
    .uniform_work_group_size: 1
    .uses_dynamic_stack: false
    .vgpr_count:     0
    .vgpr_spill_count: 0
    .wavefront_size: 64
  - .agpr_count:     0
    .args:
      - .offset:         0
        .size:           128
        .value_kind:     by_value
    .group_segment_fixed_size: 0
    .kernarg_segment_align: 8
    .kernarg_segment_size: 128
    .language:       OpenCL C
    .language_version:
      - 2
      - 0
    .max_flat_workgroup_size: 256
    .name:           _ZN7rocprim17ROCPRIM_400000_NS6detail17trampoline_kernelINS0_14default_configENS1_25partition_config_selectorILNS1_17partition_subalgoE8EtNS0_10empty_typeEbEEZZNS1_14partition_implILS5_8ELb0ES3_jPKtPS6_PKS6_NS0_5tupleIJPtS6_EEENSE_IJSB_SB_EEENS0_18inequality_wrapperIN6hipcub16HIPCUB_304000_NS8EqualityEEEPlJS6_EEE10hipError_tPvRmT3_T4_T5_T6_T7_T9_mT8_P12ihipStream_tbDpT10_ENKUlT_T0_E_clISt17integral_constantIbLb0EES16_IbLb1EEEEDaS12_S13_EUlS12_E_NS1_11comp_targetILNS1_3genE10ELNS1_11target_archE1200ELNS1_3gpuE4ELNS1_3repE0EEENS1_30default_config_static_selectorELNS0_4arch9wavefront6targetE1EEEvT1_
    .private_segment_fixed_size: 0
    .sgpr_count:     4
    .sgpr_spill_count: 0
    .symbol:         _ZN7rocprim17ROCPRIM_400000_NS6detail17trampoline_kernelINS0_14default_configENS1_25partition_config_selectorILNS1_17partition_subalgoE8EtNS0_10empty_typeEbEEZZNS1_14partition_implILS5_8ELb0ES3_jPKtPS6_PKS6_NS0_5tupleIJPtS6_EEENSE_IJSB_SB_EEENS0_18inequality_wrapperIN6hipcub16HIPCUB_304000_NS8EqualityEEEPlJS6_EEE10hipError_tPvRmT3_T4_T5_T6_T7_T9_mT8_P12ihipStream_tbDpT10_ENKUlT_T0_E_clISt17integral_constantIbLb0EES16_IbLb1EEEEDaS12_S13_EUlS12_E_NS1_11comp_targetILNS1_3genE10ELNS1_11target_archE1200ELNS1_3gpuE4ELNS1_3repE0EEENS1_30default_config_static_selectorELNS0_4arch9wavefront6targetE1EEEvT1_.kd
    .uniform_work_group_size: 1
    .uses_dynamic_stack: false
    .vgpr_count:     0
    .vgpr_spill_count: 0
    .wavefront_size: 64
  - .agpr_count:     0
    .args:
      - .offset:         0
        .size:           128
        .value_kind:     by_value
    .group_segment_fixed_size: 0
    .kernarg_segment_align: 8
    .kernarg_segment_size: 128
    .language:       OpenCL C
    .language_version:
      - 2
      - 0
    .max_flat_workgroup_size: 128
    .name:           _ZN7rocprim17ROCPRIM_400000_NS6detail17trampoline_kernelINS0_14default_configENS1_25partition_config_selectorILNS1_17partition_subalgoE8EtNS0_10empty_typeEbEEZZNS1_14partition_implILS5_8ELb0ES3_jPKtPS6_PKS6_NS0_5tupleIJPtS6_EEENSE_IJSB_SB_EEENS0_18inequality_wrapperIN6hipcub16HIPCUB_304000_NS8EqualityEEEPlJS6_EEE10hipError_tPvRmT3_T4_T5_T6_T7_T9_mT8_P12ihipStream_tbDpT10_ENKUlT_T0_E_clISt17integral_constantIbLb0EES16_IbLb1EEEEDaS12_S13_EUlS12_E_NS1_11comp_targetILNS1_3genE9ELNS1_11target_archE1100ELNS1_3gpuE3ELNS1_3repE0EEENS1_30default_config_static_selectorELNS0_4arch9wavefront6targetE1EEEvT1_
    .private_segment_fixed_size: 0
    .sgpr_count:     4
    .sgpr_spill_count: 0
    .symbol:         _ZN7rocprim17ROCPRIM_400000_NS6detail17trampoline_kernelINS0_14default_configENS1_25partition_config_selectorILNS1_17partition_subalgoE8EtNS0_10empty_typeEbEEZZNS1_14partition_implILS5_8ELb0ES3_jPKtPS6_PKS6_NS0_5tupleIJPtS6_EEENSE_IJSB_SB_EEENS0_18inequality_wrapperIN6hipcub16HIPCUB_304000_NS8EqualityEEEPlJS6_EEE10hipError_tPvRmT3_T4_T5_T6_T7_T9_mT8_P12ihipStream_tbDpT10_ENKUlT_T0_E_clISt17integral_constantIbLb0EES16_IbLb1EEEEDaS12_S13_EUlS12_E_NS1_11comp_targetILNS1_3genE9ELNS1_11target_archE1100ELNS1_3gpuE3ELNS1_3repE0EEENS1_30default_config_static_selectorELNS0_4arch9wavefront6targetE1EEEvT1_.kd
    .uniform_work_group_size: 1
    .uses_dynamic_stack: false
    .vgpr_count:     0
    .vgpr_spill_count: 0
    .wavefront_size: 64
  - .agpr_count:     0
    .args:
      - .offset:         0
        .size:           128
        .value_kind:     by_value
    .group_segment_fixed_size: 0
    .kernarg_segment_align: 8
    .kernarg_segment_size: 128
    .language:       OpenCL C
    .language_version:
      - 2
      - 0
    .max_flat_workgroup_size: 384
    .name:           _ZN7rocprim17ROCPRIM_400000_NS6detail17trampoline_kernelINS0_14default_configENS1_25partition_config_selectorILNS1_17partition_subalgoE8EtNS0_10empty_typeEbEEZZNS1_14partition_implILS5_8ELb0ES3_jPKtPS6_PKS6_NS0_5tupleIJPtS6_EEENSE_IJSB_SB_EEENS0_18inequality_wrapperIN6hipcub16HIPCUB_304000_NS8EqualityEEEPlJS6_EEE10hipError_tPvRmT3_T4_T5_T6_T7_T9_mT8_P12ihipStream_tbDpT10_ENKUlT_T0_E_clISt17integral_constantIbLb0EES16_IbLb1EEEEDaS12_S13_EUlS12_E_NS1_11comp_targetILNS1_3genE8ELNS1_11target_archE1030ELNS1_3gpuE2ELNS1_3repE0EEENS1_30default_config_static_selectorELNS0_4arch9wavefront6targetE1EEEvT1_
    .private_segment_fixed_size: 0
    .sgpr_count:     4
    .sgpr_spill_count: 0
    .symbol:         _ZN7rocprim17ROCPRIM_400000_NS6detail17trampoline_kernelINS0_14default_configENS1_25partition_config_selectorILNS1_17partition_subalgoE8EtNS0_10empty_typeEbEEZZNS1_14partition_implILS5_8ELb0ES3_jPKtPS6_PKS6_NS0_5tupleIJPtS6_EEENSE_IJSB_SB_EEENS0_18inequality_wrapperIN6hipcub16HIPCUB_304000_NS8EqualityEEEPlJS6_EEE10hipError_tPvRmT3_T4_T5_T6_T7_T9_mT8_P12ihipStream_tbDpT10_ENKUlT_T0_E_clISt17integral_constantIbLb0EES16_IbLb1EEEEDaS12_S13_EUlS12_E_NS1_11comp_targetILNS1_3genE8ELNS1_11target_archE1030ELNS1_3gpuE2ELNS1_3repE0EEENS1_30default_config_static_selectorELNS0_4arch9wavefront6targetE1EEEvT1_.kd
    .uniform_work_group_size: 1
    .uses_dynamic_stack: false
    .vgpr_count:     0
    .vgpr_spill_count: 0
    .wavefront_size: 64
  - .agpr_count:     0
    .args:
      - .offset:         0
        .size:           128
        .value_kind:     by_value
    .group_segment_fixed_size: 0
    .kernarg_segment_align: 8
    .kernarg_segment_size: 128
    .language:       OpenCL C
    .language_version:
      - 2
      - 0
    .max_flat_workgroup_size: 512
    .name:           _ZN7rocprim17ROCPRIM_400000_NS6detail17trampoline_kernelINS0_14default_configENS1_33run_length_encode_config_selectorItjNS0_4plusIjEEEEZZNS1_33reduce_by_key_impl_wrapped_configILNS1_25lookback_scan_determinismE0ES3_S7_PKtNS0_17constant_iteratorIjlEEPtPlSF_S6_NS0_8equal_toItEEEE10hipError_tPvRmT2_T3_mT4_T5_T6_T7_T8_P12ihipStream_tbENKUlT_T0_E_clISt17integral_constantIbLb0EESZ_EEDaSU_SV_EUlSU_E_NS1_11comp_targetILNS1_3genE0ELNS1_11target_archE4294967295ELNS1_3gpuE0ELNS1_3repE0EEENS1_30default_config_static_selectorELNS0_4arch9wavefront6targetE1EEEvT1_
    .private_segment_fixed_size: 0
    .sgpr_count:     4
    .sgpr_spill_count: 0
    .symbol:         _ZN7rocprim17ROCPRIM_400000_NS6detail17trampoline_kernelINS0_14default_configENS1_33run_length_encode_config_selectorItjNS0_4plusIjEEEEZZNS1_33reduce_by_key_impl_wrapped_configILNS1_25lookback_scan_determinismE0ES3_S7_PKtNS0_17constant_iteratorIjlEEPtPlSF_S6_NS0_8equal_toItEEEE10hipError_tPvRmT2_T3_mT4_T5_T6_T7_T8_P12ihipStream_tbENKUlT_T0_E_clISt17integral_constantIbLb0EESZ_EEDaSU_SV_EUlSU_E_NS1_11comp_targetILNS1_3genE0ELNS1_11target_archE4294967295ELNS1_3gpuE0ELNS1_3repE0EEENS1_30default_config_static_selectorELNS0_4arch9wavefront6targetE1EEEvT1_.kd
    .uniform_work_group_size: 1
    .uses_dynamic_stack: false
    .vgpr_count:     0
    .vgpr_spill_count: 0
    .wavefront_size: 64
  - .agpr_count:     0
    .args:
      - .offset:         0
        .size:           128
        .value_kind:     by_value
    .group_segment_fixed_size: 0
    .kernarg_segment_align: 8
    .kernarg_segment_size: 128
    .language:       OpenCL C
    .language_version:
      - 2
      - 0
    .max_flat_workgroup_size: 512
    .name:           _ZN7rocprim17ROCPRIM_400000_NS6detail17trampoline_kernelINS0_14default_configENS1_33run_length_encode_config_selectorItjNS0_4plusIjEEEEZZNS1_33reduce_by_key_impl_wrapped_configILNS1_25lookback_scan_determinismE0ES3_S7_PKtNS0_17constant_iteratorIjlEEPtPlSF_S6_NS0_8equal_toItEEEE10hipError_tPvRmT2_T3_mT4_T5_T6_T7_T8_P12ihipStream_tbENKUlT_T0_E_clISt17integral_constantIbLb0EESZ_EEDaSU_SV_EUlSU_E_NS1_11comp_targetILNS1_3genE5ELNS1_11target_archE942ELNS1_3gpuE9ELNS1_3repE0EEENS1_30default_config_static_selectorELNS0_4arch9wavefront6targetE1EEEvT1_
    .private_segment_fixed_size: 0
    .sgpr_count:     4
    .sgpr_spill_count: 0
    .symbol:         _ZN7rocprim17ROCPRIM_400000_NS6detail17trampoline_kernelINS0_14default_configENS1_33run_length_encode_config_selectorItjNS0_4plusIjEEEEZZNS1_33reduce_by_key_impl_wrapped_configILNS1_25lookback_scan_determinismE0ES3_S7_PKtNS0_17constant_iteratorIjlEEPtPlSF_S6_NS0_8equal_toItEEEE10hipError_tPvRmT2_T3_mT4_T5_T6_T7_T8_P12ihipStream_tbENKUlT_T0_E_clISt17integral_constantIbLb0EESZ_EEDaSU_SV_EUlSU_E_NS1_11comp_targetILNS1_3genE5ELNS1_11target_archE942ELNS1_3gpuE9ELNS1_3repE0EEENS1_30default_config_static_selectorELNS0_4arch9wavefront6targetE1EEEvT1_.kd
    .uniform_work_group_size: 1
    .uses_dynamic_stack: false
    .vgpr_count:     0
    .vgpr_spill_count: 0
    .wavefront_size: 64
  - .agpr_count:     0
    .args:
      - .offset:         0
        .size:           128
        .value_kind:     by_value
    .group_segment_fixed_size: 10752
    .kernarg_segment_align: 8
    .kernarg_segment_size: 128
    .language:       OpenCL C
    .language_version:
      - 2
      - 0
    .max_flat_workgroup_size: 192
    .name:           _ZN7rocprim17ROCPRIM_400000_NS6detail17trampoline_kernelINS0_14default_configENS1_33run_length_encode_config_selectorItjNS0_4plusIjEEEEZZNS1_33reduce_by_key_impl_wrapped_configILNS1_25lookback_scan_determinismE0ES3_S7_PKtNS0_17constant_iteratorIjlEEPtPlSF_S6_NS0_8equal_toItEEEE10hipError_tPvRmT2_T3_mT4_T5_T6_T7_T8_P12ihipStream_tbENKUlT_T0_E_clISt17integral_constantIbLb0EESZ_EEDaSU_SV_EUlSU_E_NS1_11comp_targetILNS1_3genE4ELNS1_11target_archE910ELNS1_3gpuE8ELNS1_3repE0EEENS1_30default_config_static_selectorELNS0_4arch9wavefront6targetE1EEEvT1_
    .private_segment_fixed_size: 0
    .sgpr_count:     66
    .sgpr_spill_count: 0
    .symbol:         _ZN7rocprim17ROCPRIM_400000_NS6detail17trampoline_kernelINS0_14default_configENS1_33run_length_encode_config_selectorItjNS0_4plusIjEEEEZZNS1_33reduce_by_key_impl_wrapped_configILNS1_25lookback_scan_determinismE0ES3_S7_PKtNS0_17constant_iteratorIjlEEPtPlSF_S6_NS0_8equal_toItEEEE10hipError_tPvRmT2_T3_mT4_T5_T6_T7_T8_P12ihipStream_tbENKUlT_T0_E_clISt17integral_constantIbLb0EESZ_EEDaSU_SV_EUlSU_E_NS1_11comp_targetILNS1_3genE4ELNS1_11target_archE910ELNS1_3gpuE8ELNS1_3repE0EEENS1_30default_config_static_selectorELNS0_4arch9wavefront6targetE1EEEvT1_.kd
    .uniform_work_group_size: 1
    .uses_dynamic_stack: false
    .vgpr_count:     65
    .vgpr_spill_count: 0
    .wavefront_size: 64
  - .agpr_count:     0
    .args:
      - .offset:         0
        .size:           128
        .value_kind:     by_value
    .group_segment_fixed_size: 0
    .kernarg_segment_align: 8
    .kernarg_segment_size: 128
    .language:       OpenCL C
    .language_version:
      - 2
      - 0
    .max_flat_workgroup_size: 512
    .name:           _ZN7rocprim17ROCPRIM_400000_NS6detail17trampoline_kernelINS0_14default_configENS1_33run_length_encode_config_selectorItjNS0_4plusIjEEEEZZNS1_33reduce_by_key_impl_wrapped_configILNS1_25lookback_scan_determinismE0ES3_S7_PKtNS0_17constant_iteratorIjlEEPtPlSF_S6_NS0_8equal_toItEEEE10hipError_tPvRmT2_T3_mT4_T5_T6_T7_T8_P12ihipStream_tbENKUlT_T0_E_clISt17integral_constantIbLb0EESZ_EEDaSU_SV_EUlSU_E_NS1_11comp_targetILNS1_3genE3ELNS1_11target_archE908ELNS1_3gpuE7ELNS1_3repE0EEENS1_30default_config_static_selectorELNS0_4arch9wavefront6targetE1EEEvT1_
    .private_segment_fixed_size: 0
    .sgpr_count:     4
    .sgpr_spill_count: 0
    .symbol:         _ZN7rocprim17ROCPRIM_400000_NS6detail17trampoline_kernelINS0_14default_configENS1_33run_length_encode_config_selectorItjNS0_4plusIjEEEEZZNS1_33reduce_by_key_impl_wrapped_configILNS1_25lookback_scan_determinismE0ES3_S7_PKtNS0_17constant_iteratorIjlEEPtPlSF_S6_NS0_8equal_toItEEEE10hipError_tPvRmT2_T3_mT4_T5_T6_T7_T8_P12ihipStream_tbENKUlT_T0_E_clISt17integral_constantIbLb0EESZ_EEDaSU_SV_EUlSU_E_NS1_11comp_targetILNS1_3genE3ELNS1_11target_archE908ELNS1_3gpuE7ELNS1_3repE0EEENS1_30default_config_static_selectorELNS0_4arch9wavefront6targetE1EEEvT1_.kd
    .uniform_work_group_size: 1
    .uses_dynamic_stack: false
    .vgpr_count:     0
    .vgpr_spill_count: 0
    .wavefront_size: 64
  - .agpr_count:     0
    .args:
      - .offset:         0
        .size:           128
        .value_kind:     by_value
    .group_segment_fixed_size: 0
    .kernarg_segment_align: 8
    .kernarg_segment_size: 128
    .language:       OpenCL C
    .language_version:
      - 2
      - 0
    .max_flat_workgroup_size: 256
    .name:           _ZN7rocprim17ROCPRIM_400000_NS6detail17trampoline_kernelINS0_14default_configENS1_33run_length_encode_config_selectorItjNS0_4plusIjEEEEZZNS1_33reduce_by_key_impl_wrapped_configILNS1_25lookback_scan_determinismE0ES3_S7_PKtNS0_17constant_iteratorIjlEEPtPlSF_S6_NS0_8equal_toItEEEE10hipError_tPvRmT2_T3_mT4_T5_T6_T7_T8_P12ihipStream_tbENKUlT_T0_E_clISt17integral_constantIbLb0EESZ_EEDaSU_SV_EUlSU_E_NS1_11comp_targetILNS1_3genE2ELNS1_11target_archE906ELNS1_3gpuE6ELNS1_3repE0EEENS1_30default_config_static_selectorELNS0_4arch9wavefront6targetE1EEEvT1_
    .private_segment_fixed_size: 0
    .sgpr_count:     4
    .sgpr_spill_count: 0
    .symbol:         _ZN7rocprim17ROCPRIM_400000_NS6detail17trampoline_kernelINS0_14default_configENS1_33run_length_encode_config_selectorItjNS0_4plusIjEEEEZZNS1_33reduce_by_key_impl_wrapped_configILNS1_25lookback_scan_determinismE0ES3_S7_PKtNS0_17constant_iteratorIjlEEPtPlSF_S6_NS0_8equal_toItEEEE10hipError_tPvRmT2_T3_mT4_T5_T6_T7_T8_P12ihipStream_tbENKUlT_T0_E_clISt17integral_constantIbLb0EESZ_EEDaSU_SV_EUlSU_E_NS1_11comp_targetILNS1_3genE2ELNS1_11target_archE906ELNS1_3gpuE6ELNS1_3repE0EEENS1_30default_config_static_selectorELNS0_4arch9wavefront6targetE1EEEvT1_.kd
    .uniform_work_group_size: 1
    .uses_dynamic_stack: false
    .vgpr_count:     0
    .vgpr_spill_count: 0
    .wavefront_size: 64
  - .agpr_count:     0
    .args:
      - .offset:         0
        .size:           128
        .value_kind:     by_value
    .group_segment_fixed_size: 0
    .kernarg_segment_align: 8
    .kernarg_segment_size: 128
    .language:       OpenCL C
    .language_version:
      - 2
      - 0
    .max_flat_workgroup_size: 512
    .name:           _ZN7rocprim17ROCPRIM_400000_NS6detail17trampoline_kernelINS0_14default_configENS1_33run_length_encode_config_selectorItjNS0_4plusIjEEEEZZNS1_33reduce_by_key_impl_wrapped_configILNS1_25lookback_scan_determinismE0ES3_S7_PKtNS0_17constant_iteratorIjlEEPtPlSF_S6_NS0_8equal_toItEEEE10hipError_tPvRmT2_T3_mT4_T5_T6_T7_T8_P12ihipStream_tbENKUlT_T0_E_clISt17integral_constantIbLb0EESZ_EEDaSU_SV_EUlSU_E_NS1_11comp_targetILNS1_3genE10ELNS1_11target_archE1201ELNS1_3gpuE5ELNS1_3repE0EEENS1_30default_config_static_selectorELNS0_4arch9wavefront6targetE1EEEvT1_
    .private_segment_fixed_size: 0
    .sgpr_count:     4
    .sgpr_spill_count: 0
    .symbol:         _ZN7rocprim17ROCPRIM_400000_NS6detail17trampoline_kernelINS0_14default_configENS1_33run_length_encode_config_selectorItjNS0_4plusIjEEEEZZNS1_33reduce_by_key_impl_wrapped_configILNS1_25lookback_scan_determinismE0ES3_S7_PKtNS0_17constant_iteratorIjlEEPtPlSF_S6_NS0_8equal_toItEEEE10hipError_tPvRmT2_T3_mT4_T5_T6_T7_T8_P12ihipStream_tbENKUlT_T0_E_clISt17integral_constantIbLb0EESZ_EEDaSU_SV_EUlSU_E_NS1_11comp_targetILNS1_3genE10ELNS1_11target_archE1201ELNS1_3gpuE5ELNS1_3repE0EEENS1_30default_config_static_selectorELNS0_4arch9wavefront6targetE1EEEvT1_.kd
    .uniform_work_group_size: 1
    .uses_dynamic_stack: false
    .vgpr_count:     0
    .vgpr_spill_count: 0
    .wavefront_size: 64
  - .agpr_count:     0
    .args:
      - .offset:         0
        .size:           128
        .value_kind:     by_value
    .group_segment_fixed_size: 0
    .kernarg_segment_align: 8
    .kernarg_segment_size: 128
    .language:       OpenCL C
    .language_version:
      - 2
      - 0
    .max_flat_workgroup_size: 384
    .name:           _ZN7rocprim17ROCPRIM_400000_NS6detail17trampoline_kernelINS0_14default_configENS1_33run_length_encode_config_selectorItjNS0_4plusIjEEEEZZNS1_33reduce_by_key_impl_wrapped_configILNS1_25lookback_scan_determinismE0ES3_S7_PKtNS0_17constant_iteratorIjlEEPtPlSF_S6_NS0_8equal_toItEEEE10hipError_tPvRmT2_T3_mT4_T5_T6_T7_T8_P12ihipStream_tbENKUlT_T0_E_clISt17integral_constantIbLb0EESZ_EEDaSU_SV_EUlSU_E_NS1_11comp_targetILNS1_3genE10ELNS1_11target_archE1200ELNS1_3gpuE4ELNS1_3repE0EEENS1_30default_config_static_selectorELNS0_4arch9wavefront6targetE1EEEvT1_
    .private_segment_fixed_size: 0
    .sgpr_count:     4
    .sgpr_spill_count: 0
    .symbol:         _ZN7rocprim17ROCPRIM_400000_NS6detail17trampoline_kernelINS0_14default_configENS1_33run_length_encode_config_selectorItjNS0_4plusIjEEEEZZNS1_33reduce_by_key_impl_wrapped_configILNS1_25lookback_scan_determinismE0ES3_S7_PKtNS0_17constant_iteratorIjlEEPtPlSF_S6_NS0_8equal_toItEEEE10hipError_tPvRmT2_T3_mT4_T5_T6_T7_T8_P12ihipStream_tbENKUlT_T0_E_clISt17integral_constantIbLb0EESZ_EEDaSU_SV_EUlSU_E_NS1_11comp_targetILNS1_3genE10ELNS1_11target_archE1200ELNS1_3gpuE4ELNS1_3repE0EEENS1_30default_config_static_selectorELNS0_4arch9wavefront6targetE1EEEvT1_.kd
    .uniform_work_group_size: 1
    .uses_dynamic_stack: false
    .vgpr_count:     0
    .vgpr_spill_count: 0
    .wavefront_size: 64
  - .agpr_count:     0
    .args:
      - .offset:         0
        .size:           128
        .value_kind:     by_value
    .group_segment_fixed_size: 0
    .kernarg_segment_align: 8
    .kernarg_segment_size: 128
    .language:       OpenCL C
    .language_version:
      - 2
      - 0
    .max_flat_workgroup_size: 512
    .name:           _ZN7rocprim17ROCPRIM_400000_NS6detail17trampoline_kernelINS0_14default_configENS1_33run_length_encode_config_selectorItjNS0_4plusIjEEEEZZNS1_33reduce_by_key_impl_wrapped_configILNS1_25lookback_scan_determinismE0ES3_S7_PKtNS0_17constant_iteratorIjlEEPtPlSF_S6_NS0_8equal_toItEEEE10hipError_tPvRmT2_T3_mT4_T5_T6_T7_T8_P12ihipStream_tbENKUlT_T0_E_clISt17integral_constantIbLb0EESZ_EEDaSU_SV_EUlSU_E_NS1_11comp_targetILNS1_3genE9ELNS1_11target_archE1100ELNS1_3gpuE3ELNS1_3repE0EEENS1_30default_config_static_selectorELNS0_4arch9wavefront6targetE1EEEvT1_
    .private_segment_fixed_size: 0
    .sgpr_count:     4
    .sgpr_spill_count: 0
    .symbol:         _ZN7rocprim17ROCPRIM_400000_NS6detail17trampoline_kernelINS0_14default_configENS1_33run_length_encode_config_selectorItjNS0_4plusIjEEEEZZNS1_33reduce_by_key_impl_wrapped_configILNS1_25lookback_scan_determinismE0ES3_S7_PKtNS0_17constant_iteratorIjlEEPtPlSF_S6_NS0_8equal_toItEEEE10hipError_tPvRmT2_T3_mT4_T5_T6_T7_T8_P12ihipStream_tbENKUlT_T0_E_clISt17integral_constantIbLb0EESZ_EEDaSU_SV_EUlSU_E_NS1_11comp_targetILNS1_3genE9ELNS1_11target_archE1100ELNS1_3gpuE3ELNS1_3repE0EEENS1_30default_config_static_selectorELNS0_4arch9wavefront6targetE1EEEvT1_.kd
    .uniform_work_group_size: 1
    .uses_dynamic_stack: false
    .vgpr_count:     0
    .vgpr_spill_count: 0
    .wavefront_size: 64
  - .agpr_count:     0
    .args:
      - .offset:         0
        .size:           128
        .value_kind:     by_value
    .group_segment_fixed_size: 0
    .kernarg_segment_align: 8
    .kernarg_segment_size: 128
    .language:       OpenCL C
    .language_version:
      - 2
      - 0
    .max_flat_workgroup_size: 384
    .name:           _ZN7rocprim17ROCPRIM_400000_NS6detail17trampoline_kernelINS0_14default_configENS1_33run_length_encode_config_selectorItjNS0_4plusIjEEEEZZNS1_33reduce_by_key_impl_wrapped_configILNS1_25lookback_scan_determinismE0ES3_S7_PKtNS0_17constant_iteratorIjlEEPtPlSF_S6_NS0_8equal_toItEEEE10hipError_tPvRmT2_T3_mT4_T5_T6_T7_T8_P12ihipStream_tbENKUlT_T0_E_clISt17integral_constantIbLb0EESZ_EEDaSU_SV_EUlSU_E_NS1_11comp_targetILNS1_3genE8ELNS1_11target_archE1030ELNS1_3gpuE2ELNS1_3repE0EEENS1_30default_config_static_selectorELNS0_4arch9wavefront6targetE1EEEvT1_
    .private_segment_fixed_size: 0
    .sgpr_count:     4
    .sgpr_spill_count: 0
    .symbol:         _ZN7rocprim17ROCPRIM_400000_NS6detail17trampoline_kernelINS0_14default_configENS1_33run_length_encode_config_selectorItjNS0_4plusIjEEEEZZNS1_33reduce_by_key_impl_wrapped_configILNS1_25lookback_scan_determinismE0ES3_S7_PKtNS0_17constant_iteratorIjlEEPtPlSF_S6_NS0_8equal_toItEEEE10hipError_tPvRmT2_T3_mT4_T5_T6_T7_T8_P12ihipStream_tbENKUlT_T0_E_clISt17integral_constantIbLb0EESZ_EEDaSU_SV_EUlSU_E_NS1_11comp_targetILNS1_3genE8ELNS1_11target_archE1030ELNS1_3gpuE2ELNS1_3repE0EEENS1_30default_config_static_selectorELNS0_4arch9wavefront6targetE1EEEvT1_.kd
    .uniform_work_group_size: 1
    .uses_dynamic_stack: false
    .vgpr_count:     0
    .vgpr_spill_count: 0
    .wavefront_size: 64
  - .agpr_count:     0
    .args:
      - .offset:         0
        .size:           128
        .value_kind:     by_value
    .group_segment_fixed_size: 0
    .kernarg_segment_align: 8
    .kernarg_segment_size: 128
    .language:       OpenCL C
    .language_version:
      - 2
      - 0
    .max_flat_workgroup_size: 512
    .name:           _ZN7rocprim17ROCPRIM_400000_NS6detail17trampoline_kernelINS0_14default_configENS1_33run_length_encode_config_selectorItjNS0_4plusIjEEEEZZNS1_33reduce_by_key_impl_wrapped_configILNS1_25lookback_scan_determinismE0ES3_S7_PKtNS0_17constant_iteratorIjlEEPtPlSF_S6_NS0_8equal_toItEEEE10hipError_tPvRmT2_T3_mT4_T5_T6_T7_T8_P12ihipStream_tbENKUlT_T0_E_clISt17integral_constantIbLb1EESZ_EEDaSU_SV_EUlSU_E_NS1_11comp_targetILNS1_3genE0ELNS1_11target_archE4294967295ELNS1_3gpuE0ELNS1_3repE0EEENS1_30default_config_static_selectorELNS0_4arch9wavefront6targetE1EEEvT1_
    .private_segment_fixed_size: 0
    .sgpr_count:     4
    .sgpr_spill_count: 0
    .symbol:         _ZN7rocprim17ROCPRIM_400000_NS6detail17trampoline_kernelINS0_14default_configENS1_33run_length_encode_config_selectorItjNS0_4plusIjEEEEZZNS1_33reduce_by_key_impl_wrapped_configILNS1_25lookback_scan_determinismE0ES3_S7_PKtNS0_17constant_iteratorIjlEEPtPlSF_S6_NS0_8equal_toItEEEE10hipError_tPvRmT2_T3_mT4_T5_T6_T7_T8_P12ihipStream_tbENKUlT_T0_E_clISt17integral_constantIbLb1EESZ_EEDaSU_SV_EUlSU_E_NS1_11comp_targetILNS1_3genE0ELNS1_11target_archE4294967295ELNS1_3gpuE0ELNS1_3repE0EEENS1_30default_config_static_selectorELNS0_4arch9wavefront6targetE1EEEvT1_.kd
    .uniform_work_group_size: 1
    .uses_dynamic_stack: false
    .vgpr_count:     0
    .vgpr_spill_count: 0
    .wavefront_size: 64
  - .agpr_count:     0
    .args:
      - .offset:         0
        .size:           128
        .value_kind:     by_value
    .group_segment_fixed_size: 0
    .kernarg_segment_align: 8
    .kernarg_segment_size: 128
    .language:       OpenCL C
    .language_version:
      - 2
      - 0
    .max_flat_workgroup_size: 512
    .name:           _ZN7rocprim17ROCPRIM_400000_NS6detail17trampoline_kernelINS0_14default_configENS1_33run_length_encode_config_selectorItjNS0_4plusIjEEEEZZNS1_33reduce_by_key_impl_wrapped_configILNS1_25lookback_scan_determinismE0ES3_S7_PKtNS0_17constant_iteratorIjlEEPtPlSF_S6_NS0_8equal_toItEEEE10hipError_tPvRmT2_T3_mT4_T5_T6_T7_T8_P12ihipStream_tbENKUlT_T0_E_clISt17integral_constantIbLb1EESZ_EEDaSU_SV_EUlSU_E_NS1_11comp_targetILNS1_3genE5ELNS1_11target_archE942ELNS1_3gpuE9ELNS1_3repE0EEENS1_30default_config_static_selectorELNS0_4arch9wavefront6targetE1EEEvT1_
    .private_segment_fixed_size: 0
    .sgpr_count:     4
    .sgpr_spill_count: 0
    .symbol:         _ZN7rocprim17ROCPRIM_400000_NS6detail17trampoline_kernelINS0_14default_configENS1_33run_length_encode_config_selectorItjNS0_4plusIjEEEEZZNS1_33reduce_by_key_impl_wrapped_configILNS1_25lookback_scan_determinismE0ES3_S7_PKtNS0_17constant_iteratorIjlEEPtPlSF_S6_NS0_8equal_toItEEEE10hipError_tPvRmT2_T3_mT4_T5_T6_T7_T8_P12ihipStream_tbENKUlT_T0_E_clISt17integral_constantIbLb1EESZ_EEDaSU_SV_EUlSU_E_NS1_11comp_targetILNS1_3genE5ELNS1_11target_archE942ELNS1_3gpuE9ELNS1_3repE0EEENS1_30default_config_static_selectorELNS0_4arch9wavefront6targetE1EEEvT1_.kd
    .uniform_work_group_size: 1
    .uses_dynamic_stack: false
    .vgpr_count:     0
    .vgpr_spill_count: 0
    .wavefront_size: 64
  - .agpr_count:     0
    .args:
      - .offset:         0
        .size:           128
        .value_kind:     by_value
    .group_segment_fixed_size: 10752
    .kernarg_segment_align: 8
    .kernarg_segment_size: 128
    .language:       OpenCL C
    .language_version:
      - 2
      - 0
    .max_flat_workgroup_size: 192
    .name:           _ZN7rocprim17ROCPRIM_400000_NS6detail17trampoline_kernelINS0_14default_configENS1_33run_length_encode_config_selectorItjNS0_4plusIjEEEEZZNS1_33reduce_by_key_impl_wrapped_configILNS1_25lookback_scan_determinismE0ES3_S7_PKtNS0_17constant_iteratorIjlEEPtPlSF_S6_NS0_8equal_toItEEEE10hipError_tPvRmT2_T3_mT4_T5_T6_T7_T8_P12ihipStream_tbENKUlT_T0_E_clISt17integral_constantIbLb1EESZ_EEDaSU_SV_EUlSU_E_NS1_11comp_targetILNS1_3genE4ELNS1_11target_archE910ELNS1_3gpuE8ELNS1_3repE0EEENS1_30default_config_static_selectorELNS0_4arch9wavefront6targetE1EEEvT1_
    .private_segment_fixed_size: 0
    .sgpr_count:     68
    .sgpr_spill_count: 0
    .symbol:         _ZN7rocprim17ROCPRIM_400000_NS6detail17trampoline_kernelINS0_14default_configENS1_33run_length_encode_config_selectorItjNS0_4plusIjEEEEZZNS1_33reduce_by_key_impl_wrapped_configILNS1_25lookback_scan_determinismE0ES3_S7_PKtNS0_17constant_iteratorIjlEEPtPlSF_S6_NS0_8equal_toItEEEE10hipError_tPvRmT2_T3_mT4_T5_T6_T7_T8_P12ihipStream_tbENKUlT_T0_E_clISt17integral_constantIbLb1EESZ_EEDaSU_SV_EUlSU_E_NS1_11comp_targetILNS1_3genE4ELNS1_11target_archE910ELNS1_3gpuE8ELNS1_3repE0EEENS1_30default_config_static_selectorELNS0_4arch9wavefront6targetE1EEEvT1_.kd
    .uniform_work_group_size: 1
    .uses_dynamic_stack: false
    .vgpr_count:     65
    .vgpr_spill_count: 0
    .wavefront_size: 64
  - .agpr_count:     0
    .args:
      - .offset:         0
        .size:           128
        .value_kind:     by_value
    .group_segment_fixed_size: 0
    .kernarg_segment_align: 8
    .kernarg_segment_size: 128
    .language:       OpenCL C
    .language_version:
      - 2
      - 0
    .max_flat_workgroup_size: 512
    .name:           _ZN7rocprim17ROCPRIM_400000_NS6detail17trampoline_kernelINS0_14default_configENS1_33run_length_encode_config_selectorItjNS0_4plusIjEEEEZZNS1_33reduce_by_key_impl_wrapped_configILNS1_25lookback_scan_determinismE0ES3_S7_PKtNS0_17constant_iteratorIjlEEPtPlSF_S6_NS0_8equal_toItEEEE10hipError_tPvRmT2_T3_mT4_T5_T6_T7_T8_P12ihipStream_tbENKUlT_T0_E_clISt17integral_constantIbLb1EESZ_EEDaSU_SV_EUlSU_E_NS1_11comp_targetILNS1_3genE3ELNS1_11target_archE908ELNS1_3gpuE7ELNS1_3repE0EEENS1_30default_config_static_selectorELNS0_4arch9wavefront6targetE1EEEvT1_
    .private_segment_fixed_size: 0
    .sgpr_count:     4
    .sgpr_spill_count: 0
    .symbol:         _ZN7rocprim17ROCPRIM_400000_NS6detail17trampoline_kernelINS0_14default_configENS1_33run_length_encode_config_selectorItjNS0_4plusIjEEEEZZNS1_33reduce_by_key_impl_wrapped_configILNS1_25lookback_scan_determinismE0ES3_S7_PKtNS0_17constant_iteratorIjlEEPtPlSF_S6_NS0_8equal_toItEEEE10hipError_tPvRmT2_T3_mT4_T5_T6_T7_T8_P12ihipStream_tbENKUlT_T0_E_clISt17integral_constantIbLb1EESZ_EEDaSU_SV_EUlSU_E_NS1_11comp_targetILNS1_3genE3ELNS1_11target_archE908ELNS1_3gpuE7ELNS1_3repE0EEENS1_30default_config_static_selectorELNS0_4arch9wavefront6targetE1EEEvT1_.kd
    .uniform_work_group_size: 1
    .uses_dynamic_stack: false
    .vgpr_count:     0
    .vgpr_spill_count: 0
    .wavefront_size: 64
  - .agpr_count:     0
    .args:
      - .offset:         0
        .size:           128
        .value_kind:     by_value
    .group_segment_fixed_size: 0
    .kernarg_segment_align: 8
    .kernarg_segment_size: 128
    .language:       OpenCL C
    .language_version:
      - 2
      - 0
    .max_flat_workgroup_size: 256
    .name:           _ZN7rocprim17ROCPRIM_400000_NS6detail17trampoline_kernelINS0_14default_configENS1_33run_length_encode_config_selectorItjNS0_4plusIjEEEEZZNS1_33reduce_by_key_impl_wrapped_configILNS1_25lookback_scan_determinismE0ES3_S7_PKtNS0_17constant_iteratorIjlEEPtPlSF_S6_NS0_8equal_toItEEEE10hipError_tPvRmT2_T3_mT4_T5_T6_T7_T8_P12ihipStream_tbENKUlT_T0_E_clISt17integral_constantIbLb1EESZ_EEDaSU_SV_EUlSU_E_NS1_11comp_targetILNS1_3genE2ELNS1_11target_archE906ELNS1_3gpuE6ELNS1_3repE0EEENS1_30default_config_static_selectorELNS0_4arch9wavefront6targetE1EEEvT1_
    .private_segment_fixed_size: 0
    .sgpr_count:     4
    .sgpr_spill_count: 0
    .symbol:         _ZN7rocprim17ROCPRIM_400000_NS6detail17trampoline_kernelINS0_14default_configENS1_33run_length_encode_config_selectorItjNS0_4plusIjEEEEZZNS1_33reduce_by_key_impl_wrapped_configILNS1_25lookback_scan_determinismE0ES3_S7_PKtNS0_17constant_iteratorIjlEEPtPlSF_S6_NS0_8equal_toItEEEE10hipError_tPvRmT2_T3_mT4_T5_T6_T7_T8_P12ihipStream_tbENKUlT_T0_E_clISt17integral_constantIbLb1EESZ_EEDaSU_SV_EUlSU_E_NS1_11comp_targetILNS1_3genE2ELNS1_11target_archE906ELNS1_3gpuE6ELNS1_3repE0EEENS1_30default_config_static_selectorELNS0_4arch9wavefront6targetE1EEEvT1_.kd
    .uniform_work_group_size: 1
    .uses_dynamic_stack: false
    .vgpr_count:     0
    .vgpr_spill_count: 0
    .wavefront_size: 64
  - .agpr_count:     0
    .args:
      - .offset:         0
        .size:           128
        .value_kind:     by_value
    .group_segment_fixed_size: 0
    .kernarg_segment_align: 8
    .kernarg_segment_size: 128
    .language:       OpenCL C
    .language_version:
      - 2
      - 0
    .max_flat_workgroup_size: 512
    .name:           _ZN7rocprim17ROCPRIM_400000_NS6detail17trampoline_kernelINS0_14default_configENS1_33run_length_encode_config_selectorItjNS0_4plusIjEEEEZZNS1_33reduce_by_key_impl_wrapped_configILNS1_25lookback_scan_determinismE0ES3_S7_PKtNS0_17constant_iteratorIjlEEPtPlSF_S6_NS0_8equal_toItEEEE10hipError_tPvRmT2_T3_mT4_T5_T6_T7_T8_P12ihipStream_tbENKUlT_T0_E_clISt17integral_constantIbLb1EESZ_EEDaSU_SV_EUlSU_E_NS1_11comp_targetILNS1_3genE10ELNS1_11target_archE1201ELNS1_3gpuE5ELNS1_3repE0EEENS1_30default_config_static_selectorELNS0_4arch9wavefront6targetE1EEEvT1_
    .private_segment_fixed_size: 0
    .sgpr_count:     4
    .sgpr_spill_count: 0
    .symbol:         _ZN7rocprim17ROCPRIM_400000_NS6detail17trampoline_kernelINS0_14default_configENS1_33run_length_encode_config_selectorItjNS0_4plusIjEEEEZZNS1_33reduce_by_key_impl_wrapped_configILNS1_25lookback_scan_determinismE0ES3_S7_PKtNS0_17constant_iteratorIjlEEPtPlSF_S6_NS0_8equal_toItEEEE10hipError_tPvRmT2_T3_mT4_T5_T6_T7_T8_P12ihipStream_tbENKUlT_T0_E_clISt17integral_constantIbLb1EESZ_EEDaSU_SV_EUlSU_E_NS1_11comp_targetILNS1_3genE10ELNS1_11target_archE1201ELNS1_3gpuE5ELNS1_3repE0EEENS1_30default_config_static_selectorELNS0_4arch9wavefront6targetE1EEEvT1_.kd
    .uniform_work_group_size: 1
    .uses_dynamic_stack: false
    .vgpr_count:     0
    .vgpr_spill_count: 0
    .wavefront_size: 64
  - .agpr_count:     0
    .args:
      - .offset:         0
        .size:           128
        .value_kind:     by_value
    .group_segment_fixed_size: 0
    .kernarg_segment_align: 8
    .kernarg_segment_size: 128
    .language:       OpenCL C
    .language_version:
      - 2
      - 0
    .max_flat_workgroup_size: 384
    .name:           _ZN7rocprim17ROCPRIM_400000_NS6detail17trampoline_kernelINS0_14default_configENS1_33run_length_encode_config_selectorItjNS0_4plusIjEEEEZZNS1_33reduce_by_key_impl_wrapped_configILNS1_25lookback_scan_determinismE0ES3_S7_PKtNS0_17constant_iteratorIjlEEPtPlSF_S6_NS0_8equal_toItEEEE10hipError_tPvRmT2_T3_mT4_T5_T6_T7_T8_P12ihipStream_tbENKUlT_T0_E_clISt17integral_constantIbLb1EESZ_EEDaSU_SV_EUlSU_E_NS1_11comp_targetILNS1_3genE10ELNS1_11target_archE1200ELNS1_3gpuE4ELNS1_3repE0EEENS1_30default_config_static_selectorELNS0_4arch9wavefront6targetE1EEEvT1_
    .private_segment_fixed_size: 0
    .sgpr_count:     4
    .sgpr_spill_count: 0
    .symbol:         _ZN7rocprim17ROCPRIM_400000_NS6detail17trampoline_kernelINS0_14default_configENS1_33run_length_encode_config_selectorItjNS0_4plusIjEEEEZZNS1_33reduce_by_key_impl_wrapped_configILNS1_25lookback_scan_determinismE0ES3_S7_PKtNS0_17constant_iteratorIjlEEPtPlSF_S6_NS0_8equal_toItEEEE10hipError_tPvRmT2_T3_mT4_T5_T6_T7_T8_P12ihipStream_tbENKUlT_T0_E_clISt17integral_constantIbLb1EESZ_EEDaSU_SV_EUlSU_E_NS1_11comp_targetILNS1_3genE10ELNS1_11target_archE1200ELNS1_3gpuE4ELNS1_3repE0EEENS1_30default_config_static_selectorELNS0_4arch9wavefront6targetE1EEEvT1_.kd
    .uniform_work_group_size: 1
    .uses_dynamic_stack: false
    .vgpr_count:     0
    .vgpr_spill_count: 0
    .wavefront_size: 64
  - .agpr_count:     0
    .args:
      - .offset:         0
        .size:           128
        .value_kind:     by_value
    .group_segment_fixed_size: 0
    .kernarg_segment_align: 8
    .kernarg_segment_size: 128
    .language:       OpenCL C
    .language_version:
      - 2
      - 0
    .max_flat_workgroup_size: 512
    .name:           _ZN7rocprim17ROCPRIM_400000_NS6detail17trampoline_kernelINS0_14default_configENS1_33run_length_encode_config_selectorItjNS0_4plusIjEEEEZZNS1_33reduce_by_key_impl_wrapped_configILNS1_25lookback_scan_determinismE0ES3_S7_PKtNS0_17constant_iteratorIjlEEPtPlSF_S6_NS0_8equal_toItEEEE10hipError_tPvRmT2_T3_mT4_T5_T6_T7_T8_P12ihipStream_tbENKUlT_T0_E_clISt17integral_constantIbLb1EESZ_EEDaSU_SV_EUlSU_E_NS1_11comp_targetILNS1_3genE9ELNS1_11target_archE1100ELNS1_3gpuE3ELNS1_3repE0EEENS1_30default_config_static_selectorELNS0_4arch9wavefront6targetE1EEEvT1_
    .private_segment_fixed_size: 0
    .sgpr_count:     4
    .sgpr_spill_count: 0
    .symbol:         _ZN7rocprim17ROCPRIM_400000_NS6detail17trampoline_kernelINS0_14default_configENS1_33run_length_encode_config_selectorItjNS0_4plusIjEEEEZZNS1_33reduce_by_key_impl_wrapped_configILNS1_25lookback_scan_determinismE0ES3_S7_PKtNS0_17constant_iteratorIjlEEPtPlSF_S6_NS0_8equal_toItEEEE10hipError_tPvRmT2_T3_mT4_T5_T6_T7_T8_P12ihipStream_tbENKUlT_T0_E_clISt17integral_constantIbLb1EESZ_EEDaSU_SV_EUlSU_E_NS1_11comp_targetILNS1_3genE9ELNS1_11target_archE1100ELNS1_3gpuE3ELNS1_3repE0EEENS1_30default_config_static_selectorELNS0_4arch9wavefront6targetE1EEEvT1_.kd
    .uniform_work_group_size: 1
    .uses_dynamic_stack: false
    .vgpr_count:     0
    .vgpr_spill_count: 0
    .wavefront_size: 64
  - .agpr_count:     0
    .args:
      - .offset:         0
        .size:           128
        .value_kind:     by_value
    .group_segment_fixed_size: 0
    .kernarg_segment_align: 8
    .kernarg_segment_size: 128
    .language:       OpenCL C
    .language_version:
      - 2
      - 0
    .max_flat_workgroup_size: 384
    .name:           _ZN7rocprim17ROCPRIM_400000_NS6detail17trampoline_kernelINS0_14default_configENS1_33run_length_encode_config_selectorItjNS0_4plusIjEEEEZZNS1_33reduce_by_key_impl_wrapped_configILNS1_25lookback_scan_determinismE0ES3_S7_PKtNS0_17constant_iteratorIjlEEPtPlSF_S6_NS0_8equal_toItEEEE10hipError_tPvRmT2_T3_mT4_T5_T6_T7_T8_P12ihipStream_tbENKUlT_T0_E_clISt17integral_constantIbLb1EESZ_EEDaSU_SV_EUlSU_E_NS1_11comp_targetILNS1_3genE8ELNS1_11target_archE1030ELNS1_3gpuE2ELNS1_3repE0EEENS1_30default_config_static_selectorELNS0_4arch9wavefront6targetE1EEEvT1_
    .private_segment_fixed_size: 0
    .sgpr_count:     4
    .sgpr_spill_count: 0
    .symbol:         _ZN7rocprim17ROCPRIM_400000_NS6detail17trampoline_kernelINS0_14default_configENS1_33run_length_encode_config_selectorItjNS0_4plusIjEEEEZZNS1_33reduce_by_key_impl_wrapped_configILNS1_25lookback_scan_determinismE0ES3_S7_PKtNS0_17constant_iteratorIjlEEPtPlSF_S6_NS0_8equal_toItEEEE10hipError_tPvRmT2_T3_mT4_T5_T6_T7_T8_P12ihipStream_tbENKUlT_T0_E_clISt17integral_constantIbLb1EESZ_EEDaSU_SV_EUlSU_E_NS1_11comp_targetILNS1_3genE8ELNS1_11target_archE1030ELNS1_3gpuE2ELNS1_3repE0EEENS1_30default_config_static_selectorELNS0_4arch9wavefront6targetE1EEEvT1_.kd
    .uniform_work_group_size: 1
    .uses_dynamic_stack: false
    .vgpr_count:     0
    .vgpr_spill_count: 0
    .wavefront_size: 64
  - .agpr_count:     0
    .args:
      - .offset:         0
        .size:           128
        .value_kind:     by_value
    .group_segment_fixed_size: 0
    .kernarg_segment_align: 8
    .kernarg_segment_size: 128
    .language:       OpenCL C
    .language_version:
      - 2
      - 0
    .max_flat_workgroup_size: 512
    .name:           _ZN7rocprim17ROCPRIM_400000_NS6detail17trampoline_kernelINS0_14default_configENS1_33run_length_encode_config_selectorItjNS0_4plusIjEEEEZZNS1_33reduce_by_key_impl_wrapped_configILNS1_25lookback_scan_determinismE0ES3_S7_PKtNS0_17constant_iteratorIjlEEPtPlSF_S6_NS0_8equal_toItEEEE10hipError_tPvRmT2_T3_mT4_T5_T6_T7_T8_P12ihipStream_tbENKUlT_T0_E_clISt17integral_constantIbLb1EESY_IbLb0EEEEDaSU_SV_EUlSU_E_NS1_11comp_targetILNS1_3genE0ELNS1_11target_archE4294967295ELNS1_3gpuE0ELNS1_3repE0EEENS1_30default_config_static_selectorELNS0_4arch9wavefront6targetE1EEEvT1_
    .private_segment_fixed_size: 0
    .sgpr_count:     4
    .sgpr_spill_count: 0
    .symbol:         _ZN7rocprim17ROCPRIM_400000_NS6detail17trampoline_kernelINS0_14default_configENS1_33run_length_encode_config_selectorItjNS0_4plusIjEEEEZZNS1_33reduce_by_key_impl_wrapped_configILNS1_25lookback_scan_determinismE0ES3_S7_PKtNS0_17constant_iteratorIjlEEPtPlSF_S6_NS0_8equal_toItEEEE10hipError_tPvRmT2_T3_mT4_T5_T6_T7_T8_P12ihipStream_tbENKUlT_T0_E_clISt17integral_constantIbLb1EESY_IbLb0EEEEDaSU_SV_EUlSU_E_NS1_11comp_targetILNS1_3genE0ELNS1_11target_archE4294967295ELNS1_3gpuE0ELNS1_3repE0EEENS1_30default_config_static_selectorELNS0_4arch9wavefront6targetE1EEEvT1_.kd
    .uniform_work_group_size: 1
    .uses_dynamic_stack: false
    .vgpr_count:     0
    .vgpr_spill_count: 0
    .wavefront_size: 64
  - .agpr_count:     0
    .args:
      - .offset:         0
        .size:           128
        .value_kind:     by_value
    .group_segment_fixed_size: 0
    .kernarg_segment_align: 8
    .kernarg_segment_size: 128
    .language:       OpenCL C
    .language_version:
      - 2
      - 0
    .max_flat_workgroup_size: 512
    .name:           _ZN7rocprim17ROCPRIM_400000_NS6detail17trampoline_kernelINS0_14default_configENS1_33run_length_encode_config_selectorItjNS0_4plusIjEEEEZZNS1_33reduce_by_key_impl_wrapped_configILNS1_25lookback_scan_determinismE0ES3_S7_PKtNS0_17constant_iteratorIjlEEPtPlSF_S6_NS0_8equal_toItEEEE10hipError_tPvRmT2_T3_mT4_T5_T6_T7_T8_P12ihipStream_tbENKUlT_T0_E_clISt17integral_constantIbLb1EESY_IbLb0EEEEDaSU_SV_EUlSU_E_NS1_11comp_targetILNS1_3genE5ELNS1_11target_archE942ELNS1_3gpuE9ELNS1_3repE0EEENS1_30default_config_static_selectorELNS0_4arch9wavefront6targetE1EEEvT1_
    .private_segment_fixed_size: 0
    .sgpr_count:     4
    .sgpr_spill_count: 0
    .symbol:         _ZN7rocprim17ROCPRIM_400000_NS6detail17trampoline_kernelINS0_14default_configENS1_33run_length_encode_config_selectorItjNS0_4plusIjEEEEZZNS1_33reduce_by_key_impl_wrapped_configILNS1_25lookback_scan_determinismE0ES3_S7_PKtNS0_17constant_iteratorIjlEEPtPlSF_S6_NS0_8equal_toItEEEE10hipError_tPvRmT2_T3_mT4_T5_T6_T7_T8_P12ihipStream_tbENKUlT_T0_E_clISt17integral_constantIbLb1EESY_IbLb0EEEEDaSU_SV_EUlSU_E_NS1_11comp_targetILNS1_3genE5ELNS1_11target_archE942ELNS1_3gpuE9ELNS1_3repE0EEENS1_30default_config_static_selectorELNS0_4arch9wavefront6targetE1EEEvT1_.kd
    .uniform_work_group_size: 1
    .uses_dynamic_stack: false
    .vgpr_count:     0
    .vgpr_spill_count: 0
    .wavefront_size: 64
  - .agpr_count:     0
    .args:
      - .offset:         0
        .size:           128
        .value_kind:     by_value
    .group_segment_fixed_size: 10752
    .kernarg_segment_align: 8
    .kernarg_segment_size: 128
    .language:       OpenCL C
    .language_version:
      - 2
      - 0
    .max_flat_workgroup_size: 192
    .name:           _ZN7rocprim17ROCPRIM_400000_NS6detail17trampoline_kernelINS0_14default_configENS1_33run_length_encode_config_selectorItjNS0_4plusIjEEEEZZNS1_33reduce_by_key_impl_wrapped_configILNS1_25lookback_scan_determinismE0ES3_S7_PKtNS0_17constant_iteratorIjlEEPtPlSF_S6_NS0_8equal_toItEEEE10hipError_tPvRmT2_T3_mT4_T5_T6_T7_T8_P12ihipStream_tbENKUlT_T0_E_clISt17integral_constantIbLb1EESY_IbLb0EEEEDaSU_SV_EUlSU_E_NS1_11comp_targetILNS1_3genE4ELNS1_11target_archE910ELNS1_3gpuE8ELNS1_3repE0EEENS1_30default_config_static_selectorELNS0_4arch9wavefront6targetE1EEEvT1_
    .private_segment_fixed_size: 0
    .sgpr_count:     66
    .sgpr_spill_count: 0
    .symbol:         _ZN7rocprim17ROCPRIM_400000_NS6detail17trampoline_kernelINS0_14default_configENS1_33run_length_encode_config_selectorItjNS0_4plusIjEEEEZZNS1_33reduce_by_key_impl_wrapped_configILNS1_25lookback_scan_determinismE0ES3_S7_PKtNS0_17constant_iteratorIjlEEPtPlSF_S6_NS0_8equal_toItEEEE10hipError_tPvRmT2_T3_mT4_T5_T6_T7_T8_P12ihipStream_tbENKUlT_T0_E_clISt17integral_constantIbLb1EESY_IbLb0EEEEDaSU_SV_EUlSU_E_NS1_11comp_targetILNS1_3genE4ELNS1_11target_archE910ELNS1_3gpuE8ELNS1_3repE0EEENS1_30default_config_static_selectorELNS0_4arch9wavefront6targetE1EEEvT1_.kd
    .uniform_work_group_size: 1
    .uses_dynamic_stack: false
    .vgpr_count:     65
    .vgpr_spill_count: 0
    .wavefront_size: 64
  - .agpr_count:     0
    .args:
      - .offset:         0
        .size:           128
        .value_kind:     by_value
    .group_segment_fixed_size: 0
    .kernarg_segment_align: 8
    .kernarg_segment_size: 128
    .language:       OpenCL C
    .language_version:
      - 2
      - 0
    .max_flat_workgroup_size: 512
    .name:           _ZN7rocprim17ROCPRIM_400000_NS6detail17trampoline_kernelINS0_14default_configENS1_33run_length_encode_config_selectorItjNS0_4plusIjEEEEZZNS1_33reduce_by_key_impl_wrapped_configILNS1_25lookback_scan_determinismE0ES3_S7_PKtNS0_17constant_iteratorIjlEEPtPlSF_S6_NS0_8equal_toItEEEE10hipError_tPvRmT2_T3_mT4_T5_T6_T7_T8_P12ihipStream_tbENKUlT_T0_E_clISt17integral_constantIbLb1EESY_IbLb0EEEEDaSU_SV_EUlSU_E_NS1_11comp_targetILNS1_3genE3ELNS1_11target_archE908ELNS1_3gpuE7ELNS1_3repE0EEENS1_30default_config_static_selectorELNS0_4arch9wavefront6targetE1EEEvT1_
    .private_segment_fixed_size: 0
    .sgpr_count:     4
    .sgpr_spill_count: 0
    .symbol:         _ZN7rocprim17ROCPRIM_400000_NS6detail17trampoline_kernelINS0_14default_configENS1_33run_length_encode_config_selectorItjNS0_4plusIjEEEEZZNS1_33reduce_by_key_impl_wrapped_configILNS1_25lookback_scan_determinismE0ES3_S7_PKtNS0_17constant_iteratorIjlEEPtPlSF_S6_NS0_8equal_toItEEEE10hipError_tPvRmT2_T3_mT4_T5_T6_T7_T8_P12ihipStream_tbENKUlT_T0_E_clISt17integral_constantIbLb1EESY_IbLb0EEEEDaSU_SV_EUlSU_E_NS1_11comp_targetILNS1_3genE3ELNS1_11target_archE908ELNS1_3gpuE7ELNS1_3repE0EEENS1_30default_config_static_selectorELNS0_4arch9wavefront6targetE1EEEvT1_.kd
    .uniform_work_group_size: 1
    .uses_dynamic_stack: false
    .vgpr_count:     0
    .vgpr_spill_count: 0
    .wavefront_size: 64
  - .agpr_count:     0
    .args:
      - .offset:         0
        .size:           128
        .value_kind:     by_value
    .group_segment_fixed_size: 0
    .kernarg_segment_align: 8
    .kernarg_segment_size: 128
    .language:       OpenCL C
    .language_version:
      - 2
      - 0
    .max_flat_workgroup_size: 256
    .name:           _ZN7rocprim17ROCPRIM_400000_NS6detail17trampoline_kernelINS0_14default_configENS1_33run_length_encode_config_selectorItjNS0_4plusIjEEEEZZNS1_33reduce_by_key_impl_wrapped_configILNS1_25lookback_scan_determinismE0ES3_S7_PKtNS0_17constant_iteratorIjlEEPtPlSF_S6_NS0_8equal_toItEEEE10hipError_tPvRmT2_T3_mT4_T5_T6_T7_T8_P12ihipStream_tbENKUlT_T0_E_clISt17integral_constantIbLb1EESY_IbLb0EEEEDaSU_SV_EUlSU_E_NS1_11comp_targetILNS1_3genE2ELNS1_11target_archE906ELNS1_3gpuE6ELNS1_3repE0EEENS1_30default_config_static_selectorELNS0_4arch9wavefront6targetE1EEEvT1_
    .private_segment_fixed_size: 0
    .sgpr_count:     4
    .sgpr_spill_count: 0
    .symbol:         _ZN7rocprim17ROCPRIM_400000_NS6detail17trampoline_kernelINS0_14default_configENS1_33run_length_encode_config_selectorItjNS0_4plusIjEEEEZZNS1_33reduce_by_key_impl_wrapped_configILNS1_25lookback_scan_determinismE0ES3_S7_PKtNS0_17constant_iteratorIjlEEPtPlSF_S6_NS0_8equal_toItEEEE10hipError_tPvRmT2_T3_mT4_T5_T6_T7_T8_P12ihipStream_tbENKUlT_T0_E_clISt17integral_constantIbLb1EESY_IbLb0EEEEDaSU_SV_EUlSU_E_NS1_11comp_targetILNS1_3genE2ELNS1_11target_archE906ELNS1_3gpuE6ELNS1_3repE0EEENS1_30default_config_static_selectorELNS0_4arch9wavefront6targetE1EEEvT1_.kd
    .uniform_work_group_size: 1
    .uses_dynamic_stack: false
    .vgpr_count:     0
    .vgpr_spill_count: 0
    .wavefront_size: 64
  - .agpr_count:     0
    .args:
      - .offset:         0
        .size:           128
        .value_kind:     by_value
    .group_segment_fixed_size: 0
    .kernarg_segment_align: 8
    .kernarg_segment_size: 128
    .language:       OpenCL C
    .language_version:
      - 2
      - 0
    .max_flat_workgroup_size: 512
    .name:           _ZN7rocprim17ROCPRIM_400000_NS6detail17trampoline_kernelINS0_14default_configENS1_33run_length_encode_config_selectorItjNS0_4plusIjEEEEZZNS1_33reduce_by_key_impl_wrapped_configILNS1_25lookback_scan_determinismE0ES3_S7_PKtNS0_17constant_iteratorIjlEEPtPlSF_S6_NS0_8equal_toItEEEE10hipError_tPvRmT2_T3_mT4_T5_T6_T7_T8_P12ihipStream_tbENKUlT_T0_E_clISt17integral_constantIbLb1EESY_IbLb0EEEEDaSU_SV_EUlSU_E_NS1_11comp_targetILNS1_3genE10ELNS1_11target_archE1201ELNS1_3gpuE5ELNS1_3repE0EEENS1_30default_config_static_selectorELNS0_4arch9wavefront6targetE1EEEvT1_
    .private_segment_fixed_size: 0
    .sgpr_count:     4
    .sgpr_spill_count: 0
    .symbol:         _ZN7rocprim17ROCPRIM_400000_NS6detail17trampoline_kernelINS0_14default_configENS1_33run_length_encode_config_selectorItjNS0_4plusIjEEEEZZNS1_33reduce_by_key_impl_wrapped_configILNS1_25lookback_scan_determinismE0ES3_S7_PKtNS0_17constant_iteratorIjlEEPtPlSF_S6_NS0_8equal_toItEEEE10hipError_tPvRmT2_T3_mT4_T5_T6_T7_T8_P12ihipStream_tbENKUlT_T0_E_clISt17integral_constantIbLb1EESY_IbLb0EEEEDaSU_SV_EUlSU_E_NS1_11comp_targetILNS1_3genE10ELNS1_11target_archE1201ELNS1_3gpuE5ELNS1_3repE0EEENS1_30default_config_static_selectorELNS0_4arch9wavefront6targetE1EEEvT1_.kd
    .uniform_work_group_size: 1
    .uses_dynamic_stack: false
    .vgpr_count:     0
    .vgpr_spill_count: 0
    .wavefront_size: 64
  - .agpr_count:     0
    .args:
      - .offset:         0
        .size:           128
        .value_kind:     by_value
    .group_segment_fixed_size: 0
    .kernarg_segment_align: 8
    .kernarg_segment_size: 128
    .language:       OpenCL C
    .language_version:
      - 2
      - 0
    .max_flat_workgroup_size: 384
    .name:           _ZN7rocprim17ROCPRIM_400000_NS6detail17trampoline_kernelINS0_14default_configENS1_33run_length_encode_config_selectorItjNS0_4plusIjEEEEZZNS1_33reduce_by_key_impl_wrapped_configILNS1_25lookback_scan_determinismE0ES3_S7_PKtNS0_17constant_iteratorIjlEEPtPlSF_S6_NS0_8equal_toItEEEE10hipError_tPvRmT2_T3_mT4_T5_T6_T7_T8_P12ihipStream_tbENKUlT_T0_E_clISt17integral_constantIbLb1EESY_IbLb0EEEEDaSU_SV_EUlSU_E_NS1_11comp_targetILNS1_3genE10ELNS1_11target_archE1200ELNS1_3gpuE4ELNS1_3repE0EEENS1_30default_config_static_selectorELNS0_4arch9wavefront6targetE1EEEvT1_
    .private_segment_fixed_size: 0
    .sgpr_count:     4
    .sgpr_spill_count: 0
    .symbol:         _ZN7rocprim17ROCPRIM_400000_NS6detail17trampoline_kernelINS0_14default_configENS1_33run_length_encode_config_selectorItjNS0_4plusIjEEEEZZNS1_33reduce_by_key_impl_wrapped_configILNS1_25lookback_scan_determinismE0ES3_S7_PKtNS0_17constant_iteratorIjlEEPtPlSF_S6_NS0_8equal_toItEEEE10hipError_tPvRmT2_T3_mT4_T5_T6_T7_T8_P12ihipStream_tbENKUlT_T0_E_clISt17integral_constantIbLb1EESY_IbLb0EEEEDaSU_SV_EUlSU_E_NS1_11comp_targetILNS1_3genE10ELNS1_11target_archE1200ELNS1_3gpuE4ELNS1_3repE0EEENS1_30default_config_static_selectorELNS0_4arch9wavefront6targetE1EEEvT1_.kd
    .uniform_work_group_size: 1
    .uses_dynamic_stack: false
    .vgpr_count:     0
    .vgpr_spill_count: 0
    .wavefront_size: 64
  - .agpr_count:     0
    .args:
      - .offset:         0
        .size:           128
        .value_kind:     by_value
    .group_segment_fixed_size: 0
    .kernarg_segment_align: 8
    .kernarg_segment_size: 128
    .language:       OpenCL C
    .language_version:
      - 2
      - 0
    .max_flat_workgroup_size: 512
    .name:           _ZN7rocprim17ROCPRIM_400000_NS6detail17trampoline_kernelINS0_14default_configENS1_33run_length_encode_config_selectorItjNS0_4plusIjEEEEZZNS1_33reduce_by_key_impl_wrapped_configILNS1_25lookback_scan_determinismE0ES3_S7_PKtNS0_17constant_iteratorIjlEEPtPlSF_S6_NS0_8equal_toItEEEE10hipError_tPvRmT2_T3_mT4_T5_T6_T7_T8_P12ihipStream_tbENKUlT_T0_E_clISt17integral_constantIbLb1EESY_IbLb0EEEEDaSU_SV_EUlSU_E_NS1_11comp_targetILNS1_3genE9ELNS1_11target_archE1100ELNS1_3gpuE3ELNS1_3repE0EEENS1_30default_config_static_selectorELNS0_4arch9wavefront6targetE1EEEvT1_
    .private_segment_fixed_size: 0
    .sgpr_count:     4
    .sgpr_spill_count: 0
    .symbol:         _ZN7rocprim17ROCPRIM_400000_NS6detail17trampoline_kernelINS0_14default_configENS1_33run_length_encode_config_selectorItjNS0_4plusIjEEEEZZNS1_33reduce_by_key_impl_wrapped_configILNS1_25lookback_scan_determinismE0ES3_S7_PKtNS0_17constant_iteratorIjlEEPtPlSF_S6_NS0_8equal_toItEEEE10hipError_tPvRmT2_T3_mT4_T5_T6_T7_T8_P12ihipStream_tbENKUlT_T0_E_clISt17integral_constantIbLb1EESY_IbLb0EEEEDaSU_SV_EUlSU_E_NS1_11comp_targetILNS1_3genE9ELNS1_11target_archE1100ELNS1_3gpuE3ELNS1_3repE0EEENS1_30default_config_static_selectorELNS0_4arch9wavefront6targetE1EEEvT1_.kd
    .uniform_work_group_size: 1
    .uses_dynamic_stack: false
    .vgpr_count:     0
    .vgpr_spill_count: 0
    .wavefront_size: 64
  - .agpr_count:     0
    .args:
      - .offset:         0
        .size:           128
        .value_kind:     by_value
    .group_segment_fixed_size: 0
    .kernarg_segment_align: 8
    .kernarg_segment_size: 128
    .language:       OpenCL C
    .language_version:
      - 2
      - 0
    .max_flat_workgroup_size: 384
    .name:           _ZN7rocprim17ROCPRIM_400000_NS6detail17trampoline_kernelINS0_14default_configENS1_33run_length_encode_config_selectorItjNS0_4plusIjEEEEZZNS1_33reduce_by_key_impl_wrapped_configILNS1_25lookback_scan_determinismE0ES3_S7_PKtNS0_17constant_iteratorIjlEEPtPlSF_S6_NS0_8equal_toItEEEE10hipError_tPvRmT2_T3_mT4_T5_T6_T7_T8_P12ihipStream_tbENKUlT_T0_E_clISt17integral_constantIbLb1EESY_IbLb0EEEEDaSU_SV_EUlSU_E_NS1_11comp_targetILNS1_3genE8ELNS1_11target_archE1030ELNS1_3gpuE2ELNS1_3repE0EEENS1_30default_config_static_selectorELNS0_4arch9wavefront6targetE1EEEvT1_
    .private_segment_fixed_size: 0
    .sgpr_count:     4
    .sgpr_spill_count: 0
    .symbol:         _ZN7rocprim17ROCPRIM_400000_NS6detail17trampoline_kernelINS0_14default_configENS1_33run_length_encode_config_selectorItjNS0_4plusIjEEEEZZNS1_33reduce_by_key_impl_wrapped_configILNS1_25lookback_scan_determinismE0ES3_S7_PKtNS0_17constant_iteratorIjlEEPtPlSF_S6_NS0_8equal_toItEEEE10hipError_tPvRmT2_T3_mT4_T5_T6_T7_T8_P12ihipStream_tbENKUlT_T0_E_clISt17integral_constantIbLb1EESY_IbLb0EEEEDaSU_SV_EUlSU_E_NS1_11comp_targetILNS1_3genE8ELNS1_11target_archE1030ELNS1_3gpuE2ELNS1_3repE0EEENS1_30default_config_static_selectorELNS0_4arch9wavefront6targetE1EEEvT1_.kd
    .uniform_work_group_size: 1
    .uses_dynamic_stack: false
    .vgpr_count:     0
    .vgpr_spill_count: 0
    .wavefront_size: 64
  - .agpr_count:     0
    .args:
      - .offset:         0
        .size:           128
        .value_kind:     by_value
    .group_segment_fixed_size: 0
    .kernarg_segment_align: 8
    .kernarg_segment_size: 128
    .language:       OpenCL C
    .language_version:
      - 2
      - 0
    .max_flat_workgroup_size: 512
    .name:           _ZN7rocprim17ROCPRIM_400000_NS6detail17trampoline_kernelINS0_14default_configENS1_33run_length_encode_config_selectorItjNS0_4plusIjEEEEZZNS1_33reduce_by_key_impl_wrapped_configILNS1_25lookback_scan_determinismE0ES3_S7_PKtNS0_17constant_iteratorIjlEEPtPlSF_S6_NS0_8equal_toItEEEE10hipError_tPvRmT2_T3_mT4_T5_T6_T7_T8_P12ihipStream_tbENKUlT_T0_E_clISt17integral_constantIbLb0EESY_IbLb1EEEEDaSU_SV_EUlSU_E_NS1_11comp_targetILNS1_3genE0ELNS1_11target_archE4294967295ELNS1_3gpuE0ELNS1_3repE0EEENS1_30default_config_static_selectorELNS0_4arch9wavefront6targetE1EEEvT1_
    .private_segment_fixed_size: 0
    .sgpr_count:     4
    .sgpr_spill_count: 0
    .symbol:         _ZN7rocprim17ROCPRIM_400000_NS6detail17trampoline_kernelINS0_14default_configENS1_33run_length_encode_config_selectorItjNS0_4plusIjEEEEZZNS1_33reduce_by_key_impl_wrapped_configILNS1_25lookback_scan_determinismE0ES3_S7_PKtNS0_17constant_iteratorIjlEEPtPlSF_S6_NS0_8equal_toItEEEE10hipError_tPvRmT2_T3_mT4_T5_T6_T7_T8_P12ihipStream_tbENKUlT_T0_E_clISt17integral_constantIbLb0EESY_IbLb1EEEEDaSU_SV_EUlSU_E_NS1_11comp_targetILNS1_3genE0ELNS1_11target_archE4294967295ELNS1_3gpuE0ELNS1_3repE0EEENS1_30default_config_static_selectorELNS0_4arch9wavefront6targetE1EEEvT1_.kd
    .uniform_work_group_size: 1
    .uses_dynamic_stack: false
    .vgpr_count:     0
    .vgpr_spill_count: 0
    .wavefront_size: 64
  - .agpr_count:     0
    .args:
      - .offset:         0
        .size:           128
        .value_kind:     by_value
    .group_segment_fixed_size: 0
    .kernarg_segment_align: 8
    .kernarg_segment_size: 128
    .language:       OpenCL C
    .language_version:
      - 2
      - 0
    .max_flat_workgroup_size: 512
    .name:           _ZN7rocprim17ROCPRIM_400000_NS6detail17trampoline_kernelINS0_14default_configENS1_33run_length_encode_config_selectorItjNS0_4plusIjEEEEZZNS1_33reduce_by_key_impl_wrapped_configILNS1_25lookback_scan_determinismE0ES3_S7_PKtNS0_17constant_iteratorIjlEEPtPlSF_S6_NS0_8equal_toItEEEE10hipError_tPvRmT2_T3_mT4_T5_T6_T7_T8_P12ihipStream_tbENKUlT_T0_E_clISt17integral_constantIbLb0EESY_IbLb1EEEEDaSU_SV_EUlSU_E_NS1_11comp_targetILNS1_3genE5ELNS1_11target_archE942ELNS1_3gpuE9ELNS1_3repE0EEENS1_30default_config_static_selectorELNS0_4arch9wavefront6targetE1EEEvT1_
    .private_segment_fixed_size: 0
    .sgpr_count:     4
    .sgpr_spill_count: 0
    .symbol:         _ZN7rocprim17ROCPRIM_400000_NS6detail17trampoline_kernelINS0_14default_configENS1_33run_length_encode_config_selectorItjNS0_4plusIjEEEEZZNS1_33reduce_by_key_impl_wrapped_configILNS1_25lookback_scan_determinismE0ES3_S7_PKtNS0_17constant_iteratorIjlEEPtPlSF_S6_NS0_8equal_toItEEEE10hipError_tPvRmT2_T3_mT4_T5_T6_T7_T8_P12ihipStream_tbENKUlT_T0_E_clISt17integral_constantIbLb0EESY_IbLb1EEEEDaSU_SV_EUlSU_E_NS1_11comp_targetILNS1_3genE5ELNS1_11target_archE942ELNS1_3gpuE9ELNS1_3repE0EEENS1_30default_config_static_selectorELNS0_4arch9wavefront6targetE1EEEvT1_.kd
    .uniform_work_group_size: 1
    .uses_dynamic_stack: false
    .vgpr_count:     0
    .vgpr_spill_count: 0
    .wavefront_size: 64
  - .agpr_count:     0
    .args:
      - .offset:         0
        .size:           128
        .value_kind:     by_value
    .group_segment_fixed_size: 10752
    .kernarg_segment_align: 8
    .kernarg_segment_size: 128
    .language:       OpenCL C
    .language_version:
      - 2
      - 0
    .max_flat_workgroup_size: 192
    .name:           _ZN7rocprim17ROCPRIM_400000_NS6detail17trampoline_kernelINS0_14default_configENS1_33run_length_encode_config_selectorItjNS0_4plusIjEEEEZZNS1_33reduce_by_key_impl_wrapped_configILNS1_25lookback_scan_determinismE0ES3_S7_PKtNS0_17constant_iteratorIjlEEPtPlSF_S6_NS0_8equal_toItEEEE10hipError_tPvRmT2_T3_mT4_T5_T6_T7_T8_P12ihipStream_tbENKUlT_T0_E_clISt17integral_constantIbLb0EESY_IbLb1EEEEDaSU_SV_EUlSU_E_NS1_11comp_targetILNS1_3genE4ELNS1_11target_archE910ELNS1_3gpuE8ELNS1_3repE0EEENS1_30default_config_static_selectorELNS0_4arch9wavefront6targetE1EEEvT1_
    .private_segment_fixed_size: 0
    .sgpr_count:     68
    .sgpr_spill_count: 0
    .symbol:         _ZN7rocprim17ROCPRIM_400000_NS6detail17trampoline_kernelINS0_14default_configENS1_33run_length_encode_config_selectorItjNS0_4plusIjEEEEZZNS1_33reduce_by_key_impl_wrapped_configILNS1_25lookback_scan_determinismE0ES3_S7_PKtNS0_17constant_iteratorIjlEEPtPlSF_S6_NS0_8equal_toItEEEE10hipError_tPvRmT2_T3_mT4_T5_T6_T7_T8_P12ihipStream_tbENKUlT_T0_E_clISt17integral_constantIbLb0EESY_IbLb1EEEEDaSU_SV_EUlSU_E_NS1_11comp_targetILNS1_3genE4ELNS1_11target_archE910ELNS1_3gpuE8ELNS1_3repE0EEENS1_30default_config_static_selectorELNS0_4arch9wavefront6targetE1EEEvT1_.kd
    .uniform_work_group_size: 1
    .uses_dynamic_stack: false
    .vgpr_count:     65
    .vgpr_spill_count: 0
    .wavefront_size: 64
  - .agpr_count:     0
    .args:
      - .offset:         0
        .size:           128
        .value_kind:     by_value
    .group_segment_fixed_size: 0
    .kernarg_segment_align: 8
    .kernarg_segment_size: 128
    .language:       OpenCL C
    .language_version:
      - 2
      - 0
    .max_flat_workgroup_size: 512
    .name:           _ZN7rocprim17ROCPRIM_400000_NS6detail17trampoline_kernelINS0_14default_configENS1_33run_length_encode_config_selectorItjNS0_4plusIjEEEEZZNS1_33reduce_by_key_impl_wrapped_configILNS1_25lookback_scan_determinismE0ES3_S7_PKtNS0_17constant_iteratorIjlEEPtPlSF_S6_NS0_8equal_toItEEEE10hipError_tPvRmT2_T3_mT4_T5_T6_T7_T8_P12ihipStream_tbENKUlT_T0_E_clISt17integral_constantIbLb0EESY_IbLb1EEEEDaSU_SV_EUlSU_E_NS1_11comp_targetILNS1_3genE3ELNS1_11target_archE908ELNS1_3gpuE7ELNS1_3repE0EEENS1_30default_config_static_selectorELNS0_4arch9wavefront6targetE1EEEvT1_
    .private_segment_fixed_size: 0
    .sgpr_count:     4
    .sgpr_spill_count: 0
    .symbol:         _ZN7rocprim17ROCPRIM_400000_NS6detail17trampoline_kernelINS0_14default_configENS1_33run_length_encode_config_selectorItjNS0_4plusIjEEEEZZNS1_33reduce_by_key_impl_wrapped_configILNS1_25lookback_scan_determinismE0ES3_S7_PKtNS0_17constant_iteratorIjlEEPtPlSF_S6_NS0_8equal_toItEEEE10hipError_tPvRmT2_T3_mT4_T5_T6_T7_T8_P12ihipStream_tbENKUlT_T0_E_clISt17integral_constantIbLb0EESY_IbLb1EEEEDaSU_SV_EUlSU_E_NS1_11comp_targetILNS1_3genE3ELNS1_11target_archE908ELNS1_3gpuE7ELNS1_3repE0EEENS1_30default_config_static_selectorELNS0_4arch9wavefront6targetE1EEEvT1_.kd
    .uniform_work_group_size: 1
    .uses_dynamic_stack: false
    .vgpr_count:     0
    .vgpr_spill_count: 0
    .wavefront_size: 64
  - .agpr_count:     0
    .args:
      - .offset:         0
        .size:           128
        .value_kind:     by_value
    .group_segment_fixed_size: 0
    .kernarg_segment_align: 8
    .kernarg_segment_size: 128
    .language:       OpenCL C
    .language_version:
      - 2
      - 0
    .max_flat_workgroup_size: 256
    .name:           _ZN7rocprim17ROCPRIM_400000_NS6detail17trampoline_kernelINS0_14default_configENS1_33run_length_encode_config_selectorItjNS0_4plusIjEEEEZZNS1_33reduce_by_key_impl_wrapped_configILNS1_25lookback_scan_determinismE0ES3_S7_PKtNS0_17constant_iteratorIjlEEPtPlSF_S6_NS0_8equal_toItEEEE10hipError_tPvRmT2_T3_mT4_T5_T6_T7_T8_P12ihipStream_tbENKUlT_T0_E_clISt17integral_constantIbLb0EESY_IbLb1EEEEDaSU_SV_EUlSU_E_NS1_11comp_targetILNS1_3genE2ELNS1_11target_archE906ELNS1_3gpuE6ELNS1_3repE0EEENS1_30default_config_static_selectorELNS0_4arch9wavefront6targetE1EEEvT1_
    .private_segment_fixed_size: 0
    .sgpr_count:     4
    .sgpr_spill_count: 0
    .symbol:         _ZN7rocprim17ROCPRIM_400000_NS6detail17trampoline_kernelINS0_14default_configENS1_33run_length_encode_config_selectorItjNS0_4plusIjEEEEZZNS1_33reduce_by_key_impl_wrapped_configILNS1_25lookback_scan_determinismE0ES3_S7_PKtNS0_17constant_iteratorIjlEEPtPlSF_S6_NS0_8equal_toItEEEE10hipError_tPvRmT2_T3_mT4_T5_T6_T7_T8_P12ihipStream_tbENKUlT_T0_E_clISt17integral_constantIbLb0EESY_IbLb1EEEEDaSU_SV_EUlSU_E_NS1_11comp_targetILNS1_3genE2ELNS1_11target_archE906ELNS1_3gpuE6ELNS1_3repE0EEENS1_30default_config_static_selectorELNS0_4arch9wavefront6targetE1EEEvT1_.kd
    .uniform_work_group_size: 1
    .uses_dynamic_stack: false
    .vgpr_count:     0
    .vgpr_spill_count: 0
    .wavefront_size: 64
  - .agpr_count:     0
    .args:
      - .offset:         0
        .size:           128
        .value_kind:     by_value
    .group_segment_fixed_size: 0
    .kernarg_segment_align: 8
    .kernarg_segment_size: 128
    .language:       OpenCL C
    .language_version:
      - 2
      - 0
    .max_flat_workgroup_size: 512
    .name:           _ZN7rocprim17ROCPRIM_400000_NS6detail17trampoline_kernelINS0_14default_configENS1_33run_length_encode_config_selectorItjNS0_4plusIjEEEEZZNS1_33reduce_by_key_impl_wrapped_configILNS1_25lookback_scan_determinismE0ES3_S7_PKtNS0_17constant_iteratorIjlEEPtPlSF_S6_NS0_8equal_toItEEEE10hipError_tPvRmT2_T3_mT4_T5_T6_T7_T8_P12ihipStream_tbENKUlT_T0_E_clISt17integral_constantIbLb0EESY_IbLb1EEEEDaSU_SV_EUlSU_E_NS1_11comp_targetILNS1_3genE10ELNS1_11target_archE1201ELNS1_3gpuE5ELNS1_3repE0EEENS1_30default_config_static_selectorELNS0_4arch9wavefront6targetE1EEEvT1_
    .private_segment_fixed_size: 0
    .sgpr_count:     4
    .sgpr_spill_count: 0
    .symbol:         _ZN7rocprim17ROCPRIM_400000_NS6detail17trampoline_kernelINS0_14default_configENS1_33run_length_encode_config_selectorItjNS0_4plusIjEEEEZZNS1_33reduce_by_key_impl_wrapped_configILNS1_25lookback_scan_determinismE0ES3_S7_PKtNS0_17constant_iteratorIjlEEPtPlSF_S6_NS0_8equal_toItEEEE10hipError_tPvRmT2_T3_mT4_T5_T6_T7_T8_P12ihipStream_tbENKUlT_T0_E_clISt17integral_constantIbLb0EESY_IbLb1EEEEDaSU_SV_EUlSU_E_NS1_11comp_targetILNS1_3genE10ELNS1_11target_archE1201ELNS1_3gpuE5ELNS1_3repE0EEENS1_30default_config_static_selectorELNS0_4arch9wavefront6targetE1EEEvT1_.kd
    .uniform_work_group_size: 1
    .uses_dynamic_stack: false
    .vgpr_count:     0
    .vgpr_spill_count: 0
    .wavefront_size: 64
  - .agpr_count:     0
    .args:
      - .offset:         0
        .size:           128
        .value_kind:     by_value
    .group_segment_fixed_size: 0
    .kernarg_segment_align: 8
    .kernarg_segment_size: 128
    .language:       OpenCL C
    .language_version:
      - 2
      - 0
    .max_flat_workgroup_size: 384
    .name:           _ZN7rocprim17ROCPRIM_400000_NS6detail17trampoline_kernelINS0_14default_configENS1_33run_length_encode_config_selectorItjNS0_4plusIjEEEEZZNS1_33reduce_by_key_impl_wrapped_configILNS1_25lookback_scan_determinismE0ES3_S7_PKtNS0_17constant_iteratorIjlEEPtPlSF_S6_NS0_8equal_toItEEEE10hipError_tPvRmT2_T3_mT4_T5_T6_T7_T8_P12ihipStream_tbENKUlT_T0_E_clISt17integral_constantIbLb0EESY_IbLb1EEEEDaSU_SV_EUlSU_E_NS1_11comp_targetILNS1_3genE10ELNS1_11target_archE1200ELNS1_3gpuE4ELNS1_3repE0EEENS1_30default_config_static_selectorELNS0_4arch9wavefront6targetE1EEEvT1_
    .private_segment_fixed_size: 0
    .sgpr_count:     4
    .sgpr_spill_count: 0
    .symbol:         _ZN7rocprim17ROCPRIM_400000_NS6detail17trampoline_kernelINS0_14default_configENS1_33run_length_encode_config_selectorItjNS0_4plusIjEEEEZZNS1_33reduce_by_key_impl_wrapped_configILNS1_25lookback_scan_determinismE0ES3_S7_PKtNS0_17constant_iteratorIjlEEPtPlSF_S6_NS0_8equal_toItEEEE10hipError_tPvRmT2_T3_mT4_T5_T6_T7_T8_P12ihipStream_tbENKUlT_T0_E_clISt17integral_constantIbLb0EESY_IbLb1EEEEDaSU_SV_EUlSU_E_NS1_11comp_targetILNS1_3genE10ELNS1_11target_archE1200ELNS1_3gpuE4ELNS1_3repE0EEENS1_30default_config_static_selectorELNS0_4arch9wavefront6targetE1EEEvT1_.kd
    .uniform_work_group_size: 1
    .uses_dynamic_stack: false
    .vgpr_count:     0
    .vgpr_spill_count: 0
    .wavefront_size: 64
  - .agpr_count:     0
    .args:
      - .offset:         0
        .size:           128
        .value_kind:     by_value
    .group_segment_fixed_size: 0
    .kernarg_segment_align: 8
    .kernarg_segment_size: 128
    .language:       OpenCL C
    .language_version:
      - 2
      - 0
    .max_flat_workgroup_size: 512
    .name:           _ZN7rocprim17ROCPRIM_400000_NS6detail17trampoline_kernelINS0_14default_configENS1_33run_length_encode_config_selectorItjNS0_4plusIjEEEEZZNS1_33reduce_by_key_impl_wrapped_configILNS1_25lookback_scan_determinismE0ES3_S7_PKtNS0_17constant_iteratorIjlEEPtPlSF_S6_NS0_8equal_toItEEEE10hipError_tPvRmT2_T3_mT4_T5_T6_T7_T8_P12ihipStream_tbENKUlT_T0_E_clISt17integral_constantIbLb0EESY_IbLb1EEEEDaSU_SV_EUlSU_E_NS1_11comp_targetILNS1_3genE9ELNS1_11target_archE1100ELNS1_3gpuE3ELNS1_3repE0EEENS1_30default_config_static_selectorELNS0_4arch9wavefront6targetE1EEEvT1_
    .private_segment_fixed_size: 0
    .sgpr_count:     4
    .sgpr_spill_count: 0
    .symbol:         _ZN7rocprim17ROCPRIM_400000_NS6detail17trampoline_kernelINS0_14default_configENS1_33run_length_encode_config_selectorItjNS0_4plusIjEEEEZZNS1_33reduce_by_key_impl_wrapped_configILNS1_25lookback_scan_determinismE0ES3_S7_PKtNS0_17constant_iteratorIjlEEPtPlSF_S6_NS0_8equal_toItEEEE10hipError_tPvRmT2_T3_mT4_T5_T6_T7_T8_P12ihipStream_tbENKUlT_T0_E_clISt17integral_constantIbLb0EESY_IbLb1EEEEDaSU_SV_EUlSU_E_NS1_11comp_targetILNS1_3genE9ELNS1_11target_archE1100ELNS1_3gpuE3ELNS1_3repE0EEENS1_30default_config_static_selectorELNS0_4arch9wavefront6targetE1EEEvT1_.kd
    .uniform_work_group_size: 1
    .uses_dynamic_stack: false
    .vgpr_count:     0
    .vgpr_spill_count: 0
    .wavefront_size: 64
  - .agpr_count:     0
    .args:
      - .offset:         0
        .size:           128
        .value_kind:     by_value
    .group_segment_fixed_size: 0
    .kernarg_segment_align: 8
    .kernarg_segment_size: 128
    .language:       OpenCL C
    .language_version:
      - 2
      - 0
    .max_flat_workgroup_size: 384
    .name:           _ZN7rocprim17ROCPRIM_400000_NS6detail17trampoline_kernelINS0_14default_configENS1_33run_length_encode_config_selectorItjNS0_4plusIjEEEEZZNS1_33reduce_by_key_impl_wrapped_configILNS1_25lookback_scan_determinismE0ES3_S7_PKtNS0_17constant_iteratorIjlEEPtPlSF_S6_NS0_8equal_toItEEEE10hipError_tPvRmT2_T3_mT4_T5_T6_T7_T8_P12ihipStream_tbENKUlT_T0_E_clISt17integral_constantIbLb0EESY_IbLb1EEEEDaSU_SV_EUlSU_E_NS1_11comp_targetILNS1_3genE8ELNS1_11target_archE1030ELNS1_3gpuE2ELNS1_3repE0EEENS1_30default_config_static_selectorELNS0_4arch9wavefront6targetE1EEEvT1_
    .private_segment_fixed_size: 0
    .sgpr_count:     4
    .sgpr_spill_count: 0
    .symbol:         _ZN7rocprim17ROCPRIM_400000_NS6detail17trampoline_kernelINS0_14default_configENS1_33run_length_encode_config_selectorItjNS0_4plusIjEEEEZZNS1_33reduce_by_key_impl_wrapped_configILNS1_25lookback_scan_determinismE0ES3_S7_PKtNS0_17constant_iteratorIjlEEPtPlSF_S6_NS0_8equal_toItEEEE10hipError_tPvRmT2_T3_mT4_T5_T6_T7_T8_P12ihipStream_tbENKUlT_T0_E_clISt17integral_constantIbLb0EESY_IbLb1EEEEDaSU_SV_EUlSU_E_NS1_11comp_targetILNS1_3genE8ELNS1_11target_archE1030ELNS1_3gpuE2ELNS1_3repE0EEENS1_30default_config_static_selectorELNS0_4arch9wavefront6targetE1EEEvT1_.kd
    .uniform_work_group_size: 1
    .uses_dynamic_stack: false
    .vgpr_count:     0
    .vgpr_spill_count: 0
    .wavefront_size: 64
  - .agpr_count:     0
    .args:
      - .offset:         0
        .size:           8
        .value_kind:     by_value
      - .address_space:  global
        .offset:         8
        .size:           8
        .value_kind:     global_buffer
      - .address_space:  global
        .offset:         16
        .size:           8
        .value_kind:     global_buffer
      - .offset:         24
        .size:           4
        .value_kind:     hidden_block_count_x
      - .offset:         28
        .size:           4
        .value_kind:     hidden_block_count_y
      - .offset:         32
        .size:           4
        .value_kind:     hidden_block_count_z
      - .offset:         36
        .size:           2
        .value_kind:     hidden_group_size_x
      - .offset:         38
        .size:           2
        .value_kind:     hidden_group_size_y
      - .offset:         40
        .size:           2
        .value_kind:     hidden_group_size_z
      - .offset:         42
        .size:           2
        .value_kind:     hidden_remainder_x
      - .offset:         44
        .size:           2
        .value_kind:     hidden_remainder_y
      - .offset:         46
        .size:           2
        .value_kind:     hidden_remainder_z
      - .offset:         64
        .size:           8
        .value_kind:     hidden_global_offset_x
      - .offset:         72
        .size:           8
        .value_kind:     hidden_global_offset_y
      - .offset:         80
        .size:           8
        .value_kind:     hidden_global_offset_z
      - .offset:         88
        .size:           2
        .value_kind:     hidden_grid_dims
    .group_segment_fixed_size: 0
    .kernarg_segment_align: 8
    .kernarg_segment_size: 280
    .language:       OpenCL C
    .language_version:
      - 2
      - 0
    .max_flat_workgroup_size: 1024
    .name:           _ZN2at6native8internal12_GLOBAL__N_126adjacent_difference_kernelIPKN3c108BFloat16EEEvlT_Pi
    .private_segment_fixed_size: 0
    .sgpr_count:     18
    .sgpr_spill_count: 0
    .symbol:         _ZN2at6native8internal12_GLOBAL__N_126adjacent_difference_kernelIPKN3c108BFloat16EEEvlT_Pi.kd
    .uniform_work_group_size: 1
    .uses_dynamic_stack: false
    .vgpr_count:     14
    .vgpr_spill_count: 0
    .wavefront_size: 64
  - .agpr_count:     0
    .args:
      - .offset:         0
        .size:           112
        .value_kind:     by_value
    .group_segment_fixed_size: 0
    .kernarg_segment_align: 8
    .kernarg_segment_size: 112
    .language:       OpenCL C
    .language_version:
      - 2
      - 0
    .max_flat_workgroup_size: 256
    .name:           _ZN7rocprim17ROCPRIM_400000_NS6detail17trampoline_kernelINS0_14default_configENS1_25partition_config_selectorILNS1_17partition_subalgoE8EN3c108BFloat16ENS0_10empty_typeEbEEZZNS1_14partition_implILS5_8ELb0ES3_jPKS7_PS8_PKS8_NS0_5tupleIJPS7_S8_EEENSG_IJSD_SD_EEENS0_18inequality_wrapperIN6hipcub16HIPCUB_304000_NS8EqualityEEEPlJS8_EEE10hipError_tPvRmT3_T4_T5_T6_T7_T9_mT8_P12ihipStream_tbDpT10_ENKUlT_T0_E_clISt17integral_constantIbLb0EES19_EEDaS14_S15_EUlS14_E_NS1_11comp_targetILNS1_3genE0ELNS1_11target_archE4294967295ELNS1_3gpuE0ELNS1_3repE0EEENS1_30default_config_static_selectorELNS0_4arch9wavefront6targetE1EEEvT1_
    .private_segment_fixed_size: 0
    .sgpr_count:     4
    .sgpr_spill_count: 0
    .symbol:         _ZN7rocprim17ROCPRIM_400000_NS6detail17trampoline_kernelINS0_14default_configENS1_25partition_config_selectorILNS1_17partition_subalgoE8EN3c108BFloat16ENS0_10empty_typeEbEEZZNS1_14partition_implILS5_8ELb0ES3_jPKS7_PS8_PKS8_NS0_5tupleIJPS7_S8_EEENSG_IJSD_SD_EEENS0_18inequality_wrapperIN6hipcub16HIPCUB_304000_NS8EqualityEEEPlJS8_EEE10hipError_tPvRmT3_T4_T5_T6_T7_T9_mT8_P12ihipStream_tbDpT10_ENKUlT_T0_E_clISt17integral_constantIbLb0EES19_EEDaS14_S15_EUlS14_E_NS1_11comp_targetILNS1_3genE0ELNS1_11target_archE4294967295ELNS1_3gpuE0ELNS1_3repE0EEENS1_30default_config_static_selectorELNS0_4arch9wavefront6targetE1EEEvT1_.kd
    .uniform_work_group_size: 1
    .uses_dynamic_stack: false
    .vgpr_count:     0
    .vgpr_spill_count: 0
    .wavefront_size: 64
  - .agpr_count:     0
    .args:
      - .offset:         0
        .size:           112
        .value_kind:     by_value
    .group_segment_fixed_size: 0
    .kernarg_segment_align: 8
    .kernarg_segment_size: 112
    .language:       OpenCL C
    .language_version:
      - 2
      - 0
    .max_flat_workgroup_size: 512
    .name:           _ZN7rocprim17ROCPRIM_400000_NS6detail17trampoline_kernelINS0_14default_configENS1_25partition_config_selectorILNS1_17partition_subalgoE8EN3c108BFloat16ENS0_10empty_typeEbEEZZNS1_14partition_implILS5_8ELb0ES3_jPKS7_PS8_PKS8_NS0_5tupleIJPS7_S8_EEENSG_IJSD_SD_EEENS0_18inequality_wrapperIN6hipcub16HIPCUB_304000_NS8EqualityEEEPlJS8_EEE10hipError_tPvRmT3_T4_T5_T6_T7_T9_mT8_P12ihipStream_tbDpT10_ENKUlT_T0_E_clISt17integral_constantIbLb0EES19_EEDaS14_S15_EUlS14_E_NS1_11comp_targetILNS1_3genE5ELNS1_11target_archE942ELNS1_3gpuE9ELNS1_3repE0EEENS1_30default_config_static_selectorELNS0_4arch9wavefront6targetE1EEEvT1_
    .private_segment_fixed_size: 0
    .sgpr_count:     4
    .sgpr_spill_count: 0
    .symbol:         _ZN7rocprim17ROCPRIM_400000_NS6detail17trampoline_kernelINS0_14default_configENS1_25partition_config_selectorILNS1_17partition_subalgoE8EN3c108BFloat16ENS0_10empty_typeEbEEZZNS1_14partition_implILS5_8ELb0ES3_jPKS7_PS8_PKS8_NS0_5tupleIJPS7_S8_EEENSG_IJSD_SD_EEENS0_18inequality_wrapperIN6hipcub16HIPCUB_304000_NS8EqualityEEEPlJS8_EEE10hipError_tPvRmT3_T4_T5_T6_T7_T9_mT8_P12ihipStream_tbDpT10_ENKUlT_T0_E_clISt17integral_constantIbLb0EES19_EEDaS14_S15_EUlS14_E_NS1_11comp_targetILNS1_3genE5ELNS1_11target_archE942ELNS1_3gpuE9ELNS1_3repE0EEENS1_30default_config_static_selectorELNS0_4arch9wavefront6targetE1EEEvT1_.kd
    .uniform_work_group_size: 1
    .uses_dynamic_stack: false
    .vgpr_count:     0
    .vgpr_spill_count: 0
    .wavefront_size: 64
  - .agpr_count:     0
    .args:
      - .offset:         0
        .size:           112
        .value_kind:     by_value
    .group_segment_fixed_size: 11272
    .kernarg_segment_align: 8
    .kernarg_segment_size: 112
    .language:       OpenCL C
    .language_version:
      - 2
      - 0
    .max_flat_workgroup_size: 256
    .name:           _ZN7rocprim17ROCPRIM_400000_NS6detail17trampoline_kernelINS0_14default_configENS1_25partition_config_selectorILNS1_17partition_subalgoE8EN3c108BFloat16ENS0_10empty_typeEbEEZZNS1_14partition_implILS5_8ELb0ES3_jPKS7_PS8_PKS8_NS0_5tupleIJPS7_S8_EEENSG_IJSD_SD_EEENS0_18inequality_wrapperIN6hipcub16HIPCUB_304000_NS8EqualityEEEPlJS8_EEE10hipError_tPvRmT3_T4_T5_T6_T7_T9_mT8_P12ihipStream_tbDpT10_ENKUlT_T0_E_clISt17integral_constantIbLb0EES19_EEDaS14_S15_EUlS14_E_NS1_11comp_targetILNS1_3genE4ELNS1_11target_archE910ELNS1_3gpuE8ELNS1_3repE0EEENS1_30default_config_static_selectorELNS0_4arch9wavefront6targetE1EEEvT1_
    .private_segment_fixed_size: 0
    .sgpr_count:     44
    .sgpr_spill_count: 0
    .symbol:         _ZN7rocprim17ROCPRIM_400000_NS6detail17trampoline_kernelINS0_14default_configENS1_25partition_config_selectorILNS1_17partition_subalgoE8EN3c108BFloat16ENS0_10empty_typeEbEEZZNS1_14partition_implILS5_8ELb0ES3_jPKS7_PS8_PKS8_NS0_5tupleIJPS7_S8_EEENSG_IJSD_SD_EEENS0_18inequality_wrapperIN6hipcub16HIPCUB_304000_NS8EqualityEEEPlJS8_EEE10hipError_tPvRmT3_T4_T5_T6_T7_T9_mT8_P12ihipStream_tbDpT10_ENKUlT_T0_E_clISt17integral_constantIbLb0EES19_EEDaS14_S15_EUlS14_E_NS1_11comp_targetILNS1_3genE4ELNS1_11target_archE910ELNS1_3gpuE8ELNS1_3repE0EEENS1_30default_config_static_selectorELNS0_4arch9wavefront6targetE1EEEvT1_.kd
    .uniform_work_group_size: 1
    .uses_dynamic_stack: false
    .vgpr_count:     84
    .vgpr_spill_count: 0
    .wavefront_size: 64
  - .agpr_count:     0
    .args:
      - .offset:         0
        .size:           112
        .value_kind:     by_value
    .group_segment_fixed_size: 0
    .kernarg_segment_align: 8
    .kernarg_segment_size: 112
    .language:       OpenCL C
    .language_version:
      - 2
      - 0
    .max_flat_workgroup_size: 256
    .name:           _ZN7rocprim17ROCPRIM_400000_NS6detail17trampoline_kernelINS0_14default_configENS1_25partition_config_selectorILNS1_17partition_subalgoE8EN3c108BFloat16ENS0_10empty_typeEbEEZZNS1_14partition_implILS5_8ELb0ES3_jPKS7_PS8_PKS8_NS0_5tupleIJPS7_S8_EEENSG_IJSD_SD_EEENS0_18inequality_wrapperIN6hipcub16HIPCUB_304000_NS8EqualityEEEPlJS8_EEE10hipError_tPvRmT3_T4_T5_T6_T7_T9_mT8_P12ihipStream_tbDpT10_ENKUlT_T0_E_clISt17integral_constantIbLb0EES19_EEDaS14_S15_EUlS14_E_NS1_11comp_targetILNS1_3genE3ELNS1_11target_archE908ELNS1_3gpuE7ELNS1_3repE0EEENS1_30default_config_static_selectorELNS0_4arch9wavefront6targetE1EEEvT1_
    .private_segment_fixed_size: 0
    .sgpr_count:     4
    .sgpr_spill_count: 0
    .symbol:         _ZN7rocprim17ROCPRIM_400000_NS6detail17trampoline_kernelINS0_14default_configENS1_25partition_config_selectorILNS1_17partition_subalgoE8EN3c108BFloat16ENS0_10empty_typeEbEEZZNS1_14partition_implILS5_8ELb0ES3_jPKS7_PS8_PKS8_NS0_5tupleIJPS7_S8_EEENSG_IJSD_SD_EEENS0_18inequality_wrapperIN6hipcub16HIPCUB_304000_NS8EqualityEEEPlJS8_EEE10hipError_tPvRmT3_T4_T5_T6_T7_T9_mT8_P12ihipStream_tbDpT10_ENKUlT_T0_E_clISt17integral_constantIbLb0EES19_EEDaS14_S15_EUlS14_E_NS1_11comp_targetILNS1_3genE3ELNS1_11target_archE908ELNS1_3gpuE7ELNS1_3repE0EEENS1_30default_config_static_selectorELNS0_4arch9wavefront6targetE1EEEvT1_.kd
    .uniform_work_group_size: 1
    .uses_dynamic_stack: false
    .vgpr_count:     0
    .vgpr_spill_count: 0
    .wavefront_size: 64
  - .agpr_count:     0
    .args:
      - .offset:         0
        .size:           112
        .value_kind:     by_value
    .group_segment_fixed_size: 0
    .kernarg_segment_align: 8
    .kernarg_segment_size: 112
    .language:       OpenCL C
    .language_version:
      - 2
      - 0
    .max_flat_workgroup_size: 192
    .name:           _ZN7rocprim17ROCPRIM_400000_NS6detail17trampoline_kernelINS0_14default_configENS1_25partition_config_selectorILNS1_17partition_subalgoE8EN3c108BFloat16ENS0_10empty_typeEbEEZZNS1_14partition_implILS5_8ELb0ES3_jPKS7_PS8_PKS8_NS0_5tupleIJPS7_S8_EEENSG_IJSD_SD_EEENS0_18inequality_wrapperIN6hipcub16HIPCUB_304000_NS8EqualityEEEPlJS8_EEE10hipError_tPvRmT3_T4_T5_T6_T7_T9_mT8_P12ihipStream_tbDpT10_ENKUlT_T0_E_clISt17integral_constantIbLb0EES19_EEDaS14_S15_EUlS14_E_NS1_11comp_targetILNS1_3genE2ELNS1_11target_archE906ELNS1_3gpuE6ELNS1_3repE0EEENS1_30default_config_static_selectorELNS0_4arch9wavefront6targetE1EEEvT1_
    .private_segment_fixed_size: 0
    .sgpr_count:     4
    .sgpr_spill_count: 0
    .symbol:         _ZN7rocprim17ROCPRIM_400000_NS6detail17trampoline_kernelINS0_14default_configENS1_25partition_config_selectorILNS1_17partition_subalgoE8EN3c108BFloat16ENS0_10empty_typeEbEEZZNS1_14partition_implILS5_8ELb0ES3_jPKS7_PS8_PKS8_NS0_5tupleIJPS7_S8_EEENSG_IJSD_SD_EEENS0_18inequality_wrapperIN6hipcub16HIPCUB_304000_NS8EqualityEEEPlJS8_EEE10hipError_tPvRmT3_T4_T5_T6_T7_T9_mT8_P12ihipStream_tbDpT10_ENKUlT_T0_E_clISt17integral_constantIbLb0EES19_EEDaS14_S15_EUlS14_E_NS1_11comp_targetILNS1_3genE2ELNS1_11target_archE906ELNS1_3gpuE6ELNS1_3repE0EEENS1_30default_config_static_selectorELNS0_4arch9wavefront6targetE1EEEvT1_.kd
    .uniform_work_group_size: 1
    .uses_dynamic_stack: false
    .vgpr_count:     0
    .vgpr_spill_count: 0
    .wavefront_size: 64
  - .agpr_count:     0
    .args:
      - .offset:         0
        .size:           112
        .value_kind:     by_value
    .group_segment_fixed_size: 0
    .kernarg_segment_align: 8
    .kernarg_segment_size: 112
    .language:       OpenCL C
    .language_version:
      - 2
      - 0
    .max_flat_workgroup_size: 256
    .name:           _ZN7rocprim17ROCPRIM_400000_NS6detail17trampoline_kernelINS0_14default_configENS1_25partition_config_selectorILNS1_17partition_subalgoE8EN3c108BFloat16ENS0_10empty_typeEbEEZZNS1_14partition_implILS5_8ELb0ES3_jPKS7_PS8_PKS8_NS0_5tupleIJPS7_S8_EEENSG_IJSD_SD_EEENS0_18inequality_wrapperIN6hipcub16HIPCUB_304000_NS8EqualityEEEPlJS8_EEE10hipError_tPvRmT3_T4_T5_T6_T7_T9_mT8_P12ihipStream_tbDpT10_ENKUlT_T0_E_clISt17integral_constantIbLb0EES19_EEDaS14_S15_EUlS14_E_NS1_11comp_targetILNS1_3genE10ELNS1_11target_archE1200ELNS1_3gpuE4ELNS1_3repE0EEENS1_30default_config_static_selectorELNS0_4arch9wavefront6targetE1EEEvT1_
    .private_segment_fixed_size: 0
    .sgpr_count:     4
    .sgpr_spill_count: 0
    .symbol:         _ZN7rocprim17ROCPRIM_400000_NS6detail17trampoline_kernelINS0_14default_configENS1_25partition_config_selectorILNS1_17partition_subalgoE8EN3c108BFloat16ENS0_10empty_typeEbEEZZNS1_14partition_implILS5_8ELb0ES3_jPKS7_PS8_PKS8_NS0_5tupleIJPS7_S8_EEENSG_IJSD_SD_EEENS0_18inequality_wrapperIN6hipcub16HIPCUB_304000_NS8EqualityEEEPlJS8_EEE10hipError_tPvRmT3_T4_T5_T6_T7_T9_mT8_P12ihipStream_tbDpT10_ENKUlT_T0_E_clISt17integral_constantIbLb0EES19_EEDaS14_S15_EUlS14_E_NS1_11comp_targetILNS1_3genE10ELNS1_11target_archE1200ELNS1_3gpuE4ELNS1_3repE0EEENS1_30default_config_static_selectorELNS0_4arch9wavefront6targetE1EEEvT1_.kd
    .uniform_work_group_size: 1
    .uses_dynamic_stack: false
    .vgpr_count:     0
    .vgpr_spill_count: 0
    .wavefront_size: 64
  - .agpr_count:     0
    .args:
      - .offset:         0
        .size:           112
        .value_kind:     by_value
    .group_segment_fixed_size: 0
    .kernarg_segment_align: 8
    .kernarg_segment_size: 112
    .language:       OpenCL C
    .language_version:
      - 2
      - 0
    .max_flat_workgroup_size: 128
    .name:           _ZN7rocprim17ROCPRIM_400000_NS6detail17trampoline_kernelINS0_14default_configENS1_25partition_config_selectorILNS1_17partition_subalgoE8EN3c108BFloat16ENS0_10empty_typeEbEEZZNS1_14partition_implILS5_8ELb0ES3_jPKS7_PS8_PKS8_NS0_5tupleIJPS7_S8_EEENSG_IJSD_SD_EEENS0_18inequality_wrapperIN6hipcub16HIPCUB_304000_NS8EqualityEEEPlJS8_EEE10hipError_tPvRmT3_T4_T5_T6_T7_T9_mT8_P12ihipStream_tbDpT10_ENKUlT_T0_E_clISt17integral_constantIbLb0EES19_EEDaS14_S15_EUlS14_E_NS1_11comp_targetILNS1_3genE9ELNS1_11target_archE1100ELNS1_3gpuE3ELNS1_3repE0EEENS1_30default_config_static_selectorELNS0_4arch9wavefront6targetE1EEEvT1_
    .private_segment_fixed_size: 0
    .sgpr_count:     4
    .sgpr_spill_count: 0
    .symbol:         _ZN7rocprim17ROCPRIM_400000_NS6detail17trampoline_kernelINS0_14default_configENS1_25partition_config_selectorILNS1_17partition_subalgoE8EN3c108BFloat16ENS0_10empty_typeEbEEZZNS1_14partition_implILS5_8ELb0ES3_jPKS7_PS8_PKS8_NS0_5tupleIJPS7_S8_EEENSG_IJSD_SD_EEENS0_18inequality_wrapperIN6hipcub16HIPCUB_304000_NS8EqualityEEEPlJS8_EEE10hipError_tPvRmT3_T4_T5_T6_T7_T9_mT8_P12ihipStream_tbDpT10_ENKUlT_T0_E_clISt17integral_constantIbLb0EES19_EEDaS14_S15_EUlS14_E_NS1_11comp_targetILNS1_3genE9ELNS1_11target_archE1100ELNS1_3gpuE3ELNS1_3repE0EEENS1_30default_config_static_selectorELNS0_4arch9wavefront6targetE1EEEvT1_.kd
    .uniform_work_group_size: 1
    .uses_dynamic_stack: false
    .vgpr_count:     0
    .vgpr_spill_count: 0
    .wavefront_size: 64
  - .agpr_count:     0
    .args:
      - .offset:         0
        .size:           112
        .value_kind:     by_value
    .group_segment_fixed_size: 0
    .kernarg_segment_align: 8
    .kernarg_segment_size: 112
    .language:       OpenCL C
    .language_version:
      - 2
      - 0
    .max_flat_workgroup_size: 384
    .name:           _ZN7rocprim17ROCPRIM_400000_NS6detail17trampoline_kernelINS0_14default_configENS1_25partition_config_selectorILNS1_17partition_subalgoE8EN3c108BFloat16ENS0_10empty_typeEbEEZZNS1_14partition_implILS5_8ELb0ES3_jPKS7_PS8_PKS8_NS0_5tupleIJPS7_S8_EEENSG_IJSD_SD_EEENS0_18inequality_wrapperIN6hipcub16HIPCUB_304000_NS8EqualityEEEPlJS8_EEE10hipError_tPvRmT3_T4_T5_T6_T7_T9_mT8_P12ihipStream_tbDpT10_ENKUlT_T0_E_clISt17integral_constantIbLb0EES19_EEDaS14_S15_EUlS14_E_NS1_11comp_targetILNS1_3genE8ELNS1_11target_archE1030ELNS1_3gpuE2ELNS1_3repE0EEENS1_30default_config_static_selectorELNS0_4arch9wavefront6targetE1EEEvT1_
    .private_segment_fixed_size: 0
    .sgpr_count:     4
    .sgpr_spill_count: 0
    .symbol:         _ZN7rocprim17ROCPRIM_400000_NS6detail17trampoline_kernelINS0_14default_configENS1_25partition_config_selectorILNS1_17partition_subalgoE8EN3c108BFloat16ENS0_10empty_typeEbEEZZNS1_14partition_implILS5_8ELb0ES3_jPKS7_PS8_PKS8_NS0_5tupleIJPS7_S8_EEENSG_IJSD_SD_EEENS0_18inequality_wrapperIN6hipcub16HIPCUB_304000_NS8EqualityEEEPlJS8_EEE10hipError_tPvRmT3_T4_T5_T6_T7_T9_mT8_P12ihipStream_tbDpT10_ENKUlT_T0_E_clISt17integral_constantIbLb0EES19_EEDaS14_S15_EUlS14_E_NS1_11comp_targetILNS1_3genE8ELNS1_11target_archE1030ELNS1_3gpuE2ELNS1_3repE0EEENS1_30default_config_static_selectorELNS0_4arch9wavefront6targetE1EEEvT1_.kd
    .uniform_work_group_size: 1
    .uses_dynamic_stack: false
    .vgpr_count:     0
    .vgpr_spill_count: 0
    .wavefront_size: 64
  - .agpr_count:     0
    .args:
      - .offset:         0
        .size:           128
        .value_kind:     by_value
    .group_segment_fixed_size: 0
    .kernarg_segment_align: 8
    .kernarg_segment_size: 128
    .language:       OpenCL C
    .language_version:
      - 2
      - 0
    .max_flat_workgroup_size: 256
    .name:           _ZN7rocprim17ROCPRIM_400000_NS6detail17trampoline_kernelINS0_14default_configENS1_25partition_config_selectorILNS1_17partition_subalgoE8EN3c108BFloat16ENS0_10empty_typeEbEEZZNS1_14partition_implILS5_8ELb0ES3_jPKS7_PS8_PKS8_NS0_5tupleIJPS7_S8_EEENSG_IJSD_SD_EEENS0_18inequality_wrapperIN6hipcub16HIPCUB_304000_NS8EqualityEEEPlJS8_EEE10hipError_tPvRmT3_T4_T5_T6_T7_T9_mT8_P12ihipStream_tbDpT10_ENKUlT_T0_E_clISt17integral_constantIbLb1EES19_EEDaS14_S15_EUlS14_E_NS1_11comp_targetILNS1_3genE0ELNS1_11target_archE4294967295ELNS1_3gpuE0ELNS1_3repE0EEENS1_30default_config_static_selectorELNS0_4arch9wavefront6targetE1EEEvT1_
    .private_segment_fixed_size: 0
    .sgpr_count:     4
    .sgpr_spill_count: 0
    .symbol:         _ZN7rocprim17ROCPRIM_400000_NS6detail17trampoline_kernelINS0_14default_configENS1_25partition_config_selectorILNS1_17partition_subalgoE8EN3c108BFloat16ENS0_10empty_typeEbEEZZNS1_14partition_implILS5_8ELb0ES3_jPKS7_PS8_PKS8_NS0_5tupleIJPS7_S8_EEENSG_IJSD_SD_EEENS0_18inequality_wrapperIN6hipcub16HIPCUB_304000_NS8EqualityEEEPlJS8_EEE10hipError_tPvRmT3_T4_T5_T6_T7_T9_mT8_P12ihipStream_tbDpT10_ENKUlT_T0_E_clISt17integral_constantIbLb1EES19_EEDaS14_S15_EUlS14_E_NS1_11comp_targetILNS1_3genE0ELNS1_11target_archE4294967295ELNS1_3gpuE0ELNS1_3repE0EEENS1_30default_config_static_selectorELNS0_4arch9wavefront6targetE1EEEvT1_.kd
    .uniform_work_group_size: 1
    .uses_dynamic_stack: false
    .vgpr_count:     0
    .vgpr_spill_count: 0
    .wavefront_size: 64
  - .agpr_count:     0
    .args:
      - .offset:         0
        .size:           128
        .value_kind:     by_value
    .group_segment_fixed_size: 0
    .kernarg_segment_align: 8
    .kernarg_segment_size: 128
    .language:       OpenCL C
    .language_version:
      - 2
      - 0
    .max_flat_workgroup_size: 512
    .name:           _ZN7rocprim17ROCPRIM_400000_NS6detail17trampoline_kernelINS0_14default_configENS1_25partition_config_selectorILNS1_17partition_subalgoE8EN3c108BFloat16ENS0_10empty_typeEbEEZZNS1_14partition_implILS5_8ELb0ES3_jPKS7_PS8_PKS8_NS0_5tupleIJPS7_S8_EEENSG_IJSD_SD_EEENS0_18inequality_wrapperIN6hipcub16HIPCUB_304000_NS8EqualityEEEPlJS8_EEE10hipError_tPvRmT3_T4_T5_T6_T7_T9_mT8_P12ihipStream_tbDpT10_ENKUlT_T0_E_clISt17integral_constantIbLb1EES19_EEDaS14_S15_EUlS14_E_NS1_11comp_targetILNS1_3genE5ELNS1_11target_archE942ELNS1_3gpuE9ELNS1_3repE0EEENS1_30default_config_static_selectorELNS0_4arch9wavefront6targetE1EEEvT1_
    .private_segment_fixed_size: 0
    .sgpr_count:     4
    .sgpr_spill_count: 0
    .symbol:         _ZN7rocprim17ROCPRIM_400000_NS6detail17trampoline_kernelINS0_14default_configENS1_25partition_config_selectorILNS1_17partition_subalgoE8EN3c108BFloat16ENS0_10empty_typeEbEEZZNS1_14partition_implILS5_8ELb0ES3_jPKS7_PS8_PKS8_NS0_5tupleIJPS7_S8_EEENSG_IJSD_SD_EEENS0_18inequality_wrapperIN6hipcub16HIPCUB_304000_NS8EqualityEEEPlJS8_EEE10hipError_tPvRmT3_T4_T5_T6_T7_T9_mT8_P12ihipStream_tbDpT10_ENKUlT_T0_E_clISt17integral_constantIbLb1EES19_EEDaS14_S15_EUlS14_E_NS1_11comp_targetILNS1_3genE5ELNS1_11target_archE942ELNS1_3gpuE9ELNS1_3repE0EEENS1_30default_config_static_selectorELNS0_4arch9wavefront6targetE1EEEvT1_.kd
    .uniform_work_group_size: 1
    .uses_dynamic_stack: false
    .vgpr_count:     0
    .vgpr_spill_count: 0
    .wavefront_size: 64
  - .agpr_count:     0
    .args:
      - .offset:         0
        .size:           128
        .value_kind:     by_value
    .group_segment_fixed_size: 11272
    .kernarg_segment_align: 8
    .kernarg_segment_size: 128
    .language:       OpenCL C
    .language_version:
      - 2
      - 0
    .max_flat_workgroup_size: 256
    .name:           _ZN7rocprim17ROCPRIM_400000_NS6detail17trampoline_kernelINS0_14default_configENS1_25partition_config_selectorILNS1_17partition_subalgoE8EN3c108BFloat16ENS0_10empty_typeEbEEZZNS1_14partition_implILS5_8ELb0ES3_jPKS7_PS8_PKS8_NS0_5tupleIJPS7_S8_EEENSG_IJSD_SD_EEENS0_18inequality_wrapperIN6hipcub16HIPCUB_304000_NS8EqualityEEEPlJS8_EEE10hipError_tPvRmT3_T4_T5_T6_T7_T9_mT8_P12ihipStream_tbDpT10_ENKUlT_T0_E_clISt17integral_constantIbLb1EES19_EEDaS14_S15_EUlS14_E_NS1_11comp_targetILNS1_3genE4ELNS1_11target_archE910ELNS1_3gpuE8ELNS1_3repE0EEENS1_30default_config_static_selectorELNS0_4arch9wavefront6targetE1EEEvT1_
    .private_segment_fixed_size: 0
    .sgpr_count:     44
    .sgpr_spill_count: 0
    .symbol:         _ZN7rocprim17ROCPRIM_400000_NS6detail17trampoline_kernelINS0_14default_configENS1_25partition_config_selectorILNS1_17partition_subalgoE8EN3c108BFloat16ENS0_10empty_typeEbEEZZNS1_14partition_implILS5_8ELb0ES3_jPKS7_PS8_PKS8_NS0_5tupleIJPS7_S8_EEENSG_IJSD_SD_EEENS0_18inequality_wrapperIN6hipcub16HIPCUB_304000_NS8EqualityEEEPlJS8_EEE10hipError_tPvRmT3_T4_T5_T6_T7_T9_mT8_P12ihipStream_tbDpT10_ENKUlT_T0_E_clISt17integral_constantIbLb1EES19_EEDaS14_S15_EUlS14_E_NS1_11comp_targetILNS1_3genE4ELNS1_11target_archE910ELNS1_3gpuE8ELNS1_3repE0EEENS1_30default_config_static_selectorELNS0_4arch9wavefront6targetE1EEEvT1_.kd
    .uniform_work_group_size: 1
    .uses_dynamic_stack: false
    .vgpr_count:     86
    .vgpr_spill_count: 0
    .wavefront_size: 64
  - .agpr_count:     0
    .args:
      - .offset:         0
        .size:           128
        .value_kind:     by_value
    .group_segment_fixed_size: 0
    .kernarg_segment_align: 8
    .kernarg_segment_size: 128
    .language:       OpenCL C
    .language_version:
      - 2
      - 0
    .max_flat_workgroup_size: 256
    .name:           _ZN7rocprim17ROCPRIM_400000_NS6detail17trampoline_kernelINS0_14default_configENS1_25partition_config_selectorILNS1_17partition_subalgoE8EN3c108BFloat16ENS0_10empty_typeEbEEZZNS1_14partition_implILS5_8ELb0ES3_jPKS7_PS8_PKS8_NS0_5tupleIJPS7_S8_EEENSG_IJSD_SD_EEENS0_18inequality_wrapperIN6hipcub16HIPCUB_304000_NS8EqualityEEEPlJS8_EEE10hipError_tPvRmT3_T4_T5_T6_T7_T9_mT8_P12ihipStream_tbDpT10_ENKUlT_T0_E_clISt17integral_constantIbLb1EES19_EEDaS14_S15_EUlS14_E_NS1_11comp_targetILNS1_3genE3ELNS1_11target_archE908ELNS1_3gpuE7ELNS1_3repE0EEENS1_30default_config_static_selectorELNS0_4arch9wavefront6targetE1EEEvT1_
    .private_segment_fixed_size: 0
    .sgpr_count:     4
    .sgpr_spill_count: 0
    .symbol:         _ZN7rocprim17ROCPRIM_400000_NS6detail17trampoline_kernelINS0_14default_configENS1_25partition_config_selectorILNS1_17partition_subalgoE8EN3c108BFloat16ENS0_10empty_typeEbEEZZNS1_14partition_implILS5_8ELb0ES3_jPKS7_PS8_PKS8_NS0_5tupleIJPS7_S8_EEENSG_IJSD_SD_EEENS0_18inequality_wrapperIN6hipcub16HIPCUB_304000_NS8EqualityEEEPlJS8_EEE10hipError_tPvRmT3_T4_T5_T6_T7_T9_mT8_P12ihipStream_tbDpT10_ENKUlT_T0_E_clISt17integral_constantIbLb1EES19_EEDaS14_S15_EUlS14_E_NS1_11comp_targetILNS1_3genE3ELNS1_11target_archE908ELNS1_3gpuE7ELNS1_3repE0EEENS1_30default_config_static_selectorELNS0_4arch9wavefront6targetE1EEEvT1_.kd
    .uniform_work_group_size: 1
    .uses_dynamic_stack: false
    .vgpr_count:     0
    .vgpr_spill_count: 0
    .wavefront_size: 64
  - .agpr_count:     0
    .args:
      - .offset:         0
        .size:           128
        .value_kind:     by_value
    .group_segment_fixed_size: 0
    .kernarg_segment_align: 8
    .kernarg_segment_size: 128
    .language:       OpenCL C
    .language_version:
      - 2
      - 0
    .max_flat_workgroup_size: 192
    .name:           _ZN7rocprim17ROCPRIM_400000_NS6detail17trampoline_kernelINS0_14default_configENS1_25partition_config_selectorILNS1_17partition_subalgoE8EN3c108BFloat16ENS0_10empty_typeEbEEZZNS1_14partition_implILS5_8ELb0ES3_jPKS7_PS8_PKS8_NS0_5tupleIJPS7_S8_EEENSG_IJSD_SD_EEENS0_18inequality_wrapperIN6hipcub16HIPCUB_304000_NS8EqualityEEEPlJS8_EEE10hipError_tPvRmT3_T4_T5_T6_T7_T9_mT8_P12ihipStream_tbDpT10_ENKUlT_T0_E_clISt17integral_constantIbLb1EES19_EEDaS14_S15_EUlS14_E_NS1_11comp_targetILNS1_3genE2ELNS1_11target_archE906ELNS1_3gpuE6ELNS1_3repE0EEENS1_30default_config_static_selectorELNS0_4arch9wavefront6targetE1EEEvT1_
    .private_segment_fixed_size: 0
    .sgpr_count:     4
    .sgpr_spill_count: 0
    .symbol:         _ZN7rocprim17ROCPRIM_400000_NS6detail17trampoline_kernelINS0_14default_configENS1_25partition_config_selectorILNS1_17partition_subalgoE8EN3c108BFloat16ENS0_10empty_typeEbEEZZNS1_14partition_implILS5_8ELb0ES3_jPKS7_PS8_PKS8_NS0_5tupleIJPS7_S8_EEENSG_IJSD_SD_EEENS0_18inequality_wrapperIN6hipcub16HIPCUB_304000_NS8EqualityEEEPlJS8_EEE10hipError_tPvRmT3_T4_T5_T6_T7_T9_mT8_P12ihipStream_tbDpT10_ENKUlT_T0_E_clISt17integral_constantIbLb1EES19_EEDaS14_S15_EUlS14_E_NS1_11comp_targetILNS1_3genE2ELNS1_11target_archE906ELNS1_3gpuE6ELNS1_3repE0EEENS1_30default_config_static_selectorELNS0_4arch9wavefront6targetE1EEEvT1_.kd
    .uniform_work_group_size: 1
    .uses_dynamic_stack: false
    .vgpr_count:     0
    .vgpr_spill_count: 0
    .wavefront_size: 64
  - .agpr_count:     0
    .args:
      - .offset:         0
        .size:           128
        .value_kind:     by_value
    .group_segment_fixed_size: 0
    .kernarg_segment_align: 8
    .kernarg_segment_size: 128
    .language:       OpenCL C
    .language_version:
      - 2
      - 0
    .max_flat_workgroup_size: 256
    .name:           _ZN7rocprim17ROCPRIM_400000_NS6detail17trampoline_kernelINS0_14default_configENS1_25partition_config_selectorILNS1_17partition_subalgoE8EN3c108BFloat16ENS0_10empty_typeEbEEZZNS1_14partition_implILS5_8ELb0ES3_jPKS7_PS8_PKS8_NS0_5tupleIJPS7_S8_EEENSG_IJSD_SD_EEENS0_18inequality_wrapperIN6hipcub16HIPCUB_304000_NS8EqualityEEEPlJS8_EEE10hipError_tPvRmT3_T4_T5_T6_T7_T9_mT8_P12ihipStream_tbDpT10_ENKUlT_T0_E_clISt17integral_constantIbLb1EES19_EEDaS14_S15_EUlS14_E_NS1_11comp_targetILNS1_3genE10ELNS1_11target_archE1200ELNS1_3gpuE4ELNS1_3repE0EEENS1_30default_config_static_selectorELNS0_4arch9wavefront6targetE1EEEvT1_
    .private_segment_fixed_size: 0
    .sgpr_count:     4
    .sgpr_spill_count: 0
    .symbol:         _ZN7rocprim17ROCPRIM_400000_NS6detail17trampoline_kernelINS0_14default_configENS1_25partition_config_selectorILNS1_17partition_subalgoE8EN3c108BFloat16ENS0_10empty_typeEbEEZZNS1_14partition_implILS5_8ELb0ES3_jPKS7_PS8_PKS8_NS0_5tupleIJPS7_S8_EEENSG_IJSD_SD_EEENS0_18inequality_wrapperIN6hipcub16HIPCUB_304000_NS8EqualityEEEPlJS8_EEE10hipError_tPvRmT3_T4_T5_T6_T7_T9_mT8_P12ihipStream_tbDpT10_ENKUlT_T0_E_clISt17integral_constantIbLb1EES19_EEDaS14_S15_EUlS14_E_NS1_11comp_targetILNS1_3genE10ELNS1_11target_archE1200ELNS1_3gpuE4ELNS1_3repE0EEENS1_30default_config_static_selectorELNS0_4arch9wavefront6targetE1EEEvT1_.kd
    .uniform_work_group_size: 1
    .uses_dynamic_stack: false
    .vgpr_count:     0
    .vgpr_spill_count: 0
    .wavefront_size: 64
  - .agpr_count:     0
    .args:
      - .offset:         0
        .size:           128
        .value_kind:     by_value
    .group_segment_fixed_size: 0
    .kernarg_segment_align: 8
    .kernarg_segment_size: 128
    .language:       OpenCL C
    .language_version:
      - 2
      - 0
    .max_flat_workgroup_size: 128
    .name:           _ZN7rocprim17ROCPRIM_400000_NS6detail17trampoline_kernelINS0_14default_configENS1_25partition_config_selectorILNS1_17partition_subalgoE8EN3c108BFloat16ENS0_10empty_typeEbEEZZNS1_14partition_implILS5_8ELb0ES3_jPKS7_PS8_PKS8_NS0_5tupleIJPS7_S8_EEENSG_IJSD_SD_EEENS0_18inequality_wrapperIN6hipcub16HIPCUB_304000_NS8EqualityEEEPlJS8_EEE10hipError_tPvRmT3_T4_T5_T6_T7_T9_mT8_P12ihipStream_tbDpT10_ENKUlT_T0_E_clISt17integral_constantIbLb1EES19_EEDaS14_S15_EUlS14_E_NS1_11comp_targetILNS1_3genE9ELNS1_11target_archE1100ELNS1_3gpuE3ELNS1_3repE0EEENS1_30default_config_static_selectorELNS0_4arch9wavefront6targetE1EEEvT1_
    .private_segment_fixed_size: 0
    .sgpr_count:     4
    .sgpr_spill_count: 0
    .symbol:         _ZN7rocprim17ROCPRIM_400000_NS6detail17trampoline_kernelINS0_14default_configENS1_25partition_config_selectorILNS1_17partition_subalgoE8EN3c108BFloat16ENS0_10empty_typeEbEEZZNS1_14partition_implILS5_8ELb0ES3_jPKS7_PS8_PKS8_NS0_5tupleIJPS7_S8_EEENSG_IJSD_SD_EEENS0_18inequality_wrapperIN6hipcub16HIPCUB_304000_NS8EqualityEEEPlJS8_EEE10hipError_tPvRmT3_T4_T5_T6_T7_T9_mT8_P12ihipStream_tbDpT10_ENKUlT_T0_E_clISt17integral_constantIbLb1EES19_EEDaS14_S15_EUlS14_E_NS1_11comp_targetILNS1_3genE9ELNS1_11target_archE1100ELNS1_3gpuE3ELNS1_3repE0EEENS1_30default_config_static_selectorELNS0_4arch9wavefront6targetE1EEEvT1_.kd
    .uniform_work_group_size: 1
    .uses_dynamic_stack: false
    .vgpr_count:     0
    .vgpr_spill_count: 0
    .wavefront_size: 64
  - .agpr_count:     0
    .args:
      - .offset:         0
        .size:           128
        .value_kind:     by_value
    .group_segment_fixed_size: 0
    .kernarg_segment_align: 8
    .kernarg_segment_size: 128
    .language:       OpenCL C
    .language_version:
      - 2
      - 0
    .max_flat_workgroup_size: 384
    .name:           _ZN7rocprim17ROCPRIM_400000_NS6detail17trampoline_kernelINS0_14default_configENS1_25partition_config_selectorILNS1_17partition_subalgoE8EN3c108BFloat16ENS0_10empty_typeEbEEZZNS1_14partition_implILS5_8ELb0ES3_jPKS7_PS8_PKS8_NS0_5tupleIJPS7_S8_EEENSG_IJSD_SD_EEENS0_18inequality_wrapperIN6hipcub16HIPCUB_304000_NS8EqualityEEEPlJS8_EEE10hipError_tPvRmT3_T4_T5_T6_T7_T9_mT8_P12ihipStream_tbDpT10_ENKUlT_T0_E_clISt17integral_constantIbLb1EES19_EEDaS14_S15_EUlS14_E_NS1_11comp_targetILNS1_3genE8ELNS1_11target_archE1030ELNS1_3gpuE2ELNS1_3repE0EEENS1_30default_config_static_selectorELNS0_4arch9wavefront6targetE1EEEvT1_
    .private_segment_fixed_size: 0
    .sgpr_count:     4
    .sgpr_spill_count: 0
    .symbol:         _ZN7rocprim17ROCPRIM_400000_NS6detail17trampoline_kernelINS0_14default_configENS1_25partition_config_selectorILNS1_17partition_subalgoE8EN3c108BFloat16ENS0_10empty_typeEbEEZZNS1_14partition_implILS5_8ELb0ES3_jPKS7_PS8_PKS8_NS0_5tupleIJPS7_S8_EEENSG_IJSD_SD_EEENS0_18inequality_wrapperIN6hipcub16HIPCUB_304000_NS8EqualityEEEPlJS8_EEE10hipError_tPvRmT3_T4_T5_T6_T7_T9_mT8_P12ihipStream_tbDpT10_ENKUlT_T0_E_clISt17integral_constantIbLb1EES19_EEDaS14_S15_EUlS14_E_NS1_11comp_targetILNS1_3genE8ELNS1_11target_archE1030ELNS1_3gpuE2ELNS1_3repE0EEENS1_30default_config_static_selectorELNS0_4arch9wavefront6targetE1EEEvT1_.kd
    .uniform_work_group_size: 1
    .uses_dynamic_stack: false
    .vgpr_count:     0
    .vgpr_spill_count: 0
    .wavefront_size: 64
  - .agpr_count:     0
    .args:
      - .offset:         0
        .size:           112
        .value_kind:     by_value
    .group_segment_fixed_size: 0
    .kernarg_segment_align: 8
    .kernarg_segment_size: 112
    .language:       OpenCL C
    .language_version:
      - 2
      - 0
    .max_flat_workgroup_size: 256
    .name:           _ZN7rocprim17ROCPRIM_400000_NS6detail17trampoline_kernelINS0_14default_configENS1_25partition_config_selectorILNS1_17partition_subalgoE8EN3c108BFloat16ENS0_10empty_typeEbEEZZNS1_14partition_implILS5_8ELb0ES3_jPKS7_PS8_PKS8_NS0_5tupleIJPS7_S8_EEENSG_IJSD_SD_EEENS0_18inequality_wrapperIN6hipcub16HIPCUB_304000_NS8EqualityEEEPlJS8_EEE10hipError_tPvRmT3_T4_T5_T6_T7_T9_mT8_P12ihipStream_tbDpT10_ENKUlT_T0_E_clISt17integral_constantIbLb1EES18_IbLb0EEEEDaS14_S15_EUlS14_E_NS1_11comp_targetILNS1_3genE0ELNS1_11target_archE4294967295ELNS1_3gpuE0ELNS1_3repE0EEENS1_30default_config_static_selectorELNS0_4arch9wavefront6targetE1EEEvT1_
    .private_segment_fixed_size: 0
    .sgpr_count:     4
    .sgpr_spill_count: 0
    .symbol:         _ZN7rocprim17ROCPRIM_400000_NS6detail17trampoline_kernelINS0_14default_configENS1_25partition_config_selectorILNS1_17partition_subalgoE8EN3c108BFloat16ENS0_10empty_typeEbEEZZNS1_14partition_implILS5_8ELb0ES3_jPKS7_PS8_PKS8_NS0_5tupleIJPS7_S8_EEENSG_IJSD_SD_EEENS0_18inequality_wrapperIN6hipcub16HIPCUB_304000_NS8EqualityEEEPlJS8_EEE10hipError_tPvRmT3_T4_T5_T6_T7_T9_mT8_P12ihipStream_tbDpT10_ENKUlT_T0_E_clISt17integral_constantIbLb1EES18_IbLb0EEEEDaS14_S15_EUlS14_E_NS1_11comp_targetILNS1_3genE0ELNS1_11target_archE4294967295ELNS1_3gpuE0ELNS1_3repE0EEENS1_30default_config_static_selectorELNS0_4arch9wavefront6targetE1EEEvT1_.kd
    .uniform_work_group_size: 1
    .uses_dynamic_stack: false
    .vgpr_count:     0
    .vgpr_spill_count: 0
    .wavefront_size: 64
  - .agpr_count:     0
    .args:
      - .offset:         0
        .size:           112
        .value_kind:     by_value
    .group_segment_fixed_size: 0
    .kernarg_segment_align: 8
    .kernarg_segment_size: 112
    .language:       OpenCL C
    .language_version:
      - 2
      - 0
    .max_flat_workgroup_size: 512
    .name:           _ZN7rocprim17ROCPRIM_400000_NS6detail17trampoline_kernelINS0_14default_configENS1_25partition_config_selectorILNS1_17partition_subalgoE8EN3c108BFloat16ENS0_10empty_typeEbEEZZNS1_14partition_implILS5_8ELb0ES3_jPKS7_PS8_PKS8_NS0_5tupleIJPS7_S8_EEENSG_IJSD_SD_EEENS0_18inequality_wrapperIN6hipcub16HIPCUB_304000_NS8EqualityEEEPlJS8_EEE10hipError_tPvRmT3_T4_T5_T6_T7_T9_mT8_P12ihipStream_tbDpT10_ENKUlT_T0_E_clISt17integral_constantIbLb1EES18_IbLb0EEEEDaS14_S15_EUlS14_E_NS1_11comp_targetILNS1_3genE5ELNS1_11target_archE942ELNS1_3gpuE9ELNS1_3repE0EEENS1_30default_config_static_selectorELNS0_4arch9wavefront6targetE1EEEvT1_
    .private_segment_fixed_size: 0
    .sgpr_count:     4
    .sgpr_spill_count: 0
    .symbol:         _ZN7rocprim17ROCPRIM_400000_NS6detail17trampoline_kernelINS0_14default_configENS1_25partition_config_selectorILNS1_17partition_subalgoE8EN3c108BFloat16ENS0_10empty_typeEbEEZZNS1_14partition_implILS5_8ELb0ES3_jPKS7_PS8_PKS8_NS0_5tupleIJPS7_S8_EEENSG_IJSD_SD_EEENS0_18inequality_wrapperIN6hipcub16HIPCUB_304000_NS8EqualityEEEPlJS8_EEE10hipError_tPvRmT3_T4_T5_T6_T7_T9_mT8_P12ihipStream_tbDpT10_ENKUlT_T0_E_clISt17integral_constantIbLb1EES18_IbLb0EEEEDaS14_S15_EUlS14_E_NS1_11comp_targetILNS1_3genE5ELNS1_11target_archE942ELNS1_3gpuE9ELNS1_3repE0EEENS1_30default_config_static_selectorELNS0_4arch9wavefront6targetE1EEEvT1_.kd
    .uniform_work_group_size: 1
    .uses_dynamic_stack: false
    .vgpr_count:     0
    .vgpr_spill_count: 0
    .wavefront_size: 64
  - .agpr_count:     0
    .args:
      - .offset:         0
        .size:           112
        .value_kind:     by_value
    .group_segment_fixed_size: 11272
    .kernarg_segment_align: 8
    .kernarg_segment_size: 112
    .language:       OpenCL C
    .language_version:
      - 2
      - 0
    .max_flat_workgroup_size: 256
    .name:           _ZN7rocprim17ROCPRIM_400000_NS6detail17trampoline_kernelINS0_14default_configENS1_25partition_config_selectorILNS1_17partition_subalgoE8EN3c108BFloat16ENS0_10empty_typeEbEEZZNS1_14partition_implILS5_8ELb0ES3_jPKS7_PS8_PKS8_NS0_5tupleIJPS7_S8_EEENSG_IJSD_SD_EEENS0_18inequality_wrapperIN6hipcub16HIPCUB_304000_NS8EqualityEEEPlJS8_EEE10hipError_tPvRmT3_T4_T5_T6_T7_T9_mT8_P12ihipStream_tbDpT10_ENKUlT_T0_E_clISt17integral_constantIbLb1EES18_IbLb0EEEEDaS14_S15_EUlS14_E_NS1_11comp_targetILNS1_3genE4ELNS1_11target_archE910ELNS1_3gpuE8ELNS1_3repE0EEENS1_30default_config_static_selectorELNS0_4arch9wavefront6targetE1EEEvT1_
    .private_segment_fixed_size: 0
    .sgpr_count:     44
    .sgpr_spill_count: 0
    .symbol:         _ZN7rocprim17ROCPRIM_400000_NS6detail17trampoline_kernelINS0_14default_configENS1_25partition_config_selectorILNS1_17partition_subalgoE8EN3c108BFloat16ENS0_10empty_typeEbEEZZNS1_14partition_implILS5_8ELb0ES3_jPKS7_PS8_PKS8_NS0_5tupleIJPS7_S8_EEENSG_IJSD_SD_EEENS0_18inequality_wrapperIN6hipcub16HIPCUB_304000_NS8EqualityEEEPlJS8_EEE10hipError_tPvRmT3_T4_T5_T6_T7_T9_mT8_P12ihipStream_tbDpT10_ENKUlT_T0_E_clISt17integral_constantIbLb1EES18_IbLb0EEEEDaS14_S15_EUlS14_E_NS1_11comp_targetILNS1_3genE4ELNS1_11target_archE910ELNS1_3gpuE8ELNS1_3repE0EEENS1_30default_config_static_selectorELNS0_4arch9wavefront6targetE1EEEvT1_.kd
    .uniform_work_group_size: 1
    .uses_dynamic_stack: false
    .vgpr_count:     84
    .vgpr_spill_count: 0
    .wavefront_size: 64
  - .agpr_count:     0
    .args:
      - .offset:         0
        .size:           112
        .value_kind:     by_value
    .group_segment_fixed_size: 0
    .kernarg_segment_align: 8
    .kernarg_segment_size: 112
    .language:       OpenCL C
    .language_version:
      - 2
      - 0
    .max_flat_workgroup_size: 256
    .name:           _ZN7rocprim17ROCPRIM_400000_NS6detail17trampoline_kernelINS0_14default_configENS1_25partition_config_selectorILNS1_17partition_subalgoE8EN3c108BFloat16ENS0_10empty_typeEbEEZZNS1_14partition_implILS5_8ELb0ES3_jPKS7_PS8_PKS8_NS0_5tupleIJPS7_S8_EEENSG_IJSD_SD_EEENS0_18inequality_wrapperIN6hipcub16HIPCUB_304000_NS8EqualityEEEPlJS8_EEE10hipError_tPvRmT3_T4_T5_T6_T7_T9_mT8_P12ihipStream_tbDpT10_ENKUlT_T0_E_clISt17integral_constantIbLb1EES18_IbLb0EEEEDaS14_S15_EUlS14_E_NS1_11comp_targetILNS1_3genE3ELNS1_11target_archE908ELNS1_3gpuE7ELNS1_3repE0EEENS1_30default_config_static_selectorELNS0_4arch9wavefront6targetE1EEEvT1_
    .private_segment_fixed_size: 0
    .sgpr_count:     4
    .sgpr_spill_count: 0
    .symbol:         _ZN7rocprim17ROCPRIM_400000_NS6detail17trampoline_kernelINS0_14default_configENS1_25partition_config_selectorILNS1_17partition_subalgoE8EN3c108BFloat16ENS0_10empty_typeEbEEZZNS1_14partition_implILS5_8ELb0ES3_jPKS7_PS8_PKS8_NS0_5tupleIJPS7_S8_EEENSG_IJSD_SD_EEENS0_18inequality_wrapperIN6hipcub16HIPCUB_304000_NS8EqualityEEEPlJS8_EEE10hipError_tPvRmT3_T4_T5_T6_T7_T9_mT8_P12ihipStream_tbDpT10_ENKUlT_T0_E_clISt17integral_constantIbLb1EES18_IbLb0EEEEDaS14_S15_EUlS14_E_NS1_11comp_targetILNS1_3genE3ELNS1_11target_archE908ELNS1_3gpuE7ELNS1_3repE0EEENS1_30default_config_static_selectorELNS0_4arch9wavefront6targetE1EEEvT1_.kd
    .uniform_work_group_size: 1
    .uses_dynamic_stack: false
    .vgpr_count:     0
    .vgpr_spill_count: 0
    .wavefront_size: 64
  - .agpr_count:     0
    .args:
      - .offset:         0
        .size:           112
        .value_kind:     by_value
    .group_segment_fixed_size: 0
    .kernarg_segment_align: 8
    .kernarg_segment_size: 112
    .language:       OpenCL C
    .language_version:
      - 2
      - 0
    .max_flat_workgroup_size: 192
    .name:           _ZN7rocprim17ROCPRIM_400000_NS6detail17trampoline_kernelINS0_14default_configENS1_25partition_config_selectorILNS1_17partition_subalgoE8EN3c108BFloat16ENS0_10empty_typeEbEEZZNS1_14partition_implILS5_8ELb0ES3_jPKS7_PS8_PKS8_NS0_5tupleIJPS7_S8_EEENSG_IJSD_SD_EEENS0_18inequality_wrapperIN6hipcub16HIPCUB_304000_NS8EqualityEEEPlJS8_EEE10hipError_tPvRmT3_T4_T5_T6_T7_T9_mT8_P12ihipStream_tbDpT10_ENKUlT_T0_E_clISt17integral_constantIbLb1EES18_IbLb0EEEEDaS14_S15_EUlS14_E_NS1_11comp_targetILNS1_3genE2ELNS1_11target_archE906ELNS1_3gpuE6ELNS1_3repE0EEENS1_30default_config_static_selectorELNS0_4arch9wavefront6targetE1EEEvT1_
    .private_segment_fixed_size: 0
    .sgpr_count:     4
    .sgpr_spill_count: 0
    .symbol:         _ZN7rocprim17ROCPRIM_400000_NS6detail17trampoline_kernelINS0_14default_configENS1_25partition_config_selectorILNS1_17partition_subalgoE8EN3c108BFloat16ENS0_10empty_typeEbEEZZNS1_14partition_implILS5_8ELb0ES3_jPKS7_PS8_PKS8_NS0_5tupleIJPS7_S8_EEENSG_IJSD_SD_EEENS0_18inequality_wrapperIN6hipcub16HIPCUB_304000_NS8EqualityEEEPlJS8_EEE10hipError_tPvRmT3_T4_T5_T6_T7_T9_mT8_P12ihipStream_tbDpT10_ENKUlT_T0_E_clISt17integral_constantIbLb1EES18_IbLb0EEEEDaS14_S15_EUlS14_E_NS1_11comp_targetILNS1_3genE2ELNS1_11target_archE906ELNS1_3gpuE6ELNS1_3repE0EEENS1_30default_config_static_selectorELNS0_4arch9wavefront6targetE1EEEvT1_.kd
    .uniform_work_group_size: 1
    .uses_dynamic_stack: false
    .vgpr_count:     0
    .vgpr_spill_count: 0
    .wavefront_size: 64
  - .agpr_count:     0
    .args:
      - .offset:         0
        .size:           112
        .value_kind:     by_value
    .group_segment_fixed_size: 0
    .kernarg_segment_align: 8
    .kernarg_segment_size: 112
    .language:       OpenCL C
    .language_version:
      - 2
      - 0
    .max_flat_workgroup_size: 256
    .name:           _ZN7rocprim17ROCPRIM_400000_NS6detail17trampoline_kernelINS0_14default_configENS1_25partition_config_selectorILNS1_17partition_subalgoE8EN3c108BFloat16ENS0_10empty_typeEbEEZZNS1_14partition_implILS5_8ELb0ES3_jPKS7_PS8_PKS8_NS0_5tupleIJPS7_S8_EEENSG_IJSD_SD_EEENS0_18inequality_wrapperIN6hipcub16HIPCUB_304000_NS8EqualityEEEPlJS8_EEE10hipError_tPvRmT3_T4_T5_T6_T7_T9_mT8_P12ihipStream_tbDpT10_ENKUlT_T0_E_clISt17integral_constantIbLb1EES18_IbLb0EEEEDaS14_S15_EUlS14_E_NS1_11comp_targetILNS1_3genE10ELNS1_11target_archE1200ELNS1_3gpuE4ELNS1_3repE0EEENS1_30default_config_static_selectorELNS0_4arch9wavefront6targetE1EEEvT1_
    .private_segment_fixed_size: 0
    .sgpr_count:     4
    .sgpr_spill_count: 0
    .symbol:         _ZN7rocprim17ROCPRIM_400000_NS6detail17trampoline_kernelINS0_14default_configENS1_25partition_config_selectorILNS1_17partition_subalgoE8EN3c108BFloat16ENS0_10empty_typeEbEEZZNS1_14partition_implILS5_8ELb0ES3_jPKS7_PS8_PKS8_NS0_5tupleIJPS7_S8_EEENSG_IJSD_SD_EEENS0_18inequality_wrapperIN6hipcub16HIPCUB_304000_NS8EqualityEEEPlJS8_EEE10hipError_tPvRmT3_T4_T5_T6_T7_T9_mT8_P12ihipStream_tbDpT10_ENKUlT_T0_E_clISt17integral_constantIbLb1EES18_IbLb0EEEEDaS14_S15_EUlS14_E_NS1_11comp_targetILNS1_3genE10ELNS1_11target_archE1200ELNS1_3gpuE4ELNS1_3repE0EEENS1_30default_config_static_selectorELNS0_4arch9wavefront6targetE1EEEvT1_.kd
    .uniform_work_group_size: 1
    .uses_dynamic_stack: false
    .vgpr_count:     0
    .vgpr_spill_count: 0
    .wavefront_size: 64
  - .agpr_count:     0
    .args:
      - .offset:         0
        .size:           112
        .value_kind:     by_value
    .group_segment_fixed_size: 0
    .kernarg_segment_align: 8
    .kernarg_segment_size: 112
    .language:       OpenCL C
    .language_version:
      - 2
      - 0
    .max_flat_workgroup_size: 128
    .name:           _ZN7rocprim17ROCPRIM_400000_NS6detail17trampoline_kernelINS0_14default_configENS1_25partition_config_selectorILNS1_17partition_subalgoE8EN3c108BFloat16ENS0_10empty_typeEbEEZZNS1_14partition_implILS5_8ELb0ES3_jPKS7_PS8_PKS8_NS0_5tupleIJPS7_S8_EEENSG_IJSD_SD_EEENS0_18inequality_wrapperIN6hipcub16HIPCUB_304000_NS8EqualityEEEPlJS8_EEE10hipError_tPvRmT3_T4_T5_T6_T7_T9_mT8_P12ihipStream_tbDpT10_ENKUlT_T0_E_clISt17integral_constantIbLb1EES18_IbLb0EEEEDaS14_S15_EUlS14_E_NS1_11comp_targetILNS1_3genE9ELNS1_11target_archE1100ELNS1_3gpuE3ELNS1_3repE0EEENS1_30default_config_static_selectorELNS0_4arch9wavefront6targetE1EEEvT1_
    .private_segment_fixed_size: 0
    .sgpr_count:     4
    .sgpr_spill_count: 0
    .symbol:         _ZN7rocprim17ROCPRIM_400000_NS6detail17trampoline_kernelINS0_14default_configENS1_25partition_config_selectorILNS1_17partition_subalgoE8EN3c108BFloat16ENS0_10empty_typeEbEEZZNS1_14partition_implILS5_8ELb0ES3_jPKS7_PS8_PKS8_NS0_5tupleIJPS7_S8_EEENSG_IJSD_SD_EEENS0_18inequality_wrapperIN6hipcub16HIPCUB_304000_NS8EqualityEEEPlJS8_EEE10hipError_tPvRmT3_T4_T5_T6_T7_T9_mT8_P12ihipStream_tbDpT10_ENKUlT_T0_E_clISt17integral_constantIbLb1EES18_IbLb0EEEEDaS14_S15_EUlS14_E_NS1_11comp_targetILNS1_3genE9ELNS1_11target_archE1100ELNS1_3gpuE3ELNS1_3repE0EEENS1_30default_config_static_selectorELNS0_4arch9wavefront6targetE1EEEvT1_.kd
    .uniform_work_group_size: 1
    .uses_dynamic_stack: false
    .vgpr_count:     0
    .vgpr_spill_count: 0
    .wavefront_size: 64
  - .agpr_count:     0
    .args:
      - .offset:         0
        .size:           112
        .value_kind:     by_value
    .group_segment_fixed_size: 0
    .kernarg_segment_align: 8
    .kernarg_segment_size: 112
    .language:       OpenCL C
    .language_version:
      - 2
      - 0
    .max_flat_workgroup_size: 384
    .name:           _ZN7rocprim17ROCPRIM_400000_NS6detail17trampoline_kernelINS0_14default_configENS1_25partition_config_selectorILNS1_17partition_subalgoE8EN3c108BFloat16ENS0_10empty_typeEbEEZZNS1_14partition_implILS5_8ELb0ES3_jPKS7_PS8_PKS8_NS0_5tupleIJPS7_S8_EEENSG_IJSD_SD_EEENS0_18inequality_wrapperIN6hipcub16HIPCUB_304000_NS8EqualityEEEPlJS8_EEE10hipError_tPvRmT3_T4_T5_T6_T7_T9_mT8_P12ihipStream_tbDpT10_ENKUlT_T0_E_clISt17integral_constantIbLb1EES18_IbLb0EEEEDaS14_S15_EUlS14_E_NS1_11comp_targetILNS1_3genE8ELNS1_11target_archE1030ELNS1_3gpuE2ELNS1_3repE0EEENS1_30default_config_static_selectorELNS0_4arch9wavefront6targetE1EEEvT1_
    .private_segment_fixed_size: 0
    .sgpr_count:     4
    .sgpr_spill_count: 0
    .symbol:         _ZN7rocprim17ROCPRIM_400000_NS6detail17trampoline_kernelINS0_14default_configENS1_25partition_config_selectorILNS1_17partition_subalgoE8EN3c108BFloat16ENS0_10empty_typeEbEEZZNS1_14partition_implILS5_8ELb0ES3_jPKS7_PS8_PKS8_NS0_5tupleIJPS7_S8_EEENSG_IJSD_SD_EEENS0_18inequality_wrapperIN6hipcub16HIPCUB_304000_NS8EqualityEEEPlJS8_EEE10hipError_tPvRmT3_T4_T5_T6_T7_T9_mT8_P12ihipStream_tbDpT10_ENKUlT_T0_E_clISt17integral_constantIbLb1EES18_IbLb0EEEEDaS14_S15_EUlS14_E_NS1_11comp_targetILNS1_3genE8ELNS1_11target_archE1030ELNS1_3gpuE2ELNS1_3repE0EEENS1_30default_config_static_selectorELNS0_4arch9wavefront6targetE1EEEvT1_.kd
    .uniform_work_group_size: 1
    .uses_dynamic_stack: false
    .vgpr_count:     0
    .vgpr_spill_count: 0
    .wavefront_size: 64
  - .agpr_count:     0
    .args:
      - .offset:         0
        .size:           128
        .value_kind:     by_value
    .group_segment_fixed_size: 0
    .kernarg_segment_align: 8
    .kernarg_segment_size: 128
    .language:       OpenCL C
    .language_version:
      - 2
      - 0
    .max_flat_workgroup_size: 256
    .name:           _ZN7rocprim17ROCPRIM_400000_NS6detail17trampoline_kernelINS0_14default_configENS1_25partition_config_selectorILNS1_17partition_subalgoE8EN3c108BFloat16ENS0_10empty_typeEbEEZZNS1_14partition_implILS5_8ELb0ES3_jPKS7_PS8_PKS8_NS0_5tupleIJPS7_S8_EEENSG_IJSD_SD_EEENS0_18inequality_wrapperIN6hipcub16HIPCUB_304000_NS8EqualityEEEPlJS8_EEE10hipError_tPvRmT3_T4_T5_T6_T7_T9_mT8_P12ihipStream_tbDpT10_ENKUlT_T0_E_clISt17integral_constantIbLb0EES18_IbLb1EEEEDaS14_S15_EUlS14_E_NS1_11comp_targetILNS1_3genE0ELNS1_11target_archE4294967295ELNS1_3gpuE0ELNS1_3repE0EEENS1_30default_config_static_selectorELNS0_4arch9wavefront6targetE1EEEvT1_
    .private_segment_fixed_size: 0
    .sgpr_count:     4
    .sgpr_spill_count: 0
    .symbol:         _ZN7rocprim17ROCPRIM_400000_NS6detail17trampoline_kernelINS0_14default_configENS1_25partition_config_selectorILNS1_17partition_subalgoE8EN3c108BFloat16ENS0_10empty_typeEbEEZZNS1_14partition_implILS5_8ELb0ES3_jPKS7_PS8_PKS8_NS0_5tupleIJPS7_S8_EEENSG_IJSD_SD_EEENS0_18inequality_wrapperIN6hipcub16HIPCUB_304000_NS8EqualityEEEPlJS8_EEE10hipError_tPvRmT3_T4_T5_T6_T7_T9_mT8_P12ihipStream_tbDpT10_ENKUlT_T0_E_clISt17integral_constantIbLb0EES18_IbLb1EEEEDaS14_S15_EUlS14_E_NS1_11comp_targetILNS1_3genE0ELNS1_11target_archE4294967295ELNS1_3gpuE0ELNS1_3repE0EEENS1_30default_config_static_selectorELNS0_4arch9wavefront6targetE1EEEvT1_.kd
    .uniform_work_group_size: 1
    .uses_dynamic_stack: false
    .vgpr_count:     0
    .vgpr_spill_count: 0
    .wavefront_size: 64
  - .agpr_count:     0
    .args:
      - .offset:         0
        .size:           128
        .value_kind:     by_value
    .group_segment_fixed_size: 0
    .kernarg_segment_align: 8
    .kernarg_segment_size: 128
    .language:       OpenCL C
    .language_version:
      - 2
      - 0
    .max_flat_workgroup_size: 512
    .name:           _ZN7rocprim17ROCPRIM_400000_NS6detail17trampoline_kernelINS0_14default_configENS1_25partition_config_selectorILNS1_17partition_subalgoE8EN3c108BFloat16ENS0_10empty_typeEbEEZZNS1_14partition_implILS5_8ELb0ES3_jPKS7_PS8_PKS8_NS0_5tupleIJPS7_S8_EEENSG_IJSD_SD_EEENS0_18inequality_wrapperIN6hipcub16HIPCUB_304000_NS8EqualityEEEPlJS8_EEE10hipError_tPvRmT3_T4_T5_T6_T7_T9_mT8_P12ihipStream_tbDpT10_ENKUlT_T0_E_clISt17integral_constantIbLb0EES18_IbLb1EEEEDaS14_S15_EUlS14_E_NS1_11comp_targetILNS1_3genE5ELNS1_11target_archE942ELNS1_3gpuE9ELNS1_3repE0EEENS1_30default_config_static_selectorELNS0_4arch9wavefront6targetE1EEEvT1_
    .private_segment_fixed_size: 0
    .sgpr_count:     4
    .sgpr_spill_count: 0
    .symbol:         _ZN7rocprim17ROCPRIM_400000_NS6detail17trampoline_kernelINS0_14default_configENS1_25partition_config_selectorILNS1_17partition_subalgoE8EN3c108BFloat16ENS0_10empty_typeEbEEZZNS1_14partition_implILS5_8ELb0ES3_jPKS7_PS8_PKS8_NS0_5tupleIJPS7_S8_EEENSG_IJSD_SD_EEENS0_18inequality_wrapperIN6hipcub16HIPCUB_304000_NS8EqualityEEEPlJS8_EEE10hipError_tPvRmT3_T4_T5_T6_T7_T9_mT8_P12ihipStream_tbDpT10_ENKUlT_T0_E_clISt17integral_constantIbLb0EES18_IbLb1EEEEDaS14_S15_EUlS14_E_NS1_11comp_targetILNS1_3genE5ELNS1_11target_archE942ELNS1_3gpuE9ELNS1_3repE0EEENS1_30default_config_static_selectorELNS0_4arch9wavefront6targetE1EEEvT1_.kd
    .uniform_work_group_size: 1
    .uses_dynamic_stack: false
    .vgpr_count:     0
    .vgpr_spill_count: 0
    .wavefront_size: 64
  - .agpr_count:     0
    .args:
      - .offset:         0
        .size:           128
        .value_kind:     by_value
    .group_segment_fixed_size: 11272
    .kernarg_segment_align: 8
    .kernarg_segment_size: 128
    .language:       OpenCL C
    .language_version:
      - 2
      - 0
    .max_flat_workgroup_size: 256
    .name:           _ZN7rocprim17ROCPRIM_400000_NS6detail17trampoline_kernelINS0_14default_configENS1_25partition_config_selectorILNS1_17partition_subalgoE8EN3c108BFloat16ENS0_10empty_typeEbEEZZNS1_14partition_implILS5_8ELb0ES3_jPKS7_PS8_PKS8_NS0_5tupleIJPS7_S8_EEENSG_IJSD_SD_EEENS0_18inequality_wrapperIN6hipcub16HIPCUB_304000_NS8EqualityEEEPlJS8_EEE10hipError_tPvRmT3_T4_T5_T6_T7_T9_mT8_P12ihipStream_tbDpT10_ENKUlT_T0_E_clISt17integral_constantIbLb0EES18_IbLb1EEEEDaS14_S15_EUlS14_E_NS1_11comp_targetILNS1_3genE4ELNS1_11target_archE910ELNS1_3gpuE8ELNS1_3repE0EEENS1_30default_config_static_selectorELNS0_4arch9wavefront6targetE1EEEvT1_
    .private_segment_fixed_size: 0
    .sgpr_count:     42
    .sgpr_spill_count: 0
    .symbol:         _ZN7rocprim17ROCPRIM_400000_NS6detail17trampoline_kernelINS0_14default_configENS1_25partition_config_selectorILNS1_17partition_subalgoE8EN3c108BFloat16ENS0_10empty_typeEbEEZZNS1_14partition_implILS5_8ELb0ES3_jPKS7_PS8_PKS8_NS0_5tupleIJPS7_S8_EEENSG_IJSD_SD_EEENS0_18inequality_wrapperIN6hipcub16HIPCUB_304000_NS8EqualityEEEPlJS8_EEE10hipError_tPvRmT3_T4_T5_T6_T7_T9_mT8_P12ihipStream_tbDpT10_ENKUlT_T0_E_clISt17integral_constantIbLb0EES18_IbLb1EEEEDaS14_S15_EUlS14_E_NS1_11comp_targetILNS1_3genE4ELNS1_11target_archE910ELNS1_3gpuE8ELNS1_3repE0EEENS1_30default_config_static_selectorELNS0_4arch9wavefront6targetE1EEEvT1_.kd
    .uniform_work_group_size: 1
    .uses_dynamic_stack: false
    .vgpr_count:     86
    .vgpr_spill_count: 0
    .wavefront_size: 64
  - .agpr_count:     0
    .args:
      - .offset:         0
        .size:           128
        .value_kind:     by_value
    .group_segment_fixed_size: 0
    .kernarg_segment_align: 8
    .kernarg_segment_size: 128
    .language:       OpenCL C
    .language_version:
      - 2
      - 0
    .max_flat_workgroup_size: 256
    .name:           _ZN7rocprim17ROCPRIM_400000_NS6detail17trampoline_kernelINS0_14default_configENS1_25partition_config_selectorILNS1_17partition_subalgoE8EN3c108BFloat16ENS0_10empty_typeEbEEZZNS1_14partition_implILS5_8ELb0ES3_jPKS7_PS8_PKS8_NS0_5tupleIJPS7_S8_EEENSG_IJSD_SD_EEENS0_18inequality_wrapperIN6hipcub16HIPCUB_304000_NS8EqualityEEEPlJS8_EEE10hipError_tPvRmT3_T4_T5_T6_T7_T9_mT8_P12ihipStream_tbDpT10_ENKUlT_T0_E_clISt17integral_constantIbLb0EES18_IbLb1EEEEDaS14_S15_EUlS14_E_NS1_11comp_targetILNS1_3genE3ELNS1_11target_archE908ELNS1_3gpuE7ELNS1_3repE0EEENS1_30default_config_static_selectorELNS0_4arch9wavefront6targetE1EEEvT1_
    .private_segment_fixed_size: 0
    .sgpr_count:     4
    .sgpr_spill_count: 0
    .symbol:         _ZN7rocprim17ROCPRIM_400000_NS6detail17trampoline_kernelINS0_14default_configENS1_25partition_config_selectorILNS1_17partition_subalgoE8EN3c108BFloat16ENS0_10empty_typeEbEEZZNS1_14partition_implILS5_8ELb0ES3_jPKS7_PS8_PKS8_NS0_5tupleIJPS7_S8_EEENSG_IJSD_SD_EEENS0_18inequality_wrapperIN6hipcub16HIPCUB_304000_NS8EqualityEEEPlJS8_EEE10hipError_tPvRmT3_T4_T5_T6_T7_T9_mT8_P12ihipStream_tbDpT10_ENKUlT_T0_E_clISt17integral_constantIbLb0EES18_IbLb1EEEEDaS14_S15_EUlS14_E_NS1_11comp_targetILNS1_3genE3ELNS1_11target_archE908ELNS1_3gpuE7ELNS1_3repE0EEENS1_30default_config_static_selectorELNS0_4arch9wavefront6targetE1EEEvT1_.kd
    .uniform_work_group_size: 1
    .uses_dynamic_stack: false
    .vgpr_count:     0
    .vgpr_spill_count: 0
    .wavefront_size: 64
  - .agpr_count:     0
    .args:
      - .offset:         0
        .size:           128
        .value_kind:     by_value
    .group_segment_fixed_size: 0
    .kernarg_segment_align: 8
    .kernarg_segment_size: 128
    .language:       OpenCL C
    .language_version:
      - 2
      - 0
    .max_flat_workgroup_size: 192
    .name:           _ZN7rocprim17ROCPRIM_400000_NS6detail17trampoline_kernelINS0_14default_configENS1_25partition_config_selectorILNS1_17partition_subalgoE8EN3c108BFloat16ENS0_10empty_typeEbEEZZNS1_14partition_implILS5_8ELb0ES3_jPKS7_PS8_PKS8_NS0_5tupleIJPS7_S8_EEENSG_IJSD_SD_EEENS0_18inequality_wrapperIN6hipcub16HIPCUB_304000_NS8EqualityEEEPlJS8_EEE10hipError_tPvRmT3_T4_T5_T6_T7_T9_mT8_P12ihipStream_tbDpT10_ENKUlT_T0_E_clISt17integral_constantIbLb0EES18_IbLb1EEEEDaS14_S15_EUlS14_E_NS1_11comp_targetILNS1_3genE2ELNS1_11target_archE906ELNS1_3gpuE6ELNS1_3repE0EEENS1_30default_config_static_selectorELNS0_4arch9wavefront6targetE1EEEvT1_
    .private_segment_fixed_size: 0
    .sgpr_count:     4
    .sgpr_spill_count: 0
    .symbol:         _ZN7rocprim17ROCPRIM_400000_NS6detail17trampoline_kernelINS0_14default_configENS1_25partition_config_selectorILNS1_17partition_subalgoE8EN3c108BFloat16ENS0_10empty_typeEbEEZZNS1_14partition_implILS5_8ELb0ES3_jPKS7_PS8_PKS8_NS0_5tupleIJPS7_S8_EEENSG_IJSD_SD_EEENS0_18inequality_wrapperIN6hipcub16HIPCUB_304000_NS8EqualityEEEPlJS8_EEE10hipError_tPvRmT3_T4_T5_T6_T7_T9_mT8_P12ihipStream_tbDpT10_ENKUlT_T0_E_clISt17integral_constantIbLb0EES18_IbLb1EEEEDaS14_S15_EUlS14_E_NS1_11comp_targetILNS1_3genE2ELNS1_11target_archE906ELNS1_3gpuE6ELNS1_3repE0EEENS1_30default_config_static_selectorELNS0_4arch9wavefront6targetE1EEEvT1_.kd
    .uniform_work_group_size: 1
    .uses_dynamic_stack: false
    .vgpr_count:     0
    .vgpr_spill_count: 0
    .wavefront_size: 64
  - .agpr_count:     0
    .args:
      - .offset:         0
        .size:           128
        .value_kind:     by_value
    .group_segment_fixed_size: 0
    .kernarg_segment_align: 8
    .kernarg_segment_size: 128
    .language:       OpenCL C
    .language_version:
      - 2
      - 0
    .max_flat_workgroup_size: 256
    .name:           _ZN7rocprim17ROCPRIM_400000_NS6detail17trampoline_kernelINS0_14default_configENS1_25partition_config_selectorILNS1_17partition_subalgoE8EN3c108BFloat16ENS0_10empty_typeEbEEZZNS1_14partition_implILS5_8ELb0ES3_jPKS7_PS8_PKS8_NS0_5tupleIJPS7_S8_EEENSG_IJSD_SD_EEENS0_18inequality_wrapperIN6hipcub16HIPCUB_304000_NS8EqualityEEEPlJS8_EEE10hipError_tPvRmT3_T4_T5_T6_T7_T9_mT8_P12ihipStream_tbDpT10_ENKUlT_T0_E_clISt17integral_constantIbLb0EES18_IbLb1EEEEDaS14_S15_EUlS14_E_NS1_11comp_targetILNS1_3genE10ELNS1_11target_archE1200ELNS1_3gpuE4ELNS1_3repE0EEENS1_30default_config_static_selectorELNS0_4arch9wavefront6targetE1EEEvT1_
    .private_segment_fixed_size: 0
    .sgpr_count:     4
    .sgpr_spill_count: 0
    .symbol:         _ZN7rocprim17ROCPRIM_400000_NS6detail17trampoline_kernelINS0_14default_configENS1_25partition_config_selectorILNS1_17partition_subalgoE8EN3c108BFloat16ENS0_10empty_typeEbEEZZNS1_14partition_implILS5_8ELb0ES3_jPKS7_PS8_PKS8_NS0_5tupleIJPS7_S8_EEENSG_IJSD_SD_EEENS0_18inequality_wrapperIN6hipcub16HIPCUB_304000_NS8EqualityEEEPlJS8_EEE10hipError_tPvRmT3_T4_T5_T6_T7_T9_mT8_P12ihipStream_tbDpT10_ENKUlT_T0_E_clISt17integral_constantIbLb0EES18_IbLb1EEEEDaS14_S15_EUlS14_E_NS1_11comp_targetILNS1_3genE10ELNS1_11target_archE1200ELNS1_3gpuE4ELNS1_3repE0EEENS1_30default_config_static_selectorELNS0_4arch9wavefront6targetE1EEEvT1_.kd
    .uniform_work_group_size: 1
    .uses_dynamic_stack: false
    .vgpr_count:     0
    .vgpr_spill_count: 0
    .wavefront_size: 64
  - .agpr_count:     0
    .args:
      - .offset:         0
        .size:           128
        .value_kind:     by_value
    .group_segment_fixed_size: 0
    .kernarg_segment_align: 8
    .kernarg_segment_size: 128
    .language:       OpenCL C
    .language_version:
      - 2
      - 0
    .max_flat_workgroup_size: 128
    .name:           _ZN7rocprim17ROCPRIM_400000_NS6detail17trampoline_kernelINS0_14default_configENS1_25partition_config_selectorILNS1_17partition_subalgoE8EN3c108BFloat16ENS0_10empty_typeEbEEZZNS1_14partition_implILS5_8ELb0ES3_jPKS7_PS8_PKS8_NS0_5tupleIJPS7_S8_EEENSG_IJSD_SD_EEENS0_18inequality_wrapperIN6hipcub16HIPCUB_304000_NS8EqualityEEEPlJS8_EEE10hipError_tPvRmT3_T4_T5_T6_T7_T9_mT8_P12ihipStream_tbDpT10_ENKUlT_T0_E_clISt17integral_constantIbLb0EES18_IbLb1EEEEDaS14_S15_EUlS14_E_NS1_11comp_targetILNS1_3genE9ELNS1_11target_archE1100ELNS1_3gpuE3ELNS1_3repE0EEENS1_30default_config_static_selectorELNS0_4arch9wavefront6targetE1EEEvT1_
    .private_segment_fixed_size: 0
    .sgpr_count:     4
    .sgpr_spill_count: 0
    .symbol:         _ZN7rocprim17ROCPRIM_400000_NS6detail17trampoline_kernelINS0_14default_configENS1_25partition_config_selectorILNS1_17partition_subalgoE8EN3c108BFloat16ENS0_10empty_typeEbEEZZNS1_14partition_implILS5_8ELb0ES3_jPKS7_PS8_PKS8_NS0_5tupleIJPS7_S8_EEENSG_IJSD_SD_EEENS0_18inequality_wrapperIN6hipcub16HIPCUB_304000_NS8EqualityEEEPlJS8_EEE10hipError_tPvRmT3_T4_T5_T6_T7_T9_mT8_P12ihipStream_tbDpT10_ENKUlT_T0_E_clISt17integral_constantIbLb0EES18_IbLb1EEEEDaS14_S15_EUlS14_E_NS1_11comp_targetILNS1_3genE9ELNS1_11target_archE1100ELNS1_3gpuE3ELNS1_3repE0EEENS1_30default_config_static_selectorELNS0_4arch9wavefront6targetE1EEEvT1_.kd
    .uniform_work_group_size: 1
    .uses_dynamic_stack: false
    .vgpr_count:     0
    .vgpr_spill_count: 0
    .wavefront_size: 64
  - .agpr_count:     0
    .args:
      - .offset:         0
        .size:           128
        .value_kind:     by_value
    .group_segment_fixed_size: 0
    .kernarg_segment_align: 8
    .kernarg_segment_size: 128
    .language:       OpenCL C
    .language_version:
      - 2
      - 0
    .max_flat_workgroup_size: 384
    .name:           _ZN7rocprim17ROCPRIM_400000_NS6detail17trampoline_kernelINS0_14default_configENS1_25partition_config_selectorILNS1_17partition_subalgoE8EN3c108BFloat16ENS0_10empty_typeEbEEZZNS1_14partition_implILS5_8ELb0ES3_jPKS7_PS8_PKS8_NS0_5tupleIJPS7_S8_EEENSG_IJSD_SD_EEENS0_18inequality_wrapperIN6hipcub16HIPCUB_304000_NS8EqualityEEEPlJS8_EEE10hipError_tPvRmT3_T4_T5_T6_T7_T9_mT8_P12ihipStream_tbDpT10_ENKUlT_T0_E_clISt17integral_constantIbLb0EES18_IbLb1EEEEDaS14_S15_EUlS14_E_NS1_11comp_targetILNS1_3genE8ELNS1_11target_archE1030ELNS1_3gpuE2ELNS1_3repE0EEENS1_30default_config_static_selectorELNS0_4arch9wavefront6targetE1EEEvT1_
    .private_segment_fixed_size: 0
    .sgpr_count:     4
    .sgpr_spill_count: 0
    .symbol:         _ZN7rocprim17ROCPRIM_400000_NS6detail17trampoline_kernelINS0_14default_configENS1_25partition_config_selectorILNS1_17partition_subalgoE8EN3c108BFloat16ENS0_10empty_typeEbEEZZNS1_14partition_implILS5_8ELb0ES3_jPKS7_PS8_PKS8_NS0_5tupleIJPS7_S8_EEENSG_IJSD_SD_EEENS0_18inequality_wrapperIN6hipcub16HIPCUB_304000_NS8EqualityEEEPlJS8_EEE10hipError_tPvRmT3_T4_T5_T6_T7_T9_mT8_P12ihipStream_tbDpT10_ENKUlT_T0_E_clISt17integral_constantIbLb0EES18_IbLb1EEEEDaS14_S15_EUlS14_E_NS1_11comp_targetILNS1_3genE8ELNS1_11target_archE1030ELNS1_3gpuE2ELNS1_3repE0EEENS1_30default_config_static_selectorELNS0_4arch9wavefront6targetE1EEEvT1_.kd
    .uniform_work_group_size: 1
    .uses_dynamic_stack: false
    .vgpr_count:     0
    .vgpr_spill_count: 0
    .wavefront_size: 64
  - .agpr_count:     0
    .args:
      - .offset:         0
        .size:           128
        .value_kind:     by_value
    .group_segment_fixed_size: 0
    .kernarg_segment_align: 8
    .kernarg_segment_size: 128
    .language:       OpenCL C
    .language_version:
      - 2
      - 0
    .max_flat_workgroup_size: 256
    .name:           _ZN7rocprim17ROCPRIM_400000_NS6detail17trampoline_kernelINS0_14default_configENS1_33run_length_encode_config_selectorIN3c108BFloat16EjNS0_4plusIjEEEEZZNS1_33reduce_by_key_impl_wrapped_configILNS1_25lookback_scan_determinismE0ES3_S9_PKS6_NS0_17constant_iteratorIjlEEPS6_PlSH_S8_NS0_8equal_toIS6_EEEE10hipError_tPvRmT2_T3_mT4_T5_T6_T7_T8_P12ihipStream_tbENKUlT_T0_E_clISt17integral_constantIbLb0EES11_EEDaSW_SX_EUlSW_E_NS1_11comp_targetILNS1_3genE0ELNS1_11target_archE4294967295ELNS1_3gpuE0ELNS1_3repE0EEENS1_30default_config_static_selectorELNS0_4arch9wavefront6targetE1EEEvT1_
    .private_segment_fixed_size: 0
    .sgpr_count:     4
    .sgpr_spill_count: 0
    .symbol:         _ZN7rocprim17ROCPRIM_400000_NS6detail17trampoline_kernelINS0_14default_configENS1_33run_length_encode_config_selectorIN3c108BFloat16EjNS0_4plusIjEEEEZZNS1_33reduce_by_key_impl_wrapped_configILNS1_25lookback_scan_determinismE0ES3_S9_PKS6_NS0_17constant_iteratorIjlEEPS6_PlSH_S8_NS0_8equal_toIS6_EEEE10hipError_tPvRmT2_T3_mT4_T5_T6_T7_T8_P12ihipStream_tbENKUlT_T0_E_clISt17integral_constantIbLb0EES11_EEDaSW_SX_EUlSW_E_NS1_11comp_targetILNS1_3genE0ELNS1_11target_archE4294967295ELNS1_3gpuE0ELNS1_3repE0EEENS1_30default_config_static_selectorELNS0_4arch9wavefront6targetE1EEEvT1_.kd
    .uniform_work_group_size: 1
    .uses_dynamic_stack: false
    .vgpr_count:     0
    .vgpr_spill_count: 0
    .wavefront_size: 64
  - .agpr_count:     0
    .args:
      - .offset:         0
        .size:           128
        .value_kind:     by_value
    .group_segment_fixed_size: 0
    .kernarg_segment_align: 8
    .kernarg_segment_size: 128
    .language:       OpenCL C
    .language_version:
      - 2
      - 0
    .max_flat_workgroup_size: 256
    .name:           _ZN7rocprim17ROCPRIM_400000_NS6detail17trampoline_kernelINS0_14default_configENS1_33run_length_encode_config_selectorIN3c108BFloat16EjNS0_4plusIjEEEEZZNS1_33reduce_by_key_impl_wrapped_configILNS1_25lookback_scan_determinismE0ES3_S9_PKS6_NS0_17constant_iteratorIjlEEPS6_PlSH_S8_NS0_8equal_toIS6_EEEE10hipError_tPvRmT2_T3_mT4_T5_T6_T7_T8_P12ihipStream_tbENKUlT_T0_E_clISt17integral_constantIbLb0EES11_EEDaSW_SX_EUlSW_E_NS1_11comp_targetILNS1_3genE5ELNS1_11target_archE942ELNS1_3gpuE9ELNS1_3repE0EEENS1_30default_config_static_selectorELNS0_4arch9wavefront6targetE1EEEvT1_
    .private_segment_fixed_size: 0
    .sgpr_count:     4
    .sgpr_spill_count: 0
    .symbol:         _ZN7rocprim17ROCPRIM_400000_NS6detail17trampoline_kernelINS0_14default_configENS1_33run_length_encode_config_selectorIN3c108BFloat16EjNS0_4plusIjEEEEZZNS1_33reduce_by_key_impl_wrapped_configILNS1_25lookback_scan_determinismE0ES3_S9_PKS6_NS0_17constant_iteratorIjlEEPS6_PlSH_S8_NS0_8equal_toIS6_EEEE10hipError_tPvRmT2_T3_mT4_T5_T6_T7_T8_P12ihipStream_tbENKUlT_T0_E_clISt17integral_constantIbLb0EES11_EEDaSW_SX_EUlSW_E_NS1_11comp_targetILNS1_3genE5ELNS1_11target_archE942ELNS1_3gpuE9ELNS1_3repE0EEENS1_30default_config_static_selectorELNS0_4arch9wavefront6targetE1EEEvT1_.kd
    .uniform_work_group_size: 1
    .uses_dynamic_stack: false
    .vgpr_count:     0
    .vgpr_spill_count: 0
    .wavefront_size: 64
  - .agpr_count:     0
    .args:
      - .offset:         0
        .size:           128
        .value_kind:     by_value
    .group_segment_fixed_size: 15360
    .kernarg_segment_align: 8
    .kernarg_segment_size: 128
    .language:       OpenCL C
    .language_version:
      - 2
      - 0
    .max_flat_workgroup_size: 256
    .name:           _ZN7rocprim17ROCPRIM_400000_NS6detail17trampoline_kernelINS0_14default_configENS1_33run_length_encode_config_selectorIN3c108BFloat16EjNS0_4plusIjEEEEZZNS1_33reduce_by_key_impl_wrapped_configILNS1_25lookback_scan_determinismE0ES3_S9_PKS6_NS0_17constant_iteratorIjlEEPS6_PlSH_S8_NS0_8equal_toIS6_EEEE10hipError_tPvRmT2_T3_mT4_T5_T6_T7_T8_P12ihipStream_tbENKUlT_T0_E_clISt17integral_constantIbLb0EES11_EEDaSW_SX_EUlSW_E_NS1_11comp_targetILNS1_3genE4ELNS1_11target_archE910ELNS1_3gpuE8ELNS1_3repE0EEENS1_30default_config_static_selectorELNS0_4arch9wavefront6targetE1EEEvT1_
    .private_segment_fixed_size: 0
    .sgpr_count:     68
    .sgpr_spill_count: 0
    .symbol:         _ZN7rocprim17ROCPRIM_400000_NS6detail17trampoline_kernelINS0_14default_configENS1_33run_length_encode_config_selectorIN3c108BFloat16EjNS0_4plusIjEEEEZZNS1_33reduce_by_key_impl_wrapped_configILNS1_25lookback_scan_determinismE0ES3_S9_PKS6_NS0_17constant_iteratorIjlEEPS6_PlSH_S8_NS0_8equal_toIS6_EEEE10hipError_tPvRmT2_T3_mT4_T5_T6_T7_T8_P12ihipStream_tbENKUlT_T0_E_clISt17integral_constantIbLb0EES11_EEDaSW_SX_EUlSW_E_NS1_11comp_targetILNS1_3genE4ELNS1_11target_archE910ELNS1_3gpuE8ELNS1_3repE0EEENS1_30default_config_static_selectorELNS0_4arch9wavefront6targetE1EEEvT1_.kd
    .uniform_work_group_size: 1
    .uses_dynamic_stack: false
    .vgpr_count:     109
    .vgpr_spill_count: 0
    .wavefront_size: 64
  - .agpr_count:     0
    .args:
      - .offset:         0
        .size:           128
        .value_kind:     by_value
    .group_segment_fixed_size: 0
    .kernarg_segment_align: 8
    .kernarg_segment_size: 128
    .language:       OpenCL C
    .language_version:
      - 2
      - 0
    .max_flat_workgroup_size: 256
    .name:           _ZN7rocprim17ROCPRIM_400000_NS6detail17trampoline_kernelINS0_14default_configENS1_33run_length_encode_config_selectorIN3c108BFloat16EjNS0_4plusIjEEEEZZNS1_33reduce_by_key_impl_wrapped_configILNS1_25lookback_scan_determinismE0ES3_S9_PKS6_NS0_17constant_iteratorIjlEEPS6_PlSH_S8_NS0_8equal_toIS6_EEEE10hipError_tPvRmT2_T3_mT4_T5_T6_T7_T8_P12ihipStream_tbENKUlT_T0_E_clISt17integral_constantIbLb0EES11_EEDaSW_SX_EUlSW_E_NS1_11comp_targetILNS1_3genE3ELNS1_11target_archE908ELNS1_3gpuE7ELNS1_3repE0EEENS1_30default_config_static_selectorELNS0_4arch9wavefront6targetE1EEEvT1_
    .private_segment_fixed_size: 0
    .sgpr_count:     4
    .sgpr_spill_count: 0
    .symbol:         _ZN7rocprim17ROCPRIM_400000_NS6detail17trampoline_kernelINS0_14default_configENS1_33run_length_encode_config_selectorIN3c108BFloat16EjNS0_4plusIjEEEEZZNS1_33reduce_by_key_impl_wrapped_configILNS1_25lookback_scan_determinismE0ES3_S9_PKS6_NS0_17constant_iteratorIjlEEPS6_PlSH_S8_NS0_8equal_toIS6_EEEE10hipError_tPvRmT2_T3_mT4_T5_T6_T7_T8_P12ihipStream_tbENKUlT_T0_E_clISt17integral_constantIbLb0EES11_EEDaSW_SX_EUlSW_E_NS1_11comp_targetILNS1_3genE3ELNS1_11target_archE908ELNS1_3gpuE7ELNS1_3repE0EEENS1_30default_config_static_selectorELNS0_4arch9wavefront6targetE1EEEvT1_.kd
    .uniform_work_group_size: 1
    .uses_dynamic_stack: false
    .vgpr_count:     0
    .vgpr_spill_count: 0
    .wavefront_size: 64
  - .agpr_count:     0
    .args:
      - .offset:         0
        .size:           128
        .value_kind:     by_value
    .group_segment_fixed_size: 0
    .kernarg_segment_align: 8
    .kernarg_segment_size: 128
    .language:       OpenCL C
    .language_version:
      - 2
      - 0
    .max_flat_workgroup_size: 256
    .name:           _ZN7rocprim17ROCPRIM_400000_NS6detail17trampoline_kernelINS0_14default_configENS1_33run_length_encode_config_selectorIN3c108BFloat16EjNS0_4plusIjEEEEZZNS1_33reduce_by_key_impl_wrapped_configILNS1_25lookback_scan_determinismE0ES3_S9_PKS6_NS0_17constant_iteratorIjlEEPS6_PlSH_S8_NS0_8equal_toIS6_EEEE10hipError_tPvRmT2_T3_mT4_T5_T6_T7_T8_P12ihipStream_tbENKUlT_T0_E_clISt17integral_constantIbLb0EES11_EEDaSW_SX_EUlSW_E_NS1_11comp_targetILNS1_3genE2ELNS1_11target_archE906ELNS1_3gpuE6ELNS1_3repE0EEENS1_30default_config_static_selectorELNS0_4arch9wavefront6targetE1EEEvT1_
    .private_segment_fixed_size: 0
    .sgpr_count:     4
    .sgpr_spill_count: 0
    .symbol:         _ZN7rocprim17ROCPRIM_400000_NS6detail17trampoline_kernelINS0_14default_configENS1_33run_length_encode_config_selectorIN3c108BFloat16EjNS0_4plusIjEEEEZZNS1_33reduce_by_key_impl_wrapped_configILNS1_25lookback_scan_determinismE0ES3_S9_PKS6_NS0_17constant_iteratorIjlEEPS6_PlSH_S8_NS0_8equal_toIS6_EEEE10hipError_tPvRmT2_T3_mT4_T5_T6_T7_T8_P12ihipStream_tbENKUlT_T0_E_clISt17integral_constantIbLb0EES11_EEDaSW_SX_EUlSW_E_NS1_11comp_targetILNS1_3genE2ELNS1_11target_archE906ELNS1_3gpuE6ELNS1_3repE0EEENS1_30default_config_static_selectorELNS0_4arch9wavefront6targetE1EEEvT1_.kd
    .uniform_work_group_size: 1
    .uses_dynamic_stack: false
    .vgpr_count:     0
    .vgpr_spill_count: 0
    .wavefront_size: 64
  - .agpr_count:     0
    .args:
      - .offset:         0
        .size:           128
        .value_kind:     by_value
    .group_segment_fixed_size: 0
    .kernarg_segment_align: 8
    .kernarg_segment_size: 128
    .language:       OpenCL C
    .language_version:
      - 2
      - 0
    .max_flat_workgroup_size: 256
    .name:           _ZN7rocprim17ROCPRIM_400000_NS6detail17trampoline_kernelINS0_14default_configENS1_33run_length_encode_config_selectorIN3c108BFloat16EjNS0_4plusIjEEEEZZNS1_33reduce_by_key_impl_wrapped_configILNS1_25lookback_scan_determinismE0ES3_S9_PKS6_NS0_17constant_iteratorIjlEEPS6_PlSH_S8_NS0_8equal_toIS6_EEEE10hipError_tPvRmT2_T3_mT4_T5_T6_T7_T8_P12ihipStream_tbENKUlT_T0_E_clISt17integral_constantIbLb0EES11_EEDaSW_SX_EUlSW_E_NS1_11comp_targetILNS1_3genE10ELNS1_11target_archE1201ELNS1_3gpuE5ELNS1_3repE0EEENS1_30default_config_static_selectorELNS0_4arch9wavefront6targetE1EEEvT1_
    .private_segment_fixed_size: 0
    .sgpr_count:     4
    .sgpr_spill_count: 0
    .symbol:         _ZN7rocprim17ROCPRIM_400000_NS6detail17trampoline_kernelINS0_14default_configENS1_33run_length_encode_config_selectorIN3c108BFloat16EjNS0_4plusIjEEEEZZNS1_33reduce_by_key_impl_wrapped_configILNS1_25lookback_scan_determinismE0ES3_S9_PKS6_NS0_17constant_iteratorIjlEEPS6_PlSH_S8_NS0_8equal_toIS6_EEEE10hipError_tPvRmT2_T3_mT4_T5_T6_T7_T8_P12ihipStream_tbENKUlT_T0_E_clISt17integral_constantIbLb0EES11_EEDaSW_SX_EUlSW_E_NS1_11comp_targetILNS1_3genE10ELNS1_11target_archE1201ELNS1_3gpuE5ELNS1_3repE0EEENS1_30default_config_static_selectorELNS0_4arch9wavefront6targetE1EEEvT1_.kd
    .uniform_work_group_size: 1
    .uses_dynamic_stack: false
    .vgpr_count:     0
    .vgpr_spill_count: 0
    .wavefront_size: 64
  - .agpr_count:     0
    .args:
      - .offset:         0
        .size:           128
        .value_kind:     by_value
    .group_segment_fixed_size: 0
    .kernarg_segment_align: 8
    .kernarg_segment_size: 128
    .language:       OpenCL C
    .language_version:
      - 2
      - 0
    .max_flat_workgroup_size: 256
    .name:           _ZN7rocprim17ROCPRIM_400000_NS6detail17trampoline_kernelINS0_14default_configENS1_33run_length_encode_config_selectorIN3c108BFloat16EjNS0_4plusIjEEEEZZNS1_33reduce_by_key_impl_wrapped_configILNS1_25lookback_scan_determinismE0ES3_S9_PKS6_NS0_17constant_iteratorIjlEEPS6_PlSH_S8_NS0_8equal_toIS6_EEEE10hipError_tPvRmT2_T3_mT4_T5_T6_T7_T8_P12ihipStream_tbENKUlT_T0_E_clISt17integral_constantIbLb0EES11_EEDaSW_SX_EUlSW_E_NS1_11comp_targetILNS1_3genE10ELNS1_11target_archE1200ELNS1_3gpuE4ELNS1_3repE0EEENS1_30default_config_static_selectorELNS0_4arch9wavefront6targetE1EEEvT1_
    .private_segment_fixed_size: 0
    .sgpr_count:     4
    .sgpr_spill_count: 0
    .symbol:         _ZN7rocprim17ROCPRIM_400000_NS6detail17trampoline_kernelINS0_14default_configENS1_33run_length_encode_config_selectorIN3c108BFloat16EjNS0_4plusIjEEEEZZNS1_33reduce_by_key_impl_wrapped_configILNS1_25lookback_scan_determinismE0ES3_S9_PKS6_NS0_17constant_iteratorIjlEEPS6_PlSH_S8_NS0_8equal_toIS6_EEEE10hipError_tPvRmT2_T3_mT4_T5_T6_T7_T8_P12ihipStream_tbENKUlT_T0_E_clISt17integral_constantIbLb0EES11_EEDaSW_SX_EUlSW_E_NS1_11comp_targetILNS1_3genE10ELNS1_11target_archE1200ELNS1_3gpuE4ELNS1_3repE0EEENS1_30default_config_static_selectorELNS0_4arch9wavefront6targetE1EEEvT1_.kd
    .uniform_work_group_size: 1
    .uses_dynamic_stack: false
    .vgpr_count:     0
    .vgpr_spill_count: 0
    .wavefront_size: 64
  - .agpr_count:     0
    .args:
      - .offset:         0
        .size:           128
        .value_kind:     by_value
    .group_segment_fixed_size: 0
    .kernarg_segment_align: 8
    .kernarg_segment_size: 128
    .language:       OpenCL C
    .language_version:
      - 2
      - 0
    .max_flat_workgroup_size: 256
    .name:           _ZN7rocprim17ROCPRIM_400000_NS6detail17trampoline_kernelINS0_14default_configENS1_33run_length_encode_config_selectorIN3c108BFloat16EjNS0_4plusIjEEEEZZNS1_33reduce_by_key_impl_wrapped_configILNS1_25lookback_scan_determinismE0ES3_S9_PKS6_NS0_17constant_iteratorIjlEEPS6_PlSH_S8_NS0_8equal_toIS6_EEEE10hipError_tPvRmT2_T3_mT4_T5_T6_T7_T8_P12ihipStream_tbENKUlT_T0_E_clISt17integral_constantIbLb0EES11_EEDaSW_SX_EUlSW_E_NS1_11comp_targetILNS1_3genE9ELNS1_11target_archE1100ELNS1_3gpuE3ELNS1_3repE0EEENS1_30default_config_static_selectorELNS0_4arch9wavefront6targetE1EEEvT1_
    .private_segment_fixed_size: 0
    .sgpr_count:     4
    .sgpr_spill_count: 0
    .symbol:         _ZN7rocprim17ROCPRIM_400000_NS6detail17trampoline_kernelINS0_14default_configENS1_33run_length_encode_config_selectorIN3c108BFloat16EjNS0_4plusIjEEEEZZNS1_33reduce_by_key_impl_wrapped_configILNS1_25lookback_scan_determinismE0ES3_S9_PKS6_NS0_17constant_iteratorIjlEEPS6_PlSH_S8_NS0_8equal_toIS6_EEEE10hipError_tPvRmT2_T3_mT4_T5_T6_T7_T8_P12ihipStream_tbENKUlT_T0_E_clISt17integral_constantIbLb0EES11_EEDaSW_SX_EUlSW_E_NS1_11comp_targetILNS1_3genE9ELNS1_11target_archE1100ELNS1_3gpuE3ELNS1_3repE0EEENS1_30default_config_static_selectorELNS0_4arch9wavefront6targetE1EEEvT1_.kd
    .uniform_work_group_size: 1
    .uses_dynamic_stack: false
    .vgpr_count:     0
    .vgpr_spill_count: 0
    .wavefront_size: 64
  - .agpr_count:     0
    .args:
      - .offset:         0
        .size:           128
        .value_kind:     by_value
    .group_segment_fixed_size: 0
    .kernarg_segment_align: 8
    .kernarg_segment_size: 128
    .language:       OpenCL C
    .language_version:
      - 2
      - 0
    .max_flat_workgroup_size: 256
    .name:           _ZN7rocprim17ROCPRIM_400000_NS6detail17trampoline_kernelINS0_14default_configENS1_33run_length_encode_config_selectorIN3c108BFloat16EjNS0_4plusIjEEEEZZNS1_33reduce_by_key_impl_wrapped_configILNS1_25lookback_scan_determinismE0ES3_S9_PKS6_NS0_17constant_iteratorIjlEEPS6_PlSH_S8_NS0_8equal_toIS6_EEEE10hipError_tPvRmT2_T3_mT4_T5_T6_T7_T8_P12ihipStream_tbENKUlT_T0_E_clISt17integral_constantIbLb0EES11_EEDaSW_SX_EUlSW_E_NS1_11comp_targetILNS1_3genE8ELNS1_11target_archE1030ELNS1_3gpuE2ELNS1_3repE0EEENS1_30default_config_static_selectorELNS0_4arch9wavefront6targetE1EEEvT1_
    .private_segment_fixed_size: 0
    .sgpr_count:     4
    .sgpr_spill_count: 0
    .symbol:         _ZN7rocprim17ROCPRIM_400000_NS6detail17trampoline_kernelINS0_14default_configENS1_33run_length_encode_config_selectorIN3c108BFloat16EjNS0_4plusIjEEEEZZNS1_33reduce_by_key_impl_wrapped_configILNS1_25lookback_scan_determinismE0ES3_S9_PKS6_NS0_17constant_iteratorIjlEEPS6_PlSH_S8_NS0_8equal_toIS6_EEEE10hipError_tPvRmT2_T3_mT4_T5_T6_T7_T8_P12ihipStream_tbENKUlT_T0_E_clISt17integral_constantIbLb0EES11_EEDaSW_SX_EUlSW_E_NS1_11comp_targetILNS1_3genE8ELNS1_11target_archE1030ELNS1_3gpuE2ELNS1_3repE0EEENS1_30default_config_static_selectorELNS0_4arch9wavefront6targetE1EEEvT1_.kd
    .uniform_work_group_size: 1
    .uses_dynamic_stack: false
    .vgpr_count:     0
    .vgpr_spill_count: 0
    .wavefront_size: 64
  - .agpr_count:     0
    .args:
      - .offset:         0
        .size:           128
        .value_kind:     by_value
    .group_segment_fixed_size: 0
    .kernarg_segment_align: 8
    .kernarg_segment_size: 128
    .language:       OpenCL C
    .language_version:
      - 2
      - 0
    .max_flat_workgroup_size: 256
    .name:           _ZN7rocprim17ROCPRIM_400000_NS6detail17trampoline_kernelINS0_14default_configENS1_33run_length_encode_config_selectorIN3c108BFloat16EjNS0_4plusIjEEEEZZNS1_33reduce_by_key_impl_wrapped_configILNS1_25lookback_scan_determinismE0ES3_S9_PKS6_NS0_17constant_iteratorIjlEEPS6_PlSH_S8_NS0_8equal_toIS6_EEEE10hipError_tPvRmT2_T3_mT4_T5_T6_T7_T8_P12ihipStream_tbENKUlT_T0_E_clISt17integral_constantIbLb1EES11_EEDaSW_SX_EUlSW_E_NS1_11comp_targetILNS1_3genE0ELNS1_11target_archE4294967295ELNS1_3gpuE0ELNS1_3repE0EEENS1_30default_config_static_selectorELNS0_4arch9wavefront6targetE1EEEvT1_
    .private_segment_fixed_size: 0
    .sgpr_count:     4
    .sgpr_spill_count: 0
    .symbol:         _ZN7rocprim17ROCPRIM_400000_NS6detail17trampoline_kernelINS0_14default_configENS1_33run_length_encode_config_selectorIN3c108BFloat16EjNS0_4plusIjEEEEZZNS1_33reduce_by_key_impl_wrapped_configILNS1_25lookback_scan_determinismE0ES3_S9_PKS6_NS0_17constant_iteratorIjlEEPS6_PlSH_S8_NS0_8equal_toIS6_EEEE10hipError_tPvRmT2_T3_mT4_T5_T6_T7_T8_P12ihipStream_tbENKUlT_T0_E_clISt17integral_constantIbLb1EES11_EEDaSW_SX_EUlSW_E_NS1_11comp_targetILNS1_3genE0ELNS1_11target_archE4294967295ELNS1_3gpuE0ELNS1_3repE0EEENS1_30default_config_static_selectorELNS0_4arch9wavefront6targetE1EEEvT1_.kd
    .uniform_work_group_size: 1
    .uses_dynamic_stack: false
    .vgpr_count:     0
    .vgpr_spill_count: 0
    .wavefront_size: 64
  - .agpr_count:     0
    .args:
      - .offset:         0
        .size:           128
        .value_kind:     by_value
    .group_segment_fixed_size: 0
    .kernarg_segment_align: 8
    .kernarg_segment_size: 128
    .language:       OpenCL C
    .language_version:
      - 2
      - 0
    .max_flat_workgroup_size: 256
    .name:           _ZN7rocprim17ROCPRIM_400000_NS6detail17trampoline_kernelINS0_14default_configENS1_33run_length_encode_config_selectorIN3c108BFloat16EjNS0_4plusIjEEEEZZNS1_33reduce_by_key_impl_wrapped_configILNS1_25lookback_scan_determinismE0ES3_S9_PKS6_NS0_17constant_iteratorIjlEEPS6_PlSH_S8_NS0_8equal_toIS6_EEEE10hipError_tPvRmT2_T3_mT4_T5_T6_T7_T8_P12ihipStream_tbENKUlT_T0_E_clISt17integral_constantIbLb1EES11_EEDaSW_SX_EUlSW_E_NS1_11comp_targetILNS1_3genE5ELNS1_11target_archE942ELNS1_3gpuE9ELNS1_3repE0EEENS1_30default_config_static_selectorELNS0_4arch9wavefront6targetE1EEEvT1_
    .private_segment_fixed_size: 0
    .sgpr_count:     4
    .sgpr_spill_count: 0
    .symbol:         _ZN7rocprim17ROCPRIM_400000_NS6detail17trampoline_kernelINS0_14default_configENS1_33run_length_encode_config_selectorIN3c108BFloat16EjNS0_4plusIjEEEEZZNS1_33reduce_by_key_impl_wrapped_configILNS1_25lookback_scan_determinismE0ES3_S9_PKS6_NS0_17constant_iteratorIjlEEPS6_PlSH_S8_NS0_8equal_toIS6_EEEE10hipError_tPvRmT2_T3_mT4_T5_T6_T7_T8_P12ihipStream_tbENKUlT_T0_E_clISt17integral_constantIbLb1EES11_EEDaSW_SX_EUlSW_E_NS1_11comp_targetILNS1_3genE5ELNS1_11target_archE942ELNS1_3gpuE9ELNS1_3repE0EEENS1_30default_config_static_selectorELNS0_4arch9wavefront6targetE1EEEvT1_.kd
    .uniform_work_group_size: 1
    .uses_dynamic_stack: false
    .vgpr_count:     0
    .vgpr_spill_count: 0
    .wavefront_size: 64
  - .agpr_count:     0
    .args:
      - .offset:         0
        .size:           128
        .value_kind:     by_value
    .group_segment_fixed_size: 15360
    .kernarg_segment_align: 8
    .kernarg_segment_size: 128
    .language:       OpenCL C
    .language_version:
      - 2
      - 0
    .max_flat_workgroup_size: 256
    .name:           _ZN7rocprim17ROCPRIM_400000_NS6detail17trampoline_kernelINS0_14default_configENS1_33run_length_encode_config_selectorIN3c108BFloat16EjNS0_4plusIjEEEEZZNS1_33reduce_by_key_impl_wrapped_configILNS1_25lookback_scan_determinismE0ES3_S9_PKS6_NS0_17constant_iteratorIjlEEPS6_PlSH_S8_NS0_8equal_toIS6_EEEE10hipError_tPvRmT2_T3_mT4_T5_T6_T7_T8_P12ihipStream_tbENKUlT_T0_E_clISt17integral_constantIbLb1EES11_EEDaSW_SX_EUlSW_E_NS1_11comp_targetILNS1_3genE4ELNS1_11target_archE910ELNS1_3gpuE8ELNS1_3repE0EEENS1_30default_config_static_selectorELNS0_4arch9wavefront6targetE1EEEvT1_
    .private_segment_fixed_size: 0
    .sgpr_count:     70
    .sgpr_spill_count: 0
    .symbol:         _ZN7rocprim17ROCPRIM_400000_NS6detail17trampoline_kernelINS0_14default_configENS1_33run_length_encode_config_selectorIN3c108BFloat16EjNS0_4plusIjEEEEZZNS1_33reduce_by_key_impl_wrapped_configILNS1_25lookback_scan_determinismE0ES3_S9_PKS6_NS0_17constant_iteratorIjlEEPS6_PlSH_S8_NS0_8equal_toIS6_EEEE10hipError_tPvRmT2_T3_mT4_T5_T6_T7_T8_P12ihipStream_tbENKUlT_T0_E_clISt17integral_constantIbLb1EES11_EEDaSW_SX_EUlSW_E_NS1_11comp_targetILNS1_3genE4ELNS1_11target_archE910ELNS1_3gpuE8ELNS1_3repE0EEENS1_30default_config_static_selectorELNS0_4arch9wavefront6targetE1EEEvT1_.kd
    .uniform_work_group_size: 1
    .uses_dynamic_stack: false
    .vgpr_count:     109
    .vgpr_spill_count: 0
    .wavefront_size: 64
  - .agpr_count:     0
    .args:
      - .offset:         0
        .size:           128
        .value_kind:     by_value
    .group_segment_fixed_size: 0
    .kernarg_segment_align: 8
    .kernarg_segment_size: 128
    .language:       OpenCL C
    .language_version:
      - 2
      - 0
    .max_flat_workgroup_size: 256
    .name:           _ZN7rocprim17ROCPRIM_400000_NS6detail17trampoline_kernelINS0_14default_configENS1_33run_length_encode_config_selectorIN3c108BFloat16EjNS0_4plusIjEEEEZZNS1_33reduce_by_key_impl_wrapped_configILNS1_25lookback_scan_determinismE0ES3_S9_PKS6_NS0_17constant_iteratorIjlEEPS6_PlSH_S8_NS0_8equal_toIS6_EEEE10hipError_tPvRmT2_T3_mT4_T5_T6_T7_T8_P12ihipStream_tbENKUlT_T0_E_clISt17integral_constantIbLb1EES11_EEDaSW_SX_EUlSW_E_NS1_11comp_targetILNS1_3genE3ELNS1_11target_archE908ELNS1_3gpuE7ELNS1_3repE0EEENS1_30default_config_static_selectorELNS0_4arch9wavefront6targetE1EEEvT1_
    .private_segment_fixed_size: 0
    .sgpr_count:     4
    .sgpr_spill_count: 0
    .symbol:         _ZN7rocprim17ROCPRIM_400000_NS6detail17trampoline_kernelINS0_14default_configENS1_33run_length_encode_config_selectorIN3c108BFloat16EjNS0_4plusIjEEEEZZNS1_33reduce_by_key_impl_wrapped_configILNS1_25lookback_scan_determinismE0ES3_S9_PKS6_NS0_17constant_iteratorIjlEEPS6_PlSH_S8_NS0_8equal_toIS6_EEEE10hipError_tPvRmT2_T3_mT4_T5_T6_T7_T8_P12ihipStream_tbENKUlT_T0_E_clISt17integral_constantIbLb1EES11_EEDaSW_SX_EUlSW_E_NS1_11comp_targetILNS1_3genE3ELNS1_11target_archE908ELNS1_3gpuE7ELNS1_3repE0EEENS1_30default_config_static_selectorELNS0_4arch9wavefront6targetE1EEEvT1_.kd
    .uniform_work_group_size: 1
    .uses_dynamic_stack: false
    .vgpr_count:     0
    .vgpr_spill_count: 0
    .wavefront_size: 64
  - .agpr_count:     0
    .args:
      - .offset:         0
        .size:           128
        .value_kind:     by_value
    .group_segment_fixed_size: 0
    .kernarg_segment_align: 8
    .kernarg_segment_size: 128
    .language:       OpenCL C
    .language_version:
      - 2
      - 0
    .max_flat_workgroup_size: 256
    .name:           _ZN7rocprim17ROCPRIM_400000_NS6detail17trampoline_kernelINS0_14default_configENS1_33run_length_encode_config_selectorIN3c108BFloat16EjNS0_4plusIjEEEEZZNS1_33reduce_by_key_impl_wrapped_configILNS1_25lookback_scan_determinismE0ES3_S9_PKS6_NS0_17constant_iteratorIjlEEPS6_PlSH_S8_NS0_8equal_toIS6_EEEE10hipError_tPvRmT2_T3_mT4_T5_T6_T7_T8_P12ihipStream_tbENKUlT_T0_E_clISt17integral_constantIbLb1EES11_EEDaSW_SX_EUlSW_E_NS1_11comp_targetILNS1_3genE2ELNS1_11target_archE906ELNS1_3gpuE6ELNS1_3repE0EEENS1_30default_config_static_selectorELNS0_4arch9wavefront6targetE1EEEvT1_
    .private_segment_fixed_size: 0
    .sgpr_count:     4
    .sgpr_spill_count: 0
    .symbol:         _ZN7rocprim17ROCPRIM_400000_NS6detail17trampoline_kernelINS0_14default_configENS1_33run_length_encode_config_selectorIN3c108BFloat16EjNS0_4plusIjEEEEZZNS1_33reduce_by_key_impl_wrapped_configILNS1_25lookback_scan_determinismE0ES3_S9_PKS6_NS0_17constant_iteratorIjlEEPS6_PlSH_S8_NS0_8equal_toIS6_EEEE10hipError_tPvRmT2_T3_mT4_T5_T6_T7_T8_P12ihipStream_tbENKUlT_T0_E_clISt17integral_constantIbLb1EES11_EEDaSW_SX_EUlSW_E_NS1_11comp_targetILNS1_3genE2ELNS1_11target_archE906ELNS1_3gpuE6ELNS1_3repE0EEENS1_30default_config_static_selectorELNS0_4arch9wavefront6targetE1EEEvT1_.kd
    .uniform_work_group_size: 1
    .uses_dynamic_stack: false
    .vgpr_count:     0
    .vgpr_spill_count: 0
    .wavefront_size: 64
  - .agpr_count:     0
    .args:
      - .offset:         0
        .size:           128
        .value_kind:     by_value
    .group_segment_fixed_size: 0
    .kernarg_segment_align: 8
    .kernarg_segment_size: 128
    .language:       OpenCL C
    .language_version:
      - 2
      - 0
    .max_flat_workgroup_size: 256
    .name:           _ZN7rocprim17ROCPRIM_400000_NS6detail17trampoline_kernelINS0_14default_configENS1_33run_length_encode_config_selectorIN3c108BFloat16EjNS0_4plusIjEEEEZZNS1_33reduce_by_key_impl_wrapped_configILNS1_25lookback_scan_determinismE0ES3_S9_PKS6_NS0_17constant_iteratorIjlEEPS6_PlSH_S8_NS0_8equal_toIS6_EEEE10hipError_tPvRmT2_T3_mT4_T5_T6_T7_T8_P12ihipStream_tbENKUlT_T0_E_clISt17integral_constantIbLb1EES11_EEDaSW_SX_EUlSW_E_NS1_11comp_targetILNS1_3genE10ELNS1_11target_archE1201ELNS1_3gpuE5ELNS1_3repE0EEENS1_30default_config_static_selectorELNS0_4arch9wavefront6targetE1EEEvT1_
    .private_segment_fixed_size: 0
    .sgpr_count:     4
    .sgpr_spill_count: 0
    .symbol:         _ZN7rocprim17ROCPRIM_400000_NS6detail17trampoline_kernelINS0_14default_configENS1_33run_length_encode_config_selectorIN3c108BFloat16EjNS0_4plusIjEEEEZZNS1_33reduce_by_key_impl_wrapped_configILNS1_25lookback_scan_determinismE0ES3_S9_PKS6_NS0_17constant_iteratorIjlEEPS6_PlSH_S8_NS0_8equal_toIS6_EEEE10hipError_tPvRmT2_T3_mT4_T5_T6_T7_T8_P12ihipStream_tbENKUlT_T0_E_clISt17integral_constantIbLb1EES11_EEDaSW_SX_EUlSW_E_NS1_11comp_targetILNS1_3genE10ELNS1_11target_archE1201ELNS1_3gpuE5ELNS1_3repE0EEENS1_30default_config_static_selectorELNS0_4arch9wavefront6targetE1EEEvT1_.kd
    .uniform_work_group_size: 1
    .uses_dynamic_stack: false
    .vgpr_count:     0
    .vgpr_spill_count: 0
    .wavefront_size: 64
  - .agpr_count:     0
    .args:
      - .offset:         0
        .size:           128
        .value_kind:     by_value
    .group_segment_fixed_size: 0
    .kernarg_segment_align: 8
    .kernarg_segment_size: 128
    .language:       OpenCL C
    .language_version:
      - 2
      - 0
    .max_flat_workgroup_size: 256
    .name:           _ZN7rocprim17ROCPRIM_400000_NS6detail17trampoline_kernelINS0_14default_configENS1_33run_length_encode_config_selectorIN3c108BFloat16EjNS0_4plusIjEEEEZZNS1_33reduce_by_key_impl_wrapped_configILNS1_25lookback_scan_determinismE0ES3_S9_PKS6_NS0_17constant_iteratorIjlEEPS6_PlSH_S8_NS0_8equal_toIS6_EEEE10hipError_tPvRmT2_T3_mT4_T5_T6_T7_T8_P12ihipStream_tbENKUlT_T0_E_clISt17integral_constantIbLb1EES11_EEDaSW_SX_EUlSW_E_NS1_11comp_targetILNS1_3genE10ELNS1_11target_archE1200ELNS1_3gpuE4ELNS1_3repE0EEENS1_30default_config_static_selectorELNS0_4arch9wavefront6targetE1EEEvT1_
    .private_segment_fixed_size: 0
    .sgpr_count:     4
    .sgpr_spill_count: 0
    .symbol:         _ZN7rocprim17ROCPRIM_400000_NS6detail17trampoline_kernelINS0_14default_configENS1_33run_length_encode_config_selectorIN3c108BFloat16EjNS0_4plusIjEEEEZZNS1_33reduce_by_key_impl_wrapped_configILNS1_25lookback_scan_determinismE0ES3_S9_PKS6_NS0_17constant_iteratorIjlEEPS6_PlSH_S8_NS0_8equal_toIS6_EEEE10hipError_tPvRmT2_T3_mT4_T5_T6_T7_T8_P12ihipStream_tbENKUlT_T0_E_clISt17integral_constantIbLb1EES11_EEDaSW_SX_EUlSW_E_NS1_11comp_targetILNS1_3genE10ELNS1_11target_archE1200ELNS1_3gpuE4ELNS1_3repE0EEENS1_30default_config_static_selectorELNS0_4arch9wavefront6targetE1EEEvT1_.kd
    .uniform_work_group_size: 1
    .uses_dynamic_stack: false
    .vgpr_count:     0
    .vgpr_spill_count: 0
    .wavefront_size: 64
  - .agpr_count:     0
    .args:
      - .offset:         0
        .size:           128
        .value_kind:     by_value
    .group_segment_fixed_size: 0
    .kernarg_segment_align: 8
    .kernarg_segment_size: 128
    .language:       OpenCL C
    .language_version:
      - 2
      - 0
    .max_flat_workgroup_size: 256
    .name:           _ZN7rocprim17ROCPRIM_400000_NS6detail17trampoline_kernelINS0_14default_configENS1_33run_length_encode_config_selectorIN3c108BFloat16EjNS0_4plusIjEEEEZZNS1_33reduce_by_key_impl_wrapped_configILNS1_25lookback_scan_determinismE0ES3_S9_PKS6_NS0_17constant_iteratorIjlEEPS6_PlSH_S8_NS0_8equal_toIS6_EEEE10hipError_tPvRmT2_T3_mT4_T5_T6_T7_T8_P12ihipStream_tbENKUlT_T0_E_clISt17integral_constantIbLb1EES11_EEDaSW_SX_EUlSW_E_NS1_11comp_targetILNS1_3genE9ELNS1_11target_archE1100ELNS1_3gpuE3ELNS1_3repE0EEENS1_30default_config_static_selectorELNS0_4arch9wavefront6targetE1EEEvT1_
    .private_segment_fixed_size: 0
    .sgpr_count:     4
    .sgpr_spill_count: 0
    .symbol:         _ZN7rocprim17ROCPRIM_400000_NS6detail17trampoline_kernelINS0_14default_configENS1_33run_length_encode_config_selectorIN3c108BFloat16EjNS0_4plusIjEEEEZZNS1_33reduce_by_key_impl_wrapped_configILNS1_25lookback_scan_determinismE0ES3_S9_PKS6_NS0_17constant_iteratorIjlEEPS6_PlSH_S8_NS0_8equal_toIS6_EEEE10hipError_tPvRmT2_T3_mT4_T5_T6_T7_T8_P12ihipStream_tbENKUlT_T0_E_clISt17integral_constantIbLb1EES11_EEDaSW_SX_EUlSW_E_NS1_11comp_targetILNS1_3genE9ELNS1_11target_archE1100ELNS1_3gpuE3ELNS1_3repE0EEENS1_30default_config_static_selectorELNS0_4arch9wavefront6targetE1EEEvT1_.kd
    .uniform_work_group_size: 1
    .uses_dynamic_stack: false
    .vgpr_count:     0
    .vgpr_spill_count: 0
    .wavefront_size: 64
  - .agpr_count:     0
    .args:
      - .offset:         0
        .size:           128
        .value_kind:     by_value
    .group_segment_fixed_size: 0
    .kernarg_segment_align: 8
    .kernarg_segment_size: 128
    .language:       OpenCL C
    .language_version:
      - 2
      - 0
    .max_flat_workgroup_size: 256
    .name:           _ZN7rocprim17ROCPRIM_400000_NS6detail17trampoline_kernelINS0_14default_configENS1_33run_length_encode_config_selectorIN3c108BFloat16EjNS0_4plusIjEEEEZZNS1_33reduce_by_key_impl_wrapped_configILNS1_25lookback_scan_determinismE0ES3_S9_PKS6_NS0_17constant_iteratorIjlEEPS6_PlSH_S8_NS0_8equal_toIS6_EEEE10hipError_tPvRmT2_T3_mT4_T5_T6_T7_T8_P12ihipStream_tbENKUlT_T0_E_clISt17integral_constantIbLb1EES11_EEDaSW_SX_EUlSW_E_NS1_11comp_targetILNS1_3genE8ELNS1_11target_archE1030ELNS1_3gpuE2ELNS1_3repE0EEENS1_30default_config_static_selectorELNS0_4arch9wavefront6targetE1EEEvT1_
    .private_segment_fixed_size: 0
    .sgpr_count:     4
    .sgpr_spill_count: 0
    .symbol:         _ZN7rocprim17ROCPRIM_400000_NS6detail17trampoline_kernelINS0_14default_configENS1_33run_length_encode_config_selectorIN3c108BFloat16EjNS0_4plusIjEEEEZZNS1_33reduce_by_key_impl_wrapped_configILNS1_25lookback_scan_determinismE0ES3_S9_PKS6_NS0_17constant_iteratorIjlEEPS6_PlSH_S8_NS0_8equal_toIS6_EEEE10hipError_tPvRmT2_T3_mT4_T5_T6_T7_T8_P12ihipStream_tbENKUlT_T0_E_clISt17integral_constantIbLb1EES11_EEDaSW_SX_EUlSW_E_NS1_11comp_targetILNS1_3genE8ELNS1_11target_archE1030ELNS1_3gpuE2ELNS1_3repE0EEENS1_30default_config_static_selectorELNS0_4arch9wavefront6targetE1EEEvT1_.kd
    .uniform_work_group_size: 1
    .uses_dynamic_stack: false
    .vgpr_count:     0
    .vgpr_spill_count: 0
    .wavefront_size: 64
  - .agpr_count:     0
    .args:
      - .offset:         0
        .size:           128
        .value_kind:     by_value
    .group_segment_fixed_size: 0
    .kernarg_segment_align: 8
    .kernarg_segment_size: 128
    .language:       OpenCL C
    .language_version:
      - 2
      - 0
    .max_flat_workgroup_size: 256
    .name:           _ZN7rocprim17ROCPRIM_400000_NS6detail17trampoline_kernelINS0_14default_configENS1_33run_length_encode_config_selectorIN3c108BFloat16EjNS0_4plusIjEEEEZZNS1_33reduce_by_key_impl_wrapped_configILNS1_25lookback_scan_determinismE0ES3_S9_PKS6_NS0_17constant_iteratorIjlEEPS6_PlSH_S8_NS0_8equal_toIS6_EEEE10hipError_tPvRmT2_T3_mT4_T5_T6_T7_T8_P12ihipStream_tbENKUlT_T0_E_clISt17integral_constantIbLb1EES10_IbLb0EEEEDaSW_SX_EUlSW_E_NS1_11comp_targetILNS1_3genE0ELNS1_11target_archE4294967295ELNS1_3gpuE0ELNS1_3repE0EEENS1_30default_config_static_selectorELNS0_4arch9wavefront6targetE1EEEvT1_
    .private_segment_fixed_size: 0
    .sgpr_count:     4
    .sgpr_spill_count: 0
    .symbol:         _ZN7rocprim17ROCPRIM_400000_NS6detail17trampoline_kernelINS0_14default_configENS1_33run_length_encode_config_selectorIN3c108BFloat16EjNS0_4plusIjEEEEZZNS1_33reduce_by_key_impl_wrapped_configILNS1_25lookback_scan_determinismE0ES3_S9_PKS6_NS0_17constant_iteratorIjlEEPS6_PlSH_S8_NS0_8equal_toIS6_EEEE10hipError_tPvRmT2_T3_mT4_T5_T6_T7_T8_P12ihipStream_tbENKUlT_T0_E_clISt17integral_constantIbLb1EES10_IbLb0EEEEDaSW_SX_EUlSW_E_NS1_11comp_targetILNS1_3genE0ELNS1_11target_archE4294967295ELNS1_3gpuE0ELNS1_3repE0EEENS1_30default_config_static_selectorELNS0_4arch9wavefront6targetE1EEEvT1_.kd
    .uniform_work_group_size: 1
    .uses_dynamic_stack: false
    .vgpr_count:     0
    .vgpr_spill_count: 0
    .wavefront_size: 64
  - .agpr_count:     0
    .args:
      - .offset:         0
        .size:           128
        .value_kind:     by_value
    .group_segment_fixed_size: 0
    .kernarg_segment_align: 8
    .kernarg_segment_size: 128
    .language:       OpenCL C
    .language_version:
      - 2
      - 0
    .max_flat_workgroup_size: 256
    .name:           _ZN7rocprim17ROCPRIM_400000_NS6detail17trampoline_kernelINS0_14default_configENS1_33run_length_encode_config_selectorIN3c108BFloat16EjNS0_4plusIjEEEEZZNS1_33reduce_by_key_impl_wrapped_configILNS1_25lookback_scan_determinismE0ES3_S9_PKS6_NS0_17constant_iteratorIjlEEPS6_PlSH_S8_NS0_8equal_toIS6_EEEE10hipError_tPvRmT2_T3_mT4_T5_T6_T7_T8_P12ihipStream_tbENKUlT_T0_E_clISt17integral_constantIbLb1EES10_IbLb0EEEEDaSW_SX_EUlSW_E_NS1_11comp_targetILNS1_3genE5ELNS1_11target_archE942ELNS1_3gpuE9ELNS1_3repE0EEENS1_30default_config_static_selectorELNS0_4arch9wavefront6targetE1EEEvT1_
    .private_segment_fixed_size: 0
    .sgpr_count:     4
    .sgpr_spill_count: 0
    .symbol:         _ZN7rocprim17ROCPRIM_400000_NS6detail17trampoline_kernelINS0_14default_configENS1_33run_length_encode_config_selectorIN3c108BFloat16EjNS0_4plusIjEEEEZZNS1_33reduce_by_key_impl_wrapped_configILNS1_25lookback_scan_determinismE0ES3_S9_PKS6_NS0_17constant_iteratorIjlEEPS6_PlSH_S8_NS0_8equal_toIS6_EEEE10hipError_tPvRmT2_T3_mT4_T5_T6_T7_T8_P12ihipStream_tbENKUlT_T0_E_clISt17integral_constantIbLb1EES10_IbLb0EEEEDaSW_SX_EUlSW_E_NS1_11comp_targetILNS1_3genE5ELNS1_11target_archE942ELNS1_3gpuE9ELNS1_3repE0EEENS1_30default_config_static_selectorELNS0_4arch9wavefront6targetE1EEEvT1_.kd
    .uniform_work_group_size: 1
    .uses_dynamic_stack: false
    .vgpr_count:     0
    .vgpr_spill_count: 0
    .wavefront_size: 64
  - .agpr_count:     0
    .args:
      - .offset:         0
        .size:           128
        .value_kind:     by_value
    .group_segment_fixed_size: 15360
    .kernarg_segment_align: 8
    .kernarg_segment_size: 128
    .language:       OpenCL C
    .language_version:
      - 2
      - 0
    .max_flat_workgroup_size: 256
    .name:           _ZN7rocprim17ROCPRIM_400000_NS6detail17trampoline_kernelINS0_14default_configENS1_33run_length_encode_config_selectorIN3c108BFloat16EjNS0_4plusIjEEEEZZNS1_33reduce_by_key_impl_wrapped_configILNS1_25lookback_scan_determinismE0ES3_S9_PKS6_NS0_17constant_iteratorIjlEEPS6_PlSH_S8_NS0_8equal_toIS6_EEEE10hipError_tPvRmT2_T3_mT4_T5_T6_T7_T8_P12ihipStream_tbENKUlT_T0_E_clISt17integral_constantIbLb1EES10_IbLb0EEEEDaSW_SX_EUlSW_E_NS1_11comp_targetILNS1_3genE4ELNS1_11target_archE910ELNS1_3gpuE8ELNS1_3repE0EEENS1_30default_config_static_selectorELNS0_4arch9wavefront6targetE1EEEvT1_
    .private_segment_fixed_size: 0
    .sgpr_count:     68
    .sgpr_spill_count: 0
    .symbol:         _ZN7rocprim17ROCPRIM_400000_NS6detail17trampoline_kernelINS0_14default_configENS1_33run_length_encode_config_selectorIN3c108BFloat16EjNS0_4plusIjEEEEZZNS1_33reduce_by_key_impl_wrapped_configILNS1_25lookback_scan_determinismE0ES3_S9_PKS6_NS0_17constant_iteratorIjlEEPS6_PlSH_S8_NS0_8equal_toIS6_EEEE10hipError_tPvRmT2_T3_mT4_T5_T6_T7_T8_P12ihipStream_tbENKUlT_T0_E_clISt17integral_constantIbLb1EES10_IbLb0EEEEDaSW_SX_EUlSW_E_NS1_11comp_targetILNS1_3genE4ELNS1_11target_archE910ELNS1_3gpuE8ELNS1_3repE0EEENS1_30default_config_static_selectorELNS0_4arch9wavefront6targetE1EEEvT1_.kd
    .uniform_work_group_size: 1
    .uses_dynamic_stack: false
    .vgpr_count:     109
    .vgpr_spill_count: 0
    .wavefront_size: 64
  - .agpr_count:     0
    .args:
      - .offset:         0
        .size:           128
        .value_kind:     by_value
    .group_segment_fixed_size: 0
    .kernarg_segment_align: 8
    .kernarg_segment_size: 128
    .language:       OpenCL C
    .language_version:
      - 2
      - 0
    .max_flat_workgroup_size: 256
    .name:           _ZN7rocprim17ROCPRIM_400000_NS6detail17trampoline_kernelINS0_14default_configENS1_33run_length_encode_config_selectorIN3c108BFloat16EjNS0_4plusIjEEEEZZNS1_33reduce_by_key_impl_wrapped_configILNS1_25lookback_scan_determinismE0ES3_S9_PKS6_NS0_17constant_iteratorIjlEEPS6_PlSH_S8_NS0_8equal_toIS6_EEEE10hipError_tPvRmT2_T3_mT4_T5_T6_T7_T8_P12ihipStream_tbENKUlT_T0_E_clISt17integral_constantIbLb1EES10_IbLb0EEEEDaSW_SX_EUlSW_E_NS1_11comp_targetILNS1_3genE3ELNS1_11target_archE908ELNS1_3gpuE7ELNS1_3repE0EEENS1_30default_config_static_selectorELNS0_4arch9wavefront6targetE1EEEvT1_
    .private_segment_fixed_size: 0
    .sgpr_count:     4
    .sgpr_spill_count: 0
    .symbol:         _ZN7rocprim17ROCPRIM_400000_NS6detail17trampoline_kernelINS0_14default_configENS1_33run_length_encode_config_selectorIN3c108BFloat16EjNS0_4plusIjEEEEZZNS1_33reduce_by_key_impl_wrapped_configILNS1_25lookback_scan_determinismE0ES3_S9_PKS6_NS0_17constant_iteratorIjlEEPS6_PlSH_S8_NS0_8equal_toIS6_EEEE10hipError_tPvRmT2_T3_mT4_T5_T6_T7_T8_P12ihipStream_tbENKUlT_T0_E_clISt17integral_constantIbLb1EES10_IbLb0EEEEDaSW_SX_EUlSW_E_NS1_11comp_targetILNS1_3genE3ELNS1_11target_archE908ELNS1_3gpuE7ELNS1_3repE0EEENS1_30default_config_static_selectorELNS0_4arch9wavefront6targetE1EEEvT1_.kd
    .uniform_work_group_size: 1
    .uses_dynamic_stack: false
    .vgpr_count:     0
    .vgpr_spill_count: 0
    .wavefront_size: 64
  - .agpr_count:     0
    .args:
      - .offset:         0
        .size:           128
        .value_kind:     by_value
    .group_segment_fixed_size: 0
    .kernarg_segment_align: 8
    .kernarg_segment_size: 128
    .language:       OpenCL C
    .language_version:
      - 2
      - 0
    .max_flat_workgroup_size: 256
    .name:           _ZN7rocprim17ROCPRIM_400000_NS6detail17trampoline_kernelINS0_14default_configENS1_33run_length_encode_config_selectorIN3c108BFloat16EjNS0_4plusIjEEEEZZNS1_33reduce_by_key_impl_wrapped_configILNS1_25lookback_scan_determinismE0ES3_S9_PKS6_NS0_17constant_iteratorIjlEEPS6_PlSH_S8_NS0_8equal_toIS6_EEEE10hipError_tPvRmT2_T3_mT4_T5_T6_T7_T8_P12ihipStream_tbENKUlT_T0_E_clISt17integral_constantIbLb1EES10_IbLb0EEEEDaSW_SX_EUlSW_E_NS1_11comp_targetILNS1_3genE2ELNS1_11target_archE906ELNS1_3gpuE6ELNS1_3repE0EEENS1_30default_config_static_selectorELNS0_4arch9wavefront6targetE1EEEvT1_
    .private_segment_fixed_size: 0
    .sgpr_count:     4
    .sgpr_spill_count: 0
    .symbol:         _ZN7rocprim17ROCPRIM_400000_NS6detail17trampoline_kernelINS0_14default_configENS1_33run_length_encode_config_selectorIN3c108BFloat16EjNS0_4plusIjEEEEZZNS1_33reduce_by_key_impl_wrapped_configILNS1_25lookback_scan_determinismE0ES3_S9_PKS6_NS0_17constant_iteratorIjlEEPS6_PlSH_S8_NS0_8equal_toIS6_EEEE10hipError_tPvRmT2_T3_mT4_T5_T6_T7_T8_P12ihipStream_tbENKUlT_T0_E_clISt17integral_constantIbLb1EES10_IbLb0EEEEDaSW_SX_EUlSW_E_NS1_11comp_targetILNS1_3genE2ELNS1_11target_archE906ELNS1_3gpuE6ELNS1_3repE0EEENS1_30default_config_static_selectorELNS0_4arch9wavefront6targetE1EEEvT1_.kd
    .uniform_work_group_size: 1
    .uses_dynamic_stack: false
    .vgpr_count:     0
    .vgpr_spill_count: 0
    .wavefront_size: 64
  - .agpr_count:     0
    .args:
      - .offset:         0
        .size:           128
        .value_kind:     by_value
    .group_segment_fixed_size: 0
    .kernarg_segment_align: 8
    .kernarg_segment_size: 128
    .language:       OpenCL C
    .language_version:
      - 2
      - 0
    .max_flat_workgroup_size: 256
    .name:           _ZN7rocprim17ROCPRIM_400000_NS6detail17trampoline_kernelINS0_14default_configENS1_33run_length_encode_config_selectorIN3c108BFloat16EjNS0_4plusIjEEEEZZNS1_33reduce_by_key_impl_wrapped_configILNS1_25lookback_scan_determinismE0ES3_S9_PKS6_NS0_17constant_iteratorIjlEEPS6_PlSH_S8_NS0_8equal_toIS6_EEEE10hipError_tPvRmT2_T3_mT4_T5_T6_T7_T8_P12ihipStream_tbENKUlT_T0_E_clISt17integral_constantIbLb1EES10_IbLb0EEEEDaSW_SX_EUlSW_E_NS1_11comp_targetILNS1_3genE10ELNS1_11target_archE1201ELNS1_3gpuE5ELNS1_3repE0EEENS1_30default_config_static_selectorELNS0_4arch9wavefront6targetE1EEEvT1_
    .private_segment_fixed_size: 0
    .sgpr_count:     4
    .sgpr_spill_count: 0
    .symbol:         _ZN7rocprim17ROCPRIM_400000_NS6detail17trampoline_kernelINS0_14default_configENS1_33run_length_encode_config_selectorIN3c108BFloat16EjNS0_4plusIjEEEEZZNS1_33reduce_by_key_impl_wrapped_configILNS1_25lookback_scan_determinismE0ES3_S9_PKS6_NS0_17constant_iteratorIjlEEPS6_PlSH_S8_NS0_8equal_toIS6_EEEE10hipError_tPvRmT2_T3_mT4_T5_T6_T7_T8_P12ihipStream_tbENKUlT_T0_E_clISt17integral_constantIbLb1EES10_IbLb0EEEEDaSW_SX_EUlSW_E_NS1_11comp_targetILNS1_3genE10ELNS1_11target_archE1201ELNS1_3gpuE5ELNS1_3repE0EEENS1_30default_config_static_selectorELNS0_4arch9wavefront6targetE1EEEvT1_.kd
    .uniform_work_group_size: 1
    .uses_dynamic_stack: false
    .vgpr_count:     0
    .vgpr_spill_count: 0
    .wavefront_size: 64
  - .agpr_count:     0
    .args:
      - .offset:         0
        .size:           128
        .value_kind:     by_value
    .group_segment_fixed_size: 0
    .kernarg_segment_align: 8
    .kernarg_segment_size: 128
    .language:       OpenCL C
    .language_version:
      - 2
      - 0
    .max_flat_workgroup_size: 256
    .name:           _ZN7rocprim17ROCPRIM_400000_NS6detail17trampoline_kernelINS0_14default_configENS1_33run_length_encode_config_selectorIN3c108BFloat16EjNS0_4plusIjEEEEZZNS1_33reduce_by_key_impl_wrapped_configILNS1_25lookback_scan_determinismE0ES3_S9_PKS6_NS0_17constant_iteratorIjlEEPS6_PlSH_S8_NS0_8equal_toIS6_EEEE10hipError_tPvRmT2_T3_mT4_T5_T6_T7_T8_P12ihipStream_tbENKUlT_T0_E_clISt17integral_constantIbLb1EES10_IbLb0EEEEDaSW_SX_EUlSW_E_NS1_11comp_targetILNS1_3genE10ELNS1_11target_archE1200ELNS1_3gpuE4ELNS1_3repE0EEENS1_30default_config_static_selectorELNS0_4arch9wavefront6targetE1EEEvT1_
    .private_segment_fixed_size: 0
    .sgpr_count:     4
    .sgpr_spill_count: 0
    .symbol:         _ZN7rocprim17ROCPRIM_400000_NS6detail17trampoline_kernelINS0_14default_configENS1_33run_length_encode_config_selectorIN3c108BFloat16EjNS0_4plusIjEEEEZZNS1_33reduce_by_key_impl_wrapped_configILNS1_25lookback_scan_determinismE0ES3_S9_PKS6_NS0_17constant_iteratorIjlEEPS6_PlSH_S8_NS0_8equal_toIS6_EEEE10hipError_tPvRmT2_T3_mT4_T5_T6_T7_T8_P12ihipStream_tbENKUlT_T0_E_clISt17integral_constantIbLb1EES10_IbLb0EEEEDaSW_SX_EUlSW_E_NS1_11comp_targetILNS1_3genE10ELNS1_11target_archE1200ELNS1_3gpuE4ELNS1_3repE0EEENS1_30default_config_static_selectorELNS0_4arch9wavefront6targetE1EEEvT1_.kd
    .uniform_work_group_size: 1
    .uses_dynamic_stack: false
    .vgpr_count:     0
    .vgpr_spill_count: 0
    .wavefront_size: 64
  - .agpr_count:     0
    .args:
      - .offset:         0
        .size:           128
        .value_kind:     by_value
    .group_segment_fixed_size: 0
    .kernarg_segment_align: 8
    .kernarg_segment_size: 128
    .language:       OpenCL C
    .language_version:
      - 2
      - 0
    .max_flat_workgroup_size: 256
    .name:           _ZN7rocprim17ROCPRIM_400000_NS6detail17trampoline_kernelINS0_14default_configENS1_33run_length_encode_config_selectorIN3c108BFloat16EjNS0_4plusIjEEEEZZNS1_33reduce_by_key_impl_wrapped_configILNS1_25lookback_scan_determinismE0ES3_S9_PKS6_NS0_17constant_iteratorIjlEEPS6_PlSH_S8_NS0_8equal_toIS6_EEEE10hipError_tPvRmT2_T3_mT4_T5_T6_T7_T8_P12ihipStream_tbENKUlT_T0_E_clISt17integral_constantIbLb1EES10_IbLb0EEEEDaSW_SX_EUlSW_E_NS1_11comp_targetILNS1_3genE9ELNS1_11target_archE1100ELNS1_3gpuE3ELNS1_3repE0EEENS1_30default_config_static_selectorELNS0_4arch9wavefront6targetE1EEEvT1_
    .private_segment_fixed_size: 0
    .sgpr_count:     4
    .sgpr_spill_count: 0
    .symbol:         _ZN7rocprim17ROCPRIM_400000_NS6detail17trampoline_kernelINS0_14default_configENS1_33run_length_encode_config_selectorIN3c108BFloat16EjNS0_4plusIjEEEEZZNS1_33reduce_by_key_impl_wrapped_configILNS1_25lookback_scan_determinismE0ES3_S9_PKS6_NS0_17constant_iteratorIjlEEPS6_PlSH_S8_NS0_8equal_toIS6_EEEE10hipError_tPvRmT2_T3_mT4_T5_T6_T7_T8_P12ihipStream_tbENKUlT_T0_E_clISt17integral_constantIbLb1EES10_IbLb0EEEEDaSW_SX_EUlSW_E_NS1_11comp_targetILNS1_3genE9ELNS1_11target_archE1100ELNS1_3gpuE3ELNS1_3repE0EEENS1_30default_config_static_selectorELNS0_4arch9wavefront6targetE1EEEvT1_.kd
    .uniform_work_group_size: 1
    .uses_dynamic_stack: false
    .vgpr_count:     0
    .vgpr_spill_count: 0
    .wavefront_size: 64
  - .agpr_count:     0
    .args:
      - .offset:         0
        .size:           128
        .value_kind:     by_value
    .group_segment_fixed_size: 0
    .kernarg_segment_align: 8
    .kernarg_segment_size: 128
    .language:       OpenCL C
    .language_version:
      - 2
      - 0
    .max_flat_workgroup_size: 256
    .name:           _ZN7rocprim17ROCPRIM_400000_NS6detail17trampoline_kernelINS0_14default_configENS1_33run_length_encode_config_selectorIN3c108BFloat16EjNS0_4plusIjEEEEZZNS1_33reduce_by_key_impl_wrapped_configILNS1_25lookback_scan_determinismE0ES3_S9_PKS6_NS0_17constant_iteratorIjlEEPS6_PlSH_S8_NS0_8equal_toIS6_EEEE10hipError_tPvRmT2_T3_mT4_T5_T6_T7_T8_P12ihipStream_tbENKUlT_T0_E_clISt17integral_constantIbLb1EES10_IbLb0EEEEDaSW_SX_EUlSW_E_NS1_11comp_targetILNS1_3genE8ELNS1_11target_archE1030ELNS1_3gpuE2ELNS1_3repE0EEENS1_30default_config_static_selectorELNS0_4arch9wavefront6targetE1EEEvT1_
    .private_segment_fixed_size: 0
    .sgpr_count:     4
    .sgpr_spill_count: 0
    .symbol:         _ZN7rocprim17ROCPRIM_400000_NS6detail17trampoline_kernelINS0_14default_configENS1_33run_length_encode_config_selectorIN3c108BFloat16EjNS0_4plusIjEEEEZZNS1_33reduce_by_key_impl_wrapped_configILNS1_25lookback_scan_determinismE0ES3_S9_PKS6_NS0_17constant_iteratorIjlEEPS6_PlSH_S8_NS0_8equal_toIS6_EEEE10hipError_tPvRmT2_T3_mT4_T5_T6_T7_T8_P12ihipStream_tbENKUlT_T0_E_clISt17integral_constantIbLb1EES10_IbLb0EEEEDaSW_SX_EUlSW_E_NS1_11comp_targetILNS1_3genE8ELNS1_11target_archE1030ELNS1_3gpuE2ELNS1_3repE0EEENS1_30default_config_static_selectorELNS0_4arch9wavefront6targetE1EEEvT1_.kd
    .uniform_work_group_size: 1
    .uses_dynamic_stack: false
    .vgpr_count:     0
    .vgpr_spill_count: 0
    .wavefront_size: 64
  - .agpr_count:     0
    .args:
      - .offset:         0
        .size:           128
        .value_kind:     by_value
    .group_segment_fixed_size: 0
    .kernarg_segment_align: 8
    .kernarg_segment_size: 128
    .language:       OpenCL C
    .language_version:
      - 2
      - 0
    .max_flat_workgroup_size: 256
    .name:           _ZN7rocprim17ROCPRIM_400000_NS6detail17trampoline_kernelINS0_14default_configENS1_33run_length_encode_config_selectorIN3c108BFloat16EjNS0_4plusIjEEEEZZNS1_33reduce_by_key_impl_wrapped_configILNS1_25lookback_scan_determinismE0ES3_S9_PKS6_NS0_17constant_iteratorIjlEEPS6_PlSH_S8_NS0_8equal_toIS6_EEEE10hipError_tPvRmT2_T3_mT4_T5_T6_T7_T8_P12ihipStream_tbENKUlT_T0_E_clISt17integral_constantIbLb0EES10_IbLb1EEEEDaSW_SX_EUlSW_E_NS1_11comp_targetILNS1_3genE0ELNS1_11target_archE4294967295ELNS1_3gpuE0ELNS1_3repE0EEENS1_30default_config_static_selectorELNS0_4arch9wavefront6targetE1EEEvT1_
    .private_segment_fixed_size: 0
    .sgpr_count:     4
    .sgpr_spill_count: 0
    .symbol:         _ZN7rocprim17ROCPRIM_400000_NS6detail17trampoline_kernelINS0_14default_configENS1_33run_length_encode_config_selectorIN3c108BFloat16EjNS0_4plusIjEEEEZZNS1_33reduce_by_key_impl_wrapped_configILNS1_25lookback_scan_determinismE0ES3_S9_PKS6_NS0_17constant_iteratorIjlEEPS6_PlSH_S8_NS0_8equal_toIS6_EEEE10hipError_tPvRmT2_T3_mT4_T5_T6_T7_T8_P12ihipStream_tbENKUlT_T0_E_clISt17integral_constantIbLb0EES10_IbLb1EEEEDaSW_SX_EUlSW_E_NS1_11comp_targetILNS1_3genE0ELNS1_11target_archE4294967295ELNS1_3gpuE0ELNS1_3repE0EEENS1_30default_config_static_selectorELNS0_4arch9wavefront6targetE1EEEvT1_.kd
    .uniform_work_group_size: 1
    .uses_dynamic_stack: false
    .vgpr_count:     0
    .vgpr_spill_count: 0
    .wavefront_size: 64
  - .agpr_count:     0
    .args:
      - .offset:         0
        .size:           128
        .value_kind:     by_value
    .group_segment_fixed_size: 0
    .kernarg_segment_align: 8
    .kernarg_segment_size: 128
    .language:       OpenCL C
    .language_version:
      - 2
      - 0
    .max_flat_workgroup_size: 256
    .name:           _ZN7rocprim17ROCPRIM_400000_NS6detail17trampoline_kernelINS0_14default_configENS1_33run_length_encode_config_selectorIN3c108BFloat16EjNS0_4plusIjEEEEZZNS1_33reduce_by_key_impl_wrapped_configILNS1_25lookback_scan_determinismE0ES3_S9_PKS6_NS0_17constant_iteratorIjlEEPS6_PlSH_S8_NS0_8equal_toIS6_EEEE10hipError_tPvRmT2_T3_mT4_T5_T6_T7_T8_P12ihipStream_tbENKUlT_T0_E_clISt17integral_constantIbLb0EES10_IbLb1EEEEDaSW_SX_EUlSW_E_NS1_11comp_targetILNS1_3genE5ELNS1_11target_archE942ELNS1_3gpuE9ELNS1_3repE0EEENS1_30default_config_static_selectorELNS0_4arch9wavefront6targetE1EEEvT1_
    .private_segment_fixed_size: 0
    .sgpr_count:     4
    .sgpr_spill_count: 0
    .symbol:         _ZN7rocprim17ROCPRIM_400000_NS6detail17trampoline_kernelINS0_14default_configENS1_33run_length_encode_config_selectorIN3c108BFloat16EjNS0_4plusIjEEEEZZNS1_33reduce_by_key_impl_wrapped_configILNS1_25lookback_scan_determinismE0ES3_S9_PKS6_NS0_17constant_iteratorIjlEEPS6_PlSH_S8_NS0_8equal_toIS6_EEEE10hipError_tPvRmT2_T3_mT4_T5_T6_T7_T8_P12ihipStream_tbENKUlT_T0_E_clISt17integral_constantIbLb0EES10_IbLb1EEEEDaSW_SX_EUlSW_E_NS1_11comp_targetILNS1_3genE5ELNS1_11target_archE942ELNS1_3gpuE9ELNS1_3repE0EEENS1_30default_config_static_selectorELNS0_4arch9wavefront6targetE1EEEvT1_.kd
    .uniform_work_group_size: 1
    .uses_dynamic_stack: false
    .vgpr_count:     0
    .vgpr_spill_count: 0
    .wavefront_size: 64
  - .agpr_count:     0
    .args:
      - .offset:         0
        .size:           128
        .value_kind:     by_value
    .group_segment_fixed_size: 15360
    .kernarg_segment_align: 8
    .kernarg_segment_size: 128
    .language:       OpenCL C
    .language_version:
      - 2
      - 0
    .max_flat_workgroup_size: 256
    .name:           _ZN7rocprim17ROCPRIM_400000_NS6detail17trampoline_kernelINS0_14default_configENS1_33run_length_encode_config_selectorIN3c108BFloat16EjNS0_4plusIjEEEEZZNS1_33reduce_by_key_impl_wrapped_configILNS1_25lookback_scan_determinismE0ES3_S9_PKS6_NS0_17constant_iteratorIjlEEPS6_PlSH_S8_NS0_8equal_toIS6_EEEE10hipError_tPvRmT2_T3_mT4_T5_T6_T7_T8_P12ihipStream_tbENKUlT_T0_E_clISt17integral_constantIbLb0EES10_IbLb1EEEEDaSW_SX_EUlSW_E_NS1_11comp_targetILNS1_3genE4ELNS1_11target_archE910ELNS1_3gpuE8ELNS1_3repE0EEENS1_30default_config_static_selectorELNS0_4arch9wavefront6targetE1EEEvT1_
    .private_segment_fixed_size: 0
    .sgpr_count:     70
    .sgpr_spill_count: 0
    .symbol:         _ZN7rocprim17ROCPRIM_400000_NS6detail17trampoline_kernelINS0_14default_configENS1_33run_length_encode_config_selectorIN3c108BFloat16EjNS0_4plusIjEEEEZZNS1_33reduce_by_key_impl_wrapped_configILNS1_25lookback_scan_determinismE0ES3_S9_PKS6_NS0_17constant_iteratorIjlEEPS6_PlSH_S8_NS0_8equal_toIS6_EEEE10hipError_tPvRmT2_T3_mT4_T5_T6_T7_T8_P12ihipStream_tbENKUlT_T0_E_clISt17integral_constantIbLb0EES10_IbLb1EEEEDaSW_SX_EUlSW_E_NS1_11comp_targetILNS1_3genE4ELNS1_11target_archE910ELNS1_3gpuE8ELNS1_3repE0EEENS1_30default_config_static_selectorELNS0_4arch9wavefront6targetE1EEEvT1_.kd
    .uniform_work_group_size: 1
    .uses_dynamic_stack: false
    .vgpr_count:     109
    .vgpr_spill_count: 0
    .wavefront_size: 64
  - .agpr_count:     0
    .args:
      - .offset:         0
        .size:           128
        .value_kind:     by_value
    .group_segment_fixed_size: 0
    .kernarg_segment_align: 8
    .kernarg_segment_size: 128
    .language:       OpenCL C
    .language_version:
      - 2
      - 0
    .max_flat_workgroup_size: 256
    .name:           _ZN7rocprim17ROCPRIM_400000_NS6detail17trampoline_kernelINS0_14default_configENS1_33run_length_encode_config_selectorIN3c108BFloat16EjNS0_4plusIjEEEEZZNS1_33reduce_by_key_impl_wrapped_configILNS1_25lookback_scan_determinismE0ES3_S9_PKS6_NS0_17constant_iteratorIjlEEPS6_PlSH_S8_NS0_8equal_toIS6_EEEE10hipError_tPvRmT2_T3_mT4_T5_T6_T7_T8_P12ihipStream_tbENKUlT_T0_E_clISt17integral_constantIbLb0EES10_IbLb1EEEEDaSW_SX_EUlSW_E_NS1_11comp_targetILNS1_3genE3ELNS1_11target_archE908ELNS1_3gpuE7ELNS1_3repE0EEENS1_30default_config_static_selectorELNS0_4arch9wavefront6targetE1EEEvT1_
    .private_segment_fixed_size: 0
    .sgpr_count:     4
    .sgpr_spill_count: 0
    .symbol:         _ZN7rocprim17ROCPRIM_400000_NS6detail17trampoline_kernelINS0_14default_configENS1_33run_length_encode_config_selectorIN3c108BFloat16EjNS0_4plusIjEEEEZZNS1_33reduce_by_key_impl_wrapped_configILNS1_25lookback_scan_determinismE0ES3_S9_PKS6_NS0_17constant_iteratorIjlEEPS6_PlSH_S8_NS0_8equal_toIS6_EEEE10hipError_tPvRmT2_T3_mT4_T5_T6_T7_T8_P12ihipStream_tbENKUlT_T0_E_clISt17integral_constantIbLb0EES10_IbLb1EEEEDaSW_SX_EUlSW_E_NS1_11comp_targetILNS1_3genE3ELNS1_11target_archE908ELNS1_3gpuE7ELNS1_3repE0EEENS1_30default_config_static_selectorELNS0_4arch9wavefront6targetE1EEEvT1_.kd
    .uniform_work_group_size: 1
    .uses_dynamic_stack: false
    .vgpr_count:     0
    .vgpr_spill_count: 0
    .wavefront_size: 64
  - .agpr_count:     0
    .args:
      - .offset:         0
        .size:           128
        .value_kind:     by_value
    .group_segment_fixed_size: 0
    .kernarg_segment_align: 8
    .kernarg_segment_size: 128
    .language:       OpenCL C
    .language_version:
      - 2
      - 0
    .max_flat_workgroup_size: 256
    .name:           _ZN7rocprim17ROCPRIM_400000_NS6detail17trampoline_kernelINS0_14default_configENS1_33run_length_encode_config_selectorIN3c108BFloat16EjNS0_4plusIjEEEEZZNS1_33reduce_by_key_impl_wrapped_configILNS1_25lookback_scan_determinismE0ES3_S9_PKS6_NS0_17constant_iteratorIjlEEPS6_PlSH_S8_NS0_8equal_toIS6_EEEE10hipError_tPvRmT2_T3_mT4_T5_T6_T7_T8_P12ihipStream_tbENKUlT_T0_E_clISt17integral_constantIbLb0EES10_IbLb1EEEEDaSW_SX_EUlSW_E_NS1_11comp_targetILNS1_3genE2ELNS1_11target_archE906ELNS1_3gpuE6ELNS1_3repE0EEENS1_30default_config_static_selectorELNS0_4arch9wavefront6targetE1EEEvT1_
    .private_segment_fixed_size: 0
    .sgpr_count:     4
    .sgpr_spill_count: 0
    .symbol:         _ZN7rocprim17ROCPRIM_400000_NS6detail17trampoline_kernelINS0_14default_configENS1_33run_length_encode_config_selectorIN3c108BFloat16EjNS0_4plusIjEEEEZZNS1_33reduce_by_key_impl_wrapped_configILNS1_25lookback_scan_determinismE0ES3_S9_PKS6_NS0_17constant_iteratorIjlEEPS6_PlSH_S8_NS0_8equal_toIS6_EEEE10hipError_tPvRmT2_T3_mT4_T5_T6_T7_T8_P12ihipStream_tbENKUlT_T0_E_clISt17integral_constantIbLb0EES10_IbLb1EEEEDaSW_SX_EUlSW_E_NS1_11comp_targetILNS1_3genE2ELNS1_11target_archE906ELNS1_3gpuE6ELNS1_3repE0EEENS1_30default_config_static_selectorELNS0_4arch9wavefront6targetE1EEEvT1_.kd
    .uniform_work_group_size: 1
    .uses_dynamic_stack: false
    .vgpr_count:     0
    .vgpr_spill_count: 0
    .wavefront_size: 64
  - .agpr_count:     0
    .args:
      - .offset:         0
        .size:           128
        .value_kind:     by_value
    .group_segment_fixed_size: 0
    .kernarg_segment_align: 8
    .kernarg_segment_size: 128
    .language:       OpenCL C
    .language_version:
      - 2
      - 0
    .max_flat_workgroup_size: 256
    .name:           _ZN7rocprim17ROCPRIM_400000_NS6detail17trampoline_kernelINS0_14default_configENS1_33run_length_encode_config_selectorIN3c108BFloat16EjNS0_4plusIjEEEEZZNS1_33reduce_by_key_impl_wrapped_configILNS1_25lookback_scan_determinismE0ES3_S9_PKS6_NS0_17constant_iteratorIjlEEPS6_PlSH_S8_NS0_8equal_toIS6_EEEE10hipError_tPvRmT2_T3_mT4_T5_T6_T7_T8_P12ihipStream_tbENKUlT_T0_E_clISt17integral_constantIbLb0EES10_IbLb1EEEEDaSW_SX_EUlSW_E_NS1_11comp_targetILNS1_3genE10ELNS1_11target_archE1201ELNS1_3gpuE5ELNS1_3repE0EEENS1_30default_config_static_selectorELNS0_4arch9wavefront6targetE1EEEvT1_
    .private_segment_fixed_size: 0
    .sgpr_count:     4
    .sgpr_spill_count: 0
    .symbol:         _ZN7rocprim17ROCPRIM_400000_NS6detail17trampoline_kernelINS0_14default_configENS1_33run_length_encode_config_selectorIN3c108BFloat16EjNS0_4plusIjEEEEZZNS1_33reduce_by_key_impl_wrapped_configILNS1_25lookback_scan_determinismE0ES3_S9_PKS6_NS0_17constant_iteratorIjlEEPS6_PlSH_S8_NS0_8equal_toIS6_EEEE10hipError_tPvRmT2_T3_mT4_T5_T6_T7_T8_P12ihipStream_tbENKUlT_T0_E_clISt17integral_constantIbLb0EES10_IbLb1EEEEDaSW_SX_EUlSW_E_NS1_11comp_targetILNS1_3genE10ELNS1_11target_archE1201ELNS1_3gpuE5ELNS1_3repE0EEENS1_30default_config_static_selectorELNS0_4arch9wavefront6targetE1EEEvT1_.kd
    .uniform_work_group_size: 1
    .uses_dynamic_stack: false
    .vgpr_count:     0
    .vgpr_spill_count: 0
    .wavefront_size: 64
  - .agpr_count:     0
    .args:
      - .offset:         0
        .size:           128
        .value_kind:     by_value
    .group_segment_fixed_size: 0
    .kernarg_segment_align: 8
    .kernarg_segment_size: 128
    .language:       OpenCL C
    .language_version:
      - 2
      - 0
    .max_flat_workgroup_size: 256
    .name:           _ZN7rocprim17ROCPRIM_400000_NS6detail17trampoline_kernelINS0_14default_configENS1_33run_length_encode_config_selectorIN3c108BFloat16EjNS0_4plusIjEEEEZZNS1_33reduce_by_key_impl_wrapped_configILNS1_25lookback_scan_determinismE0ES3_S9_PKS6_NS0_17constant_iteratorIjlEEPS6_PlSH_S8_NS0_8equal_toIS6_EEEE10hipError_tPvRmT2_T3_mT4_T5_T6_T7_T8_P12ihipStream_tbENKUlT_T0_E_clISt17integral_constantIbLb0EES10_IbLb1EEEEDaSW_SX_EUlSW_E_NS1_11comp_targetILNS1_3genE10ELNS1_11target_archE1200ELNS1_3gpuE4ELNS1_3repE0EEENS1_30default_config_static_selectorELNS0_4arch9wavefront6targetE1EEEvT1_
    .private_segment_fixed_size: 0
    .sgpr_count:     4
    .sgpr_spill_count: 0
    .symbol:         _ZN7rocprim17ROCPRIM_400000_NS6detail17trampoline_kernelINS0_14default_configENS1_33run_length_encode_config_selectorIN3c108BFloat16EjNS0_4plusIjEEEEZZNS1_33reduce_by_key_impl_wrapped_configILNS1_25lookback_scan_determinismE0ES3_S9_PKS6_NS0_17constant_iteratorIjlEEPS6_PlSH_S8_NS0_8equal_toIS6_EEEE10hipError_tPvRmT2_T3_mT4_T5_T6_T7_T8_P12ihipStream_tbENKUlT_T0_E_clISt17integral_constantIbLb0EES10_IbLb1EEEEDaSW_SX_EUlSW_E_NS1_11comp_targetILNS1_3genE10ELNS1_11target_archE1200ELNS1_3gpuE4ELNS1_3repE0EEENS1_30default_config_static_selectorELNS0_4arch9wavefront6targetE1EEEvT1_.kd
    .uniform_work_group_size: 1
    .uses_dynamic_stack: false
    .vgpr_count:     0
    .vgpr_spill_count: 0
    .wavefront_size: 64
  - .agpr_count:     0
    .args:
      - .offset:         0
        .size:           128
        .value_kind:     by_value
    .group_segment_fixed_size: 0
    .kernarg_segment_align: 8
    .kernarg_segment_size: 128
    .language:       OpenCL C
    .language_version:
      - 2
      - 0
    .max_flat_workgroup_size: 256
    .name:           _ZN7rocprim17ROCPRIM_400000_NS6detail17trampoline_kernelINS0_14default_configENS1_33run_length_encode_config_selectorIN3c108BFloat16EjNS0_4plusIjEEEEZZNS1_33reduce_by_key_impl_wrapped_configILNS1_25lookback_scan_determinismE0ES3_S9_PKS6_NS0_17constant_iteratorIjlEEPS6_PlSH_S8_NS0_8equal_toIS6_EEEE10hipError_tPvRmT2_T3_mT4_T5_T6_T7_T8_P12ihipStream_tbENKUlT_T0_E_clISt17integral_constantIbLb0EES10_IbLb1EEEEDaSW_SX_EUlSW_E_NS1_11comp_targetILNS1_3genE9ELNS1_11target_archE1100ELNS1_3gpuE3ELNS1_3repE0EEENS1_30default_config_static_selectorELNS0_4arch9wavefront6targetE1EEEvT1_
    .private_segment_fixed_size: 0
    .sgpr_count:     4
    .sgpr_spill_count: 0
    .symbol:         _ZN7rocprim17ROCPRIM_400000_NS6detail17trampoline_kernelINS0_14default_configENS1_33run_length_encode_config_selectorIN3c108BFloat16EjNS0_4plusIjEEEEZZNS1_33reduce_by_key_impl_wrapped_configILNS1_25lookback_scan_determinismE0ES3_S9_PKS6_NS0_17constant_iteratorIjlEEPS6_PlSH_S8_NS0_8equal_toIS6_EEEE10hipError_tPvRmT2_T3_mT4_T5_T6_T7_T8_P12ihipStream_tbENKUlT_T0_E_clISt17integral_constantIbLb0EES10_IbLb1EEEEDaSW_SX_EUlSW_E_NS1_11comp_targetILNS1_3genE9ELNS1_11target_archE1100ELNS1_3gpuE3ELNS1_3repE0EEENS1_30default_config_static_selectorELNS0_4arch9wavefront6targetE1EEEvT1_.kd
    .uniform_work_group_size: 1
    .uses_dynamic_stack: false
    .vgpr_count:     0
    .vgpr_spill_count: 0
    .wavefront_size: 64
  - .agpr_count:     0
    .args:
      - .offset:         0
        .size:           128
        .value_kind:     by_value
    .group_segment_fixed_size: 0
    .kernarg_segment_align: 8
    .kernarg_segment_size: 128
    .language:       OpenCL C
    .language_version:
      - 2
      - 0
    .max_flat_workgroup_size: 256
    .name:           _ZN7rocprim17ROCPRIM_400000_NS6detail17trampoline_kernelINS0_14default_configENS1_33run_length_encode_config_selectorIN3c108BFloat16EjNS0_4plusIjEEEEZZNS1_33reduce_by_key_impl_wrapped_configILNS1_25lookback_scan_determinismE0ES3_S9_PKS6_NS0_17constant_iteratorIjlEEPS6_PlSH_S8_NS0_8equal_toIS6_EEEE10hipError_tPvRmT2_T3_mT4_T5_T6_T7_T8_P12ihipStream_tbENKUlT_T0_E_clISt17integral_constantIbLb0EES10_IbLb1EEEEDaSW_SX_EUlSW_E_NS1_11comp_targetILNS1_3genE8ELNS1_11target_archE1030ELNS1_3gpuE2ELNS1_3repE0EEENS1_30default_config_static_selectorELNS0_4arch9wavefront6targetE1EEEvT1_
    .private_segment_fixed_size: 0
    .sgpr_count:     4
    .sgpr_spill_count: 0
    .symbol:         _ZN7rocprim17ROCPRIM_400000_NS6detail17trampoline_kernelINS0_14default_configENS1_33run_length_encode_config_selectorIN3c108BFloat16EjNS0_4plusIjEEEEZZNS1_33reduce_by_key_impl_wrapped_configILNS1_25lookback_scan_determinismE0ES3_S9_PKS6_NS0_17constant_iteratorIjlEEPS6_PlSH_S8_NS0_8equal_toIS6_EEEE10hipError_tPvRmT2_T3_mT4_T5_T6_T7_T8_P12ihipStream_tbENKUlT_T0_E_clISt17integral_constantIbLb0EES10_IbLb1EEEEDaSW_SX_EUlSW_E_NS1_11comp_targetILNS1_3genE8ELNS1_11target_archE1030ELNS1_3gpuE2ELNS1_3repE0EEENS1_30default_config_static_selectorELNS0_4arch9wavefront6targetE1EEEvT1_.kd
    .uniform_work_group_size: 1
    .uses_dynamic_stack: false
    .vgpr_count:     0
    .vgpr_spill_count: 0
    .wavefront_size: 64
  - .agpr_count:     0
    .args:
      - .offset:         0
        .size:           8
        .value_kind:     by_value
      - .address_space:  global
        .offset:         8
        .size:           8
        .value_kind:     global_buffer
      - .address_space:  global
        .offset:         16
        .size:           8
        .value_kind:     global_buffer
      - .offset:         24
        .size:           4
        .value_kind:     hidden_block_count_x
      - .offset:         28
        .size:           4
        .value_kind:     hidden_block_count_y
      - .offset:         32
        .size:           4
        .value_kind:     hidden_block_count_z
      - .offset:         36
        .size:           2
        .value_kind:     hidden_group_size_x
      - .offset:         38
        .size:           2
        .value_kind:     hidden_group_size_y
      - .offset:         40
        .size:           2
        .value_kind:     hidden_group_size_z
      - .offset:         42
        .size:           2
        .value_kind:     hidden_remainder_x
      - .offset:         44
        .size:           2
        .value_kind:     hidden_remainder_y
      - .offset:         46
        .size:           2
        .value_kind:     hidden_remainder_z
      - .offset:         64
        .size:           8
        .value_kind:     hidden_global_offset_x
      - .offset:         72
        .size:           8
        .value_kind:     hidden_global_offset_y
      - .offset:         80
        .size:           8
        .value_kind:     hidden_global_offset_z
      - .offset:         88
        .size:           2
        .value_kind:     hidden_grid_dims
    .group_segment_fixed_size: 0
    .kernarg_segment_align: 8
    .kernarg_segment_size: 280
    .language:       OpenCL C
    .language_version:
      - 2
      - 0
    .max_flat_workgroup_size: 1024
    .name:           _ZN2at6native8internal12_GLOBAL__N_126adjacent_difference_kernelIPKN3c104HalfEEEvlT_Pi
    .private_segment_fixed_size: 0
    .sgpr_count:     18
    .sgpr_spill_count: 0
    .symbol:         _ZN2at6native8internal12_GLOBAL__N_126adjacent_difference_kernelIPKN3c104HalfEEEvlT_Pi.kd
    .uniform_work_group_size: 1
    .uses_dynamic_stack: false
    .vgpr_count:     14
    .vgpr_spill_count: 0
    .wavefront_size: 64
  - .agpr_count:     0
    .args:
      - .offset:         0
        .size:           112
        .value_kind:     by_value
    .group_segment_fixed_size: 0
    .kernarg_segment_align: 8
    .kernarg_segment_size: 112
    .language:       OpenCL C
    .language_version:
      - 2
      - 0
    .max_flat_workgroup_size: 256
    .name:           _ZN7rocprim17ROCPRIM_400000_NS6detail17trampoline_kernelINS0_14default_configENS1_25partition_config_selectorILNS1_17partition_subalgoE8EN3c104HalfENS0_10empty_typeEbEEZZNS1_14partition_implILS5_8ELb0ES3_jPKS7_PS8_PKS8_NS0_5tupleIJPS7_S8_EEENSG_IJSD_SD_EEENS0_18inequality_wrapperIN6hipcub16HIPCUB_304000_NS8EqualityEEEPlJS8_EEE10hipError_tPvRmT3_T4_T5_T6_T7_T9_mT8_P12ihipStream_tbDpT10_ENKUlT_T0_E_clISt17integral_constantIbLb0EES19_EEDaS14_S15_EUlS14_E_NS1_11comp_targetILNS1_3genE0ELNS1_11target_archE4294967295ELNS1_3gpuE0ELNS1_3repE0EEENS1_30default_config_static_selectorELNS0_4arch9wavefront6targetE1EEEvT1_
    .private_segment_fixed_size: 0
    .sgpr_count:     4
    .sgpr_spill_count: 0
    .symbol:         _ZN7rocprim17ROCPRIM_400000_NS6detail17trampoline_kernelINS0_14default_configENS1_25partition_config_selectorILNS1_17partition_subalgoE8EN3c104HalfENS0_10empty_typeEbEEZZNS1_14partition_implILS5_8ELb0ES3_jPKS7_PS8_PKS8_NS0_5tupleIJPS7_S8_EEENSG_IJSD_SD_EEENS0_18inequality_wrapperIN6hipcub16HIPCUB_304000_NS8EqualityEEEPlJS8_EEE10hipError_tPvRmT3_T4_T5_T6_T7_T9_mT8_P12ihipStream_tbDpT10_ENKUlT_T0_E_clISt17integral_constantIbLb0EES19_EEDaS14_S15_EUlS14_E_NS1_11comp_targetILNS1_3genE0ELNS1_11target_archE4294967295ELNS1_3gpuE0ELNS1_3repE0EEENS1_30default_config_static_selectorELNS0_4arch9wavefront6targetE1EEEvT1_.kd
    .uniform_work_group_size: 1
    .uses_dynamic_stack: false
    .vgpr_count:     0
    .vgpr_spill_count: 0
    .wavefront_size: 64
  - .agpr_count:     0
    .args:
      - .offset:         0
        .size:           112
        .value_kind:     by_value
    .group_segment_fixed_size: 0
    .kernarg_segment_align: 8
    .kernarg_segment_size: 112
    .language:       OpenCL C
    .language_version:
      - 2
      - 0
    .max_flat_workgroup_size: 512
    .name:           _ZN7rocprim17ROCPRIM_400000_NS6detail17trampoline_kernelINS0_14default_configENS1_25partition_config_selectorILNS1_17partition_subalgoE8EN3c104HalfENS0_10empty_typeEbEEZZNS1_14partition_implILS5_8ELb0ES3_jPKS7_PS8_PKS8_NS0_5tupleIJPS7_S8_EEENSG_IJSD_SD_EEENS0_18inequality_wrapperIN6hipcub16HIPCUB_304000_NS8EqualityEEEPlJS8_EEE10hipError_tPvRmT3_T4_T5_T6_T7_T9_mT8_P12ihipStream_tbDpT10_ENKUlT_T0_E_clISt17integral_constantIbLb0EES19_EEDaS14_S15_EUlS14_E_NS1_11comp_targetILNS1_3genE5ELNS1_11target_archE942ELNS1_3gpuE9ELNS1_3repE0EEENS1_30default_config_static_selectorELNS0_4arch9wavefront6targetE1EEEvT1_
    .private_segment_fixed_size: 0
    .sgpr_count:     4
    .sgpr_spill_count: 0
    .symbol:         _ZN7rocprim17ROCPRIM_400000_NS6detail17trampoline_kernelINS0_14default_configENS1_25partition_config_selectorILNS1_17partition_subalgoE8EN3c104HalfENS0_10empty_typeEbEEZZNS1_14partition_implILS5_8ELb0ES3_jPKS7_PS8_PKS8_NS0_5tupleIJPS7_S8_EEENSG_IJSD_SD_EEENS0_18inequality_wrapperIN6hipcub16HIPCUB_304000_NS8EqualityEEEPlJS8_EEE10hipError_tPvRmT3_T4_T5_T6_T7_T9_mT8_P12ihipStream_tbDpT10_ENKUlT_T0_E_clISt17integral_constantIbLb0EES19_EEDaS14_S15_EUlS14_E_NS1_11comp_targetILNS1_3genE5ELNS1_11target_archE942ELNS1_3gpuE9ELNS1_3repE0EEENS1_30default_config_static_selectorELNS0_4arch9wavefront6targetE1EEEvT1_.kd
    .uniform_work_group_size: 1
    .uses_dynamic_stack: false
    .vgpr_count:     0
    .vgpr_spill_count: 0
    .wavefront_size: 64
  - .agpr_count:     0
    .args:
      - .offset:         0
        .size:           112
        .value_kind:     by_value
    .group_segment_fixed_size: 11272
    .kernarg_segment_align: 8
    .kernarg_segment_size: 112
    .language:       OpenCL C
    .language_version:
      - 2
      - 0
    .max_flat_workgroup_size: 256
    .name:           _ZN7rocprim17ROCPRIM_400000_NS6detail17trampoline_kernelINS0_14default_configENS1_25partition_config_selectorILNS1_17partition_subalgoE8EN3c104HalfENS0_10empty_typeEbEEZZNS1_14partition_implILS5_8ELb0ES3_jPKS7_PS8_PKS8_NS0_5tupleIJPS7_S8_EEENSG_IJSD_SD_EEENS0_18inequality_wrapperIN6hipcub16HIPCUB_304000_NS8EqualityEEEPlJS8_EEE10hipError_tPvRmT3_T4_T5_T6_T7_T9_mT8_P12ihipStream_tbDpT10_ENKUlT_T0_E_clISt17integral_constantIbLb0EES19_EEDaS14_S15_EUlS14_E_NS1_11comp_targetILNS1_3genE4ELNS1_11target_archE910ELNS1_3gpuE8ELNS1_3repE0EEENS1_30default_config_static_selectorELNS0_4arch9wavefront6targetE1EEEvT1_
    .private_segment_fixed_size: 0
    .sgpr_count:     66
    .sgpr_spill_count: 0
    .symbol:         _ZN7rocprim17ROCPRIM_400000_NS6detail17trampoline_kernelINS0_14default_configENS1_25partition_config_selectorILNS1_17partition_subalgoE8EN3c104HalfENS0_10empty_typeEbEEZZNS1_14partition_implILS5_8ELb0ES3_jPKS7_PS8_PKS8_NS0_5tupleIJPS7_S8_EEENSG_IJSD_SD_EEENS0_18inequality_wrapperIN6hipcub16HIPCUB_304000_NS8EqualityEEEPlJS8_EEE10hipError_tPvRmT3_T4_T5_T6_T7_T9_mT8_P12ihipStream_tbDpT10_ENKUlT_T0_E_clISt17integral_constantIbLb0EES19_EEDaS14_S15_EUlS14_E_NS1_11comp_targetILNS1_3genE4ELNS1_11target_archE910ELNS1_3gpuE8ELNS1_3repE0EEENS1_30default_config_static_selectorELNS0_4arch9wavefront6targetE1EEEvT1_.kd
    .uniform_work_group_size: 1
    .uses_dynamic_stack: false
    .vgpr_count:     86
    .vgpr_spill_count: 0
    .wavefront_size: 64
  - .agpr_count:     0
    .args:
      - .offset:         0
        .size:           112
        .value_kind:     by_value
    .group_segment_fixed_size: 0
    .kernarg_segment_align: 8
    .kernarg_segment_size: 112
    .language:       OpenCL C
    .language_version:
      - 2
      - 0
    .max_flat_workgroup_size: 256
    .name:           _ZN7rocprim17ROCPRIM_400000_NS6detail17trampoline_kernelINS0_14default_configENS1_25partition_config_selectorILNS1_17partition_subalgoE8EN3c104HalfENS0_10empty_typeEbEEZZNS1_14partition_implILS5_8ELb0ES3_jPKS7_PS8_PKS8_NS0_5tupleIJPS7_S8_EEENSG_IJSD_SD_EEENS0_18inequality_wrapperIN6hipcub16HIPCUB_304000_NS8EqualityEEEPlJS8_EEE10hipError_tPvRmT3_T4_T5_T6_T7_T9_mT8_P12ihipStream_tbDpT10_ENKUlT_T0_E_clISt17integral_constantIbLb0EES19_EEDaS14_S15_EUlS14_E_NS1_11comp_targetILNS1_3genE3ELNS1_11target_archE908ELNS1_3gpuE7ELNS1_3repE0EEENS1_30default_config_static_selectorELNS0_4arch9wavefront6targetE1EEEvT1_
    .private_segment_fixed_size: 0
    .sgpr_count:     4
    .sgpr_spill_count: 0
    .symbol:         _ZN7rocprim17ROCPRIM_400000_NS6detail17trampoline_kernelINS0_14default_configENS1_25partition_config_selectorILNS1_17partition_subalgoE8EN3c104HalfENS0_10empty_typeEbEEZZNS1_14partition_implILS5_8ELb0ES3_jPKS7_PS8_PKS8_NS0_5tupleIJPS7_S8_EEENSG_IJSD_SD_EEENS0_18inequality_wrapperIN6hipcub16HIPCUB_304000_NS8EqualityEEEPlJS8_EEE10hipError_tPvRmT3_T4_T5_T6_T7_T9_mT8_P12ihipStream_tbDpT10_ENKUlT_T0_E_clISt17integral_constantIbLb0EES19_EEDaS14_S15_EUlS14_E_NS1_11comp_targetILNS1_3genE3ELNS1_11target_archE908ELNS1_3gpuE7ELNS1_3repE0EEENS1_30default_config_static_selectorELNS0_4arch9wavefront6targetE1EEEvT1_.kd
    .uniform_work_group_size: 1
    .uses_dynamic_stack: false
    .vgpr_count:     0
    .vgpr_spill_count: 0
    .wavefront_size: 64
  - .agpr_count:     0
    .args:
      - .offset:         0
        .size:           112
        .value_kind:     by_value
    .group_segment_fixed_size: 0
    .kernarg_segment_align: 8
    .kernarg_segment_size: 112
    .language:       OpenCL C
    .language_version:
      - 2
      - 0
    .max_flat_workgroup_size: 192
    .name:           _ZN7rocprim17ROCPRIM_400000_NS6detail17trampoline_kernelINS0_14default_configENS1_25partition_config_selectorILNS1_17partition_subalgoE8EN3c104HalfENS0_10empty_typeEbEEZZNS1_14partition_implILS5_8ELb0ES3_jPKS7_PS8_PKS8_NS0_5tupleIJPS7_S8_EEENSG_IJSD_SD_EEENS0_18inequality_wrapperIN6hipcub16HIPCUB_304000_NS8EqualityEEEPlJS8_EEE10hipError_tPvRmT3_T4_T5_T6_T7_T9_mT8_P12ihipStream_tbDpT10_ENKUlT_T0_E_clISt17integral_constantIbLb0EES19_EEDaS14_S15_EUlS14_E_NS1_11comp_targetILNS1_3genE2ELNS1_11target_archE906ELNS1_3gpuE6ELNS1_3repE0EEENS1_30default_config_static_selectorELNS0_4arch9wavefront6targetE1EEEvT1_
    .private_segment_fixed_size: 0
    .sgpr_count:     4
    .sgpr_spill_count: 0
    .symbol:         _ZN7rocprim17ROCPRIM_400000_NS6detail17trampoline_kernelINS0_14default_configENS1_25partition_config_selectorILNS1_17partition_subalgoE8EN3c104HalfENS0_10empty_typeEbEEZZNS1_14partition_implILS5_8ELb0ES3_jPKS7_PS8_PKS8_NS0_5tupleIJPS7_S8_EEENSG_IJSD_SD_EEENS0_18inequality_wrapperIN6hipcub16HIPCUB_304000_NS8EqualityEEEPlJS8_EEE10hipError_tPvRmT3_T4_T5_T6_T7_T9_mT8_P12ihipStream_tbDpT10_ENKUlT_T0_E_clISt17integral_constantIbLb0EES19_EEDaS14_S15_EUlS14_E_NS1_11comp_targetILNS1_3genE2ELNS1_11target_archE906ELNS1_3gpuE6ELNS1_3repE0EEENS1_30default_config_static_selectorELNS0_4arch9wavefront6targetE1EEEvT1_.kd
    .uniform_work_group_size: 1
    .uses_dynamic_stack: false
    .vgpr_count:     0
    .vgpr_spill_count: 0
    .wavefront_size: 64
  - .agpr_count:     0
    .args:
      - .offset:         0
        .size:           112
        .value_kind:     by_value
    .group_segment_fixed_size: 0
    .kernarg_segment_align: 8
    .kernarg_segment_size: 112
    .language:       OpenCL C
    .language_version:
      - 2
      - 0
    .max_flat_workgroup_size: 256
    .name:           _ZN7rocprim17ROCPRIM_400000_NS6detail17trampoline_kernelINS0_14default_configENS1_25partition_config_selectorILNS1_17partition_subalgoE8EN3c104HalfENS0_10empty_typeEbEEZZNS1_14partition_implILS5_8ELb0ES3_jPKS7_PS8_PKS8_NS0_5tupleIJPS7_S8_EEENSG_IJSD_SD_EEENS0_18inequality_wrapperIN6hipcub16HIPCUB_304000_NS8EqualityEEEPlJS8_EEE10hipError_tPvRmT3_T4_T5_T6_T7_T9_mT8_P12ihipStream_tbDpT10_ENKUlT_T0_E_clISt17integral_constantIbLb0EES19_EEDaS14_S15_EUlS14_E_NS1_11comp_targetILNS1_3genE10ELNS1_11target_archE1200ELNS1_3gpuE4ELNS1_3repE0EEENS1_30default_config_static_selectorELNS0_4arch9wavefront6targetE1EEEvT1_
    .private_segment_fixed_size: 0
    .sgpr_count:     4
    .sgpr_spill_count: 0
    .symbol:         _ZN7rocprim17ROCPRIM_400000_NS6detail17trampoline_kernelINS0_14default_configENS1_25partition_config_selectorILNS1_17partition_subalgoE8EN3c104HalfENS0_10empty_typeEbEEZZNS1_14partition_implILS5_8ELb0ES3_jPKS7_PS8_PKS8_NS0_5tupleIJPS7_S8_EEENSG_IJSD_SD_EEENS0_18inequality_wrapperIN6hipcub16HIPCUB_304000_NS8EqualityEEEPlJS8_EEE10hipError_tPvRmT3_T4_T5_T6_T7_T9_mT8_P12ihipStream_tbDpT10_ENKUlT_T0_E_clISt17integral_constantIbLb0EES19_EEDaS14_S15_EUlS14_E_NS1_11comp_targetILNS1_3genE10ELNS1_11target_archE1200ELNS1_3gpuE4ELNS1_3repE0EEENS1_30default_config_static_selectorELNS0_4arch9wavefront6targetE1EEEvT1_.kd
    .uniform_work_group_size: 1
    .uses_dynamic_stack: false
    .vgpr_count:     0
    .vgpr_spill_count: 0
    .wavefront_size: 64
  - .agpr_count:     0
    .args:
      - .offset:         0
        .size:           112
        .value_kind:     by_value
    .group_segment_fixed_size: 0
    .kernarg_segment_align: 8
    .kernarg_segment_size: 112
    .language:       OpenCL C
    .language_version:
      - 2
      - 0
    .max_flat_workgroup_size: 128
    .name:           _ZN7rocprim17ROCPRIM_400000_NS6detail17trampoline_kernelINS0_14default_configENS1_25partition_config_selectorILNS1_17partition_subalgoE8EN3c104HalfENS0_10empty_typeEbEEZZNS1_14partition_implILS5_8ELb0ES3_jPKS7_PS8_PKS8_NS0_5tupleIJPS7_S8_EEENSG_IJSD_SD_EEENS0_18inequality_wrapperIN6hipcub16HIPCUB_304000_NS8EqualityEEEPlJS8_EEE10hipError_tPvRmT3_T4_T5_T6_T7_T9_mT8_P12ihipStream_tbDpT10_ENKUlT_T0_E_clISt17integral_constantIbLb0EES19_EEDaS14_S15_EUlS14_E_NS1_11comp_targetILNS1_3genE9ELNS1_11target_archE1100ELNS1_3gpuE3ELNS1_3repE0EEENS1_30default_config_static_selectorELNS0_4arch9wavefront6targetE1EEEvT1_
    .private_segment_fixed_size: 0
    .sgpr_count:     4
    .sgpr_spill_count: 0
    .symbol:         _ZN7rocprim17ROCPRIM_400000_NS6detail17trampoline_kernelINS0_14default_configENS1_25partition_config_selectorILNS1_17partition_subalgoE8EN3c104HalfENS0_10empty_typeEbEEZZNS1_14partition_implILS5_8ELb0ES3_jPKS7_PS8_PKS8_NS0_5tupleIJPS7_S8_EEENSG_IJSD_SD_EEENS0_18inequality_wrapperIN6hipcub16HIPCUB_304000_NS8EqualityEEEPlJS8_EEE10hipError_tPvRmT3_T4_T5_T6_T7_T9_mT8_P12ihipStream_tbDpT10_ENKUlT_T0_E_clISt17integral_constantIbLb0EES19_EEDaS14_S15_EUlS14_E_NS1_11comp_targetILNS1_3genE9ELNS1_11target_archE1100ELNS1_3gpuE3ELNS1_3repE0EEENS1_30default_config_static_selectorELNS0_4arch9wavefront6targetE1EEEvT1_.kd
    .uniform_work_group_size: 1
    .uses_dynamic_stack: false
    .vgpr_count:     0
    .vgpr_spill_count: 0
    .wavefront_size: 64
  - .agpr_count:     0
    .args:
      - .offset:         0
        .size:           112
        .value_kind:     by_value
    .group_segment_fixed_size: 0
    .kernarg_segment_align: 8
    .kernarg_segment_size: 112
    .language:       OpenCL C
    .language_version:
      - 2
      - 0
    .max_flat_workgroup_size: 384
    .name:           _ZN7rocprim17ROCPRIM_400000_NS6detail17trampoline_kernelINS0_14default_configENS1_25partition_config_selectorILNS1_17partition_subalgoE8EN3c104HalfENS0_10empty_typeEbEEZZNS1_14partition_implILS5_8ELb0ES3_jPKS7_PS8_PKS8_NS0_5tupleIJPS7_S8_EEENSG_IJSD_SD_EEENS0_18inequality_wrapperIN6hipcub16HIPCUB_304000_NS8EqualityEEEPlJS8_EEE10hipError_tPvRmT3_T4_T5_T6_T7_T9_mT8_P12ihipStream_tbDpT10_ENKUlT_T0_E_clISt17integral_constantIbLb0EES19_EEDaS14_S15_EUlS14_E_NS1_11comp_targetILNS1_3genE8ELNS1_11target_archE1030ELNS1_3gpuE2ELNS1_3repE0EEENS1_30default_config_static_selectorELNS0_4arch9wavefront6targetE1EEEvT1_
    .private_segment_fixed_size: 0
    .sgpr_count:     4
    .sgpr_spill_count: 0
    .symbol:         _ZN7rocprim17ROCPRIM_400000_NS6detail17trampoline_kernelINS0_14default_configENS1_25partition_config_selectorILNS1_17partition_subalgoE8EN3c104HalfENS0_10empty_typeEbEEZZNS1_14partition_implILS5_8ELb0ES3_jPKS7_PS8_PKS8_NS0_5tupleIJPS7_S8_EEENSG_IJSD_SD_EEENS0_18inequality_wrapperIN6hipcub16HIPCUB_304000_NS8EqualityEEEPlJS8_EEE10hipError_tPvRmT3_T4_T5_T6_T7_T9_mT8_P12ihipStream_tbDpT10_ENKUlT_T0_E_clISt17integral_constantIbLb0EES19_EEDaS14_S15_EUlS14_E_NS1_11comp_targetILNS1_3genE8ELNS1_11target_archE1030ELNS1_3gpuE2ELNS1_3repE0EEENS1_30default_config_static_selectorELNS0_4arch9wavefront6targetE1EEEvT1_.kd
    .uniform_work_group_size: 1
    .uses_dynamic_stack: false
    .vgpr_count:     0
    .vgpr_spill_count: 0
    .wavefront_size: 64
  - .agpr_count:     0
    .args:
      - .offset:         0
        .size:           128
        .value_kind:     by_value
    .group_segment_fixed_size: 0
    .kernarg_segment_align: 8
    .kernarg_segment_size: 128
    .language:       OpenCL C
    .language_version:
      - 2
      - 0
    .max_flat_workgroup_size: 256
    .name:           _ZN7rocprim17ROCPRIM_400000_NS6detail17trampoline_kernelINS0_14default_configENS1_25partition_config_selectorILNS1_17partition_subalgoE8EN3c104HalfENS0_10empty_typeEbEEZZNS1_14partition_implILS5_8ELb0ES3_jPKS7_PS8_PKS8_NS0_5tupleIJPS7_S8_EEENSG_IJSD_SD_EEENS0_18inequality_wrapperIN6hipcub16HIPCUB_304000_NS8EqualityEEEPlJS8_EEE10hipError_tPvRmT3_T4_T5_T6_T7_T9_mT8_P12ihipStream_tbDpT10_ENKUlT_T0_E_clISt17integral_constantIbLb1EES19_EEDaS14_S15_EUlS14_E_NS1_11comp_targetILNS1_3genE0ELNS1_11target_archE4294967295ELNS1_3gpuE0ELNS1_3repE0EEENS1_30default_config_static_selectorELNS0_4arch9wavefront6targetE1EEEvT1_
    .private_segment_fixed_size: 0
    .sgpr_count:     4
    .sgpr_spill_count: 0
    .symbol:         _ZN7rocprim17ROCPRIM_400000_NS6detail17trampoline_kernelINS0_14default_configENS1_25partition_config_selectorILNS1_17partition_subalgoE8EN3c104HalfENS0_10empty_typeEbEEZZNS1_14partition_implILS5_8ELb0ES3_jPKS7_PS8_PKS8_NS0_5tupleIJPS7_S8_EEENSG_IJSD_SD_EEENS0_18inequality_wrapperIN6hipcub16HIPCUB_304000_NS8EqualityEEEPlJS8_EEE10hipError_tPvRmT3_T4_T5_T6_T7_T9_mT8_P12ihipStream_tbDpT10_ENKUlT_T0_E_clISt17integral_constantIbLb1EES19_EEDaS14_S15_EUlS14_E_NS1_11comp_targetILNS1_3genE0ELNS1_11target_archE4294967295ELNS1_3gpuE0ELNS1_3repE0EEENS1_30default_config_static_selectorELNS0_4arch9wavefront6targetE1EEEvT1_.kd
    .uniform_work_group_size: 1
    .uses_dynamic_stack: false
    .vgpr_count:     0
    .vgpr_spill_count: 0
    .wavefront_size: 64
  - .agpr_count:     0
    .args:
      - .offset:         0
        .size:           128
        .value_kind:     by_value
    .group_segment_fixed_size: 0
    .kernarg_segment_align: 8
    .kernarg_segment_size: 128
    .language:       OpenCL C
    .language_version:
      - 2
      - 0
    .max_flat_workgroup_size: 512
    .name:           _ZN7rocprim17ROCPRIM_400000_NS6detail17trampoline_kernelINS0_14default_configENS1_25partition_config_selectorILNS1_17partition_subalgoE8EN3c104HalfENS0_10empty_typeEbEEZZNS1_14partition_implILS5_8ELb0ES3_jPKS7_PS8_PKS8_NS0_5tupleIJPS7_S8_EEENSG_IJSD_SD_EEENS0_18inequality_wrapperIN6hipcub16HIPCUB_304000_NS8EqualityEEEPlJS8_EEE10hipError_tPvRmT3_T4_T5_T6_T7_T9_mT8_P12ihipStream_tbDpT10_ENKUlT_T0_E_clISt17integral_constantIbLb1EES19_EEDaS14_S15_EUlS14_E_NS1_11comp_targetILNS1_3genE5ELNS1_11target_archE942ELNS1_3gpuE9ELNS1_3repE0EEENS1_30default_config_static_selectorELNS0_4arch9wavefront6targetE1EEEvT1_
    .private_segment_fixed_size: 0
    .sgpr_count:     4
    .sgpr_spill_count: 0
    .symbol:         _ZN7rocprim17ROCPRIM_400000_NS6detail17trampoline_kernelINS0_14default_configENS1_25partition_config_selectorILNS1_17partition_subalgoE8EN3c104HalfENS0_10empty_typeEbEEZZNS1_14partition_implILS5_8ELb0ES3_jPKS7_PS8_PKS8_NS0_5tupleIJPS7_S8_EEENSG_IJSD_SD_EEENS0_18inequality_wrapperIN6hipcub16HIPCUB_304000_NS8EqualityEEEPlJS8_EEE10hipError_tPvRmT3_T4_T5_T6_T7_T9_mT8_P12ihipStream_tbDpT10_ENKUlT_T0_E_clISt17integral_constantIbLb1EES19_EEDaS14_S15_EUlS14_E_NS1_11comp_targetILNS1_3genE5ELNS1_11target_archE942ELNS1_3gpuE9ELNS1_3repE0EEENS1_30default_config_static_selectorELNS0_4arch9wavefront6targetE1EEEvT1_.kd
    .uniform_work_group_size: 1
    .uses_dynamic_stack: false
    .vgpr_count:     0
    .vgpr_spill_count: 0
    .wavefront_size: 64
  - .agpr_count:     0
    .args:
      - .offset:         0
        .size:           128
        .value_kind:     by_value
    .group_segment_fixed_size: 11272
    .kernarg_segment_align: 8
    .kernarg_segment_size: 128
    .language:       OpenCL C
    .language_version:
      - 2
      - 0
    .max_flat_workgroup_size: 256
    .name:           _ZN7rocprim17ROCPRIM_400000_NS6detail17trampoline_kernelINS0_14default_configENS1_25partition_config_selectorILNS1_17partition_subalgoE8EN3c104HalfENS0_10empty_typeEbEEZZNS1_14partition_implILS5_8ELb0ES3_jPKS7_PS8_PKS8_NS0_5tupleIJPS7_S8_EEENSG_IJSD_SD_EEENS0_18inequality_wrapperIN6hipcub16HIPCUB_304000_NS8EqualityEEEPlJS8_EEE10hipError_tPvRmT3_T4_T5_T6_T7_T9_mT8_P12ihipStream_tbDpT10_ENKUlT_T0_E_clISt17integral_constantIbLb1EES19_EEDaS14_S15_EUlS14_E_NS1_11comp_targetILNS1_3genE4ELNS1_11target_archE910ELNS1_3gpuE8ELNS1_3repE0EEENS1_30default_config_static_selectorELNS0_4arch9wavefront6targetE1EEEvT1_
    .private_segment_fixed_size: 0
    .sgpr_count:     69
    .sgpr_spill_count: 0
    .symbol:         _ZN7rocprim17ROCPRIM_400000_NS6detail17trampoline_kernelINS0_14default_configENS1_25partition_config_selectorILNS1_17partition_subalgoE8EN3c104HalfENS0_10empty_typeEbEEZZNS1_14partition_implILS5_8ELb0ES3_jPKS7_PS8_PKS8_NS0_5tupleIJPS7_S8_EEENSG_IJSD_SD_EEENS0_18inequality_wrapperIN6hipcub16HIPCUB_304000_NS8EqualityEEEPlJS8_EEE10hipError_tPvRmT3_T4_T5_T6_T7_T9_mT8_P12ihipStream_tbDpT10_ENKUlT_T0_E_clISt17integral_constantIbLb1EES19_EEDaS14_S15_EUlS14_E_NS1_11comp_targetILNS1_3genE4ELNS1_11target_archE910ELNS1_3gpuE8ELNS1_3repE0EEENS1_30default_config_static_selectorELNS0_4arch9wavefront6targetE1EEEvT1_.kd
    .uniform_work_group_size: 1
    .uses_dynamic_stack: false
    .vgpr_count:     88
    .vgpr_spill_count: 0
    .wavefront_size: 64
  - .agpr_count:     0
    .args:
      - .offset:         0
        .size:           128
        .value_kind:     by_value
    .group_segment_fixed_size: 0
    .kernarg_segment_align: 8
    .kernarg_segment_size: 128
    .language:       OpenCL C
    .language_version:
      - 2
      - 0
    .max_flat_workgroup_size: 256
    .name:           _ZN7rocprim17ROCPRIM_400000_NS6detail17trampoline_kernelINS0_14default_configENS1_25partition_config_selectorILNS1_17partition_subalgoE8EN3c104HalfENS0_10empty_typeEbEEZZNS1_14partition_implILS5_8ELb0ES3_jPKS7_PS8_PKS8_NS0_5tupleIJPS7_S8_EEENSG_IJSD_SD_EEENS0_18inequality_wrapperIN6hipcub16HIPCUB_304000_NS8EqualityEEEPlJS8_EEE10hipError_tPvRmT3_T4_T5_T6_T7_T9_mT8_P12ihipStream_tbDpT10_ENKUlT_T0_E_clISt17integral_constantIbLb1EES19_EEDaS14_S15_EUlS14_E_NS1_11comp_targetILNS1_3genE3ELNS1_11target_archE908ELNS1_3gpuE7ELNS1_3repE0EEENS1_30default_config_static_selectorELNS0_4arch9wavefront6targetE1EEEvT1_
    .private_segment_fixed_size: 0
    .sgpr_count:     4
    .sgpr_spill_count: 0
    .symbol:         _ZN7rocprim17ROCPRIM_400000_NS6detail17trampoline_kernelINS0_14default_configENS1_25partition_config_selectorILNS1_17partition_subalgoE8EN3c104HalfENS0_10empty_typeEbEEZZNS1_14partition_implILS5_8ELb0ES3_jPKS7_PS8_PKS8_NS0_5tupleIJPS7_S8_EEENSG_IJSD_SD_EEENS0_18inequality_wrapperIN6hipcub16HIPCUB_304000_NS8EqualityEEEPlJS8_EEE10hipError_tPvRmT3_T4_T5_T6_T7_T9_mT8_P12ihipStream_tbDpT10_ENKUlT_T0_E_clISt17integral_constantIbLb1EES19_EEDaS14_S15_EUlS14_E_NS1_11comp_targetILNS1_3genE3ELNS1_11target_archE908ELNS1_3gpuE7ELNS1_3repE0EEENS1_30default_config_static_selectorELNS0_4arch9wavefront6targetE1EEEvT1_.kd
    .uniform_work_group_size: 1
    .uses_dynamic_stack: false
    .vgpr_count:     0
    .vgpr_spill_count: 0
    .wavefront_size: 64
  - .agpr_count:     0
    .args:
      - .offset:         0
        .size:           128
        .value_kind:     by_value
    .group_segment_fixed_size: 0
    .kernarg_segment_align: 8
    .kernarg_segment_size: 128
    .language:       OpenCL C
    .language_version:
      - 2
      - 0
    .max_flat_workgroup_size: 192
    .name:           _ZN7rocprim17ROCPRIM_400000_NS6detail17trampoline_kernelINS0_14default_configENS1_25partition_config_selectorILNS1_17partition_subalgoE8EN3c104HalfENS0_10empty_typeEbEEZZNS1_14partition_implILS5_8ELb0ES3_jPKS7_PS8_PKS8_NS0_5tupleIJPS7_S8_EEENSG_IJSD_SD_EEENS0_18inequality_wrapperIN6hipcub16HIPCUB_304000_NS8EqualityEEEPlJS8_EEE10hipError_tPvRmT3_T4_T5_T6_T7_T9_mT8_P12ihipStream_tbDpT10_ENKUlT_T0_E_clISt17integral_constantIbLb1EES19_EEDaS14_S15_EUlS14_E_NS1_11comp_targetILNS1_3genE2ELNS1_11target_archE906ELNS1_3gpuE6ELNS1_3repE0EEENS1_30default_config_static_selectorELNS0_4arch9wavefront6targetE1EEEvT1_
    .private_segment_fixed_size: 0
    .sgpr_count:     4
    .sgpr_spill_count: 0
    .symbol:         _ZN7rocprim17ROCPRIM_400000_NS6detail17trampoline_kernelINS0_14default_configENS1_25partition_config_selectorILNS1_17partition_subalgoE8EN3c104HalfENS0_10empty_typeEbEEZZNS1_14partition_implILS5_8ELb0ES3_jPKS7_PS8_PKS8_NS0_5tupleIJPS7_S8_EEENSG_IJSD_SD_EEENS0_18inequality_wrapperIN6hipcub16HIPCUB_304000_NS8EqualityEEEPlJS8_EEE10hipError_tPvRmT3_T4_T5_T6_T7_T9_mT8_P12ihipStream_tbDpT10_ENKUlT_T0_E_clISt17integral_constantIbLb1EES19_EEDaS14_S15_EUlS14_E_NS1_11comp_targetILNS1_3genE2ELNS1_11target_archE906ELNS1_3gpuE6ELNS1_3repE0EEENS1_30default_config_static_selectorELNS0_4arch9wavefront6targetE1EEEvT1_.kd
    .uniform_work_group_size: 1
    .uses_dynamic_stack: false
    .vgpr_count:     0
    .vgpr_spill_count: 0
    .wavefront_size: 64
  - .agpr_count:     0
    .args:
      - .offset:         0
        .size:           128
        .value_kind:     by_value
    .group_segment_fixed_size: 0
    .kernarg_segment_align: 8
    .kernarg_segment_size: 128
    .language:       OpenCL C
    .language_version:
      - 2
      - 0
    .max_flat_workgroup_size: 256
    .name:           _ZN7rocprim17ROCPRIM_400000_NS6detail17trampoline_kernelINS0_14default_configENS1_25partition_config_selectorILNS1_17partition_subalgoE8EN3c104HalfENS0_10empty_typeEbEEZZNS1_14partition_implILS5_8ELb0ES3_jPKS7_PS8_PKS8_NS0_5tupleIJPS7_S8_EEENSG_IJSD_SD_EEENS0_18inequality_wrapperIN6hipcub16HIPCUB_304000_NS8EqualityEEEPlJS8_EEE10hipError_tPvRmT3_T4_T5_T6_T7_T9_mT8_P12ihipStream_tbDpT10_ENKUlT_T0_E_clISt17integral_constantIbLb1EES19_EEDaS14_S15_EUlS14_E_NS1_11comp_targetILNS1_3genE10ELNS1_11target_archE1200ELNS1_3gpuE4ELNS1_3repE0EEENS1_30default_config_static_selectorELNS0_4arch9wavefront6targetE1EEEvT1_
    .private_segment_fixed_size: 0
    .sgpr_count:     4
    .sgpr_spill_count: 0
    .symbol:         _ZN7rocprim17ROCPRIM_400000_NS6detail17trampoline_kernelINS0_14default_configENS1_25partition_config_selectorILNS1_17partition_subalgoE8EN3c104HalfENS0_10empty_typeEbEEZZNS1_14partition_implILS5_8ELb0ES3_jPKS7_PS8_PKS8_NS0_5tupleIJPS7_S8_EEENSG_IJSD_SD_EEENS0_18inequality_wrapperIN6hipcub16HIPCUB_304000_NS8EqualityEEEPlJS8_EEE10hipError_tPvRmT3_T4_T5_T6_T7_T9_mT8_P12ihipStream_tbDpT10_ENKUlT_T0_E_clISt17integral_constantIbLb1EES19_EEDaS14_S15_EUlS14_E_NS1_11comp_targetILNS1_3genE10ELNS1_11target_archE1200ELNS1_3gpuE4ELNS1_3repE0EEENS1_30default_config_static_selectorELNS0_4arch9wavefront6targetE1EEEvT1_.kd
    .uniform_work_group_size: 1
    .uses_dynamic_stack: false
    .vgpr_count:     0
    .vgpr_spill_count: 0
    .wavefront_size: 64
  - .agpr_count:     0
    .args:
      - .offset:         0
        .size:           128
        .value_kind:     by_value
    .group_segment_fixed_size: 0
    .kernarg_segment_align: 8
    .kernarg_segment_size: 128
    .language:       OpenCL C
    .language_version:
      - 2
      - 0
    .max_flat_workgroup_size: 128
    .name:           _ZN7rocprim17ROCPRIM_400000_NS6detail17trampoline_kernelINS0_14default_configENS1_25partition_config_selectorILNS1_17partition_subalgoE8EN3c104HalfENS0_10empty_typeEbEEZZNS1_14partition_implILS5_8ELb0ES3_jPKS7_PS8_PKS8_NS0_5tupleIJPS7_S8_EEENSG_IJSD_SD_EEENS0_18inequality_wrapperIN6hipcub16HIPCUB_304000_NS8EqualityEEEPlJS8_EEE10hipError_tPvRmT3_T4_T5_T6_T7_T9_mT8_P12ihipStream_tbDpT10_ENKUlT_T0_E_clISt17integral_constantIbLb1EES19_EEDaS14_S15_EUlS14_E_NS1_11comp_targetILNS1_3genE9ELNS1_11target_archE1100ELNS1_3gpuE3ELNS1_3repE0EEENS1_30default_config_static_selectorELNS0_4arch9wavefront6targetE1EEEvT1_
    .private_segment_fixed_size: 0
    .sgpr_count:     4
    .sgpr_spill_count: 0
    .symbol:         _ZN7rocprim17ROCPRIM_400000_NS6detail17trampoline_kernelINS0_14default_configENS1_25partition_config_selectorILNS1_17partition_subalgoE8EN3c104HalfENS0_10empty_typeEbEEZZNS1_14partition_implILS5_8ELb0ES3_jPKS7_PS8_PKS8_NS0_5tupleIJPS7_S8_EEENSG_IJSD_SD_EEENS0_18inequality_wrapperIN6hipcub16HIPCUB_304000_NS8EqualityEEEPlJS8_EEE10hipError_tPvRmT3_T4_T5_T6_T7_T9_mT8_P12ihipStream_tbDpT10_ENKUlT_T0_E_clISt17integral_constantIbLb1EES19_EEDaS14_S15_EUlS14_E_NS1_11comp_targetILNS1_3genE9ELNS1_11target_archE1100ELNS1_3gpuE3ELNS1_3repE0EEENS1_30default_config_static_selectorELNS0_4arch9wavefront6targetE1EEEvT1_.kd
    .uniform_work_group_size: 1
    .uses_dynamic_stack: false
    .vgpr_count:     0
    .vgpr_spill_count: 0
    .wavefront_size: 64
  - .agpr_count:     0
    .args:
      - .offset:         0
        .size:           128
        .value_kind:     by_value
    .group_segment_fixed_size: 0
    .kernarg_segment_align: 8
    .kernarg_segment_size: 128
    .language:       OpenCL C
    .language_version:
      - 2
      - 0
    .max_flat_workgroup_size: 384
    .name:           _ZN7rocprim17ROCPRIM_400000_NS6detail17trampoline_kernelINS0_14default_configENS1_25partition_config_selectorILNS1_17partition_subalgoE8EN3c104HalfENS0_10empty_typeEbEEZZNS1_14partition_implILS5_8ELb0ES3_jPKS7_PS8_PKS8_NS0_5tupleIJPS7_S8_EEENSG_IJSD_SD_EEENS0_18inequality_wrapperIN6hipcub16HIPCUB_304000_NS8EqualityEEEPlJS8_EEE10hipError_tPvRmT3_T4_T5_T6_T7_T9_mT8_P12ihipStream_tbDpT10_ENKUlT_T0_E_clISt17integral_constantIbLb1EES19_EEDaS14_S15_EUlS14_E_NS1_11comp_targetILNS1_3genE8ELNS1_11target_archE1030ELNS1_3gpuE2ELNS1_3repE0EEENS1_30default_config_static_selectorELNS0_4arch9wavefront6targetE1EEEvT1_
    .private_segment_fixed_size: 0
    .sgpr_count:     4
    .sgpr_spill_count: 0
    .symbol:         _ZN7rocprim17ROCPRIM_400000_NS6detail17trampoline_kernelINS0_14default_configENS1_25partition_config_selectorILNS1_17partition_subalgoE8EN3c104HalfENS0_10empty_typeEbEEZZNS1_14partition_implILS5_8ELb0ES3_jPKS7_PS8_PKS8_NS0_5tupleIJPS7_S8_EEENSG_IJSD_SD_EEENS0_18inequality_wrapperIN6hipcub16HIPCUB_304000_NS8EqualityEEEPlJS8_EEE10hipError_tPvRmT3_T4_T5_T6_T7_T9_mT8_P12ihipStream_tbDpT10_ENKUlT_T0_E_clISt17integral_constantIbLb1EES19_EEDaS14_S15_EUlS14_E_NS1_11comp_targetILNS1_3genE8ELNS1_11target_archE1030ELNS1_3gpuE2ELNS1_3repE0EEENS1_30default_config_static_selectorELNS0_4arch9wavefront6targetE1EEEvT1_.kd
    .uniform_work_group_size: 1
    .uses_dynamic_stack: false
    .vgpr_count:     0
    .vgpr_spill_count: 0
    .wavefront_size: 64
  - .agpr_count:     0
    .args:
      - .offset:         0
        .size:           112
        .value_kind:     by_value
    .group_segment_fixed_size: 0
    .kernarg_segment_align: 8
    .kernarg_segment_size: 112
    .language:       OpenCL C
    .language_version:
      - 2
      - 0
    .max_flat_workgroup_size: 256
    .name:           _ZN7rocprim17ROCPRIM_400000_NS6detail17trampoline_kernelINS0_14default_configENS1_25partition_config_selectorILNS1_17partition_subalgoE8EN3c104HalfENS0_10empty_typeEbEEZZNS1_14partition_implILS5_8ELb0ES3_jPKS7_PS8_PKS8_NS0_5tupleIJPS7_S8_EEENSG_IJSD_SD_EEENS0_18inequality_wrapperIN6hipcub16HIPCUB_304000_NS8EqualityEEEPlJS8_EEE10hipError_tPvRmT3_T4_T5_T6_T7_T9_mT8_P12ihipStream_tbDpT10_ENKUlT_T0_E_clISt17integral_constantIbLb1EES18_IbLb0EEEEDaS14_S15_EUlS14_E_NS1_11comp_targetILNS1_3genE0ELNS1_11target_archE4294967295ELNS1_3gpuE0ELNS1_3repE0EEENS1_30default_config_static_selectorELNS0_4arch9wavefront6targetE1EEEvT1_
    .private_segment_fixed_size: 0
    .sgpr_count:     4
    .sgpr_spill_count: 0
    .symbol:         _ZN7rocprim17ROCPRIM_400000_NS6detail17trampoline_kernelINS0_14default_configENS1_25partition_config_selectorILNS1_17partition_subalgoE8EN3c104HalfENS0_10empty_typeEbEEZZNS1_14partition_implILS5_8ELb0ES3_jPKS7_PS8_PKS8_NS0_5tupleIJPS7_S8_EEENSG_IJSD_SD_EEENS0_18inequality_wrapperIN6hipcub16HIPCUB_304000_NS8EqualityEEEPlJS8_EEE10hipError_tPvRmT3_T4_T5_T6_T7_T9_mT8_P12ihipStream_tbDpT10_ENKUlT_T0_E_clISt17integral_constantIbLb1EES18_IbLb0EEEEDaS14_S15_EUlS14_E_NS1_11comp_targetILNS1_3genE0ELNS1_11target_archE4294967295ELNS1_3gpuE0ELNS1_3repE0EEENS1_30default_config_static_selectorELNS0_4arch9wavefront6targetE1EEEvT1_.kd
    .uniform_work_group_size: 1
    .uses_dynamic_stack: false
    .vgpr_count:     0
    .vgpr_spill_count: 0
    .wavefront_size: 64
  - .agpr_count:     0
    .args:
      - .offset:         0
        .size:           112
        .value_kind:     by_value
    .group_segment_fixed_size: 0
    .kernarg_segment_align: 8
    .kernarg_segment_size: 112
    .language:       OpenCL C
    .language_version:
      - 2
      - 0
    .max_flat_workgroup_size: 512
    .name:           _ZN7rocprim17ROCPRIM_400000_NS6detail17trampoline_kernelINS0_14default_configENS1_25partition_config_selectorILNS1_17partition_subalgoE8EN3c104HalfENS0_10empty_typeEbEEZZNS1_14partition_implILS5_8ELb0ES3_jPKS7_PS8_PKS8_NS0_5tupleIJPS7_S8_EEENSG_IJSD_SD_EEENS0_18inequality_wrapperIN6hipcub16HIPCUB_304000_NS8EqualityEEEPlJS8_EEE10hipError_tPvRmT3_T4_T5_T6_T7_T9_mT8_P12ihipStream_tbDpT10_ENKUlT_T0_E_clISt17integral_constantIbLb1EES18_IbLb0EEEEDaS14_S15_EUlS14_E_NS1_11comp_targetILNS1_3genE5ELNS1_11target_archE942ELNS1_3gpuE9ELNS1_3repE0EEENS1_30default_config_static_selectorELNS0_4arch9wavefront6targetE1EEEvT1_
    .private_segment_fixed_size: 0
    .sgpr_count:     4
    .sgpr_spill_count: 0
    .symbol:         _ZN7rocprim17ROCPRIM_400000_NS6detail17trampoline_kernelINS0_14default_configENS1_25partition_config_selectorILNS1_17partition_subalgoE8EN3c104HalfENS0_10empty_typeEbEEZZNS1_14partition_implILS5_8ELb0ES3_jPKS7_PS8_PKS8_NS0_5tupleIJPS7_S8_EEENSG_IJSD_SD_EEENS0_18inequality_wrapperIN6hipcub16HIPCUB_304000_NS8EqualityEEEPlJS8_EEE10hipError_tPvRmT3_T4_T5_T6_T7_T9_mT8_P12ihipStream_tbDpT10_ENKUlT_T0_E_clISt17integral_constantIbLb1EES18_IbLb0EEEEDaS14_S15_EUlS14_E_NS1_11comp_targetILNS1_3genE5ELNS1_11target_archE942ELNS1_3gpuE9ELNS1_3repE0EEENS1_30default_config_static_selectorELNS0_4arch9wavefront6targetE1EEEvT1_.kd
    .uniform_work_group_size: 1
    .uses_dynamic_stack: false
    .vgpr_count:     0
    .vgpr_spill_count: 0
    .wavefront_size: 64
  - .agpr_count:     0
    .args:
      - .offset:         0
        .size:           112
        .value_kind:     by_value
    .group_segment_fixed_size: 11272
    .kernarg_segment_align: 8
    .kernarg_segment_size: 112
    .language:       OpenCL C
    .language_version:
      - 2
      - 0
    .max_flat_workgroup_size: 256
    .name:           _ZN7rocprim17ROCPRIM_400000_NS6detail17trampoline_kernelINS0_14default_configENS1_25partition_config_selectorILNS1_17partition_subalgoE8EN3c104HalfENS0_10empty_typeEbEEZZNS1_14partition_implILS5_8ELb0ES3_jPKS7_PS8_PKS8_NS0_5tupleIJPS7_S8_EEENSG_IJSD_SD_EEENS0_18inequality_wrapperIN6hipcub16HIPCUB_304000_NS8EqualityEEEPlJS8_EEE10hipError_tPvRmT3_T4_T5_T6_T7_T9_mT8_P12ihipStream_tbDpT10_ENKUlT_T0_E_clISt17integral_constantIbLb1EES18_IbLb0EEEEDaS14_S15_EUlS14_E_NS1_11comp_targetILNS1_3genE4ELNS1_11target_archE910ELNS1_3gpuE8ELNS1_3repE0EEENS1_30default_config_static_selectorELNS0_4arch9wavefront6targetE1EEEvT1_
    .private_segment_fixed_size: 0
    .sgpr_count:     66
    .sgpr_spill_count: 0
    .symbol:         _ZN7rocprim17ROCPRIM_400000_NS6detail17trampoline_kernelINS0_14default_configENS1_25partition_config_selectorILNS1_17partition_subalgoE8EN3c104HalfENS0_10empty_typeEbEEZZNS1_14partition_implILS5_8ELb0ES3_jPKS7_PS8_PKS8_NS0_5tupleIJPS7_S8_EEENSG_IJSD_SD_EEENS0_18inequality_wrapperIN6hipcub16HIPCUB_304000_NS8EqualityEEEPlJS8_EEE10hipError_tPvRmT3_T4_T5_T6_T7_T9_mT8_P12ihipStream_tbDpT10_ENKUlT_T0_E_clISt17integral_constantIbLb1EES18_IbLb0EEEEDaS14_S15_EUlS14_E_NS1_11comp_targetILNS1_3genE4ELNS1_11target_archE910ELNS1_3gpuE8ELNS1_3repE0EEENS1_30default_config_static_selectorELNS0_4arch9wavefront6targetE1EEEvT1_.kd
    .uniform_work_group_size: 1
    .uses_dynamic_stack: false
    .vgpr_count:     86
    .vgpr_spill_count: 0
    .wavefront_size: 64
  - .agpr_count:     0
    .args:
      - .offset:         0
        .size:           112
        .value_kind:     by_value
    .group_segment_fixed_size: 0
    .kernarg_segment_align: 8
    .kernarg_segment_size: 112
    .language:       OpenCL C
    .language_version:
      - 2
      - 0
    .max_flat_workgroup_size: 256
    .name:           _ZN7rocprim17ROCPRIM_400000_NS6detail17trampoline_kernelINS0_14default_configENS1_25partition_config_selectorILNS1_17partition_subalgoE8EN3c104HalfENS0_10empty_typeEbEEZZNS1_14partition_implILS5_8ELb0ES3_jPKS7_PS8_PKS8_NS0_5tupleIJPS7_S8_EEENSG_IJSD_SD_EEENS0_18inequality_wrapperIN6hipcub16HIPCUB_304000_NS8EqualityEEEPlJS8_EEE10hipError_tPvRmT3_T4_T5_T6_T7_T9_mT8_P12ihipStream_tbDpT10_ENKUlT_T0_E_clISt17integral_constantIbLb1EES18_IbLb0EEEEDaS14_S15_EUlS14_E_NS1_11comp_targetILNS1_3genE3ELNS1_11target_archE908ELNS1_3gpuE7ELNS1_3repE0EEENS1_30default_config_static_selectorELNS0_4arch9wavefront6targetE1EEEvT1_
    .private_segment_fixed_size: 0
    .sgpr_count:     4
    .sgpr_spill_count: 0
    .symbol:         _ZN7rocprim17ROCPRIM_400000_NS6detail17trampoline_kernelINS0_14default_configENS1_25partition_config_selectorILNS1_17partition_subalgoE8EN3c104HalfENS0_10empty_typeEbEEZZNS1_14partition_implILS5_8ELb0ES3_jPKS7_PS8_PKS8_NS0_5tupleIJPS7_S8_EEENSG_IJSD_SD_EEENS0_18inequality_wrapperIN6hipcub16HIPCUB_304000_NS8EqualityEEEPlJS8_EEE10hipError_tPvRmT3_T4_T5_T6_T7_T9_mT8_P12ihipStream_tbDpT10_ENKUlT_T0_E_clISt17integral_constantIbLb1EES18_IbLb0EEEEDaS14_S15_EUlS14_E_NS1_11comp_targetILNS1_3genE3ELNS1_11target_archE908ELNS1_3gpuE7ELNS1_3repE0EEENS1_30default_config_static_selectorELNS0_4arch9wavefront6targetE1EEEvT1_.kd
    .uniform_work_group_size: 1
    .uses_dynamic_stack: false
    .vgpr_count:     0
    .vgpr_spill_count: 0
    .wavefront_size: 64
  - .agpr_count:     0
    .args:
      - .offset:         0
        .size:           112
        .value_kind:     by_value
    .group_segment_fixed_size: 0
    .kernarg_segment_align: 8
    .kernarg_segment_size: 112
    .language:       OpenCL C
    .language_version:
      - 2
      - 0
    .max_flat_workgroup_size: 192
    .name:           _ZN7rocprim17ROCPRIM_400000_NS6detail17trampoline_kernelINS0_14default_configENS1_25partition_config_selectorILNS1_17partition_subalgoE8EN3c104HalfENS0_10empty_typeEbEEZZNS1_14partition_implILS5_8ELb0ES3_jPKS7_PS8_PKS8_NS0_5tupleIJPS7_S8_EEENSG_IJSD_SD_EEENS0_18inequality_wrapperIN6hipcub16HIPCUB_304000_NS8EqualityEEEPlJS8_EEE10hipError_tPvRmT3_T4_T5_T6_T7_T9_mT8_P12ihipStream_tbDpT10_ENKUlT_T0_E_clISt17integral_constantIbLb1EES18_IbLb0EEEEDaS14_S15_EUlS14_E_NS1_11comp_targetILNS1_3genE2ELNS1_11target_archE906ELNS1_3gpuE6ELNS1_3repE0EEENS1_30default_config_static_selectorELNS0_4arch9wavefront6targetE1EEEvT1_
    .private_segment_fixed_size: 0
    .sgpr_count:     4
    .sgpr_spill_count: 0
    .symbol:         _ZN7rocprim17ROCPRIM_400000_NS6detail17trampoline_kernelINS0_14default_configENS1_25partition_config_selectorILNS1_17partition_subalgoE8EN3c104HalfENS0_10empty_typeEbEEZZNS1_14partition_implILS5_8ELb0ES3_jPKS7_PS8_PKS8_NS0_5tupleIJPS7_S8_EEENSG_IJSD_SD_EEENS0_18inequality_wrapperIN6hipcub16HIPCUB_304000_NS8EqualityEEEPlJS8_EEE10hipError_tPvRmT3_T4_T5_T6_T7_T9_mT8_P12ihipStream_tbDpT10_ENKUlT_T0_E_clISt17integral_constantIbLb1EES18_IbLb0EEEEDaS14_S15_EUlS14_E_NS1_11comp_targetILNS1_3genE2ELNS1_11target_archE906ELNS1_3gpuE6ELNS1_3repE0EEENS1_30default_config_static_selectorELNS0_4arch9wavefront6targetE1EEEvT1_.kd
    .uniform_work_group_size: 1
    .uses_dynamic_stack: false
    .vgpr_count:     0
    .vgpr_spill_count: 0
    .wavefront_size: 64
  - .agpr_count:     0
    .args:
      - .offset:         0
        .size:           112
        .value_kind:     by_value
    .group_segment_fixed_size: 0
    .kernarg_segment_align: 8
    .kernarg_segment_size: 112
    .language:       OpenCL C
    .language_version:
      - 2
      - 0
    .max_flat_workgroup_size: 256
    .name:           _ZN7rocprim17ROCPRIM_400000_NS6detail17trampoline_kernelINS0_14default_configENS1_25partition_config_selectorILNS1_17partition_subalgoE8EN3c104HalfENS0_10empty_typeEbEEZZNS1_14partition_implILS5_8ELb0ES3_jPKS7_PS8_PKS8_NS0_5tupleIJPS7_S8_EEENSG_IJSD_SD_EEENS0_18inequality_wrapperIN6hipcub16HIPCUB_304000_NS8EqualityEEEPlJS8_EEE10hipError_tPvRmT3_T4_T5_T6_T7_T9_mT8_P12ihipStream_tbDpT10_ENKUlT_T0_E_clISt17integral_constantIbLb1EES18_IbLb0EEEEDaS14_S15_EUlS14_E_NS1_11comp_targetILNS1_3genE10ELNS1_11target_archE1200ELNS1_3gpuE4ELNS1_3repE0EEENS1_30default_config_static_selectorELNS0_4arch9wavefront6targetE1EEEvT1_
    .private_segment_fixed_size: 0
    .sgpr_count:     4
    .sgpr_spill_count: 0
    .symbol:         _ZN7rocprim17ROCPRIM_400000_NS6detail17trampoline_kernelINS0_14default_configENS1_25partition_config_selectorILNS1_17partition_subalgoE8EN3c104HalfENS0_10empty_typeEbEEZZNS1_14partition_implILS5_8ELb0ES3_jPKS7_PS8_PKS8_NS0_5tupleIJPS7_S8_EEENSG_IJSD_SD_EEENS0_18inequality_wrapperIN6hipcub16HIPCUB_304000_NS8EqualityEEEPlJS8_EEE10hipError_tPvRmT3_T4_T5_T6_T7_T9_mT8_P12ihipStream_tbDpT10_ENKUlT_T0_E_clISt17integral_constantIbLb1EES18_IbLb0EEEEDaS14_S15_EUlS14_E_NS1_11comp_targetILNS1_3genE10ELNS1_11target_archE1200ELNS1_3gpuE4ELNS1_3repE0EEENS1_30default_config_static_selectorELNS0_4arch9wavefront6targetE1EEEvT1_.kd
    .uniform_work_group_size: 1
    .uses_dynamic_stack: false
    .vgpr_count:     0
    .vgpr_spill_count: 0
    .wavefront_size: 64
  - .agpr_count:     0
    .args:
      - .offset:         0
        .size:           112
        .value_kind:     by_value
    .group_segment_fixed_size: 0
    .kernarg_segment_align: 8
    .kernarg_segment_size: 112
    .language:       OpenCL C
    .language_version:
      - 2
      - 0
    .max_flat_workgroup_size: 128
    .name:           _ZN7rocprim17ROCPRIM_400000_NS6detail17trampoline_kernelINS0_14default_configENS1_25partition_config_selectorILNS1_17partition_subalgoE8EN3c104HalfENS0_10empty_typeEbEEZZNS1_14partition_implILS5_8ELb0ES3_jPKS7_PS8_PKS8_NS0_5tupleIJPS7_S8_EEENSG_IJSD_SD_EEENS0_18inequality_wrapperIN6hipcub16HIPCUB_304000_NS8EqualityEEEPlJS8_EEE10hipError_tPvRmT3_T4_T5_T6_T7_T9_mT8_P12ihipStream_tbDpT10_ENKUlT_T0_E_clISt17integral_constantIbLb1EES18_IbLb0EEEEDaS14_S15_EUlS14_E_NS1_11comp_targetILNS1_3genE9ELNS1_11target_archE1100ELNS1_3gpuE3ELNS1_3repE0EEENS1_30default_config_static_selectorELNS0_4arch9wavefront6targetE1EEEvT1_
    .private_segment_fixed_size: 0
    .sgpr_count:     4
    .sgpr_spill_count: 0
    .symbol:         _ZN7rocprim17ROCPRIM_400000_NS6detail17trampoline_kernelINS0_14default_configENS1_25partition_config_selectorILNS1_17partition_subalgoE8EN3c104HalfENS0_10empty_typeEbEEZZNS1_14partition_implILS5_8ELb0ES3_jPKS7_PS8_PKS8_NS0_5tupleIJPS7_S8_EEENSG_IJSD_SD_EEENS0_18inequality_wrapperIN6hipcub16HIPCUB_304000_NS8EqualityEEEPlJS8_EEE10hipError_tPvRmT3_T4_T5_T6_T7_T9_mT8_P12ihipStream_tbDpT10_ENKUlT_T0_E_clISt17integral_constantIbLb1EES18_IbLb0EEEEDaS14_S15_EUlS14_E_NS1_11comp_targetILNS1_3genE9ELNS1_11target_archE1100ELNS1_3gpuE3ELNS1_3repE0EEENS1_30default_config_static_selectorELNS0_4arch9wavefront6targetE1EEEvT1_.kd
    .uniform_work_group_size: 1
    .uses_dynamic_stack: false
    .vgpr_count:     0
    .vgpr_spill_count: 0
    .wavefront_size: 64
  - .agpr_count:     0
    .args:
      - .offset:         0
        .size:           112
        .value_kind:     by_value
    .group_segment_fixed_size: 0
    .kernarg_segment_align: 8
    .kernarg_segment_size: 112
    .language:       OpenCL C
    .language_version:
      - 2
      - 0
    .max_flat_workgroup_size: 384
    .name:           _ZN7rocprim17ROCPRIM_400000_NS6detail17trampoline_kernelINS0_14default_configENS1_25partition_config_selectorILNS1_17partition_subalgoE8EN3c104HalfENS0_10empty_typeEbEEZZNS1_14partition_implILS5_8ELb0ES3_jPKS7_PS8_PKS8_NS0_5tupleIJPS7_S8_EEENSG_IJSD_SD_EEENS0_18inequality_wrapperIN6hipcub16HIPCUB_304000_NS8EqualityEEEPlJS8_EEE10hipError_tPvRmT3_T4_T5_T6_T7_T9_mT8_P12ihipStream_tbDpT10_ENKUlT_T0_E_clISt17integral_constantIbLb1EES18_IbLb0EEEEDaS14_S15_EUlS14_E_NS1_11comp_targetILNS1_3genE8ELNS1_11target_archE1030ELNS1_3gpuE2ELNS1_3repE0EEENS1_30default_config_static_selectorELNS0_4arch9wavefront6targetE1EEEvT1_
    .private_segment_fixed_size: 0
    .sgpr_count:     4
    .sgpr_spill_count: 0
    .symbol:         _ZN7rocprim17ROCPRIM_400000_NS6detail17trampoline_kernelINS0_14default_configENS1_25partition_config_selectorILNS1_17partition_subalgoE8EN3c104HalfENS0_10empty_typeEbEEZZNS1_14partition_implILS5_8ELb0ES3_jPKS7_PS8_PKS8_NS0_5tupleIJPS7_S8_EEENSG_IJSD_SD_EEENS0_18inequality_wrapperIN6hipcub16HIPCUB_304000_NS8EqualityEEEPlJS8_EEE10hipError_tPvRmT3_T4_T5_T6_T7_T9_mT8_P12ihipStream_tbDpT10_ENKUlT_T0_E_clISt17integral_constantIbLb1EES18_IbLb0EEEEDaS14_S15_EUlS14_E_NS1_11comp_targetILNS1_3genE8ELNS1_11target_archE1030ELNS1_3gpuE2ELNS1_3repE0EEENS1_30default_config_static_selectorELNS0_4arch9wavefront6targetE1EEEvT1_.kd
    .uniform_work_group_size: 1
    .uses_dynamic_stack: false
    .vgpr_count:     0
    .vgpr_spill_count: 0
    .wavefront_size: 64
  - .agpr_count:     0
    .args:
      - .offset:         0
        .size:           128
        .value_kind:     by_value
    .group_segment_fixed_size: 0
    .kernarg_segment_align: 8
    .kernarg_segment_size: 128
    .language:       OpenCL C
    .language_version:
      - 2
      - 0
    .max_flat_workgroup_size: 256
    .name:           _ZN7rocprim17ROCPRIM_400000_NS6detail17trampoline_kernelINS0_14default_configENS1_25partition_config_selectorILNS1_17partition_subalgoE8EN3c104HalfENS0_10empty_typeEbEEZZNS1_14partition_implILS5_8ELb0ES3_jPKS7_PS8_PKS8_NS0_5tupleIJPS7_S8_EEENSG_IJSD_SD_EEENS0_18inequality_wrapperIN6hipcub16HIPCUB_304000_NS8EqualityEEEPlJS8_EEE10hipError_tPvRmT3_T4_T5_T6_T7_T9_mT8_P12ihipStream_tbDpT10_ENKUlT_T0_E_clISt17integral_constantIbLb0EES18_IbLb1EEEEDaS14_S15_EUlS14_E_NS1_11comp_targetILNS1_3genE0ELNS1_11target_archE4294967295ELNS1_3gpuE0ELNS1_3repE0EEENS1_30default_config_static_selectorELNS0_4arch9wavefront6targetE1EEEvT1_
    .private_segment_fixed_size: 0
    .sgpr_count:     4
    .sgpr_spill_count: 0
    .symbol:         _ZN7rocprim17ROCPRIM_400000_NS6detail17trampoline_kernelINS0_14default_configENS1_25partition_config_selectorILNS1_17partition_subalgoE8EN3c104HalfENS0_10empty_typeEbEEZZNS1_14partition_implILS5_8ELb0ES3_jPKS7_PS8_PKS8_NS0_5tupleIJPS7_S8_EEENSG_IJSD_SD_EEENS0_18inequality_wrapperIN6hipcub16HIPCUB_304000_NS8EqualityEEEPlJS8_EEE10hipError_tPvRmT3_T4_T5_T6_T7_T9_mT8_P12ihipStream_tbDpT10_ENKUlT_T0_E_clISt17integral_constantIbLb0EES18_IbLb1EEEEDaS14_S15_EUlS14_E_NS1_11comp_targetILNS1_3genE0ELNS1_11target_archE4294967295ELNS1_3gpuE0ELNS1_3repE0EEENS1_30default_config_static_selectorELNS0_4arch9wavefront6targetE1EEEvT1_.kd
    .uniform_work_group_size: 1
    .uses_dynamic_stack: false
    .vgpr_count:     0
    .vgpr_spill_count: 0
    .wavefront_size: 64
  - .agpr_count:     0
    .args:
      - .offset:         0
        .size:           128
        .value_kind:     by_value
    .group_segment_fixed_size: 0
    .kernarg_segment_align: 8
    .kernarg_segment_size: 128
    .language:       OpenCL C
    .language_version:
      - 2
      - 0
    .max_flat_workgroup_size: 512
    .name:           _ZN7rocprim17ROCPRIM_400000_NS6detail17trampoline_kernelINS0_14default_configENS1_25partition_config_selectorILNS1_17partition_subalgoE8EN3c104HalfENS0_10empty_typeEbEEZZNS1_14partition_implILS5_8ELb0ES3_jPKS7_PS8_PKS8_NS0_5tupleIJPS7_S8_EEENSG_IJSD_SD_EEENS0_18inequality_wrapperIN6hipcub16HIPCUB_304000_NS8EqualityEEEPlJS8_EEE10hipError_tPvRmT3_T4_T5_T6_T7_T9_mT8_P12ihipStream_tbDpT10_ENKUlT_T0_E_clISt17integral_constantIbLb0EES18_IbLb1EEEEDaS14_S15_EUlS14_E_NS1_11comp_targetILNS1_3genE5ELNS1_11target_archE942ELNS1_3gpuE9ELNS1_3repE0EEENS1_30default_config_static_selectorELNS0_4arch9wavefront6targetE1EEEvT1_
    .private_segment_fixed_size: 0
    .sgpr_count:     4
    .sgpr_spill_count: 0
    .symbol:         _ZN7rocprim17ROCPRIM_400000_NS6detail17trampoline_kernelINS0_14default_configENS1_25partition_config_selectorILNS1_17partition_subalgoE8EN3c104HalfENS0_10empty_typeEbEEZZNS1_14partition_implILS5_8ELb0ES3_jPKS7_PS8_PKS8_NS0_5tupleIJPS7_S8_EEENSG_IJSD_SD_EEENS0_18inequality_wrapperIN6hipcub16HIPCUB_304000_NS8EqualityEEEPlJS8_EEE10hipError_tPvRmT3_T4_T5_T6_T7_T9_mT8_P12ihipStream_tbDpT10_ENKUlT_T0_E_clISt17integral_constantIbLb0EES18_IbLb1EEEEDaS14_S15_EUlS14_E_NS1_11comp_targetILNS1_3genE5ELNS1_11target_archE942ELNS1_3gpuE9ELNS1_3repE0EEENS1_30default_config_static_selectorELNS0_4arch9wavefront6targetE1EEEvT1_.kd
    .uniform_work_group_size: 1
    .uses_dynamic_stack: false
    .vgpr_count:     0
    .vgpr_spill_count: 0
    .wavefront_size: 64
  - .agpr_count:     0
    .args:
      - .offset:         0
        .size:           128
        .value_kind:     by_value
    .group_segment_fixed_size: 11272
    .kernarg_segment_align: 8
    .kernarg_segment_size: 128
    .language:       OpenCL C
    .language_version:
      - 2
      - 0
    .max_flat_workgroup_size: 256
    .name:           _ZN7rocprim17ROCPRIM_400000_NS6detail17trampoline_kernelINS0_14default_configENS1_25partition_config_selectorILNS1_17partition_subalgoE8EN3c104HalfENS0_10empty_typeEbEEZZNS1_14partition_implILS5_8ELb0ES3_jPKS7_PS8_PKS8_NS0_5tupleIJPS7_S8_EEENSG_IJSD_SD_EEENS0_18inequality_wrapperIN6hipcub16HIPCUB_304000_NS8EqualityEEEPlJS8_EEE10hipError_tPvRmT3_T4_T5_T6_T7_T9_mT8_P12ihipStream_tbDpT10_ENKUlT_T0_E_clISt17integral_constantIbLb0EES18_IbLb1EEEEDaS14_S15_EUlS14_E_NS1_11comp_targetILNS1_3genE4ELNS1_11target_archE910ELNS1_3gpuE8ELNS1_3repE0EEENS1_30default_config_static_selectorELNS0_4arch9wavefront6targetE1EEEvT1_
    .private_segment_fixed_size: 0
    .sgpr_count:     69
    .sgpr_spill_count: 0
    .symbol:         _ZN7rocprim17ROCPRIM_400000_NS6detail17trampoline_kernelINS0_14default_configENS1_25partition_config_selectorILNS1_17partition_subalgoE8EN3c104HalfENS0_10empty_typeEbEEZZNS1_14partition_implILS5_8ELb0ES3_jPKS7_PS8_PKS8_NS0_5tupleIJPS7_S8_EEENSG_IJSD_SD_EEENS0_18inequality_wrapperIN6hipcub16HIPCUB_304000_NS8EqualityEEEPlJS8_EEE10hipError_tPvRmT3_T4_T5_T6_T7_T9_mT8_P12ihipStream_tbDpT10_ENKUlT_T0_E_clISt17integral_constantIbLb0EES18_IbLb1EEEEDaS14_S15_EUlS14_E_NS1_11comp_targetILNS1_3genE4ELNS1_11target_archE910ELNS1_3gpuE8ELNS1_3repE0EEENS1_30default_config_static_selectorELNS0_4arch9wavefront6targetE1EEEvT1_.kd
    .uniform_work_group_size: 1
    .uses_dynamic_stack: false
    .vgpr_count:     88
    .vgpr_spill_count: 0
    .wavefront_size: 64
  - .agpr_count:     0
    .args:
      - .offset:         0
        .size:           128
        .value_kind:     by_value
    .group_segment_fixed_size: 0
    .kernarg_segment_align: 8
    .kernarg_segment_size: 128
    .language:       OpenCL C
    .language_version:
      - 2
      - 0
    .max_flat_workgroup_size: 256
    .name:           _ZN7rocprim17ROCPRIM_400000_NS6detail17trampoline_kernelINS0_14default_configENS1_25partition_config_selectorILNS1_17partition_subalgoE8EN3c104HalfENS0_10empty_typeEbEEZZNS1_14partition_implILS5_8ELb0ES3_jPKS7_PS8_PKS8_NS0_5tupleIJPS7_S8_EEENSG_IJSD_SD_EEENS0_18inequality_wrapperIN6hipcub16HIPCUB_304000_NS8EqualityEEEPlJS8_EEE10hipError_tPvRmT3_T4_T5_T6_T7_T9_mT8_P12ihipStream_tbDpT10_ENKUlT_T0_E_clISt17integral_constantIbLb0EES18_IbLb1EEEEDaS14_S15_EUlS14_E_NS1_11comp_targetILNS1_3genE3ELNS1_11target_archE908ELNS1_3gpuE7ELNS1_3repE0EEENS1_30default_config_static_selectorELNS0_4arch9wavefront6targetE1EEEvT1_
    .private_segment_fixed_size: 0
    .sgpr_count:     4
    .sgpr_spill_count: 0
    .symbol:         _ZN7rocprim17ROCPRIM_400000_NS6detail17trampoline_kernelINS0_14default_configENS1_25partition_config_selectorILNS1_17partition_subalgoE8EN3c104HalfENS0_10empty_typeEbEEZZNS1_14partition_implILS5_8ELb0ES3_jPKS7_PS8_PKS8_NS0_5tupleIJPS7_S8_EEENSG_IJSD_SD_EEENS0_18inequality_wrapperIN6hipcub16HIPCUB_304000_NS8EqualityEEEPlJS8_EEE10hipError_tPvRmT3_T4_T5_T6_T7_T9_mT8_P12ihipStream_tbDpT10_ENKUlT_T0_E_clISt17integral_constantIbLb0EES18_IbLb1EEEEDaS14_S15_EUlS14_E_NS1_11comp_targetILNS1_3genE3ELNS1_11target_archE908ELNS1_3gpuE7ELNS1_3repE0EEENS1_30default_config_static_selectorELNS0_4arch9wavefront6targetE1EEEvT1_.kd
    .uniform_work_group_size: 1
    .uses_dynamic_stack: false
    .vgpr_count:     0
    .vgpr_spill_count: 0
    .wavefront_size: 64
  - .agpr_count:     0
    .args:
      - .offset:         0
        .size:           128
        .value_kind:     by_value
    .group_segment_fixed_size: 0
    .kernarg_segment_align: 8
    .kernarg_segment_size: 128
    .language:       OpenCL C
    .language_version:
      - 2
      - 0
    .max_flat_workgroup_size: 192
    .name:           _ZN7rocprim17ROCPRIM_400000_NS6detail17trampoline_kernelINS0_14default_configENS1_25partition_config_selectorILNS1_17partition_subalgoE8EN3c104HalfENS0_10empty_typeEbEEZZNS1_14partition_implILS5_8ELb0ES3_jPKS7_PS8_PKS8_NS0_5tupleIJPS7_S8_EEENSG_IJSD_SD_EEENS0_18inequality_wrapperIN6hipcub16HIPCUB_304000_NS8EqualityEEEPlJS8_EEE10hipError_tPvRmT3_T4_T5_T6_T7_T9_mT8_P12ihipStream_tbDpT10_ENKUlT_T0_E_clISt17integral_constantIbLb0EES18_IbLb1EEEEDaS14_S15_EUlS14_E_NS1_11comp_targetILNS1_3genE2ELNS1_11target_archE906ELNS1_3gpuE6ELNS1_3repE0EEENS1_30default_config_static_selectorELNS0_4arch9wavefront6targetE1EEEvT1_
    .private_segment_fixed_size: 0
    .sgpr_count:     4
    .sgpr_spill_count: 0
    .symbol:         _ZN7rocprim17ROCPRIM_400000_NS6detail17trampoline_kernelINS0_14default_configENS1_25partition_config_selectorILNS1_17partition_subalgoE8EN3c104HalfENS0_10empty_typeEbEEZZNS1_14partition_implILS5_8ELb0ES3_jPKS7_PS8_PKS8_NS0_5tupleIJPS7_S8_EEENSG_IJSD_SD_EEENS0_18inequality_wrapperIN6hipcub16HIPCUB_304000_NS8EqualityEEEPlJS8_EEE10hipError_tPvRmT3_T4_T5_T6_T7_T9_mT8_P12ihipStream_tbDpT10_ENKUlT_T0_E_clISt17integral_constantIbLb0EES18_IbLb1EEEEDaS14_S15_EUlS14_E_NS1_11comp_targetILNS1_3genE2ELNS1_11target_archE906ELNS1_3gpuE6ELNS1_3repE0EEENS1_30default_config_static_selectorELNS0_4arch9wavefront6targetE1EEEvT1_.kd
    .uniform_work_group_size: 1
    .uses_dynamic_stack: false
    .vgpr_count:     0
    .vgpr_spill_count: 0
    .wavefront_size: 64
  - .agpr_count:     0
    .args:
      - .offset:         0
        .size:           128
        .value_kind:     by_value
    .group_segment_fixed_size: 0
    .kernarg_segment_align: 8
    .kernarg_segment_size: 128
    .language:       OpenCL C
    .language_version:
      - 2
      - 0
    .max_flat_workgroup_size: 256
    .name:           _ZN7rocprim17ROCPRIM_400000_NS6detail17trampoline_kernelINS0_14default_configENS1_25partition_config_selectorILNS1_17partition_subalgoE8EN3c104HalfENS0_10empty_typeEbEEZZNS1_14partition_implILS5_8ELb0ES3_jPKS7_PS8_PKS8_NS0_5tupleIJPS7_S8_EEENSG_IJSD_SD_EEENS0_18inequality_wrapperIN6hipcub16HIPCUB_304000_NS8EqualityEEEPlJS8_EEE10hipError_tPvRmT3_T4_T5_T6_T7_T9_mT8_P12ihipStream_tbDpT10_ENKUlT_T0_E_clISt17integral_constantIbLb0EES18_IbLb1EEEEDaS14_S15_EUlS14_E_NS1_11comp_targetILNS1_3genE10ELNS1_11target_archE1200ELNS1_3gpuE4ELNS1_3repE0EEENS1_30default_config_static_selectorELNS0_4arch9wavefront6targetE1EEEvT1_
    .private_segment_fixed_size: 0
    .sgpr_count:     4
    .sgpr_spill_count: 0
    .symbol:         _ZN7rocprim17ROCPRIM_400000_NS6detail17trampoline_kernelINS0_14default_configENS1_25partition_config_selectorILNS1_17partition_subalgoE8EN3c104HalfENS0_10empty_typeEbEEZZNS1_14partition_implILS5_8ELb0ES3_jPKS7_PS8_PKS8_NS0_5tupleIJPS7_S8_EEENSG_IJSD_SD_EEENS0_18inequality_wrapperIN6hipcub16HIPCUB_304000_NS8EqualityEEEPlJS8_EEE10hipError_tPvRmT3_T4_T5_T6_T7_T9_mT8_P12ihipStream_tbDpT10_ENKUlT_T0_E_clISt17integral_constantIbLb0EES18_IbLb1EEEEDaS14_S15_EUlS14_E_NS1_11comp_targetILNS1_3genE10ELNS1_11target_archE1200ELNS1_3gpuE4ELNS1_3repE0EEENS1_30default_config_static_selectorELNS0_4arch9wavefront6targetE1EEEvT1_.kd
    .uniform_work_group_size: 1
    .uses_dynamic_stack: false
    .vgpr_count:     0
    .vgpr_spill_count: 0
    .wavefront_size: 64
  - .agpr_count:     0
    .args:
      - .offset:         0
        .size:           128
        .value_kind:     by_value
    .group_segment_fixed_size: 0
    .kernarg_segment_align: 8
    .kernarg_segment_size: 128
    .language:       OpenCL C
    .language_version:
      - 2
      - 0
    .max_flat_workgroup_size: 128
    .name:           _ZN7rocprim17ROCPRIM_400000_NS6detail17trampoline_kernelINS0_14default_configENS1_25partition_config_selectorILNS1_17partition_subalgoE8EN3c104HalfENS0_10empty_typeEbEEZZNS1_14partition_implILS5_8ELb0ES3_jPKS7_PS8_PKS8_NS0_5tupleIJPS7_S8_EEENSG_IJSD_SD_EEENS0_18inequality_wrapperIN6hipcub16HIPCUB_304000_NS8EqualityEEEPlJS8_EEE10hipError_tPvRmT3_T4_T5_T6_T7_T9_mT8_P12ihipStream_tbDpT10_ENKUlT_T0_E_clISt17integral_constantIbLb0EES18_IbLb1EEEEDaS14_S15_EUlS14_E_NS1_11comp_targetILNS1_3genE9ELNS1_11target_archE1100ELNS1_3gpuE3ELNS1_3repE0EEENS1_30default_config_static_selectorELNS0_4arch9wavefront6targetE1EEEvT1_
    .private_segment_fixed_size: 0
    .sgpr_count:     4
    .sgpr_spill_count: 0
    .symbol:         _ZN7rocprim17ROCPRIM_400000_NS6detail17trampoline_kernelINS0_14default_configENS1_25partition_config_selectorILNS1_17partition_subalgoE8EN3c104HalfENS0_10empty_typeEbEEZZNS1_14partition_implILS5_8ELb0ES3_jPKS7_PS8_PKS8_NS0_5tupleIJPS7_S8_EEENSG_IJSD_SD_EEENS0_18inequality_wrapperIN6hipcub16HIPCUB_304000_NS8EqualityEEEPlJS8_EEE10hipError_tPvRmT3_T4_T5_T6_T7_T9_mT8_P12ihipStream_tbDpT10_ENKUlT_T0_E_clISt17integral_constantIbLb0EES18_IbLb1EEEEDaS14_S15_EUlS14_E_NS1_11comp_targetILNS1_3genE9ELNS1_11target_archE1100ELNS1_3gpuE3ELNS1_3repE0EEENS1_30default_config_static_selectorELNS0_4arch9wavefront6targetE1EEEvT1_.kd
    .uniform_work_group_size: 1
    .uses_dynamic_stack: false
    .vgpr_count:     0
    .vgpr_spill_count: 0
    .wavefront_size: 64
  - .agpr_count:     0
    .args:
      - .offset:         0
        .size:           128
        .value_kind:     by_value
    .group_segment_fixed_size: 0
    .kernarg_segment_align: 8
    .kernarg_segment_size: 128
    .language:       OpenCL C
    .language_version:
      - 2
      - 0
    .max_flat_workgroup_size: 384
    .name:           _ZN7rocprim17ROCPRIM_400000_NS6detail17trampoline_kernelINS0_14default_configENS1_25partition_config_selectorILNS1_17partition_subalgoE8EN3c104HalfENS0_10empty_typeEbEEZZNS1_14partition_implILS5_8ELb0ES3_jPKS7_PS8_PKS8_NS0_5tupleIJPS7_S8_EEENSG_IJSD_SD_EEENS0_18inequality_wrapperIN6hipcub16HIPCUB_304000_NS8EqualityEEEPlJS8_EEE10hipError_tPvRmT3_T4_T5_T6_T7_T9_mT8_P12ihipStream_tbDpT10_ENKUlT_T0_E_clISt17integral_constantIbLb0EES18_IbLb1EEEEDaS14_S15_EUlS14_E_NS1_11comp_targetILNS1_3genE8ELNS1_11target_archE1030ELNS1_3gpuE2ELNS1_3repE0EEENS1_30default_config_static_selectorELNS0_4arch9wavefront6targetE1EEEvT1_
    .private_segment_fixed_size: 0
    .sgpr_count:     4
    .sgpr_spill_count: 0
    .symbol:         _ZN7rocprim17ROCPRIM_400000_NS6detail17trampoline_kernelINS0_14default_configENS1_25partition_config_selectorILNS1_17partition_subalgoE8EN3c104HalfENS0_10empty_typeEbEEZZNS1_14partition_implILS5_8ELb0ES3_jPKS7_PS8_PKS8_NS0_5tupleIJPS7_S8_EEENSG_IJSD_SD_EEENS0_18inequality_wrapperIN6hipcub16HIPCUB_304000_NS8EqualityEEEPlJS8_EEE10hipError_tPvRmT3_T4_T5_T6_T7_T9_mT8_P12ihipStream_tbDpT10_ENKUlT_T0_E_clISt17integral_constantIbLb0EES18_IbLb1EEEEDaS14_S15_EUlS14_E_NS1_11comp_targetILNS1_3genE8ELNS1_11target_archE1030ELNS1_3gpuE2ELNS1_3repE0EEENS1_30default_config_static_selectorELNS0_4arch9wavefront6targetE1EEEvT1_.kd
    .uniform_work_group_size: 1
    .uses_dynamic_stack: false
    .vgpr_count:     0
    .vgpr_spill_count: 0
    .wavefront_size: 64
  - .agpr_count:     0
    .args:
      - .offset:         0
        .size:           128
        .value_kind:     by_value
    .group_segment_fixed_size: 0
    .kernarg_segment_align: 8
    .kernarg_segment_size: 128
    .language:       OpenCL C
    .language_version:
      - 2
      - 0
    .max_flat_workgroup_size: 256
    .name:           _ZN7rocprim17ROCPRIM_400000_NS6detail17trampoline_kernelINS0_14default_configENS1_33run_length_encode_config_selectorIN3c104HalfEjNS0_4plusIjEEEEZZNS1_33reduce_by_key_impl_wrapped_configILNS1_25lookback_scan_determinismE0ES3_S9_PKS6_NS0_17constant_iteratorIjlEEPS6_PlSH_S8_NS0_8equal_toIS6_EEEE10hipError_tPvRmT2_T3_mT4_T5_T6_T7_T8_P12ihipStream_tbENKUlT_T0_E_clISt17integral_constantIbLb0EES11_EEDaSW_SX_EUlSW_E_NS1_11comp_targetILNS1_3genE0ELNS1_11target_archE4294967295ELNS1_3gpuE0ELNS1_3repE0EEENS1_30default_config_static_selectorELNS0_4arch9wavefront6targetE1EEEvT1_
    .private_segment_fixed_size: 0
    .sgpr_count:     4
    .sgpr_spill_count: 0
    .symbol:         _ZN7rocprim17ROCPRIM_400000_NS6detail17trampoline_kernelINS0_14default_configENS1_33run_length_encode_config_selectorIN3c104HalfEjNS0_4plusIjEEEEZZNS1_33reduce_by_key_impl_wrapped_configILNS1_25lookback_scan_determinismE0ES3_S9_PKS6_NS0_17constant_iteratorIjlEEPS6_PlSH_S8_NS0_8equal_toIS6_EEEE10hipError_tPvRmT2_T3_mT4_T5_T6_T7_T8_P12ihipStream_tbENKUlT_T0_E_clISt17integral_constantIbLb0EES11_EEDaSW_SX_EUlSW_E_NS1_11comp_targetILNS1_3genE0ELNS1_11target_archE4294967295ELNS1_3gpuE0ELNS1_3repE0EEENS1_30default_config_static_selectorELNS0_4arch9wavefront6targetE1EEEvT1_.kd
    .uniform_work_group_size: 1
    .uses_dynamic_stack: false
    .vgpr_count:     0
    .vgpr_spill_count: 0
    .wavefront_size: 64
  - .agpr_count:     0
    .args:
      - .offset:         0
        .size:           128
        .value_kind:     by_value
    .group_segment_fixed_size: 0
    .kernarg_segment_align: 8
    .kernarg_segment_size: 128
    .language:       OpenCL C
    .language_version:
      - 2
      - 0
    .max_flat_workgroup_size: 256
    .name:           _ZN7rocprim17ROCPRIM_400000_NS6detail17trampoline_kernelINS0_14default_configENS1_33run_length_encode_config_selectorIN3c104HalfEjNS0_4plusIjEEEEZZNS1_33reduce_by_key_impl_wrapped_configILNS1_25lookback_scan_determinismE0ES3_S9_PKS6_NS0_17constant_iteratorIjlEEPS6_PlSH_S8_NS0_8equal_toIS6_EEEE10hipError_tPvRmT2_T3_mT4_T5_T6_T7_T8_P12ihipStream_tbENKUlT_T0_E_clISt17integral_constantIbLb0EES11_EEDaSW_SX_EUlSW_E_NS1_11comp_targetILNS1_3genE5ELNS1_11target_archE942ELNS1_3gpuE9ELNS1_3repE0EEENS1_30default_config_static_selectorELNS0_4arch9wavefront6targetE1EEEvT1_
    .private_segment_fixed_size: 0
    .sgpr_count:     4
    .sgpr_spill_count: 0
    .symbol:         _ZN7rocprim17ROCPRIM_400000_NS6detail17trampoline_kernelINS0_14default_configENS1_33run_length_encode_config_selectorIN3c104HalfEjNS0_4plusIjEEEEZZNS1_33reduce_by_key_impl_wrapped_configILNS1_25lookback_scan_determinismE0ES3_S9_PKS6_NS0_17constant_iteratorIjlEEPS6_PlSH_S8_NS0_8equal_toIS6_EEEE10hipError_tPvRmT2_T3_mT4_T5_T6_T7_T8_P12ihipStream_tbENKUlT_T0_E_clISt17integral_constantIbLb0EES11_EEDaSW_SX_EUlSW_E_NS1_11comp_targetILNS1_3genE5ELNS1_11target_archE942ELNS1_3gpuE9ELNS1_3repE0EEENS1_30default_config_static_selectorELNS0_4arch9wavefront6targetE1EEEvT1_.kd
    .uniform_work_group_size: 1
    .uses_dynamic_stack: false
    .vgpr_count:     0
    .vgpr_spill_count: 0
    .wavefront_size: 64
  - .agpr_count:     0
    .args:
      - .offset:         0
        .size:           128
        .value_kind:     by_value
    .group_segment_fixed_size: 15360
    .kernarg_segment_align: 8
    .kernarg_segment_size: 128
    .language:       OpenCL C
    .language_version:
      - 2
      - 0
    .max_flat_workgroup_size: 256
    .name:           _ZN7rocprim17ROCPRIM_400000_NS6detail17trampoline_kernelINS0_14default_configENS1_33run_length_encode_config_selectorIN3c104HalfEjNS0_4plusIjEEEEZZNS1_33reduce_by_key_impl_wrapped_configILNS1_25lookback_scan_determinismE0ES3_S9_PKS6_NS0_17constant_iteratorIjlEEPS6_PlSH_S8_NS0_8equal_toIS6_EEEE10hipError_tPvRmT2_T3_mT4_T5_T6_T7_T8_P12ihipStream_tbENKUlT_T0_E_clISt17integral_constantIbLb0EES11_EEDaSW_SX_EUlSW_E_NS1_11comp_targetILNS1_3genE4ELNS1_11target_archE910ELNS1_3gpuE8ELNS1_3repE0EEENS1_30default_config_static_selectorELNS0_4arch9wavefront6targetE1EEEvT1_
    .private_segment_fixed_size: 0
    .sgpr_count:     68
    .sgpr_spill_count: 0
    .symbol:         _ZN7rocprim17ROCPRIM_400000_NS6detail17trampoline_kernelINS0_14default_configENS1_33run_length_encode_config_selectorIN3c104HalfEjNS0_4plusIjEEEEZZNS1_33reduce_by_key_impl_wrapped_configILNS1_25lookback_scan_determinismE0ES3_S9_PKS6_NS0_17constant_iteratorIjlEEPS6_PlSH_S8_NS0_8equal_toIS6_EEEE10hipError_tPvRmT2_T3_mT4_T5_T6_T7_T8_P12ihipStream_tbENKUlT_T0_E_clISt17integral_constantIbLb0EES11_EEDaSW_SX_EUlSW_E_NS1_11comp_targetILNS1_3genE4ELNS1_11target_archE910ELNS1_3gpuE8ELNS1_3repE0EEENS1_30default_config_static_selectorELNS0_4arch9wavefront6targetE1EEEvT1_.kd
    .uniform_work_group_size: 1
    .uses_dynamic_stack: false
    .vgpr_count:     109
    .vgpr_spill_count: 0
    .wavefront_size: 64
  - .agpr_count:     0
    .args:
      - .offset:         0
        .size:           128
        .value_kind:     by_value
    .group_segment_fixed_size: 0
    .kernarg_segment_align: 8
    .kernarg_segment_size: 128
    .language:       OpenCL C
    .language_version:
      - 2
      - 0
    .max_flat_workgroup_size: 256
    .name:           _ZN7rocprim17ROCPRIM_400000_NS6detail17trampoline_kernelINS0_14default_configENS1_33run_length_encode_config_selectorIN3c104HalfEjNS0_4plusIjEEEEZZNS1_33reduce_by_key_impl_wrapped_configILNS1_25lookback_scan_determinismE0ES3_S9_PKS6_NS0_17constant_iteratorIjlEEPS6_PlSH_S8_NS0_8equal_toIS6_EEEE10hipError_tPvRmT2_T3_mT4_T5_T6_T7_T8_P12ihipStream_tbENKUlT_T0_E_clISt17integral_constantIbLb0EES11_EEDaSW_SX_EUlSW_E_NS1_11comp_targetILNS1_3genE3ELNS1_11target_archE908ELNS1_3gpuE7ELNS1_3repE0EEENS1_30default_config_static_selectorELNS0_4arch9wavefront6targetE1EEEvT1_
    .private_segment_fixed_size: 0
    .sgpr_count:     4
    .sgpr_spill_count: 0
    .symbol:         _ZN7rocprim17ROCPRIM_400000_NS6detail17trampoline_kernelINS0_14default_configENS1_33run_length_encode_config_selectorIN3c104HalfEjNS0_4plusIjEEEEZZNS1_33reduce_by_key_impl_wrapped_configILNS1_25lookback_scan_determinismE0ES3_S9_PKS6_NS0_17constant_iteratorIjlEEPS6_PlSH_S8_NS0_8equal_toIS6_EEEE10hipError_tPvRmT2_T3_mT4_T5_T6_T7_T8_P12ihipStream_tbENKUlT_T0_E_clISt17integral_constantIbLb0EES11_EEDaSW_SX_EUlSW_E_NS1_11comp_targetILNS1_3genE3ELNS1_11target_archE908ELNS1_3gpuE7ELNS1_3repE0EEENS1_30default_config_static_selectorELNS0_4arch9wavefront6targetE1EEEvT1_.kd
    .uniform_work_group_size: 1
    .uses_dynamic_stack: false
    .vgpr_count:     0
    .vgpr_spill_count: 0
    .wavefront_size: 64
  - .agpr_count:     0
    .args:
      - .offset:         0
        .size:           128
        .value_kind:     by_value
    .group_segment_fixed_size: 0
    .kernarg_segment_align: 8
    .kernarg_segment_size: 128
    .language:       OpenCL C
    .language_version:
      - 2
      - 0
    .max_flat_workgroup_size: 256
    .name:           _ZN7rocprim17ROCPRIM_400000_NS6detail17trampoline_kernelINS0_14default_configENS1_33run_length_encode_config_selectorIN3c104HalfEjNS0_4plusIjEEEEZZNS1_33reduce_by_key_impl_wrapped_configILNS1_25lookback_scan_determinismE0ES3_S9_PKS6_NS0_17constant_iteratorIjlEEPS6_PlSH_S8_NS0_8equal_toIS6_EEEE10hipError_tPvRmT2_T3_mT4_T5_T6_T7_T8_P12ihipStream_tbENKUlT_T0_E_clISt17integral_constantIbLb0EES11_EEDaSW_SX_EUlSW_E_NS1_11comp_targetILNS1_3genE2ELNS1_11target_archE906ELNS1_3gpuE6ELNS1_3repE0EEENS1_30default_config_static_selectorELNS0_4arch9wavefront6targetE1EEEvT1_
    .private_segment_fixed_size: 0
    .sgpr_count:     4
    .sgpr_spill_count: 0
    .symbol:         _ZN7rocprim17ROCPRIM_400000_NS6detail17trampoline_kernelINS0_14default_configENS1_33run_length_encode_config_selectorIN3c104HalfEjNS0_4plusIjEEEEZZNS1_33reduce_by_key_impl_wrapped_configILNS1_25lookback_scan_determinismE0ES3_S9_PKS6_NS0_17constant_iteratorIjlEEPS6_PlSH_S8_NS0_8equal_toIS6_EEEE10hipError_tPvRmT2_T3_mT4_T5_T6_T7_T8_P12ihipStream_tbENKUlT_T0_E_clISt17integral_constantIbLb0EES11_EEDaSW_SX_EUlSW_E_NS1_11comp_targetILNS1_3genE2ELNS1_11target_archE906ELNS1_3gpuE6ELNS1_3repE0EEENS1_30default_config_static_selectorELNS0_4arch9wavefront6targetE1EEEvT1_.kd
    .uniform_work_group_size: 1
    .uses_dynamic_stack: false
    .vgpr_count:     0
    .vgpr_spill_count: 0
    .wavefront_size: 64
  - .agpr_count:     0
    .args:
      - .offset:         0
        .size:           128
        .value_kind:     by_value
    .group_segment_fixed_size: 0
    .kernarg_segment_align: 8
    .kernarg_segment_size: 128
    .language:       OpenCL C
    .language_version:
      - 2
      - 0
    .max_flat_workgroup_size: 256
    .name:           _ZN7rocprim17ROCPRIM_400000_NS6detail17trampoline_kernelINS0_14default_configENS1_33run_length_encode_config_selectorIN3c104HalfEjNS0_4plusIjEEEEZZNS1_33reduce_by_key_impl_wrapped_configILNS1_25lookback_scan_determinismE0ES3_S9_PKS6_NS0_17constant_iteratorIjlEEPS6_PlSH_S8_NS0_8equal_toIS6_EEEE10hipError_tPvRmT2_T3_mT4_T5_T6_T7_T8_P12ihipStream_tbENKUlT_T0_E_clISt17integral_constantIbLb0EES11_EEDaSW_SX_EUlSW_E_NS1_11comp_targetILNS1_3genE10ELNS1_11target_archE1201ELNS1_3gpuE5ELNS1_3repE0EEENS1_30default_config_static_selectorELNS0_4arch9wavefront6targetE1EEEvT1_
    .private_segment_fixed_size: 0
    .sgpr_count:     4
    .sgpr_spill_count: 0
    .symbol:         _ZN7rocprim17ROCPRIM_400000_NS6detail17trampoline_kernelINS0_14default_configENS1_33run_length_encode_config_selectorIN3c104HalfEjNS0_4plusIjEEEEZZNS1_33reduce_by_key_impl_wrapped_configILNS1_25lookback_scan_determinismE0ES3_S9_PKS6_NS0_17constant_iteratorIjlEEPS6_PlSH_S8_NS0_8equal_toIS6_EEEE10hipError_tPvRmT2_T3_mT4_T5_T6_T7_T8_P12ihipStream_tbENKUlT_T0_E_clISt17integral_constantIbLb0EES11_EEDaSW_SX_EUlSW_E_NS1_11comp_targetILNS1_3genE10ELNS1_11target_archE1201ELNS1_3gpuE5ELNS1_3repE0EEENS1_30default_config_static_selectorELNS0_4arch9wavefront6targetE1EEEvT1_.kd
    .uniform_work_group_size: 1
    .uses_dynamic_stack: false
    .vgpr_count:     0
    .vgpr_spill_count: 0
    .wavefront_size: 64
  - .agpr_count:     0
    .args:
      - .offset:         0
        .size:           128
        .value_kind:     by_value
    .group_segment_fixed_size: 0
    .kernarg_segment_align: 8
    .kernarg_segment_size: 128
    .language:       OpenCL C
    .language_version:
      - 2
      - 0
    .max_flat_workgroup_size: 256
    .name:           _ZN7rocprim17ROCPRIM_400000_NS6detail17trampoline_kernelINS0_14default_configENS1_33run_length_encode_config_selectorIN3c104HalfEjNS0_4plusIjEEEEZZNS1_33reduce_by_key_impl_wrapped_configILNS1_25lookback_scan_determinismE0ES3_S9_PKS6_NS0_17constant_iteratorIjlEEPS6_PlSH_S8_NS0_8equal_toIS6_EEEE10hipError_tPvRmT2_T3_mT4_T5_T6_T7_T8_P12ihipStream_tbENKUlT_T0_E_clISt17integral_constantIbLb0EES11_EEDaSW_SX_EUlSW_E_NS1_11comp_targetILNS1_3genE10ELNS1_11target_archE1200ELNS1_3gpuE4ELNS1_3repE0EEENS1_30default_config_static_selectorELNS0_4arch9wavefront6targetE1EEEvT1_
    .private_segment_fixed_size: 0
    .sgpr_count:     4
    .sgpr_spill_count: 0
    .symbol:         _ZN7rocprim17ROCPRIM_400000_NS6detail17trampoline_kernelINS0_14default_configENS1_33run_length_encode_config_selectorIN3c104HalfEjNS0_4plusIjEEEEZZNS1_33reduce_by_key_impl_wrapped_configILNS1_25lookback_scan_determinismE0ES3_S9_PKS6_NS0_17constant_iteratorIjlEEPS6_PlSH_S8_NS0_8equal_toIS6_EEEE10hipError_tPvRmT2_T3_mT4_T5_T6_T7_T8_P12ihipStream_tbENKUlT_T0_E_clISt17integral_constantIbLb0EES11_EEDaSW_SX_EUlSW_E_NS1_11comp_targetILNS1_3genE10ELNS1_11target_archE1200ELNS1_3gpuE4ELNS1_3repE0EEENS1_30default_config_static_selectorELNS0_4arch9wavefront6targetE1EEEvT1_.kd
    .uniform_work_group_size: 1
    .uses_dynamic_stack: false
    .vgpr_count:     0
    .vgpr_spill_count: 0
    .wavefront_size: 64
  - .agpr_count:     0
    .args:
      - .offset:         0
        .size:           128
        .value_kind:     by_value
    .group_segment_fixed_size: 0
    .kernarg_segment_align: 8
    .kernarg_segment_size: 128
    .language:       OpenCL C
    .language_version:
      - 2
      - 0
    .max_flat_workgroup_size: 256
    .name:           _ZN7rocprim17ROCPRIM_400000_NS6detail17trampoline_kernelINS0_14default_configENS1_33run_length_encode_config_selectorIN3c104HalfEjNS0_4plusIjEEEEZZNS1_33reduce_by_key_impl_wrapped_configILNS1_25lookback_scan_determinismE0ES3_S9_PKS6_NS0_17constant_iteratorIjlEEPS6_PlSH_S8_NS0_8equal_toIS6_EEEE10hipError_tPvRmT2_T3_mT4_T5_T6_T7_T8_P12ihipStream_tbENKUlT_T0_E_clISt17integral_constantIbLb0EES11_EEDaSW_SX_EUlSW_E_NS1_11comp_targetILNS1_3genE9ELNS1_11target_archE1100ELNS1_3gpuE3ELNS1_3repE0EEENS1_30default_config_static_selectorELNS0_4arch9wavefront6targetE1EEEvT1_
    .private_segment_fixed_size: 0
    .sgpr_count:     4
    .sgpr_spill_count: 0
    .symbol:         _ZN7rocprim17ROCPRIM_400000_NS6detail17trampoline_kernelINS0_14default_configENS1_33run_length_encode_config_selectorIN3c104HalfEjNS0_4plusIjEEEEZZNS1_33reduce_by_key_impl_wrapped_configILNS1_25lookback_scan_determinismE0ES3_S9_PKS6_NS0_17constant_iteratorIjlEEPS6_PlSH_S8_NS0_8equal_toIS6_EEEE10hipError_tPvRmT2_T3_mT4_T5_T6_T7_T8_P12ihipStream_tbENKUlT_T0_E_clISt17integral_constantIbLb0EES11_EEDaSW_SX_EUlSW_E_NS1_11comp_targetILNS1_3genE9ELNS1_11target_archE1100ELNS1_3gpuE3ELNS1_3repE0EEENS1_30default_config_static_selectorELNS0_4arch9wavefront6targetE1EEEvT1_.kd
    .uniform_work_group_size: 1
    .uses_dynamic_stack: false
    .vgpr_count:     0
    .vgpr_spill_count: 0
    .wavefront_size: 64
  - .agpr_count:     0
    .args:
      - .offset:         0
        .size:           128
        .value_kind:     by_value
    .group_segment_fixed_size: 0
    .kernarg_segment_align: 8
    .kernarg_segment_size: 128
    .language:       OpenCL C
    .language_version:
      - 2
      - 0
    .max_flat_workgroup_size: 256
    .name:           _ZN7rocprim17ROCPRIM_400000_NS6detail17trampoline_kernelINS0_14default_configENS1_33run_length_encode_config_selectorIN3c104HalfEjNS0_4plusIjEEEEZZNS1_33reduce_by_key_impl_wrapped_configILNS1_25lookback_scan_determinismE0ES3_S9_PKS6_NS0_17constant_iteratorIjlEEPS6_PlSH_S8_NS0_8equal_toIS6_EEEE10hipError_tPvRmT2_T3_mT4_T5_T6_T7_T8_P12ihipStream_tbENKUlT_T0_E_clISt17integral_constantIbLb0EES11_EEDaSW_SX_EUlSW_E_NS1_11comp_targetILNS1_3genE8ELNS1_11target_archE1030ELNS1_3gpuE2ELNS1_3repE0EEENS1_30default_config_static_selectorELNS0_4arch9wavefront6targetE1EEEvT1_
    .private_segment_fixed_size: 0
    .sgpr_count:     4
    .sgpr_spill_count: 0
    .symbol:         _ZN7rocprim17ROCPRIM_400000_NS6detail17trampoline_kernelINS0_14default_configENS1_33run_length_encode_config_selectorIN3c104HalfEjNS0_4plusIjEEEEZZNS1_33reduce_by_key_impl_wrapped_configILNS1_25lookback_scan_determinismE0ES3_S9_PKS6_NS0_17constant_iteratorIjlEEPS6_PlSH_S8_NS0_8equal_toIS6_EEEE10hipError_tPvRmT2_T3_mT4_T5_T6_T7_T8_P12ihipStream_tbENKUlT_T0_E_clISt17integral_constantIbLb0EES11_EEDaSW_SX_EUlSW_E_NS1_11comp_targetILNS1_3genE8ELNS1_11target_archE1030ELNS1_3gpuE2ELNS1_3repE0EEENS1_30default_config_static_selectorELNS0_4arch9wavefront6targetE1EEEvT1_.kd
    .uniform_work_group_size: 1
    .uses_dynamic_stack: false
    .vgpr_count:     0
    .vgpr_spill_count: 0
    .wavefront_size: 64
  - .agpr_count:     0
    .args:
      - .offset:         0
        .size:           128
        .value_kind:     by_value
    .group_segment_fixed_size: 0
    .kernarg_segment_align: 8
    .kernarg_segment_size: 128
    .language:       OpenCL C
    .language_version:
      - 2
      - 0
    .max_flat_workgroup_size: 256
    .name:           _ZN7rocprim17ROCPRIM_400000_NS6detail17trampoline_kernelINS0_14default_configENS1_33run_length_encode_config_selectorIN3c104HalfEjNS0_4plusIjEEEEZZNS1_33reduce_by_key_impl_wrapped_configILNS1_25lookback_scan_determinismE0ES3_S9_PKS6_NS0_17constant_iteratorIjlEEPS6_PlSH_S8_NS0_8equal_toIS6_EEEE10hipError_tPvRmT2_T3_mT4_T5_T6_T7_T8_P12ihipStream_tbENKUlT_T0_E_clISt17integral_constantIbLb1EES11_EEDaSW_SX_EUlSW_E_NS1_11comp_targetILNS1_3genE0ELNS1_11target_archE4294967295ELNS1_3gpuE0ELNS1_3repE0EEENS1_30default_config_static_selectorELNS0_4arch9wavefront6targetE1EEEvT1_
    .private_segment_fixed_size: 0
    .sgpr_count:     4
    .sgpr_spill_count: 0
    .symbol:         _ZN7rocprim17ROCPRIM_400000_NS6detail17trampoline_kernelINS0_14default_configENS1_33run_length_encode_config_selectorIN3c104HalfEjNS0_4plusIjEEEEZZNS1_33reduce_by_key_impl_wrapped_configILNS1_25lookback_scan_determinismE0ES3_S9_PKS6_NS0_17constant_iteratorIjlEEPS6_PlSH_S8_NS0_8equal_toIS6_EEEE10hipError_tPvRmT2_T3_mT4_T5_T6_T7_T8_P12ihipStream_tbENKUlT_T0_E_clISt17integral_constantIbLb1EES11_EEDaSW_SX_EUlSW_E_NS1_11comp_targetILNS1_3genE0ELNS1_11target_archE4294967295ELNS1_3gpuE0ELNS1_3repE0EEENS1_30default_config_static_selectorELNS0_4arch9wavefront6targetE1EEEvT1_.kd
    .uniform_work_group_size: 1
    .uses_dynamic_stack: false
    .vgpr_count:     0
    .vgpr_spill_count: 0
    .wavefront_size: 64
  - .agpr_count:     0
    .args:
      - .offset:         0
        .size:           128
        .value_kind:     by_value
    .group_segment_fixed_size: 0
    .kernarg_segment_align: 8
    .kernarg_segment_size: 128
    .language:       OpenCL C
    .language_version:
      - 2
      - 0
    .max_flat_workgroup_size: 256
    .name:           _ZN7rocprim17ROCPRIM_400000_NS6detail17trampoline_kernelINS0_14default_configENS1_33run_length_encode_config_selectorIN3c104HalfEjNS0_4plusIjEEEEZZNS1_33reduce_by_key_impl_wrapped_configILNS1_25lookback_scan_determinismE0ES3_S9_PKS6_NS0_17constant_iteratorIjlEEPS6_PlSH_S8_NS0_8equal_toIS6_EEEE10hipError_tPvRmT2_T3_mT4_T5_T6_T7_T8_P12ihipStream_tbENKUlT_T0_E_clISt17integral_constantIbLb1EES11_EEDaSW_SX_EUlSW_E_NS1_11comp_targetILNS1_3genE5ELNS1_11target_archE942ELNS1_3gpuE9ELNS1_3repE0EEENS1_30default_config_static_selectorELNS0_4arch9wavefront6targetE1EEEvT1_
    .private_segment_fixed_size: 0
    .sgpr_count:     4
    .sgpr_spill_count: 0
    .symbol:         _ZN7rocprim17ROCPRIM_400000_NS6detail17trampoline_kernelINS0_14default_configENS1_33run_length_encode_config_selectorIN3c104HalfEjNS0_4plusIjEEEEZZNS1_33reduce_by_key_impl_wrapped_configILNS1_25lookback_scan_determinismE0ES3_S9_PKS6_NS0_17constant_iteratorIjlEEPS6_PlSH_S8_NS0_8equal_toIS6_EEEE10hipError_tPvRmT2_T3_mT4_T5_T6_T7_T8_P12ihipStream_tbENKUlT_T0_E_clISt17integral_constantIbLb1EES11_EEDaSW_SX_EUlSW_E_NS1_11comp_targetILNS1_3genE5ELNS1_11target_archE942ELNS1_3gpuE9ELNS1_3repE0EEENS1_30default_config_static_selectorELNS0_4arch9wavefront6targetE1EEEvT1_.kd
    .uniform_work_group_size: 1
    .uses_dynamic_stack: false
    .vgpr_count:     0
    .vgpr_spill_count: 0
    .wavefront_size: 64
  - .agpr_count:     0
    .args:
      - .offset:         0
        .size:           128
        .value_kind:     by_value
    .group_segment_fixed_size: 15360
    .kernarg_segment_align: 8
    .kernarg_segment_size: 128
    .language:       OpenCL C
    .language_version:
      - 2
      - 0
    .max_flat_workgroup_size: 256
    .name:           _ZN7rocprim17ROCPRIM_400000_NS6detail17trampoline_kernelINS0_14default_configENS1_33run_length_encode_config_selectorIN3c104HalfEjNS0_4plusIjEEEEZZNS1_33reduce_by_key_impl_wrapped_configILNS1_25lookback_scan_determinismE0ES3_S9_PKS6_NS0_17constant_iteratorIjlEEPS6_PlSH_S8_NS0_8equal_toIS6_EEEE10hipError_tPvRmT2_T3_mT4_T5_T6_T7_T8_P12ihipStream_tbENKUlT_T0_E_clISt17integral_constantIbLb1EES11_EEDaSW_SX_EUlSW_E_NS1_11comp_targetILNS1_3genE4ELNS1_11target_archE910ELNS1_3gpuE8ELNS1_3repE0EEENS1_30default_config_static_selectorELNS0_4arch9wavefront6targetE1EEEvT1_
    .private_segment_fixed_size: 0
    .sgpr_count:     70
    .sgpr_spill_count: 0
    .symbol:         _ZN7rocprim17ROCPRIM_400000_NS6detail17trampoline_kernelINS0_14default_configENS1_33run_length_encode_config_selectorIN3c104HalfEjNS0_4plusIjEEEEZZNS1_33reduce_by_key_impl_wrapped_configILNS1_25lookback_scan_determinismE0ES3_S9_PKS6_NS0_17constant_iteratorIjlEEPS6_PlSH_S8_NS0_8equal_toIS6_EEEE10hipError_tPvRmT2_T3_mT4_T5_T6_T7_T8_P12ihipStream_tbENKUlT_T0_E_clISt17integral_constantIbLb1EES11_EEDaSW_SX_EUlSW_E_NS1_11comp_targetILNS1_3genE4ELNS1_11target_archE910ELNS1_3gpuE8ELNS1_3repE0EEENS1_30default_config_static_selectorELNS0_4arch9wavefront6targetE1EEEvT1_.kd
    .uniform_work_group_size: 1
    .uses_dynamic_stack: false
    .vgpr_count:     109
    .vgpr_spill_count: 0
    .wavefront_size: 64
  - .agpr_count:     0
    .args:
      - .offset:         0
        .size:           128
        .value_kind:     by_value
    .group_segment_fixed_size: 0
    .kernarg_segment_align: 8
    .kernarg_segment_size: 128
    .language:       OpenCL C
    .language_version:
      - 2
      - 0
    .max_flat_workgroup_size: 256
    .name:           _ZN7rocprim17ROCPRIM_400000_NS6detail17trampoline_kernelINS0_14default_configENS1_33run_length_encode_config_selectorIN3c104HalfEjNS0_4plusIjEEEEZZNS1_33reduce_by_key_impl_wrapped_configILNS1_25lookback_scan_determinismE0ES3_S9_PKS6_NS0_17constant_iteratorIjlEEPS6_PlSH_S8_NS0_8equal_toIS6_EEEE10hipError_tPvRmT2_T3_mT4_T5_T6_T7_T8_P12ihipStream_tbENKUlT_T0_E_clISt17integral_constantIbLb1EES11_EEDaSW_SX_EUlSW_E_NS1_11comp_targetILNS1_3genE3ELNS1_11target_archE908ELNS1_3gpuE7ELNS1_3repE0EEENS1_30default_config_static_selectorELNS0_4arch9wavefront6targetE1EEEvT1_
    .private_segment_fixed_size: 0
    .sgpr_count:     4
    .sgpr_spill_count: 0
    .symbol:         _ZN7rocprim17ROCPRIM_400000_NS6detail17trampoline_kernelINS0_14default_configENS1_33run_length_encode_config_selectorIN3c104HalfEjNS0_4plusIjEEEEZZNS1_33reduce_by_key_impl_wrapped_configILNS1_25lookback_scan_determinismE0ES3_S9_PKS6_NS0_17constant_iteratorIjlEEPS6_PlSH_S8_NS0_8equal_toIS6_EEEE10hipError_tPvRmT2_T3_mT4_T5_T6_T7_T8_P12ihipStream_tbENKUlT_T0_E_clISt17integral_constantIbLb1EES11_EEDaSW_SX_EUlSW_E_NS1_11comp_targetILNS1_3genE3ELNS1_11target_archE908ELNS1_3gpuE7ELNS1_3repE0EEENS1_30default_config_static_selectorELNS0_4arch9wavefront6targetE1EEEvT1_.kd
    .uniform_work_group_size: 1
    .uses_dynamic_stack: false
    .vgpr_count:     0
    .vgpr_spill_count: 0
    .wavefront_size: 64
  - .agpr_count:     0
    .args:
      - .offset:         0
        .size:           128
        .value_kind:     by_value
    .group_segment_fixed_size: 0
    .kernarg_segment_align: 8
    .kernarg_segment_size: 128
    .language:       OpenCL C
    .language_version:
      - 2
      - 0
    .max_flat_workgroup_size: 256
    .name:           _ZN7rocprim17ROCPRIM_400000_NS6detail17trampoline_kernelINS0_14default_configENS1_33run_length_encode_config_selectorIN3c104HalfEjNS0_4plusIjEEEEZZNS1_33reduce_by_key_impl_wrapped_configILNS1_25lookback_scan_determinismE0ES3_S9_PKS6_NS0_17constant_iteratorIjlEEPS6_PlSH_S8_NS0_8equal_toIS6_EEEE10hipError_tPvRmT2_T3_mT4_T5_T6_T7_T8_P12ihipStream_tbENKUlT_T0_E_clISt17integral_constantIbLb1EES11_EEDaSW_SX_EUlSW_E_NS1_11comp_targetILNS1_3genE2ELNS1_11target_archE906ELNS1_3gpuE6ELNS1_3repE0EEENS1_30default_config_static_selectorELNS0_4arch9wavefront6targetE1EEEvT1_
    .private_segment_fixed_size: 0
    .sgpr_count:     4
    .sgpr_spill_count: 0
    .symbol:         _ZN7rocprim17ROCPRIM_400000_NS6detail17trampoline_kernelINS0_14default_configENS1_33run_length_encode_config_selectorIN3c104HalfEjNS0_4plusIjEEEEZZNS1_33reduce_by_key_impl_wrapped_configILNS1_25lookback_scan_determinismE0ES3_S9_PKS6_NS0_17constant_iteratorIjlEEPS6_PlSH_S8_NS0_8equal_toIS6_EEEE10hipError_tPvRmT2_T3_mT4_T5_T6_T7_T8_P12ihipStream_tbENKUlT_T0_E_clISt17integral_constantIbLb1EES11_EEDaSW_SX_EUlSW_E_NS1_11comp_targetILNS1_3genE2ELNS1_11target_archE906ELNS1_3gpuE6ELNS1_3repE0EEENS1_30default_config_static_selectorELNS0_4arch9wavefront6targetE1EEEvT1_.kd
    .uniform_work_group_size: 1
    .uses_dynamic_stack: false
    .vgpr_count:     0
    .vgpr_spill_count: 0
    .wavefront_size: 64
  - .agpr_count:     0
    .args:
      - .offset:         0
        .size:           128
        .value_kind:     by_value
    .group_segment_fixed_size: 0
    .kernarg_segment_align: 8
    .kernarg_segment_size: 128
    .language:       OpenCL C
    .language_version:
      - 2
      - 0
    .max_flat_workgroup_size: 256
    .name:           _ZN7rocprim17ROCPRIM_400000_NS6detail17trampoline_kernelINS0_14default_configENS1_33run_length_encode_config_selectorIN3c104HalfEjNS0_4plusIjEEEEZZNS1_33reduce_by_key_impl_wrapped_configILNS1_25lookback_scan_determinismE0ES3_S9_PKS6_NS0_17constant_iteratorIjlEEPS6_PlSH_S8_NS0_8equal_toIS6_EEEE10hipError_tPvRmT2_T3_mT4_T5_T6_T7_T8_P12ihipStream_tbENKUlT_T0_E_clISt17integral_constantIbLb1EES11_EEDaSW_SX_EUlSW_E_NS1_11comp_targetILNS1_3genE10ELNS1_11target_archE1201ELNS1_3gpuE5ELNS1_3repE0EEENS1_30default_config_static_selectorELNS0_4arch9wavefront6targetE1EEEvT1_
    .private_segment_fixed_size: 0
    .sgpr_count:     4
    .sgpr_spill_count: 0
    .symbol:         _ZN7rocprim17ROCPRIM_400000_NS6detail17trampoline_kernelINS0_14default_configENS1_33run_length_encode_config_selectorIN3c104HalfEjNS0_4plusIjEEEEZZNS1_33reduce_by_key_impl_wrapped_configILNS1_25lookback_scan_determinismE0ES3_S9_PKS6_NS0_17constant_iteratorIjlEEPS6_PlSH_S8_NS0_8equal_toIS6_EEEE10hipError_tPvRmT2_T3_mT4_T5_T6_T7_T8_P12ihipStream_tbENKUlT_T0_E_clISt17integral_constantIbLb1EES11_EEDaSW_SX_EUlSW_E_NS1_11comp_targetILNS1_3genE10ELNS1_11target_archE1201ELNS1_3gpuE5ELNS1_3repE0EEENS1_30default_config_static_selectorELNS0_4arch9wavefront6targetE1EEEvT1_.kd
    .uniform_work_group_size: 1
    .uses_dynamic_stack: false
    .vgpr_count:     0
    .vgpr_spill_count: 0
    .wavefront_size: 64
  - .agpr_count:     0
    .args:
      - .offset:         0
        .size:           128
        .value_kind:     by_value
    .group_segment_fixed_size: 0
    .kernarg_segment_align: 8
    .kernarg_segment_size: 128
    .language:       OpenCL C
    .language_version:
      - 2
      - 0
    .max_flat_workgroup_size: 256
    .name:           _ZN7rocprim17ROCPRIM_400000_NS6detail17trampoline_kernelINS0_14default_configENS1_33run_length_encode_config_selectorIN3c104HalfEjNS0_4plusIjEEEEZZNS1_33reduce_by_key_impl_wrapped_configILNS1_25lookback_scan_determinismE0ES3_S9_PKS6_NS0_17constant_iteratorIjlEEPS6_PlSH_S8_NS0_8equal_toIS6_EEEE10hipError_tPvRmT2_T3_mT4_T5_T6_T7_T8_P12ihipStream_tbENKUlT_T0_E_clISt17integral_constantIbLb1EES11_EEDaSW_SX_EUlSW_E_NS1_11comp_targetILNS1_3genE10ELNS1_11target_archE1200ELNS1_3gpuE4ELNS1_3repE0EEENS1_30default_config_static_selectorELNS0_4arch9wavefront6targetE1EEEvT1_
    .private_segment_fixed_size: 0
    .sgpr_count:     4
    .sgpr_spill_count: 0
    .symbol:         _ZN7rocprim17ROCPRIM_400000_NS6detail17trampoline_kernelINS0_14default_configENS1_33run_length_encode_config_selectorIN3c104HalfEjNS0_4plusIjEEEEZZNS1_33reduce_by_key_impl_wrapped_configILNS1_25lookback_scan_determinismE0ES3_S9_PKS6_NS0_17constant_iteratorIjlEEPS6_PlSH_S8_NS0_8equal_toIS6_EEEE10hipError_tPvRmT2_T3_mT4_T5_T6_T7_T8_P12ihipStream_tbENKUlT_T0_E_clISt17integral_constantIbLb1EES11_EEDaSW_SX_EUlSW_E_NS1_11comp_targetILNS1_3genE10ELNS1_11target_archE1200ELNS1_3gpuE4ELNS1_3repE0EEENS1_30default_config_static_selectorELNS0_4arch9wavefront6targetE1EEEvT1_.kd
    .uniform_work_group_size: 1
    .uses_dynamic_stack: false
    .vgpr_count:     0
    .vgpr_spill_count: 0
    .wavefront_size: 64
  - .agpr_count:     0
    .args:
      - .offset:         0
        .size:           128
        .value_kind:     by_value
    .group_segment_fixed_size: 0
    .kernarg_segment_align: 8
    .kernarg_segment_size: 128
    .language:       OpenCL C
    .language_version:
      - 2
      - 0
    .max_flat_workgroup_size: 256
    .name:           _ZN7rocprim17ROCPRIM_400000_NS6detail17trampoline_kernelINS0_14default_configENS1_33run_length_encode_config_selectorIN3c104HalfEjNS0_4plusIjEEEEZZNS1_33reduce_by_key_impl_wrapped_configILNS1_25lookback_scan_determinismE0ES3_S9_PKS6_NS0_17constant_iteratorIjlEEPS6_PlSH_S8_NS0_8equal_toIS6_EEEE10hipError_tPvRmT2_T3_mT4_T5_T6_T7_T8_P12ihipStream_tbENKUlT_T0_E_clISt17integral_constantIbLb1EES11_EEDaSW_SX_EUlSW_E_NS1_11comp_targetILNS1_3genE9ELNS1_11target_archE1100ELNS1_3gpuE3ELNS1_3repE0EEENS1_30default_config_static_selectorELNS0_4arch9wavefront6targetE1EEEvT1_
    .private_segment_fixed_size: 0
    .sgpr_count:     4
    .sgpr_spill_count: 0
    .symbol:         _ZN7rocprim17ROCPRIM_400000_NS6detail17trampoline_kernelINS0_14default_configENS1_33run_length_encode_config_selectorIN3c104HalfEjNS0_4plusIjEEEEZZNS1_33reduce_by_key_impl_wrapped_configILNS1_25lookback_scan_determinismE0ES3_S9_PKS6_NS0_17constant_iteratorIjlEEPS6_PlSH_S8_NS0_8equal_toIS6_EEEE10hipError_tPvRmT2_T3_mT4_T5_T6_T7_T8_P12ihipStream_tbENKUlT_T0_E_clISt17integral_constantIbLb1EES11_EEDaSW_SX_EUlSW_E_NS1_11comp_targetILNS1_3genE9ELNS1_11target_archE1100ELNS1_3gpuE3ELNS1_3repE0EEENS1_30default_config_static_selectorELNS0_4arch9wavefront6targetE1EEEvT1_.kd
    .uniform_work_group_size: 1
    .uses_dynamic_stack: false
    .vgpr_count:     0
    .vgpr_spill_count: 0
    .wavefront_size: 64
  - .agpr_count:     0
    .args:
      - .offset:         0
        .size:           128
        .value_kind:     by_value
    .group_segment_fixed_size: 0
    .kernarg_segment_align: 8
    .kernarg_segment_size: 128
    .language:       OpenCL C
    .language_version:
      - 2
      - 0
    .max_flat_workgroup_size: 256
    .name:           _ZN7rocprim17ROCPRIM_400000_NS6detail17trampoline_kernelINS0_14default_configENS1_33run_length_encode_config_selectorIN3c104HalfEjNS0_4plusIjEEEEZZNS1_33reduce_by_key_impl_wrapped_configILNS1_25lookback_scan_determinismE0ES3_S9_PKS6_NS0_17constant_iteratorIjlEEPS6_PlSH_S8_NS0_8equal_toIS6_EEEE10hipError_tPvRmT2_T3_mT4_T5_T6_T7_T8_P12ihipStream_tbENKUlT_T0_E_clISt17integral_constantIbLb1EES11_EEDaSW_SX_EUlSW_E_NS1_11comp_targetILNS1_3genE8ELNS1_11target_archE1030ELNS1_3gpuE2ELNS1_3repE0EEENS1_30default_config_static_selectorELNS0_4arch9wavefront6targetE1EEEvT1_
    .private_segment_fixed_size: 0
    .sgpr_count:     4
    .sgpr_spill_count: 0
    .symbol:         _ZN7rocprim17ROCPRIM_400000_NS6detail17trampoline_kernelINS0_14default_configENS1_33run_length_encode_config_selectorIN3c104HalfEjNS0_4plusIjEEEEZZNS1_33reduce_by_key_impl_wrapped_configILNS1_25lookback_scan_determinismE0ES3_S9_PKS6_NS0_17constant_iteratorIjlEEPS6_PlSH_S8_NS0_8equal_toIS6_EEEE10hipError_tPvRmT2_T3_mT4_T5_T6_T7_T8_P12ihipStream_tbENKUlT_T0_E_clISt17integral_constantIbLb1EES11_EEDaSW_SX_EUlSW_E_NS1_11comp_targetILNS1_3genE8ELNS1_11target_archE1030ELNS1_3gpuE2ELNS1_3repE0EEENS1_30default_config_static_selectorELNS0_4arch9wavefront6targetE1EEEvT1_.kd
    .uniform_work_group_size: 1
    .uses_dynamic_stack: false
    .vgpr_count:     0
    .vgpr_spill_count: 0
    .wavefront_size: 64
  - .agpr_count:     0
    .args:
      - .offset:         0
        .size:           128
        .value_kind:     by_value
    .group_segment_fixed_size: 0
    .kernarg_segment_align: 8
    .kernarg_segment_size: 128
    .language:       OpenCL C
    .language_version:
      - 2
      - 0
    .max_flat_workgroup_size: 256
    .name:           _ZN7rocprim17ROCPRIM_400000_NS6detail17trampoline_kernelINS0_14default_configENS1_33run_length_encode_config_selectorIN3c104HalfEjNS0_4plusIjEEEEZZNS1_33reduce_by_key_impl_wrapped_configILNS1_25lookback_scan_determinismE0ES3_S9_PKS6_NS0_17constant_iteratorIjlEEPS6_PlSH_S8_NS0_8equal_toIS6_EEEE10hipError_tPvRmT2_T3_mT4_T5_T6_T7_T8_P12ihipStream_tbENKUlT_T0_E_clISt17integral_constantIbLb1EES10_IbLb0EEEEDaSW_SX_EUlSW_E_NS1_11comp_targetILNS1_3genE0ELNS1_11target_archE4294967295ELNS1_3gpuE0ELNS1_3repE0EEENS1_30default_config_static_selectorELNS0_4arch9wavefront6targetE1EEEvT1_
    .private_segment_fixed_size: 0
    .sgpr_count:     4
    .sgpr_spill_count: 0
    .symbol:         _ZN7rocprim17ROCPRIM_400000_NS6detail17trampoline_kernelINS0_14default_configENS1_33run_length_encode_config_selectorIN3c104HalfEjNS0_4plusIjEEEEZZNS1_33reduce_by_key_impl_wrapped_configILNS1_25lookback_scan_determinismE0ES3_S9_PKS6_NS0_17constant_iteratorIjlEEPS6_PlSH_S8_NS0_8equal_toIS6_EEEE10hipError_tPvRmT2_T3_mT4_T5_T6_T7_T8_P12ihipStream_tbENKUlT_T0_E_clISt17integral_constantIbLb1EES10_IbLb0EEEEDaSW_SX_EUlSW_E_NS1_11comp_targetILNS1_3genE0ELNS1_11target_archE4294967295ELNS1_3gpuE0ELNS1_3repE0EEENS1_30default_config_static_selectorELNS0_4arch9wavefront6targetE1EEEvT1_.kd
    .uniform_work_group_size: 1
    .uses_dynamic_stack: false
    .vgpr_count:     0
    .vgpr_spill_count: 0
    .wavefront_size: 64
  - .agpr_count:     0
    .args:
      - .offset:         0
        .size:           128
        .value_kind:     by_value
    .group_segment_fixed_size: 0
    .kernarg_segment_align: 8
    .kernarg_segment_size: 128
    .language:       OpenCL C
    .language_version:
      - 2
      - 0
    .max_flat_workgroup_size: 256
    .name:           _ZN7rocprim17ROCPRIM_400000_NS6detail17trampoline_kernelINS0_14default_configENS1_33run_length_encode_config_selectorIN3c104HalfEjNS0_4plusIjEEEEZZNS1_33reduce_by_key_impl_wrapped_configILNS1_25lookback_scan_determinismE0ES3_S9_PKS6_NS0_17constant_iteratorIjlEEPS6_PlSH_S8_NS0_8equal_toIS6_EEEE10hipError_tPvRmT2_T3_mT4_T5_T6_T7_T8_P12ihipStream_tbENKUlT_T0_E_clISt17integral_constantIbLb1EES10_IbLb0EEEEDaSW_SX_EUlSW_E_NS1_11comp_targetILNS1_3genE5ELNS1_11target_archE942ELNS1_3gpuE9ELNS1_3repE0EEENS1_30default_config_static_selectorELNS0_4arch9wavefront6targetE1EEEvT1_
    .private_segment_fixed_size: 0
    .sgpr_count:     4
    .sgpr_spill_count: 0
    .symbol:         _ZN7rocprim17ROCPRIM_400000_NS6detail17trampoline_kernelINS0_14default_configENS1_33run_length_encode_config_selectorIN3c104HalfEjNS0_4plusIjEEEEZZNS1_33reduce_by_key_impl_wrapped_configILNS1_25lookback_scan_determinismE0ES3_S9_PKS6_NS0_17constant_iteratorIjlEEPS6_PlSH_S8_NS0_8equal_toIS6_EEEE10hipError_tPvRmT2_T3_mT4_T5_T6_T7_T8_P12ihipStream_tbENKUlT_T0_E_clISt17integral_constantIbLb1EES10_IbLb0EEEEDaSW_SX_EUlSW_E_NS1_11comp_targetILNS1_3genE5ELNS1_11target_archE942ELNS1_3gpuE9ELNS1_3repE0EEENS1_30default_config_static_selectorELNS0_4arch9wavefront6targetE1EEEvT1_.kd
    .uniform_work_group_size: 1
    .uses_dynamic_stack: false
    .vgpr_count:     0
    .vgpr_spill_count: 0
    .wavefront_size: 64
  - .agpr_count:     0
    .args:
      - .offset:         0
        .size:           128
        .value_kind:     by_value
    .group_segment_fixed_size: 15360
    .kernarg_segment_align: 8
    .kernarg_segment_size: 128
    .language:       OpenCL C
    .language_version:
      - 2
      - 0
    .max_flat_workgroup_size: 256
    .name:           _ZN7rocprim17ROCPRIM_400000_NS6detail17trampoline_kernelINS0_14default_configENS1_33run_length_encode_config_selectorIN3c104HalfEjNS0_4plusIjEEEEZZNS1_33reduce_by_key_impl_wrapped_configILNS1_25lookback_scan_determinismE0ES3_S9_PKS6_NS0_17constant_iteratorIjlEEPS6_PlSH_S8_NS0_8equal_toIS6_EEEE10hipError_tPvRmT2_T3_mT4_T5_T6_T7_T8_P12ihipStream_tbENKUlT_T0_E_clISt17integral_constantIbLb1EES10_IbLb0EEEEDaSW_SX_EUlSW_E_NS1_11comp_targetILNS1_3genE4ELNS1_11target_archE910ELNS1_3gpuE8ELNS1_3repE0EEENS1_30default_config_static_selectorELNS0_4arch9wavefront6targetE1EEEvT1_
    .private_segment_fixed_size: 0
    .sgpr_count:     68
    .sgpr_spill_count: 0
    .symbol:         _ZN7rocprim17ROCPRIM_400000_NS6detail17trampoline_kernelINS0_14default_configENS1_33run_length_encode_config_selectorIN3c104HalfEjNS0_4plusIjEEEEZZNS1_33reduce_by_key_impl_wrapped_configILNS1_25lookback_scan_determinismE0ES3_S9_PKS6_NS0_17constant_iteratorIjlEEPS6_PlSH_S8_NS0_8equal_toIS6_EEEE10hipError_tPvRmT2_T3_mT4_T5_T6_T7_T8_P12ihipStream_tbENKUlT_T0_E_clISt17integral_constantIbLb1EES10_IbLb0EEEEDaSW_SX_EUlSW_E_NS1_11comp_targetILNS1_3genE4ELNS1_11target_archE910ELNS1_3gpuE8ELNS1_3repE0EEENS1_30default_config_static_selectorELNS0_4arch9wavefront6targetE1EEEvT1_.kd
    .uniform_work_group_size: 1
    .uses_dynamic_stack: false
    .vgpr_count:     109
    .vgpr_spill_count: 0
    .wavefront_size: 64
  - .agpr_count:     0
    .args:
      - .offset:         0
        .size:           128
        .value_kind:     by_value
    .group_segment_fixed_size: 0
    .kernarg_segment_align: 8
    .kernarg_segment_size: 128
    .language:       OpenCL C
    .language_version:
      - 2
      - 0
    .max_flat_workgroup_size: 256
    .name:           _ZN7rocprim17ROCPRIM_400000_NS6detail17trampoline_kernelINS0_14default_configENS1_33run_length_encode_config_selectorIN3c104HalfEjNS0_4plusIjEEEEZZNS1_33reduce_by_key_impl_wrapped_configILNS1_25lookback_scan_determinismE0ES3_S9_PKS6_NS0_17constant_iteratorIjlEEPS6_PlSH_S8_NS0_8equal_toIS6_EEEE10hipError_tPvRmT2_T3_mT4_T5_T6_T7_T8_P12ihipStream_tbENKUlT_T0_E_clISt17integral_constantIbLb1EES10_IbLb0EEEEDaSW_SX_EUlSW_E_NS1_11comp_targetILNS1_3genE3ELNS1_11target_archE908ELNS1_3gpuE7ELNS1_3repE0EEENS1_30default_config_static_selectorELNS0_4arch9wavefront6targetE1EEEvT1_
    .private_segment_fixed_size: 0
    .sgpr_count:     4
    .sgpr_spill_count: 0
    .symbol:         _ZN7rocprim17ROCPRIM_400000_NS6detail17trampoline_kernelINS0_14default_configENS1_33run_length_encode_config_selectorIN3c104HalfEjNS0_4plusIjEEEEZZNS1_33reduce_by_key_impl_wrapped_configILNS1_25lookback_scan_determinismE0ES3_S9_PKS6_NS0_17constant_iteratorIjlEEPS6_PlSH_S8_NS0_8equal_toIS6_EEEE10hipError_tPvRmT2_T3_mT4_T5_T6_T7_T8_P12ihipStream_tbENKUlT_T0_E_clISt17integral_constantIbLb1EES10_IbLb0EEEEDaSW_SX_EUlSW_E_NS1_11comp_targetILNS1_3genE3ELNS1_11target_archE908ELNS1_3gpuE7ELNS1_3repE0EEENS1_30default_config_static_selectorELNS0_4arch9wavefront6targetE1EEEvT1_.kd
    .uniform_work_group_size: 1
    .uses_dynamic_stack: false
    .vgpr_count:     0
    .vgpr_spill_count: 0
    .wavefront_size: 64
  - .agpr_count:     0
    .args:
      - .offset:         0
        .size:           128
        .value_kind:     by_value
    .group_segment_fixed_size: 0
    .kernarg_segment_align: 8
    .kernarg_segment_size: 128
    .language:       OpenCL C
    .language_version:
      - 2
      - 0
    .max_flat_workgroup_size: 256
    .name:           _ZN7rocprim17ROCPRIM_400000_NS6detail17trampoline_kernelINS0_14default_configENS1_33run_length_encode_config_selectorIN3c104HalfEjNS0_4plusIjEEEEZZNS1_33reduce_by_key_impl_wrapped_configILNS1_25lookback_scan_determinismE0ES3_S9_PKS6_NS0_17constant_iteratorIjlEEPS6_PlSH_S8_NS0_8equal_toIS6_EEEE10hipError_tPvRmT2_T3_mT4_T5_T6_T7_T8_P12ihipStream_tbENKUlT_T0_E_clISt17integral_constantIbLb1EES10_IbLb0EEEEDaSW_SX_EUlSW_E_NS1_11comp_targetILNS1_3genE2ELNS1_11target_archE906ELNS1_3gpuE6ELNS1_3repE0EEENS1_30default_config_static_selectorELNS0_4arch9wavefront6targetE1EEEvT1_
    .private_segment_fixed_size: 0
    .sgpr_count:     4
    .sgpr_spill_count: 0
    .symbol:         _ZN7rocprim17ROCPRIM_400000_NS6detail17trampoline_kernelINS0_14default_configENS1_33run_length_encode_config_selectorIN3c104HalfEjNS0_4plusIjEEEEZZNS1_33reduce_by_key_impl_wrapped_configILNS1_25lookback_scan_determinismE0ES3_S9_PKS6_NS0_17constant_iteratorIjlEEPS6_PlSH_S8_NS0_8equal_toIS6_EEEE10hipError_tPvRmT2_T3_mT4_T5_T6_T7_T8_P12ihipStream_tbENKUlT_T0_E_clISt17integral_constantIbLb1EES10_IbLb0EEEEDaSW_SX_EUlSW_E_NS1_11comp_targetILNS1_3genE2ELNS1_11target_archE906ELNS1_3gpuE6ELNS1_3repE0EEENS1_30default_config_static_selectorELNS0_4arch9wavefront6targetE1EEEvT1_.kd
    .uniform_work_group_size: 1
    .uses_dynamic_stack: false
    .vgpr_count:     0
    .vgpr_spill_count: 0
    .wavefront_size: 64
  - .agpr_count:     0
    .args:
      - .offset:         0
        .size:           128
        .value_kind:     by_value
    .group_segment_fixed_size: 0
    .kernarg_segment_align: 8
    .kernarg_segment_size: 128
    .language:       OpenCL C
    .language_version:
      - 2
      - 0
    .max_flat_workgroup_size: 256
    .name:           _ZN7rocprim17ROCPRIM_400000_NS6detail17trampoline_kernelINS0_14default_configENS1_33run_length_encode_config_selectorIN3c104HalfEjNS0_4plusIjEEEEZZNS1_33reduce_by_key_impl_wrapped_configILNS1_25lookback_scan_determinismE0ES3_S9_PKS6_NS0_17constant_iteratorIjlEEPS6_PlSH_S8_NS0_8equal_toIS6_EEEE10hipError_tPvRmT2_T3_mT4_T5_T6_T7_T8_P12ihipStream_tbENKUlT_T0_E_clISt17integral_constantIbLb1EES10_IbLb0EEEEDaSW_SX_EUlSW_E_NS1_11comp_targetILNS1_3genE10ELNS1_11target_archE1201ELNS1_3gpuE5ELNS1_3repE0EEENS1_30default_config_static_selectorELNS0_4arch9wavefront6targetE1EEEvT1_
    .private_segment_fixed_size: 0
    .sgpr_count:     4
    .sgpr_spill_count: 0
    .symbol:         _ZN7rocprim17ROCPRIM_400000_NS6detail17trampoline_kernelINS0_14default_configENS1_33run_length_encode_config_selectorIN3c104HalfEjNS0_4plusIjEEEEZZNS1_33reduce_by_key_impl_wrapped_configILNS1_25lookback_scan_determinismE0ES3_S9_PKS6_NS0_17constant_iteratorIjlEEPS6_PlSH_S8_NS0_8equal_toIS6_EEEE10hipError_tPvRmT2_T3_mT4_T5_T6_T7_T8_P12ihipStream_tbENKUlT_T0_E_clISt17integral_constantIbLb1EES10_IbLb0EEEEDaSW_SX_EUlSW_E_NS1_11comp_targetILNS1_3genE10ELNS1_11target_archE1201ELNS1_3gpuE5ELNS1_3repE0EEENS1_30default_config_static_selectorELNS0_4arch9wavefront6targetE1EEEvT1_.kd
    .uniform_work_group_size: 1
    .uses_dynamic_stack: false
    .vgpr_count:     0
    .vgpr_spill_count: 0
    .wavefront_size: 64
  - .agpr_count:     0
    .args:
      - .offset:         0
        .size:           128
        .value_kind:     by_value
    .group_segment_fixed_size: 0
    .kernarg_segment_align: 8
    .kernarg_segment_size: 128
    .language:       OpenCL C
    .language_version:
      - 2
      - 0
    .max_flat_workgroup_size: 256
    .name:           _ZN7rocprim17ROCPRIM_400000_NS6detail17trampoline_kernelINS0_14default_configENS1_33run_length_encode_config_selectorIN3c104HalfEjNS0_4plusIjEEEEZZNS1_33reduce_by_key_impl_wrapped_configILNS1_25lookback_scan_determinismE0ES3_S9_PKS6_NS0_17constant_iteratorIjlEEPS6_PlSH_S8_NS0_8equal_toIS6_EEEE10hipError_tPvRmT2_T3_mT4_T5_T6_T7_T8_P12ihipStream_tbENKUlT_T0_E_clISt17integral_constantIbLb1EES10_IbLb0EEEEDaSW_SX_EUlSW_E_NS1_11comp_targetILNS1_3genE10ELNS1_11target_archE1200ELNS1_3gpuE4ELNS1_3repE0EEENS1_30default_config_static_selectorELNS0_4arch9wavefront6targetE1EEEvT1_
    .private_segment_fixed_size: 0
    .sgpr_count:     4
    .sgpr_spill_count: 0
    .symbol:         _ZN7rocprim17ROCPRIM_400000_NS6detail17trampoline_kernelINS0_14default_configENS1_33run_length_encode_config_selectorIN3c104HalfEjNS0_4plusIjEEEEZZNS1_33reduce_by_key_impl_wrapped_configILNS1_25lookback_scan_determinismE0ES3_S9_PKS6_NS0_17constant_iteratorIjlEEPS6_PlSH_S8_NS0_8equal_toIS6_EEEE10hipError_tPvRmT2_T3_mT4_T5_T6_T7_T8_P12ihipStream_tbENKUlT_T0_E_clISt17integral_constantIbLb1EES10_IbLb0EEEEDaSW_SX_EUlSW_E_NS1_11comp_targetILNS1_3genE10ELNS1_11target_archE1200ELNS1_3gpuE4ELNS1_3repE0EEENS1_30default_config_static_selectorELNS0_4arch9wavefront6targetE1EEEvT1_.kd
    .uniform_work_group_size: 1
    .uses_dynamic_stack: false
    .vgpr_count:     0
    .vgpr_spill_count: 0
    .wavefront_size: 64
  - .agpr_count:     0
    .args:
      - .offset:         0
        .size:           128
        .value_kind:     by_value
    .group_segment_fixed_size: 0
    .kernarg_segment_align: 8
    .kernarg_segment_size: 128
    .language:       OpenCL C
    .language_version:
      - 2
      - 0
    .max_flat_workgroup_size: 256
    .name:           _ZN7rocprim17ROCPRIM_400000_NS6detail17trampoline_kernelINS0_14default_configENS1_33run_length_encode_config_selectorIN3c104HalfEjNS0_4plusIjEEEEZZNS1_33reduce_by_key_impl_wrapped_configILNS1_25lookback_scan_determinismE0ES3_S9_PKS6_NS0_17constant_iteratorIjlEEPS6_PlSH_S8_NS0_8equal_toIS6_EEEE10hipError_tPvRmT2_T3_mT4_T5_T6_T7_T8_P12ihipStream_tbENKUlT_T0_E_clISt17integral_constantIbLb1EES10_IbLb0EEEEDaSW_SX_EUlSW_E_NS1_11comp_targetILNS1_3genE9ELNS1_11target_archE1100ELNS1_3gpuE3ELNS1_3repE0EEENS1_30default_config_static_selectorELNS0_4arch9wavefront6targetE1EEEvT1_
    .private_segment_fixed_size: 0
    .sgpr_count:     4
    .sgpr_spill_count: 0
    .symbol:         _ZN7rocprim17ROCPRIM_400000_NS6detail17trampoline_kernelINS0_14default_configENS1_33run_length_encode_config_selectorIN3c104HalfEjNS0_4plusIjEEEEZZNS1_33reduce_by_key_impl_wrapped_configILNS1_25lookback_scan_determinismE0ES3_S9_PKS6_NS0_17constant_iteratorIjlEEPS6_PlSH_S8_NS0_8equal_toIS6_EEEE10hipError_tPvRmT2_T3_mT4_T5_T6_T7_T8_P12ihipStream_tbENKUlT_T0_E_clISt17integral_constantIbLb1EES10_IbLb0EEEEDaSW_SX_EUlSW_E_NS1_11comp_targetILNS1_3genE9ELNS1_11target_archE1100ELNS1_3gpuE3ELNS1_3repE0EEENS1_30default_config_static_selectorELNS0_4arch9wavefront6targetE1EEEvT1_.kd
    .uniform_work_group_size: 1
    .uses_dynamic_stack: false
    .vgpr_count:     0
    .vgpr_spill_count: 0
    .wavefront_size: 64
  - .agpr_count:     0
    .args:
      - .offset:         0
        .size:           128
        .value_kind:     by_value
    .group_segment_fixed_size: 0
    .kernarg_segment_align: 8
    .kernarg_segment_size: 128
    .language:       OpenCL C
    .language_version:
      - 2
      - 0
    .max_flat_workgroup_size: 256
    .name:           _ZN7rocprim17ROCPRIM_400000_NS6detail17trampoline_kernelINS0_14default_configENS1_33run_length_encode_config_selectorIN3c104HalfEjNS0_4plusIjEEEEZZNS1_33reduce_by_key_impl_wrapped_configILNS1_25lookback_scan_determinismE0ES3_S9_PKS6_NS0_17constant_iteratorIjlEEPS6_PlSH_S8_NS0_8equal_toIS6_EEEE10hipError_tPvRmT2_T3_mT4_T5_T6_T7_T8_P12ihipStream_tbENKUlT_T0_E_clISt17integral_constantIbLb1EES10_IbLb0EEEEDaSW_SX_EUlSW_E_NS1_11comp_targetILNS1_3genE8ELNS1_11target_archE1030ELNS1_3gpuE2ELNS1_3repE0EEENS1_30default_config_static_selectorELNS0_4arch9wavefront6targetE1EEEvT1_
    .private_segment_fixed_size: 0
    .sgpr_count:     4
    .sgpr_spill_count: 0
    .symbol:         _ZN7rocprim17ROCPRIM_400000_NS6detail17trampoline_kernelINS0_14default_configENS1_33run_length_encode_config_selectorIN3c104HalfEjNS0_4plusIjEEEEZZNS1_33reduce_by_key_impl_wrapped_configILNS1_25lookback_scan_determinismE0ES3_S9_PKS6_NS0_17constant_iteratorIjlEEPS6_PlSH_S8_NS0_8equal_toIS6_EEEE10hipError_tPvRmT2_T3_mT4_T5_T6_T7_T8_P12ihipStream_tbENKUlT_T0_E_clISt17integral_constantIbLb1EES10_IbLb0EEEEDaSW_SX_EUlSW_E_NS1_11comp_targetILNS1_3genE8ELNS1_11target_archE1030ELNS1_3gpuE2ELNS1_3repE0EEENS1_30default_config_static_selectorELNS0_4arch9wavefront6targetE1EEEvT1_.kd
    .uniform_work_group_size: 1
    .uses_dynamic_stack: false
    .vgpr_count:     0
    .vgpr_spill_count: 0
    .wavefront_size: 64
  - .agpr_count:     0
    .args:
      - .offset:         0
        .size:           128
        .value_kind:     by_value
    .group_segment_fixed_size: 0
    .kernarg_segment_align: 8
    .kernarg_segment_size: 128
    .language:       OpenCL C
    .language_version:
      - 2
      - 0
    .max_flat_workgroup_size: 256
    .name:           _ZN7rocprim17ROCPRIM_400000_NS6detail17trampoline_kernelINS0_14default_configENS1_33run_length_encode_config_selectorIN3c104HalfEjNS0_4plusIjEEEEZZNS1_33reduce_by_key_impl_wrapped_configILNS1_25lookback_scan_determinismE0ES3_S9_PKS6_NS0_17constant_iteratorIjlEEPS6_PlSH_S8_NS0_8equal_toIS6_EEEE10hipError_tPvRmT2_T3_mT4_T5_T6_T7_T8_P12ihipStream_tbENKUlT_T0_E_clISt17integral_constantIbLb0EES10_IbLb1EEEEDaSW_SX_EUlSW_E_NS1_11comp_targetILNS1_3genE0ELNS1_11target_archE4294967295ELNS1_3gpuE0ELNS1_3repE0EEENS1_30default_config_static_selectorELNS0_4arch9wavefront6targetE1EEEvT1_
    .private_segment_fixed_size: 0
    .sgpr_count:     4
    .sgpr_spill_count: 0
    .symbol:         _ZN7rocprim17ROCPRIM_400000_NS6detail17trampoline_kernelINS0_14default_configENS1_33run_length_encode_config_selectorIN3c104HalfEjNS0_4plusIjEEEEZZNS1_33reduce_by_key_impl_wrapped_configILNS1_25lookback_scan_determinismE0ES3_S9_PKS6_NS0_17constant_iteratorIjlEEPS6_PlSH_S8_NS0_8equal_toIS6_EEEE10hipError_tPvRmT2_T3_mT4_T5_T6_T7_T8_P12ihipStream_tbENKUlT_T0_E_clISt17integral_constantIbLb0EES10_IbLb1EEEEDaSW_SX_EUlSW_E_NS1_11comp_targetILNS1_3genE0ELNS1_11target_archE4294967295ELNS1_3gpuE0ELNS1_3repE0EEENS1_30default_config_static_selectorELNS0_4arch9wavefront6targetE1EEEvT1_.kd
    .uniform_work_group_size: 1
    .uses_dynamic_stack: false
    .vgpr_count:     0
    .vgpr_spill_count: 0
    .wavefront_size: 64
  - .agpr_count:     0
    .args:
      - .offset:         0
        .size:           128
        .value_kind:     by_value
    .group_segment_fixed_size: 0
    .kernarg_segment_align: 8
    .kernarg_segment_size: 128
    .language:       OpenCL C
    .language_version:
      - 2
      - 0
    .max_flat_workgroup_size: 256
    .name:           _ZN7rocprim17ROCPRIM_400000_NS6detail17trampoline_kernelINS0_14default_configENS1_33run_length_encode_config_selectorIN3c104HalfEjNS0_4plusIjEEEEZZNS1_33reduce_by_key_impl_wrapped_configILNS1_25lookback_scan_determinismE0ES3_S9_PKS6_NS0_17constant_iteratorIjlEEPS6_PlSH_S8_NS0_8equal_toIS6_EEEE10hipError_tPvRmT2_T3_mT4_T5_T6_T7_T8_P12ihipStream_tbENKUlT_T0_E_clISt17integral_constantIbLb0EES10_IbLb1EEEEDaSW_SX_EUlSW_E_NS1_11comp_targetILNS1_3genE5ELNS1_11target_archE942ELNS1_3gpuE9ELNS1_3repE0EEENS1_30default_config_static_selectorELNS0_4arch9wavefront6targetE1EEEvT1_
    .private_segment_fixed_size: 0
    .sgpr_count:     4
    .sgpr_spill_count: 0
    .symbol:         _ZN7rocprim17ROCPRIM_400000_NS6detail17trampoline_kernelINS0_14default_configENS1_33run_length_encode_config_selectorIN3c104HalfEjNS0_4plusIjEEEEZZNS1_33reduce_by_key_impl_wrapped_configILNS1_25lookback_scan_determinismE0ES3_S9_PKS6_NS0_17constant_iteratorIjlEEPS6_PlSH_S8_NS0_8equal_toIS6_EEEE10hipError_tPvRmT2_T3_mT4_T5_T6_T7_T8_P12ihipStream_tbENKUlT_T0_E_clISt17integral_constantIbLb0EES10_IbLb1EEEEDaSW_SX_EUlSW_E_NS1_11comp_targetILNS1_3genE5ELNS1_11target_archE942ELNS1_3gpuE9ELNS1_3repE0EEENS1_30default_config_static_selectorELNS0_4arch9wavefront6targetE1EEEvT1_.kd
    .uniform_work_group_size: 1
    .uses_dynamic_stack: false
    .vgpr_count:     0
    .vgpr_spill_count: 0
    .wavefront_size: 64
  - .agpr_count:     0
    .args:
      - .offset:         0
        .size:           128
        .value_kind:     by_value
    .group_segment_fixed_size: 15360
    .kernarg_segment_align: 8
    .kernarg_segment_size: 128
    .language:       OpenCL C
    .language_version:
      - 2
      - 0
    .max_flat_workgroup_size: 256
    .name:           _ZN7rocprim17ROCPRIM_400000_NS6detail17trampoline_kernelINS0_14default_configENS1_33run_length_encode_config_selectorIN3c104HalfEjNS0_4plusIjEEEEZZNS1_33reduce_by_key_impl_wrapped_configILNS1_25lookback_scan_determinismE0ES3_S9_PKS6_NS0_17constant_iteratorIjlEEPS6_PlSH_S8_NS0_8equal_toIS6_EEEE10hipError_tPvRmT2_T3_mT4_T5_T6_T7_T8_P12ihipStream_tbENKUlT_T0_E_clISt17integral_constantIbLb0EES10_IbLb1EEEEDaSW_SX_EUlSW_E_NS1_11comp_targetILNS1_3genE4ELNS1_11target_archE910ELNS1_3gpuE8ELNS1_3repE0EEENS1_30default_config_static_selectorELNS0_4arch9wavefront6targetE1EEEvT1_
    .private_segment_fixed_size: 0
    .sgpr_count:     70
    .sgpr_spill_count: 0
    .symbol:         _ZN7rocprim17ROCPRIM_400000_NS6detail17trampoline_kernelINS0_14default_configENS1_33run_length_encode_config_selectorIN3c104HalfEjNS0_4plusIjEEEEZZNS1_33reduce_by_key_impl_wrapped_configILNS1_25lookback_scan_determinismE0ES3_S9_PKS6_NS0_17constant_iteratorIjlEEPS6_PlSH_S8_NS0_8equal_toIS6_EEEE10hipError_tPvRmT2_T3_mT4_T5_T6_T7_T8_P12ihipStream_tbENKUlT_T0_E_clISt17integral_constantIbLb0EES10_IbLb1EEEEDaSW_SX_EUlSW_E_NS1_11comp_targetILNS1_3genE4ELNS1_11target_archE910ELNS1_3gpuE8ELNS1_3repE0EEENS1_30default_config_static_selectorELNS0_4arch9wavefront6targetE1EEEvT1_.kd
    .uniform_work_group_size: 1
    .uses_dynamic_stack: false
    .vgpr_count:     109
    .vgpr_spill_count: 0
    .wavefront_size: 64
  - .agpr_count:     0
    .args:
      - .offset:         0
        .size:           128
        .value_kind:     by_value
    .group_segment_fixed_size: 0
    .kernarg_segment_align: 8
    .kernarg_segment_size: 128
    .language:       OpenCL C
    .language_version:
      - 2
      - 0
    .max_flat_workgroup_size: 256
    .name:           _ZN7rocprim17ROCPRIM_400000_NS6detail17trampoline_kernelINS0_14default_configENS1_33run_length_encode_config_selectorIN3c104HalfEjNS0_4plusIjEEEEZZNS1_33reduce_by_key_impl_wrapped_configILNS1_25lookback_scan_determinismE0ES3_S9_PKS6_NS0_17constant_iteratorIjlEEPS6_PlSH_S8_NS0_8equal_toIS6_EEEE10hipError_tPvRmT2_T3_mT4_T5_T6_T7_T8_P12ihipStream_tbENKUlT_T0_E_clISt17integral_constantIbLb0EES10_IbLb1EEEEDaSW_SX_EUlSW_E_NS1_11comp_targetILNS1_3genE3ELNS1_11target_archE908ELNS1_3gpuE7ELNS1_3repE0EEENS1_30default_config_static_selectorELNS0_4arch9wavefront6targetE1EEEvT1_
    .private_segment_fixed_size: 0
    .sgpr_count:     4
    .sgpr_spill_count: 0
    .symbol:         _ZN7rocprim17ROCPRIM_400000_NS6detail17trampoline_kernelINS0_14default_configENS1_33run_length_encode_config_selectorIN3c104HalfEjNS0_4plusIjEEEEZZNS1_33reduce_by_key_impl_wrapped_configILNS1_25lookback_scan_determinismE0ES3_S9_PKS6_NS0_17constant_iteratorIjlEEPS6_PlSH_S8_NS0_8equal_toIS6_EEEE10hipError_tPvRmT2_T3_mT4_T5_T6_T7_T8_P12ihipStream_tbENKUlT_T0_E_clISt17integral_constantIbLb0EES10_IbLb1EEEEDaSW_SX_EUlSW_E_NS1_11comp_targetILNS1_3genE3ELNS1_11target_archE908ELNS1_3gpuE7ELNS1_3repE0EEENS1_30default_config_static_selectorELNS0_4arch9wavefront6targetE1EEEvT1_.kd
    .uniform_work_group_size: 1
    .uses_dynamic_stack: false
    .vgpr_count:     0
    .vgpr_spill_count: 0
    .wavefront_size: 64
  - .agpr_count:     0
    .args:
      - .offset:         0
        .size:           128
        .value_kind:     by_value
    .group_segment_fixed_size: 0
    .kernarg_segment_align: 8
    .kernarg_segment_size: 128
    .language:       OpenCL C
    .language_version:
      - 2
      - 0
    .max_flat_workgroup_size: 256
    .name:           _ZN7rocprim17ROCPRIM_400000_NS6detail17trampoline_kernelINS0_14default_configENS1_33run_length_encode_config_selectorIN3c104HalfEjNS0_4plusIjEEEEZZNS1_33reduce_by_key_impl_wrapped_configILNS1_25lookback_scan_determinismE0ES3_S9_PKS6_NS0_17constant_iteratorIjlEEPS6_PlSH_S8_NS0_8equal_toIS6_EEEE10hipError_tPvRmT2_T3_mT4_T5_T6_T7_T8_P12ihipStream_tbENKUlT_T0_E_clISt17integral_constantIbLb0EES10_IbLb1EEEEDaSW_SX_EUlSW_E_NS1_11comp_targetILNS1_3genE2ELNS1_11target_archE906ELNS1_3gpuE6ELNS1_3repE0EEENS1_30default_config_static_selectorELNS0_4arch9wavefront6targetE1EEEvT1_
    .private_segment_fixed_size: 0
    .sgpr_count:     4
    .sgpr_spill_count: 0
    .symbol:         _ZN7rocprim17ROCPRIM_400000_NS6detail17trampoline_kernelINS0_14default_configENS1_33run_length_encode_config_selectorIN3c104HalfEjNS0_4plusIjEEEEZZNS1_33reduce_by_key_impl_wrapped_configILNS1_25lookback_scan_determinismE0ES3_S9_PKS6_NS0_17constant_iteratorIjlEEPS6_PlSH_S8_NS0_8equal_toIS6_EEEE10hipError_tPvRmT2_T3_mT4_T5_T6_T7_T8_P12ihipStream_tbENKUlT_T0_E_clISt17integral_constantIbLb0EES10_IbLb1EEEEDaSW_SX_EUlSW_E_NS1_11comp_targetILNS1_3genE2ELNS1_11target_archE906ELNS1_3gpuE6ELNS1_3repE0EEENS1_30default_config_static_selectorELNS0_4arch9wavefront6targetE1EEEvT1_.kd
    .uniform_work_group_size: 1
    .uses_dynamic_stack: false
    .vgpr_count:     0
    .vgpr_spill_count: 0
    .wavefront_size: 64
  - .agpr_count:     0
    .args:
      - .offset:         0
        .size:           128
        .value_kind:     by_value
    .group_segment_fixed_size: 0
    .kernarg_segment_align: 8
    .kernarg_segment_size: 128
    .language:       OpenCL C
    .language_version:
      - 2
      - 0
    .max_flat_workgroup_size: 256
    .name:           _ZN7rocprim17ROCPRIM_400000_NS6detail17trampoline_kernelINS0_14default_configENS1_33run_length_encode_config_selectorIN3c104HalfEjNS0_4plusIjEEEEZZNS1_33reduce_by_key_impl_wrapped_configILNS1_25lookback_scan_determinismE0ES3_S9_PKS6_NS0_17constant_iteratorIjlEEPS6_PlSH_S8_NS0_8equal_toIS6_EEEE10hipError_tPvRmT2_T3_mT4_T5_T6_T7_T8_P12ihipStream_tbENKUlT_T0_E_clISt17integral_constantIbLb0EES10_IbLb1EEEEDaSW_SX_EUlSW_E_NS1_11comp_targetILNS1_3genE10ELNS1_11target_archE1201ELNS1_3gpuE5ELNS1_3repE0EEENS1_30default_config_static_selectorELNS0_4arch9wavefront6targetE1EEEvT1_
    .private_segment_fixed_size: 0
    .sgpr_count:     4
    .sgpr_spill_count: 0
    .symbol:         _ZN7rocprim17ROCPRIM_400000_NS6detail17trampoline_kernelINS0_14default_configENS1_33run_length_encode_config_selectorIN3c104HalfEjNS0_4plusIjEEEEZZNS1_33reduce_by_key_impl_wrapped_configILNS1_25lookback_scan_determinismE0ES3_S9_PKS6_NS0_17constant_iteratorIjlEEPS6_PlSH_S8_NS0_8equal_toIS6_EEEE10hipError_tPvRmT2_T3_mT4_T5_T6_T7_T8_P12ihipStream_tbENKUlT_T0_E_clISt17integral_constantIbLb0EES10_IbLb1EEEEDaSW_SX_EUlSW_E_NS1_11comp_targetILNS1_3genE10ELNS1_11target_archE1201ELNS1_3gpuE5ELNS1_3repE0EEENS1_30default_config_static_selectorELNS0_4arch9wavefront6targetE1EEEvT1_.kd
    .uniform_work_group_size: 1
    .uses_dynamic_stack: false
    .vgpr_count:     0
    .vgpr_spill_count: 0
    .wavefront_size: 64
  - .agpr_count:     0
    .args:
      - .offset:         0
        .size:           128
        .value_kind:     by_value
    .group_segment_fixed_size: 0
    .kernarg_segment_align: 8
    .kernarg_segment_size: 128
    .language:       OpenCL C
    .language_version:
      - 2
      - 0
    .max_flat_workgroup_size: 256
    .name:           _ZN7rocprim17ROCPRIM_400000_NS6detail17trampoline_kernelINS0_14default_configENS1_33run_length_encode_config_selectorIN3c104HalfEjNS0_4plusIjEEEEZZNS1_33reduce_by_key_impl_wrapped_configILNS1_25lookback_scan_determinismE0ES3_S9_PKS6_NS0_17constant_iteratorIjlEEPS6_PlSH_S8_NS0_8equal_toIS6_EEEE10hipError_tPvRmT2_T3_mT4_T5_T6_T7_T8_P12ihipStream_tbENKUlT_T0_E_clISt17integral_constantIbLb0EES10_IbLb1EEEEDaSW_SX_EUlSW_E_NS1_11comp_targetILNS1_3genE10ELNS1_11target_archE1200ELNS1_3gpuE4ELNS1_3repE0EEENS1_30default_config_static_selectorELNS0_4arch9wavefront6targetE1EEEvT1_
    .private_segment_fixed_size: 0
    .sgpr_count:     4
    .sgpr_spill_count: 0
    .symbol:         _ZN7rocprim17ROCPRIM_400000_NS6detail17trampoline_kernelINS0_14default_configENS1_33run_length_encode_config_selectorIN3c104HalfEjNS0_4plusIjEEEEZZNS1_33reduce_by_key_impl_wrapped_configILNS1_25lookback_scan_determinismE0ES3_S9_PKS6_NS0_17constant_iteratorIjlEEPS6_PlSH_S8_NS0_8equal_toIS6_EEEE10hipError_tPvRmT2_T3_mT4_T5_T6_T7_T8_P12ihipStream_tbENKUlT_T0_E_clISt17integral_constantIbLb0EES10_IbLb1EEEEDaSW_SX_EUlSW_E_NS1_11comp_targetILNS1_3genE10ELNS1_11target_archE1200ELNS1_3gpuE4ELNS1_3repE0EEENS1_30default_config_static_selectorELNS0_4arch9wavefront6targetE1EEEvT1_.kd
    .uniform_work_group_size: 1
    .uses_dynamic_stack: false
    .vgpr_count:     0
    .vgpr_spill_count: 0
    .wavefront_size: 64
  - .agpr_count:     0
    .args:
      - .offset:         0
        .size:           128
        .value_kind:     by_value
    .group_segment_fixed_size: 0
    .kernarg_segment_align: 8
    .kernarg_segment_size: 128
    .language:       OpenCL C
    .language_version:
      - 2
      - 0
    .max_flat_workgroup_size: 256
    .name:           _ZN7rocprim17ROCPRIM_400000_NS6detail17trampoline_kernelINS0_14default_configENS1_33run_length_encode_config_selectorIN3c104HalfEjNS0_4plusIjEEEEZZNS1_33reduce_by_key_impl_wrapped_configILNS1_25lookback_scan_determinismE0ES3_S9_PKS6_NS0_17constant_iteratorIjlEEPS6_PlSH_S8_NS0_8equal_toIS6_EEEE10hipError_tPvRmT2_T3_mT4_T5_T6_T7_T8_P12ihipStream_tbENKUlT_T0_E_clISt17integral_constantIbLb0EES10_IbLb1EEEEDaSW_SX_EUlSW_E_NS1_11comp_targetILNS1_3genE9ELNS1_11target_archE1100ELNS1_3gpuE3ELNS1_3repE0EEENS1_30default_config_static_selectorELNS0_4arch9wavefront6targetE1EEEvT1_
    .private_segment_fixed_size: 0
    .sgpr_count:     4
    .sgpr_spill_count: 0
    .symbol:         _ZN7rocprim17ROCPRIM_400000_NS6detail17trampoline_kernelINS0_14default_configENS1_33run_length_encode_config_selectorIN3c104HalfEjNS0_4plusIjEEEEZZNS1_33reduce_by_key_impl_wrapped_configILNS1_25lookback_scan_determinismE0ES3_S9_PKS6_NS0_17constant_iteratorIjlEEPS6_PlSH_S8_NS0_8equal_toIS6_EEEE10hipError_tPvRmT2_T3_mT4_T5_T6_T7_T8_P12ihipStream_tbENKUlT_T0_E_clISt17integral_constantIbLb0EES10_IbLb1EEEEDaSW_SX_EUlSW_E_NS1_11comp_targetILNS1_3genE9ELNS1_11target_archE1100ELNS1_3gpuE3ELNS1_3repE0EEENS1_30default_config_static_selectorELNS0_4arch9wavefront6targetE1EEEvT1_.kd
    .uniform_work_group_size: 1
    .uses_dynamic_stack: false
    .vgpr_count:     0
    .vgpr_spill_count: 0
    .wavefront_size: 64
  - .agpr_count:     0
    .args:
      - .offset:         0
        .size:           128
        .value_kind:     by_value
    .group_segment_fixed_size: 0
    .kernarg_segment_align: 8
    .kernarg_segment_size: 128
    .language:       OpenCL C
    .language_version:
      - 2
      - 0
    .max_flat_workgroup_size: 256
    .name:           _ZN7rocprim17ROCPRIM_400000_NS6detail17trampoline_kernelINS0_14default_configENS1_33run_length_encode_config_selectorIN3c104HalfEjNS0_4plusIjEEEEZZNS1_33reduce_by_key_impl_wrapped_configILNS1_25lookback_scan_determinismE0ES3_S9_PKS6_NS0_17constant_iteratorIjlEEPS6_PlSH_S8_NS0_8equal_toIS6_EEEE10hipError_tPvRmT2_T3_mT4_T5_T6_T7_T8_P12ihipStream_tbENKUlT_T0_E_clISt17integral_constantIbLb0EES10_IbLb1EEEEDaSW_SX_EUlSW_E_NS1_11comp_targetILNS1_3genE8ELNS1_11target_archE1030ELNS1_3gpuE2ELNS1_3repE0EEENS1_30default_config_static_selectorELNS0_4arch9wavefront6targetE1EEEvT1_
    .private_segment_fixed_size: 0
    .sgpr_count:     4
    .sgpr_spill_count: 0
    .symbol:         _ZN7rocprim17ROCPRIM_400000_NS6detail17trampoline_kernelINS0_14default_configENS1_33run_length_encode_config_selectorIN3c104HalfEjNS0_4plusIjEEEEZZNS1_33reduce_by_key_impl_wrapped_configILNS1_25lookback_scan_determinismE0ES3_S9_PKS6_NS0_17constant_iteratorIjlEEPS6_PlSH_S8_NS0_8equal_toIS6_EEEE10hipError_tPvRmT2_T3_mT4_T5_T6_T7_T8_P12ihipStream_tbENKUlT_T0_E_clISt17integral_constantIbLb0EES10_IbLb1EEEEDaSW_SX_EUlSW_E_NS1_11comp_targetILNS1_3genE8ELNS1_11target_archE1030ELNS1_3gpuE2ELNS1_3repE0EEENS1_30default_config_static_selectorELNS0_4arch9wavefront6targetE1EEEvT1_.kd
    .uniform_work_group_size: 1
    .uses_dynamic_stack: false
    .vgpr_count:     0
    .vgpr_spill_count: 0
    .wavefront_size: 64
amdhsa.target:   amdgcn-amd-amdhsa--gfx90a
amdhsa.version:
  - 1
  - 2
...

	.end_amdgpu_metadata
